;; amdgpu-corpus repo=ROCm/rccl kind=compiled arch=gfx1250 opt=O3
	.amdgcn_target "amdgcn-amd-amdhsa--gfx1250"
	.amdhsa_code_object_version 6
	.text
	.p2align	2                               ; -- Begin function __ockl_fprintf_append_string_n
	.type	__ockl_fprintf_append_string_n,@function
__ockl_fprintf_append_string_n:         ; @__ockl_fprintf_append_string_n
; %bb.0:
	s_wait_loadcnt_dscnt 0x0
	s_wait_kmcnt 0x0
	v_or_b32_e32 v2, 2, v0
	v_cmp_eq_u32_e32 vcc_lo, 0, v6
	v_mbcnt_lo_u32_b32 v30, -1, 0
	s_get_pc_i64 s[0:1]
	s_add_nc_u64 s[0:1], s[0:1], .str.3@rel64+4
	s_mov_b32 s6, 0
	s_cmp_lg_u64 s[0:1], 0
	v_cndmask_b32_e32 v3, v2, v0, vcc_lo
	s_cbranch_scc0 .LBB0_113
; %bb.1:
	s_load_b64 s[2:3], s[8:9], 0x50
	s_delay_alu instid0(VALU_DEP_1) | instskip(SKIP_3) | instid1(VALU_DEP_4)
	v_dual_mov_b32 v7, 0 :: v_dual_bitop2_b32 v0, -3, v3 bitop3:0x40
	v_mov_b64_e32 v[8:9], 0x100000002
	v_mov_b64_e32 v[32:33], s[0:1]
	v_and_b32_e32 v2, 2, v3
	v_mov_b64_e32 v[10:11], v[0:1]
	s_mov_b32 s7, 0
	s_branch .LBB0_3
.LBB0_2:                                ;   in Loop: Header=BB0_3 Depth=1
	s_or_b32 exec_lo, exec_lo, s10
	v_sub_nc_u64_e32 v[4:5], v[4:5], v[34:35]
	v_add_nc_u64_e32 v[32:33], v[32:33], v[34:35]
	s_delay_alu instid0(VALU_DEP_2) | instskip(SKIP_1) | instid1(SALU_CYCLE_1)
	v_cmp_eq_u64_e32 vcc_lo, 0, v[4:5]
	s_or_b32 s7, vcc_lo, s7
	s_and_not1_b32 exec_lo, exec_lo, s7
	s_cbranch_execz .LBB0_85
.LBB0_3:                                ; =>This Loop Header: Depth=1
                                        ;     Child Loop BB0_6 Depth 2
                                        ;     Child Loop BB0_14 Depth 2
	;; [unrolled: 1-line block ×11, first 2 shown]
	v_min_u64 v[34:35], v[4:5], 56
	s_delay_alu instid0(VALU_DEP_3)
	v_add_nc_u64_e32 v[16:17], 8, v[32:33]
	s_mov_b32 s0, exec_lo
	v_cmpx_gt_u64_e32 8, v[4:5]
	s_xor_b32 s4, exec_lo, s0
	s_cbranch_execz .LBB0_9
; %bb.4:                                ;   in Loop: Header=BB0_3 Depth=1
	s_wait_loadcnt 0x0
	v_mov_b64_e32 v[12:13], 0
	s_mov_b32 s5, exec_lo
	v_cmpx_ne_u64_e32 0, v[4:5]
	s_cbranch_execz .LBB0_8
; %bb.5:                                ;   in Loop: Header=BB0_3 Depth=1
	v_mov_b64_e32 v[12:13], 0
	v_mov_b64_e32 v[14:15], v[32:33]
	v_lshlrev_b32_e32 v0, 3, v34
	s_mov_b64 s[0:1], 0
	s_mov_b32 s10, 0
.LBB0_6:                                ;   Parent Loop BB0_3 Depth=1
                                        ; =>  This Inner Loop Header: Depth=2
	global_load_u8 v6, v[14:15], off
	v_mov_b32_e32 v17, s6
	s_wait_xcnt 0x0
	v_add_nc_u64_e32 v[14:15], 1, v[14:15]
	s_wait_loadcnt 0x0
	v_and_b32_e32 v16, 0xffff, v6
	s_delay_alu instid0(VALU_DEP_1) | instskip(SKIP_1) | instid1(SALU_CYCLE_1)
	v_lshlrev_b64_e32 v[16:17], s0, v[16:17]
	s_add_nc_u64 s[0:1], s[0:1], 8
	v_cmp_eq_u32_e32 vcc_lo, s0, v0
	s_delay_alu instid0(VALU_DEP_2) | instskip(NEXT) | instid1(VALU_DEP_3)
	v_or_b32_e32 v13, v17, v13
	v_or_b32_e32 v12, v16, v12
	s_or_b32 s10, vcc_lo, s10
	s_delay_alu instid0(SALU_CYCLE_1)
	s_and_not1_b32 exec_lo, exec_lo, s10
	s_cbranch_execnz .LBB0_6
; %bb.7:                                ;   in Loop: Header=BB0_3 Depth=1
	s_or_b32 exec_lo, exec_lo, s10
.LBB0_8:                                ;   in Loop: Header=BB0_3 Depth=1
	s_delay_alu instid0(SALU_CYCLE_1)
	s_or_b32 exec_lo, exec_lo, s5
	v_mov_b64_e32 v[16:17], v[32:33]
.LBB0_9:                                ;   in Loop: Header=BB0_3 Depth=1
	s_or_saveexec_b32 s0, s4
	v_mov_b32_e32 v0, 0
	s_xor_b32 exec_lo, exec_lo, s0
	s_cbranch_execz .LBB0_11
; %bb.10:                               ;   in Loop: Header=BB0_3 Depth=1
	s_wait_loadcnt 0x0
	global_load_b64 v[12:13], v[32:33], off
	v_add_nc_u32_e32 v0, -8, v34
.LBB0_11:                               ;   in Loop: Header=BB0_3 Depth=1
	s_wait_xcnt 0x0
	s_or_b32 exec_lo, exec_lo, s0
	v_add_nc_u64_e32 v[18:19], 8, v[16:17]
                                        ; implicit-def: $vgpr14_vgpr15
	s_mov_b32 s0, exec_lo
	v_cmpx_gt_u32_e32 8, v0
	s_xor_b32 s10, exec_lo, s0
	s_cbranch_execz .LBB0_17
; %bb.12:                               ;   in Loop: Header=BB0_3 Depth=1
	v_mov_b64_e32 v[14:15], 0
	s_mov_b32 s11, exec_lo
	v_cmpx_ne_u32_e32 0, v0
	s_cbranch_execz .LBB0_16
; %bb.13:                               ;   in Loop: Header=BB0_3 Depth=1
	v_mov_b64_e32 v[14:15], 0
	s_mov_b64 s[0:1], 0
	s_mov_b32 s12, 0
	s_mov_b64 s[4:5], 0
.LBB0_14:                               ;   Parent Loop BB0_3 Depth=1
                                        ; =>  This Inner Loop Header: Depth=2
	s_delay_alu instid0(SALU_CYCLE_1) | instskip(SKIP_1) | instid1(SALU_CYCLE_1)
	v_add_nc_u64_e32 v[18:19], s[4:5], v[16:17]
	s_add_nc_u64 s[4:5], s[4:5], 1
	v_cmp_eq_u32_e32 vcc_lo, s4, v0
	global_load_u8 v6, v[18:19], off
	s_wait_xcnt 0x0
	v_mov_b32_e32 v19, s6
	s_or_b32 s12, vcc_lo, s12
	s_wait_loadcnt 0x0
	v_and_b32_e32 v18, 0xffff, v6
	s_delay_alu instid0(VALU_DEP_1) | instskip(SKIP_1) | instid1(VALU_DEP_1)
	v_lshlrev_b64_e32 v[18:19], s0, v[18:19]
	s_add_nc_u64 s[0:1], s[0:1], 8
	v_or_b32_e32 v15, v19, v15
	s_delay_alu instid0(VALU_DEP_2)
	v_or_b32_e32 v14, v18, v14
	s_and_not1_b32 exec_lo, exec_lo, s12
	s_cbranch_execnz .LBB0_14
; %bb.15:                               ;   in Loop: Header=BB0_3 Depth=1
	s_or_b32 exec_lo, exec_lo, s12
.LBB0_16:                               ;   in Loop: Header=BB0_3 Depth=1
	s_delay_alu instid0(SALU_CYCLE_1)
	s_or_b32 exec_lo, exec_lo, s11
	v_mov_b64_e32 v[18:19], v[16:17]
                                        ; implicit-def: $vgpr0
.LBB0_17:                               ;   in Loop: Header=BB0_3 Depth=1
	s_or_saveexec_b32 s0, s10
	v_mov_b32_e32 v6, 0
	s_xor_b32 exec_lo, exec_lo, s0
	s_cbranch_execz .LBB0_19
; %bb.18:                               ;   in Loop: Header=BB0_3 Depth=1
	global_load_b64 v[14:15], v[16:17], off
	v_add_nc_u32_e32 v6, -8, v0
.LBB0_19:                               ;   in Loop: Header=BB0_3 Depth=1
	s_wait_xcnt 0x0
	s_or_b32 exec_lo, exec_lo, s0
	v_add_nc_u64_e32 v[20:21], 8, v[18:19]
	s_mov_b32 s0, exec_lo
	v_cmpx_gt_u32_e32 8, v6
	s_xor_b32 s10, exec_lo, s0
	s_cbranch_execz .LBB0_25
; %bb.20:                               ;   in Loop: Header=BB0_3 Depth=1
	v_mov_b64_e32 v[16:17], 0
	s_mov_b32 s11, exec_lo
	v_cmpx_ne_u32_e32 0, v6
	s_cbranch_execz .LBB0_24
; %bb.21:                               ;   in Loop: Header=BB0_3 Depth=1
	v_mov_b64_e32 v[16:17], 0
	s_mov_b64 s[0:1], 0
	s_mov_b32 s12, 0
	s_mov_b64 s[4:5], 0
.LBB0_22:                               ;   Parent Loop BB0_3 Depth=1
                                        ; =>  This Inner Loop Header: Depth=2
	s_delay_alu instid0(SALU_CYCLE_1) | instskip(SKIP_1) | instid1(SALU_CYCLE_1)
	v_add_nc_u64_e32 v[20:21], s[4:5], v[18:19]
	s_add_nc_u64 s[4:5], s[4:5], 1
	v_cmp_eq_u32_e32 vcc_lo, s4, v6
	global_load_u8 v0, v[20:21], off
	s_wait_xcnt 0x0
	v_mov_b32_e32 v21, s6
	s_or_b32 s12, vcc_lo, s12
	s_wait_loadcnt 0x0
	v_and_b32_e32 v20, 0xffff, v0
	s_delay_alu instid0(VALU_DEP_1) | instskip(SKIP_1) | instid1(VALU_DEP_1)
	v_lshlrev_b64_e32 v[20:21], s0, v[20:21]
	s_add_nc_u64 s[0:1], s[0:1], 8
	v_or_b32_e32 v17, v21, v17
	s_delay_alu instid0(VALU_DEP_2)
	v_or_b32_e32 v16, v20, v16
	s_and_not1_b32 exec_lo, exec_lo, s12
	s_cbranch_execnz .LBB0_22
; %bb.23:                               ;   in Loop: Header=BB0_3 Depth=1
	s_or_b32 exec_lo, exec_lo, s12
.LBB0_24:                               ;   in Loop: Header=BB0_3 Depth=1
	s_delay_alu instid0(SALU_CYCLE_1)
	s_or_b32 exec_lo, exec_lo, s11
	v_mov_b64_e32 v[20:21], v[18:19]
                                        ; implicit-def: $vgpr6
.LBB0_25:                               ;   in Loop: Header=BB0_3 Depth=1
	s_or_saveexec_b32 s0, s10
	v_mov_b32_e32 v0, 0
	s_xor_b32 exec_lo, exec_lo, s0
	s_cbranch_execz .LBB0_27
; %bb.26:                               ;   in Loop: Header=BB0_3 Depth=1
	global_load_b64 v[16:17], v[18:19], off
	v_add_nc_u32_e32 v0, -8, v6
.LBB0_27:                               ;   in Loop: Header=BB0_3 Depth=1
	s_wait_xcnt 0x0
	s_or_b32 exec_lo, exec_lo, s0
	v_add_nc_u64_e32 v[22:23], 8, v[20:21]
                                        ; implicit-def: $vgpr18_vgpr19
	s_mov_b32 s0, exec_lo
	v_cmpx_gt_u32_e32 8, v0
	s_xor_b32 s10, exec_lo, s0
	s_cbranch_execz .LBB0_33
; %bb.28:                               ;   in Loop: Header=BB0_3 Depth=1
	v_mov_b64_e32 v[18:19], 0
	s_mov_b32 s11, exec_lo
	v_cmpx_ne_u32_e32 0, v0
	s_cbranch_execz .LBB0_32
; %bb.29:                               ;   in Loop: Header=BB0_3 Depth=1
	v_mov_b64_e32 v[18:19], 0
	s_mov_b64 s[0:1], 0
	s_mov_b32 s12, 0
	s_mov_b64 s[4:5], 0
.LBB0_30:                               ;   Parent Loop BB0_3 Depth=1
                                        ; =>  This Inner Loop Header: Depth=2
	s_delay_alu instid0(SALU_CYCLE_1) | instskip(SKIP_1) | instid1(SALU_CYCLE_1)
	v_add_nc_u64_e32 v[22:23], s[4:5], v[20:21]
	s_add_nc_u64 s[4:5], s[4:5], 1
	v_cmp_eq_u32_e32 vcc_lo, s4, v0
	global_load_u8 v6, v[22:23], off
	s_wait_xcnt 0x0
	v_mov_b32_e32 v23, s6
	s_or_b32 s12, vcc_lo, s12
	s_wait_loadcnt 0x0
	v_and_b32_e32 v22, 0xffff, v6
	s_delay_alu instid0(VALU_DEP_1) | instskip(SKIP_1) | instid1(VALU_DEP_1)
	v_lshlrev_b64_e32 v[22:23], s0, v[22:23]
	s_add_nc_u64 s[0:1], s[0:1], 8
	v_or_b32_e32 v19, v23, v19
	s_delay_alu instid0(VALU_DEP_2)
	v_or_b32_e32 v18, v22, v18
	s_and_not1_b32 exec_lo, exec_lo, s12
	s_cbranch_execnz .LBB0_30
; %bb.31:                               ;   in Loop: Header=BB0_3 Depth=1
	s_or_b32 exec_lo, exec_lo, s12
.LBB0_32:                               ;   in Loop: Header=BB0_3 Depth=1
	s_delay_alu instid0(SALU_CYCLE_1)
	s_or_b32 exec_lo, exec_lo, s11
	v_mov_b64_e32 v[22:23], v[20:21]
                                        ; implicit-def: $vgpr0
.LBB0_33:                               ;   in Loop: Header=BB0_3 Depth=1
	s_or_saveexec_b32 s0, s10
	v_mov_b32_e32 v6, 0
	s_xor_b32 exec_lo, exec_lo, s0
	s_cbranch_execz .LBB0_35
; %bb.34:                               ;   in Loop: Header=BB0_3 Depth=1
	global_load_b64 v[18:19], v[20:21], off
	v_add_nc_u32_e32 v6, -8, v0
.LBB0_35:                               ;   in Loop: Header=BB0_3 Depth=1
	s_wait_xcnt 0x0
	s_or_b32 exec_lo, exec_lo, s0
	v_add_nc_u64_e32 v[24:25], 8, v[22:23]
	s_mov_b32 s0, exec_lo
	v_cmpx_gt_u32_e32 8, v6
	s_xor_b32 s10, exec_lo, s0
	s_cbranch_execz .LBB0_41
; %bb.36:                               ;   in Loop: Header=BB0_3 Depth=1
	v_mov_b64_e32 v[20:21], 0
	s_mov_b32 s11, exec_lo
	v_cmpx_ne_u32_e32 0, v6
	s_cbranch_execz .LBB0_40
; %bb.37:                               ;   in Loop: Header=BB0_3 Depth=1
	v_mov_b64_e32 v[20:21], 0
	s_mov_b64 s[0:1], 0
	s_mov_b32 s12, 0
	s_mov_b64 s[4:5], 0
.LBB0_38:                               ;   Parent Loop BB0_3 Depth=1
                                        ; =>  This Inner Loop Header: Depth=2
	s_delay_alu instid0(SALU_CYCLE_1) | instskip(SKIP_1) | instid1(SALU_CYCLE_1)
	v_add_nc_u64_e32 v[24:25], s[4:5], v[22:23]
	s_add_nc_u64 s[4:5], s[4:5], 1
	v_cmp_eq_u32_e32 vcc_lo, s4, v6
	global_load_u8 v0, v[24:25], off
	s_wait_xcnt 0x0
	v_mov_b32_e32 v25, s6
	s_or_b32 s12, vcc_lo, s12
	s_wait_loadcnt 0x0
	v_and_b32_e32 v24, 0xffff, v0
	s_delay_alu instid0(VALU_DEP_1) | instskip(SKIP_1) | instid1(VALU_DEP_1)
	v_lshlrev_b64_e32 v[24:25], s0, v[24:25]
	s_add_nc_u64 s[0:1], s[0:1], 8
	v_or_b32_e32 v21, v25, v21
	s_delay_alu instid0(VALU_DEP_2)
	v_or_b32_e32 v20, v24, v20
	s_and_not1_b32 exec_lo, exec_lo, s12
	s_cbranch_execnz .LBB0_38
; %bb.39:                               ;   in Loop: Header=BB0_3 Depth=1
	s_or_b32 exec_lo, exec_lo, s12
.LBB0_40:                               ;   in Loop: Header=BB0_3 Depth=1
	s_delay_alu instid0(SALU_CYCLE_1)
	s_or_b32 exec_lo, exec_lo, s11
	v_mov_b64_e32 v[24:25], v[22:23]
                                        ; implicit-def: $vgpr6
.LBB0_41:                               ;   in Loop: Header=BB0_3 Depth=1
	s_or_saveexec_b32 s0, s10
	v_mov_b32_e32 v0, 0
	s_xor_b32 exec_lo, exec_lo, s0
	s_cbranch_execz .LBB0_43
; %bb.42:                               ;   in Loop: Header=BB0_3 Depth=1
	global_load_b64 v[20:21], v[22:23], off
	v_add_nc_u32_e32 v0, -8, v6
.LBB0_43:                               ;   in Loop: Header=BB0_3 Depth=1
	s_wait_xcnt 0x0
	s_or_b32 exec_lo, exec_lo, s0
	v_add_nc_u64_e32 v[26:27], 8, v[24:25]
                                        ; implicit-def: $vgpr22_vgpr23
	s_mov_b32 s0, exec_lo
	v_cmpx_gt_u32_e32 8, v0
	s_xor_b32 s10, exec_lo, s0
	s_cbranch_execz .LBB0_49
; %bb.44:                               ;   in Loop: Header=BB0_3 Depth=1
	v_mov_b64_e32 v[22:23], 0
	s_mov_b32 s11, exec_lo
	v_cmpx_ne_u32_e32 0, v0
	s_cbranch_execz .LBB0_48
; %bb.45:                               ;   in Loop: Header=BB0_3 Depth=1
	v_mov_b64_e32 v[22:23], 0
	s_mov_b64 s[0:1], 0
	s_mov_b32 s12, 0
	s_mov_b64 s[4:5], 0
.LBB0_46:                               ;   Parent Loop BB0_3 Depth=1
                                        ; =>  This Inner Loop Header: Depth=2
	s_delay_alu instid0(SALU_CYCLE_1) | instskip(SKIP_1) | instid1(SALU_CYCLE_1)
	v_add_nc_u64_e32 v[26:27], s[4:5], v[24:25]
	s_add_nc_u64 s[4:5], s[4:5], 1
	v_cmp_eq_u32_e32 vcc_lo, s4, v0
	global_load_u8 v6, v[26:27], off
	s_wait_xcnt 0x0
	v_mov_b32_e32 v27, s6
	s_or_b32 s12, vcc_lo, s12
	s_wait_loadcnt 0x0
	v_and_b32_e32 v26, 0xffff, v6
	s_delay_alu instid0(VALU_DEP_1) | instskip(SKIP_1) | instid1(VALU_DEP_1)
	v_lshlrev_b64_e32 v[26:27], s0, v[26:27]
	s_add_nc_u64 s[0:1], s[0:1], 8
	v_or_b32_e32 v23, v27, v23
	s_delay_alu instid0(VALU_DEP_2)
	v_or_b32_e32 v22, v26, v22
	s_and_not1_b32 exec_lo, exec_lo, s12
	s_cbranch_execnz .LBB0_46
; %bb.47:                               ;   in Loop: Header=BB0_3 Depth=1
	s_or_b32 exec_lo, exec_lo, s12
.LBB0_48:                               ;   in Loop: Header=BB0_3 Depth=1
	s_delay_alu instid0(SALU_CYCLE_1)
	s_or_b32 exec_lo, exec_lo, s11
	v_mov_b64_e32 v[26:27], v[24:25]
                                        ; implicit-def: $vgpr0
.LBB0_49:                               ;   in Loop: Header=BB0_3 Depth=1
	s_or_saveexec_b32 s0, s10
	v_mov_b32_e32 v6, 0
	s_xor_b32 exec_lo, exec_lo, s0
	s_cbranch_execz .LBB0_51
; %bb.50:                               ;   in Loop: Header=BB0_3 Depth=1
	global_load_b64 v[22:23], v[24:25], off
	v_add_nc_u32_e32 v6, -8, v0
.LBB0_51:                               ;   in Loop: Header=BB0_3 Depth=1
	s_wait_xcnt 0x0
	s_or_b32 exec_lo, exec_lo, s0
	s_delay_alu instid0(SALU_CYCLE_1) | instskip(NEXT) | instid1(VALU_DEP_1)
	s_mov_b32 s0, exec_lo
	v_cmpx_gt_u32_e32 8, v6
	s_xor_b32 s4, exec_lo, s0
	s_cbranch_execz .LBB0_57
; %bb.52:                               ;   in Loop: Header=BB0_3 Depth=1
	v_mov_b64_e32 v[24:25], 0
	s_mov_b32 s5, exec_lo
	v_cmpx_ne_u32_e32 0, v6
	s_cbranch_execz .LBB0_56
; %bb.53:                               ;   in Loop: Header=BB0_3 Depth=1
	v_mov_b64_e32 v[24:25], 0
	s_mov_b64 s[0:1], 0
	s_mov_b32 s10, 0
.LBB0_54:                               ;   Parent Loop BB0_3 Depth=1
                                        ; =>  This Inner Loop Header: Depth=2
	global_load_u8 v0, v[26:27], off
	v_dual_mov_b32 v29, s6 :: v_dual_add_nc_u32 v6, -1, v6
	s_wait_xcnt 0x0
	v_add_nc_u64_e32 v[26:27], 1, v[26:27]
	s_delay_alu instid0(VALU_DEP_2) | instskip(SKIP_3) | instid1(VALU_DEP_1)
	v_cmp_eq_u32_e32 vcc_lo, 0, v6
	s_or_b32 s10, vcc_lo, s10
	s_wait_loadcnt 0x0
	v_and_b32_e32 v28, 0xffff, v0
	v_lshlrev_b64_e32 v[28:29], s0, v[28:29]
	s_add_nc_u64 s[0:1], s[0:1], 8
	s_delay_alu instid0(VALU_DEP_1) | instskip(NEXT) | instid1(VALU_DEP_2)
	v_or_b32_e32 v25, v29, v25
	v_or_b32_e32 v24, v28, v24
	s_and_not1_b32 exec_lo, exec_lo, s10
	s_cbranch_execnz .LBB0_54
; %bb.55:                               ;   in Loop: Header=BB0_3 Depth=1
	s_or_b32 exec_lo, exec_lo, s10
.LBB0_56:                               ;   in Loop: Header=BB0_3 Depth=1
	s_delay_alu instid0(SALU_CYCLE_1)
	s_or_b32 exec_lo, exec_lo, s5
                                        ; implicit-def: $vgpr26_vgpr27
.LBB0_57:                               ;   in Loop: Header=BB0_3 Depth=1
	s_and_not1_saveexec_b32 s0, s4
	s_cbranch_execz .LBB0_59
; %bb.58:                               ;   in Loop: Header=BB0_3 Depth=1
	global_load_b64 v[24:25], v[26:27], off
.LBB0_59:                               ;   in Loop: Header=BB0_3 Depth=1
	s_wait_xcnt 0x0
	s_or_b32 exec_lo, exec_lo, s0
	v_readfirstlane_b32 s0, v30
	v_mov_b64_e32 v[36:37], 0
	s_delay_alu instid0(VALU_DEP_2)
	v_cmp_eq_u32_e64 s0, s0, v30
	s_and_saveexec_b32 s1, s0
	s_cbranch_execz .LBB0_65
; %bb.60:                               ;   in Loop: Header=BB0_3 Depth=1
	s_wait_kmcnt 0x0
	global_load_b64 v[28:29], v7, s[2:3] offset:24 scope:SCOPE_SYS
	s_wait_loadcnt 0x0
	global_inv scope:SCOPE_SYS
	s_clause 0x1
	global_load_b64 v[26:27], v7, s[2:3] offset:40
	global_load_b64 v[36:37], v7, s[2:3]
	s_mov_b32 s4, exec_lo
	s_wait_loadcnt 0x1
	v_and_b32_e32 v26, v26, v28
	v_and_b32_e32 v27, v27, v29
	s_delay_alu instid0(VALU_DEP_1) | instskip(SKIP_1) | instid1(VALU_DEP_1)
	v_mul_u64_e32 v[26:27], 24, v[26:27]
	s_wait_loadcnt 0x0
	v_add_nc_u64_e32 v[26:27], v[36:37], v[26:27]
	global_load_b64 v[26:27], v[26:27], off scope:SCOPE_SYS
	s_wait_xcnt 0x0
	s_wait_loadcnt 0x0
	global_atomic_cmpswap_b64 v[36:37], v7, v[26:29], s[2:3] offset:24 th:TH_ATOMIC_RETURN scope:SCOPE_SYS
	s_wait_loadcnt 0x0
	global_inv scope:SCOPE_SYS
	s_wait_xcnt 0x0
	v_cmpx_ne_u64_e64 v[36:37], v[28:29]
	s_cbranch_execz .LBB0_64
; %bb.61:                               ;   in Loop: Header=BB0_3 Depth=1
	s_mov_b32 s5, 0
.LBB0_62:                               ;   Parent Loop BB0_3 Depth=1
                                        ; =>  This Inner Loop Header: Depth=2
	s_sleep 1
	s_clause 0x1
	global_load_b64 v[26:27], v7, s[2:3] offset:40
	global_load_b64 v[38:39], v7, s[2:3]
	v_mov_b64_e32 v[28:29], v[36:37]
	s_wait_loadcnt 0x1
	s_delay_alu instid0(VALU_DEP_1) | instskip(SKIP_1) | instid1(VALU_DEP_1)
	v_and_b32_e32 v0, v26, v28
	s_wait_loadcnt 0x0
	v_mad_nc_u64_u32 v[36:37], v0, 24, v[38:39]
	s_delay_alu instid0(VALU_DEP_3) | instskip(NEXT) | instid1(VALU_DEP_1)
	v_and_b32_e32 v0, v27, v29
	v_mad_u32 v37, v0, 24, v37
	global_load_b64 v[26:27], v[36:37], off scope:SCOPE_SYS
	s_wait_xcnt 0x0
	s_wait_loadcnt 0x0
	global_atomic_cmpswap_b64 v[36:37], v7, v[26:29], s[2:3] offset:24 th:TH_ATOMIC_RETURN scope:SCOPE_SYS
	s_wait_loadcnt 0x0
	global_inv scope:SCOPE_SYS
	v_cmp_eq_u64_e32 vcc_lo, v[36:37], v[28:29]
	s_or_b32 s5, vcc_lo, s5
	s_wait_xcnt 0x0
	s_and_not1_b32 exec_lo, exec_lo, s5
	s_cbranch_execnz .LBB0_62
; %bb.63:                               ;   in Loop: Header=BB0_3 Depth=1
	s_or_b32 exec_lo, exec_lo, s5
.LBB0_64:                               ;   in Loop: Header=BB0_3 Depth=1
	s_delay_alu instid0(SALU_CYCLE_1)
	s_or_b32 exec_lo, exec_lo, s4
.LBB0_65:                               ;   in Loop: Header=BB0_3 Depth=1
	s_delay_alu instid0(SALU_CYCLE_1)
	s_or_b32 exec_lo, exec_lo, s1
	s_wait_kmcnt 0x0
	s_clause 0x1
	global_load_b64 v[38:39], v7, s[2:3] offset:40
	global_load_b128 v[26:29], v7, s[2:3]
	v_readfirstlane_b32 s4, v36
	v_readfirstlane_b32 s5, v37
	s_mov_b32 s1, exec_lo
	s_wait_loadcnt 0x1
	v_and_b32_e32 v38, s4, v38
	v_and_b32_e32 v39, s5, v39
	s_delay_alu instid0(VALU_DEP_1) | instskip(SKIP_1) | instid1(VALU_DEP_1)
	v_mul_u64_e32 v[36:37], 24, v[38:39]
	s_wait_loadcnt 0x0
	v_add_nc_u64_e32 v[36:37], v[26:27], v[36:37]
	s_wait_xcnt 0x0
	s_and_saveexec_b32 s10, s0
	s_cbranch_execz .LBB0_67
; %bb.66:                               ;   in Loop: Header=BB0_3 Depth=1
	v_mov_b32_e32 v6, s1
	global_store_b128 v[36:37], v[6:9], off offset:8
.LBB0_67:                               ;   in Loop: Header=BB0_3 Depth=1
	s_wait_xcnt 0x0
	s_or_b32 exec_lo, exec_lo, s10
	v_cmp_gt_u64_e32 vcc_lo, 57, v[4:5]
	v_lshlrev_b64_e32 v[38:39], 12, v[38:39]
	v_and_b32_e32 v6, 0xffffff1f, v10
	v_lshl_add_u32 v10, v34, 2, 28
	v_cndmask_b32_e32 v0, 0, v2, vcc_lo
	s_delay_alu instid0(VALU_DEP_4) | instskip(NEXT) | instid1(VALU_DEP_2)
	v_add_nc_u64_e32 v[28:29], v[28:29], v[38:39]
	v_dual_lshlrev_b32 v6, 6, v30 :: v_dual_bitop2_b32 v0, v6, v0 bitop3:0x54
	s_delay_alu instid0(VALU_DEP_2) | instskip(NEXT) | instid1(VALU_DEP_3)
	v_readfirstlane_b32 s10, v28
	v_readfirstlane_b32 s11, v29
	s_delay_alu instid0(VALU_DEP_3)
	v_and_or_b32 v10, 0x1e0, v10, v0
	s_clause 0x3
	global_store_b128 v6, v[10:13], s[10:11]
	global_store_b128 v6, v[14:17], s[10:11] offset:16
	global_store_b128 v6, v[18:21], s[10:11] offset:32
	;; [unrolled: 1-line block ×3, first 2 shown]
	s_wait_xcnt 0x0
	s_and_saveexec_b32 s1, s0
	s_cbranch_execz .LBB0_75
; %bb.68:                               ;   in Loop: Header=BB0_3 Depth=1
	s_clause 0x1
	global_load_b64 v[18:19], v7, s[2:3] offset:32 scope:SCOPE_SYS
	global_load_b64 v[10:11], v7, s[2:3] offset:40
	s_mov_b32 s10, exec_lo
	v_dual_mov_b32 v16, s4 :: v_dual_mov_b32 v17, s5
	s_wait_loadcnt 0x0
	v_and_b32_e32 v11, s5, v11
	v_and_b32_e32 v10, s4, v10
	s_delay_alu instid0(VALU_DEP_1) | instskip(NEXT) | instid1(VALU_DEP_1)
	v_mul_u64_e32 v[10:11], 24, v[10:11]
	v_add_nc_u64_e32 v[14:15], v[26:27], v[10:11]
	global_store_b64 v[14:15], v[18:19], off
	global_wb scope:SCOPE_SYS
	s_wait_storecnt 0x0
	s_wait_xcnt 0x0
	global_atomic_cmpswap_b64 v[12:13], v7, v[16:19], s[2:3] offset:32 th:TH_ATOMIC_RETURN scope:SCOPE_SYS
	s_wait_loadcnt 0x0
	v_cmpx_ne_u64_e64 v[12:13], v[18:19]
	s_cbranch_execz .LBB0_71
; %bb.69:                               ;   in Loop: Header=BB0_3 Depth=1
	s_mov_b32 s11, 0
.LBB0_70:                               ;   Parent Loop BB0_3 Depth=1
                                        ; =>  This Inner Loop Header: Depth=2
	v_dual_mov_b32 v10, s4 :: v_dual_mov_b32 v11, s5
	s_sleep 1
	global_store_b64 v[14:15], v[12:13], off
	global_wb scope:SCOPE_SYS
	s_wait_storecnt 0x0
	s_wait_xcnt 0x0
	global_atomic_cmpswap_b64 v[10:11], v7, v[10:13], s[2:3] offset:32 th:TH_ATOMIC_RETURN scope:SCOPE_SYS
	s_wait_loadcnt 0x0
	v_cmp_eq_u64_e32 vcc_lo, v[10:11], v[12:13]
	v_mov_b64_e32 v[12:13], v[10:11]
	s_or_b32 s11, vcc_lo, s11
	s_delay_alu instid0(SALU_CYCLE_1)
	s_and_not1_b32 exec_lo, exec_lo, s11
	s_cbranch_execnz .LBB0_70
.LBB0_71:                               ;   in Loop: Header=BB0_3 Depth=1
	s_or_b32 exec_lo, exec_lo, s10
	global_load_b64 v[10:11], v7, s[2:3] offset:16
	s_mov_b32 s11, exec_lo
	s_mov_b32 s10, exec_lo
	v_mbcnt_lo_u32_b32 v0, s11, 0
	s_wait_xcnt 0x0
	s_delay_alu instid0(VALU_DEP_1)
	v_cmpx_eq_u32_e32 0, v0
	s_cbranch_execz .LBB0_73
; %bb.72:                               ;   in Loop: Header=BB0_3 Depth=1
	s_bcnt1_i32_b32 s11, s11
	s_delay_alu instid0(SALU_CYCLE_1)
	v_dual_mov_b32 v13, v7 :: v_dual_mov_b32 v12, s11
	global_wb scope:SCOPE_SYS
	s_wait_loadcnt 0x0
	s_wait_storecnt 0x0
	global_atomic_add_u64 v[10:11], v[12:13], off offset:8 scope:SCOPE_SYS
.LBB0_73:                               ;   in Loop: Header=BB0_3 Depth=1
	s_wait_xcnt 0x0
	s_or_b32 exec_lo, exec_lo, s10
	s_wait_loadcnt 0x0
	global_load_b64 v[12:13], v[10:11], off offset:16
	s_wait_loadcnt 0x0
	v_cmp_eq_u64_e32 vcc_lo, 0, v[12:13]
	s_cbranch_vccnz .LBB0_75
; %bb.74:                               ;   in Loop: Header=BB0_3 Depth=1
	global_load_b32 v10, v[10:11], off offset:24
	s_wait_xcnt 0x0
	v_mov_b32_e32 v11, v7
	s_wait_loadcnt 0x0
	v_readfirstlane_b32 s10, v10
	global_wb scope:SCOPE_SYS
	s_wait_storecnt 0x0
	global_store_b64 v[12:13], v[10:11], off scope:SCOPE_SYS
	s_and_b32 m0, s10, 0xffffff
	s_sendmsg sendmsg(MSG_INTERRUPT)
.LBB0_75:                               ;   in Loop: Header=BB0_3 Depth=1
	s_wait_xcnt 0x0
	s_or_b32 exec_lo, exec_lo, s1
	v_add_nc_u64_e32 v[10:11], v[28:29], v[6:7]
	s_branch .LBB0_79
.LBB0_76:                               ;   in Loop: Header=BB0_79 Depth=2
	s_wait_xcnt 0x0
	s_or_b32 exec_lo, exec_lo, s1
	s_delay_alu instid0(VALU_DEP_1)
	v_readfirstlane_b32 s1, v0
	s_cmp_eq_u32 s1, 0
	s_cbranch_scc1 .LBB0_78
; %bb.77:                               ;   in Loop: Header=BB0_79 Depth=2
	s_sleep 1
	s_cbranch_execnz .LBB0_79
	s_branch .LBB0_81
.LBB0_78:                               ;   in Loop: Header=BB0_3 Depth=1
	s_branch .LBB0_81
.LBB0_79:                               ;   Parent Loop BB0_3 Depth=1
                                        ; =>  This Inner Loop Header: Depth=2
	v_mov_b32_e32 v0, 1
	s_and_saveexec_b32 s1, s0
	s_cbranch_execz .LBB0_76
; %bb.80:                               ;   in Loop: Header=BB0_79 Depth=2
	global_load_b32 v0, v[36:37], off offset:20 scope:SCOPE_SYS
	s_wait_loadcnt 0x0
	global_inv scope:SCOPE_SYS
	v_and_b32_e32 v0, 1, v0
	s_branch .LBB0_76
.LBB0_81:                               ;   in Loop: Header=BB0_3 Depth=1
	global_load_b128 v[10:13], v[10:11], off
	s_wait_xcnt 0x0
	s_and_saveexec_b32 s10, s0
	s_cbranch_execz .LBB0_2
; %bb.82:                               ;   in Loop: Header=BB0_3 Depth=1
	s_wait_loadcnt 0x0
	s_clause 0x2
	global_load_b64 v[12:13], v7, s[2:3] offset:40
	global_load_b64 v[20:21], v7, s[2:3] offset:24 scope:SCOPE_SYS
	global_load_b64 v[14:15], v7, s[2:3]
	s_wait_loadcnt 0x2
	v_readfirstlane_b32 s12, v12
	v_readfirstlane_b32 s13, v13
	s_add_nc_u64 s[0:1], s[12:13], 1
	s_delay_alu instid0(SALU_CYCLE_1) | instskip(NEXT) | instid1(SALU_CYCLE_1)
	s_add_nc_u64 s[4:5], s[0:1], s[4:5]
	s_cmp_eq_u64 s[4:5], 0
	s_cselect_b32 s1, s1, s5
	s_cselect_b32 s0, s0, s4
	s_delay_alu instid0(SALU_CYCLE_1) | instskip(SKIP_1) | instid1(SALU_CYCLE_1)
	v_dual_mov_b32 v19, s1 :: v_dual_mov_b32 v18, s0
	s_and_b64 s[4:5], s[0:1], s[12:13]
	s_mul_u64 s[4:5], s[4:5], 24
	s_wait_loadcnt 0x0
	v_add_nc_u64_e32 v[16:17], s[4:5], v[14:15]
	global_store_b64 v[16:17], v[20:21], off
	global_wb scope:SCOPE_SYS
	s_wait_storecnt 0x0
	s_wait_xcnt 0x0
	global_atomic_cmpswap_b64 v[14:15], v7, v[18:21], s[2:3] offset:24 th:TH_ATOMIC_RETURN scope:SCOPE_SYS
	s_wait_loadcnt 0x0
	v_cmp_ne_u64_e32 vcc_lo, v[14:15], v[20:21]
	s_and_b32 exec_lo, exec_lo, vcc_lo
	s_cbranch_execz .LBB0_2
; %bb.83:                               ;   in Loop: Header=BB0_3 Depth=1
	s_mov_b32 s4, 0
.LBB0_84:                               ;   Parent Loop BB0_3 Depth=1
                                        ; =>  This Inner Loop Header: Depth=2
	v_dual_mov_b32 v12, s0 :: v_dual_mov_b32 v13, s1
	s_sleep 1
	global_store_b64 v[16:17], v[14:15], off
	global_wb scope:SCOPE_SYS
	s_wait_storecnt 0x0
	s_wait_xcnt 0x0
	global_atomic_cmpswap_b64 v[12:13], v7, v[12:15], s[2:3] offset:24 th:TH_ATOMIC_RETURN scope:SCOPE_SYS
	s_wait_loadcnt 0x0
	v_cmp_eq_u64_e32 vcc_lo, v[12:13], v[14:15]
	v_mov_b64_e32 v[14:15], v[12:13]
	s_or_b32 s4, vcc_lo, s4
	s_delay_alu instid0(SALU_CYCLE_1)
	s_and_not1_b32 exec_lo, exec_lo, s4
	s_cbranch_execnz .LBB0_84
	s_branch .LBB0_2
.LBB0_85:
	s_or_b32 exec_lo, exec_lo, s7
	s_branch .LBB0_114
.LBB0_86:
	s_load_b64 s[2:3], s[8:9], 0x50
	v_readfirstlane_b32 s0, v30
	v_mov_b64_e32 v[8:9], 0
	s_delay_alu instid0(VALU_DEP_2)
	v_cmp_eq_u32_e64 s0, s0, v30
	s_and_saveexec_b32 s1, s0
	s_cbranch_execz .LBB0_92
; %bb.87:
	v_mov_b32_e32 v0, 0
	s_mov_b32 s4, exec_lo
	s_wait_kmcnt 0x0
	global_load_b64 v[6:7], v0, s[2:3] offset:24 scope:SCOPE_SYS
	s_wait_loadcnt 0x0
	global_inv scope:SCOPE_SYS
	s_clause 0x1
	global_load_b64 v[4:5], v0, s[2:3] offset:40
	global_load_b64 v[8:9], v0, s[2:3]
	s_wait_loadcnt 0x1
	v_and_b32_e32 v4, v4, v6
	v_and_b32_e32 v5, v5, v7
	s_delay_alu instid0(VALU_DEP_1) | instskip(SKIP_1) | instid1(VALU_DEP_1)
	v_mul_u64_e32 v[4:5], 24, v[4:5]
	s_wait_loadcnt 0x0
	v_add_nc_u64_e32 v[4:5], v[8:9], v[4:5]
	global_load_b64 v[4:5], v[4:5], off scope:SCOPE_SYS
	s_wait_xcnt 0x0
	s_wait_loadcnt 0x0
	global_atomic_cmpswap_b64 v[8:9], v0, v[4:7], s[2:3] offset:24 th:TH_ATOMIC_RETURN scope:SCOPE_SYS
	s_wait_loadcnt 0x0
	global_inv scope:SCOPE_SYS
	s_wait_xcnt 0x0
	v_cmpx_ne_u64_e64 v[8:9], v[6:7]
	s_cbranch_execz .LBB0_91
; %bb.88:
	s_mov_b32 s5, 0
.LBB0_89:                               ; =>This Inner Loop Header: Depth=1
	s_sleep 1
	s_clause 0x1
	global_load_b64 v[4:5], v0, s[2:3] offset:40
	global_load_b64 v[10:11], v0, s[2:3]
	v_mov_b64_e32 v[6:7], v[8:9]
	s_wait_loadcnt 0x1
	s_delay_alu instid0(VALU_DEP_1) | instskip(SKIP_1) | instid1(VALU_DEP_1)
	v_and_b32_e32 v2, v4, v6
	s_wait_loadcnt 0x0
	v_mad_nc_u64_u32 v[8:9], v2, 24, v[10:11]
	s_delay_alu instid0(VALU_DEP_3) | instskip(NEXT) | instid1(VALU_DEP_1)
	v_and_b32_e32 v2, v5, v7
	v_mad_u32 v9, v2, 24, v9
	global_load_b64 v[4:5], v[8:9], off scope:SCOPE_SYS
	s_wait_xcnt 0x0
	s_wait_loadcnt 0x0
	global_atomic_cmpswap_b64 v[8:9], v0, v[4:7], s[2:3] offset:24 th:TH_ATOMIC_RETURN scope:SCOPE_SYS
	s_wait_loadcnt 0x0
	global_inv scope:SCOPE_SYS
	v_cmp_eq_u64_e32 vcc_lo, v[8:9], v[6:7]
	s_or_b32 s5, vcc_lo, s5
	s_wait_xcnt 0x0
	s_and_not1_b32 exec_lo, exec_lo, s5
	s_cbranch_execnz .LBB0_89
; %bb.90:
	s_or_b32 exec_lo, exec_lo, s5
.LBB0_91:
	s_delay_alu instid0(SALU_CYCLE_1)
	s_or_b32 exec_lo, exec_lo, s4
.LBB0_92:
	s_delay_alu instid0(SALU_CYCLE_1)
	s_or_b32 exec_lo, exec_lo, s1
	v_readfirstlane_b32 s4, v8
	v_mov_b32_e32 v2, 0
	v_readfirstlane_b32 s5, v9
	s_mov_b32 s1, exec_lo
	s_wait_loadcnt 0x0
	s_wait_kmcnt 0x0
	s_clause 0x1
	global_load_b64 v[10:11], v2, s[2:3] offset:40
	global_load_b128 v[4:7], v2, s[2:3]
	s_wait_loadcnt 0x1
	v_and_b32_e32 v10, s4, v10
	v_and_b32_e32 v11, s5, v11
	s_delay_alu instid0(VALU_DEP_1) | instskip(SKIP_1) | instid1(VALU_DEP_1)
	v_mul_u64_e32 v[8:9], 24, v[10:11]
	s_wait_loadcnt 0x0
	v_add_nc_u64_e32 v[8:9], v[4:5], v[8:9]
	s_wait_xcnt 0x0
	s_and_saveexec_b32 s6, s0
	s_cbranch_execz .LBB0_94
; %bb.93:
	v_mov_b64_e32 v[14:15], 0x100000002
	v_dual_mov_b32 v12, s1 :: v_dual_mov_b32 v13, v2
	global_store_b128 v[8:9], v[12:15], off offset:8
.LBB0_94:
	s_wait_xcnt 0x0
	s_or_b32 exec_lo, exec_lo, s6
	v_lshlrev_b64_e32 v[10:11], 12, v[10:11]
	s_mov_b32 s8, 0
	v_and_or_b32 v0, 0xffffff1f, v3, 32
	s_mov_b32 s10, s8
	s_mov_b32 s11, s8
	;; [unrolled: 1-line block ×3, first 2 shown]
	v_dual_mov_b32 v3, v2 :: v_dual_lshlrev_b32 v14, 6, v30
	v_add_nc_u64_e32 v[6:7], v[6:7], v[10:11]
	v_mov_b64_e32 v[12:13], s[10:11]
	v_mov_b64_e32 v[10:11], s[8:9]
	s_delay_alu instid0(VALU_DEP_3) | instskip(NEXT) | instid1(VALU_DEP_4)
	v_readfirstlane_b32 s6, v6
	v_readfirstlane_b32 s7, v7
	s_clause 0x3
	global_store_b128 v14, v[0:3], s[6:7]
	global_store_b128 v14, v[10:13], s[6:7] offset:16
	global_store_b128 v14, v[10:13], s[6:7] offset:32
	;; [unrolled: 1-line block ×3, first 2 shown]
	s_wait_xcnt 0x0
	s_and_saveexec_b32 s1, s0
	s_cbranch_execz .LBB0_102
; %bb.95:
	v_dual_mov_b32 v6, 0 :: v_dual_mov_b32 v11, s5
	s_mov_b32 s6, exec_lo
	s_clause 0x1
	global_load_b64 v[12:13], v6, s[2:3] offset:32 scope:SCOPE_SYS
	global_load_b64 v[0:1], v6, s[2:3] offset:40
	s_wait_loadcnt 0x0
	v_dual_mov_b32 v10, s4 :: v_dual_bitop2_b32 v1, s5, v1 bitop3:0x40
	v_and_b32_e32 v0, s4, v0
	s_delay_alu instid0(VALU_DEP_1) | instskip(NEXT) | instid1(VALU_DEP_1)
	v_mul_u64_e32 v[0:1], 24, v[0:1]
	v_add_nc_u64_e32 v[4:5], v[4:5], v[0:1]
	global_store_b64 v[4:5], v[12:13], off
	global_wb scope:SCOPE_SYS
	s_wait_storecnt 0x0
	s_wait_xcnt 0x0
	global_atomic_cmpswap_b64 v[2:3], v6, v[10:13], s[2:3] offset:32 th:TH_ATOMIC_RETURN scope:SCOPE_SYS
	s_wait_loadcnt 0x0
	v_cmpx_ne_u64_e64 v[2:3], v[12:13]
	s_cbranch_execz .LBB0_98
; %bb.96:
	s_mov_b32 s7, 0
.LBB0_97:                               ; =>This Inner Loop Header: Depth=1
	v_dual_mov_b32 v0, s4 :: v_dual_mov_b32 v1, s5
	s_sleep 1
	global_store_b64 v[4:5], v[2:3], off
	global_wb scope:SCOPE_SYS
	s_wait_storecnt 0x0
	s_wait_xcnt 0x0
	global_atomic_cmpswap_b64 v[0:1], v6, v[0:3], s[2:3] offset:32 th:TH_ATOMIC_RETURN scope:SCOPE_SYS
	s_wait_loadcnt 0x0
	v_cmp_eq_u64_e32 vcc_lo, v[0:1], v[2:3]
	v_mov_b64_e32 v[2:3], v[0:1]
	s_or_b32 s7, vcc_lo, s7
	s_delay_alu instid0(SALU_CYCLE_1)
	s_and_not1_b32 exec_lo, exec_lo, s7
	s_cbranch_execnz .LBB0_97
.LBB0_98:
	s_or_b32 exec_lo, exec_lo, s6
	v_mov_b32_e32 v3, 0
	s_mov_b32 s7, exec_lo
	s_mov_b32 s6, exec_lo
	v_mbcnt_lo_u32_b32 v2, s7, 0
	global_load_b64 v[0:1], v3, s[2:3] offset:16
	s_wait_xcnt 0x0
	v_cmpx_eq_u32_e32 0, v2
	s_cbranch_execz .LBB0_100
; %bb.99:
	s_bcnt1_i32_b32 s7, s7
	s_delay_alu instid0(SALU_CYCLE_1)
	v_mov_b32_e32 v2, s7
	global_wb scope:SCOPE_SYS
	s_wait_loadcnt 0x0
	s_wait_storecnt 0x0
	global_atomic_add_u64 v[0:1], v[2:3], off offset:8 scope:SCOPE_SYS
.LBB0_100:
	s_wait_xcnt 0x0
	s_or_b32 exec_lo, exec_lo, s6
	s_wait_loadcnt 0x0
	global_load_b64 v[2:3], v[0:1], off offset:16
	s_wait_loadcnt 0x0
	v_cmp_eq_u64_e32 vcc_lo, 0, v[2:3]
	s_cbranch_vccnz .LBB0_102
; %bb.101:
	global_load_b32 v0, v[0:1], off offset:24
	s_wait_xcnt 0x0
	v_mov_b32_e32 v1, 0
	s_wait_loadcnt 0x0
	v_readfirstlane_b32 s6, v0
	global_wb scope:SCOPE_SYS
	s_wait_storecnt 0x0
	global_store_b64 v[2:3], v[0:1], off scope:SCOPE_SYS
	s_and_b32 m0, s6, 0xffffff
	s_sendmsg sendmsg(MSG_INTERRUPT)
.LBB0_102:
	s_wait_xcnt 0x0
	s_or_b32 exec_lo, exec_lo, s1
	s_branch .LBB0_106
.LBB0_103:                              ;   in Loop: Header=BB0_106 Depth=1
	s_wait_xcnt 0x0
	s_or_b32 exec_lo, exec_lo, s1
	s_delay_alu instid0(VALU_DEP_1)
	v_readfirstlane_b32 s1, v0
	s_cmp_eq_u32 s1, 0
	s_cbranch_scc1 .LBB0_105
; %bb.104:                              ;   in Loop: Header=BB0_106 Depth=1
	s_sleep 1
	s_cbranch_execnz .LBB0_106
	s_branch .LBB0_108
.LBB0_105:
	s_branch .LBB0_108
.LBB0_106:                              ; =>This Inner Loop Header: Depth=1
	v_mov_b32_e32 v0, 1
	s_and_saveexec_b32 s1, s0
	s_cbranch_execz .LBB0_103
; %bb.107:                              ;   in Loop: Header=BB0_106 Depth=1
	global_load_b32 v0, v[8:9], off offset:20 scope:SCOPE_SYS
	s_wait_loadcnt 0x0
	global_inv scope:SCOPE_SYS
	v_and_b32_e32 v0, 1, v0
	s_branch .LBB0_103
.LBB0_108:
	s_and_saveexec_b32 s6, s0
	s_cbranch_execz .LBB0_112
; %bb.109:
	v_mov_b32_e32 v6, 0
	s_clause 0x2
	global_load_b64 v[0:1], v6, s[2:3] offset:40
	global_load_b64 v[10:11], v6, s[2:3] offset:24 scope:SCOPE_SYS
	global_load_b64 v[2:3], v6, s[2:3]
	s_wait_loadcnt 0x2
	v_readfirstlane_b32 s8, v0
	v_readfirstlane_b32 s9, v1
	s_add_nc_u64 s[0:1], s[8:9], 1
	s_delay_alu instid0(SALU_CYCLE_1) | instskip(NEXT) | instid1(SALU_CYCLE_1)
	s_add_nc_u64 s[4:5], s[0:1], s[4:5]
	s_cmp_eq_u64 s[4:5], 0
	s_cselect_b32 s1, s1, s5
	s_cselect_b32 s0, s0, s4
	v_mov_b32_e32 v9, s1
	s_and_b64 s[4:5], s[0:1], s[8:9]
	v_mov_b32_e32 v8, s0
	s_mul_u64 s[4:5], s[4:5], 24
	s_wait_loadcnt 0x0
	v_add_nc_u64_e32 v[4:5], s[4:5], v[2:3]
	global_store_b64 v[4:5], v[10:11], off
	global_wb scope:SCOPE_SYS
	s_wait_storecnt 0x0
	s_wait_xcnt 0x0
	global_atomic_cmpswap_b64 v[2:3], v6, v[8:11], s[2:3] offset:24 th:TH_ATOMIC_RETURN scope:SCOPE_SYS
	s_wait_loadcnt 0x0
	v_cmp_ne_u64_e32 vcc_lo, v[2:3], v[10:11]
	s_and_b32 exec_lo, exec_lo, vcc_lo
	s_cbranch_execz .LBB0_112
; %bb.110:
	s_mov_b32 s4, 0
.LBB0_111:                              ; =>This Inner Loop Header: Depth=1
	v_dual_mov_b32 v0, s0 :: v_dual_mov_b32 v1, s1
	s_sleep 1
	global_store_b64 v[4:5], v[2:3], off
	global_wb scope:SCOPE_SYS
	s_wait_storecnt 0x0
	s_wait_xcnt 0x0
	global_atomic_cmpswap_b64 v[0:1], v6, v[0:3], s[2:3] offset:24 th:TH_ATOMIC_RETURN scope:SCOPE_SYS
	s_wait_loadcnt 0x0
	v_cmp_eq_u64_e32 vcc_lo, v[0:1], v[2:3]
	v_mov_b64_e32 v[2:3], v[0:1]
	s_or_b32 s4, vcc_lo, s4
	s_delay_alu instid0(SALU_CYCLE_1)
	s_and_not1_b32 exec_lo, exec_lo, s4
	s_cbranch_execnz .LBB0_111
.LBB0_112:
	s_or_b32 exec_lo, exec_lo, s6
	s_wait_loadcnt 0x0
	s_wait_kmcnt 0x0
	s_set_pc_i64 s[30:31]
.LBB0_113:
	s_cbranch_execnz .LBB0_86
.LBB0_114:
	s_wait_loadcnt 0x0
	s_wait_kmcnt 0x0
	s_set_pc_i64 s[30:31]
.Lfunc_end0:
	.size	__ockl_fprintf_append_string_n, .Lfunc_end0-__ockl_fprintf_append_string_n
                                        ; -- End function
	.set .L__ockl_fprintf_append_string_n.num_vgpr, 40
	.set .L__ockl_fprintf_append_string_n.num_agpr, 0
	.set .L__ockl_fprintf_append_string_n.numbered_sgpr, 32
	.set .L__ockl_fprintf_append_string_n.num_named_barrier, 0
	.set .L__ockl_fprintf_append_string_n.private_seg_size, 0
	.set .L__ockl_fprintf_append_string_n.uses_vcc, 1
	.set .L__ockl_fprintf_append_string_n.uses_flat_scratch, 0
	.set .L__ockl_fprintf_append_string_n.has_dyn_sized_stack, 0
	.set .L__ockl_fprintf_append_string_n.has_recursion, 0
	.set .L__ockl_fprintf_append_string_n.has_indirect_call, 0
	.section	.AMDGPU.csdata,"",@progbits
; Function info:
; codeLenInByte = 4324
; TotalNumSgprs: 34
; NumVgprs: 40
; ScratchSize: 0
; MemoryBound: 0
	.text
	.p2align	2                               ; -- Begin function __assert_fail
	.type	__assert_fail,@function
__assert_fail:                          ; @__assert_fail
; %bb.0:
	s_wait_loadcnt_dscnt 0x0
	s_wait_kmcnt 0x0
	s_mov_b32 s20, s33
	s_mov_b32 s33, s32
	s_or_saveexec_b32 s0, -1
	scratch_store_b32 off, v40, s33 offset:48 ; 4-byte Folded Spill
	s_wait_xcnt 0x0
	s_mov_b32 exec_lo, s0
	v_writelane_b32 v40, s30, 0
	s_add_co_i32 s32, s32, 64
	v_writelane_b32 v40, s31, 1
	v_mov_b32_e32 v8, 0
	s_get_pc_i64 s[0:1]
	s_add_nc_u64 s[0:1], s[0:1], __const.__assert_fail.fmt@rel64+35
	v_dual_mov_b32 v5, v1 :: v_dual_mov_b32 v4, v0
	s_get_pc_i64 s[10:11]
	s_add_nc_u64 s[10:11], s[10:11], __const.__assert_fail.fmt@rel64+20
	global_load_b128 v[0:3], v8, s[0:1]
	s_wait_xcnt 0x0
	s_get_pc_i64 s[0:1]
	s_add_nc_u64 s[0:1], s[0:1], __const.__assert_fail.fmt@rel64+4
	s_clause 0x1
	s_load_b128 s[4:7], s[0:1], 0x0
	s_load_b128 s[12:15], s[10:11], 0x0
	s_load_b64 s[2:3], s[8:9], 0x50
	v_mbcnt_lo_u32_b32 v48, -1, 0
	v_mov_b64_e32 v[6:7], 0
	s_wait_xcnt 0x0
	s_delay_alu instid0(VALU_DEP_2) | instskip(NEXT) | instid1(VALU_DEP_1)
	v_readfirstlane_b32 s0, v48
	v_cmp_eq_u32_e64 s0, s0, v48
	s_wait_kmcnt 0x0
	v_mov_b64_e32 v[12:13], s[6:7]
	v_mov_b64_e32 v[10:11], s[4:5]
	;; [unrolled: 1-line block ×4, first 2 shown]
	s_clause 0x1
	scratch_store_b128 off, v[10:13], s33
	scratch_store_b128 off, v[14:17], s33 offset:16
	s_wait_loadcnt 0x0
	scratch_store_b128 off, v[0:3], s33 offset:31
	s_wait_xcnt 0x0
	s_and_saveexec_b32 s1, s0
	s_cbranch_execz .LBB1_6
; %bb.1:
	global_load_b64 v[2:3], v8, s[2:3] offset:24 scope:SCOPE_SYS
	s_wait_loadcnt 0x0
	global_inv scope:SCOPE_SYS
	s_clause 0x1
	global_load_b64 v[0:1], v8, s[2:3] offset:40
	global_load_b64 v[6:7], v8, s[2:3]
	s_mov_b32 s4, exec_lo
	s_wait_loadcnt 0x1
	v_and_b32_e32 v0, v0, v2
	v_and_b32_e32 v1, v1, v3
	s_delay_alu instid0(VALU_DEP_1) | instskip(SKIP_1) | instid1(VALU_DEP_1)
	v_mul_u64_e32 v[0:1], 24, v[0:1]
	s_wait_loadcnt 0x0
	v_add_nc_u64_e32 v[0:1], v[6:7], v[0:1]
	global_load_b64 v[0:1], v[0:1], off scope:SCOPE_SYS
	s_wait_xcnt 0x0
	s_wait_loadcnt 0x0
	global_atomic_cmpswap_b64 v[6:7], v8, v[0:3], s[2:3] offset:24 th:TH_ATOMIC_RETURN scope:SCOPE_SYS
	s_wait_loadcnt 0x0
	global_inv scope:SCOPE_SYS
	s_wait_xcnt 0x0
	v_cmpx_ne_u64_e64 v[6:7], v[2:3]
	s_cbranch_execz .LBB1_5
; %bb.2:
	v_mov_b32_e32 v0, 0
	s_mov_b32 s5, 0
.LBB1_3:                                ; =>This Inner Loop Header: Depth=1
	s_sleep 1
	s_clause 0x1
	global_load_b64 v[2:3], v0, s[2:3] offset:40
	global_load_b64 v[10:11], v0, s[2:3]
	v_mov_b64_e32 v[12:13], v[6:7]
	s_wait_loadcnt 0x1
	s_delay_alu instid0(VALU_DEP_1) | instskip(SKIP_1) | instid1(VALU_DEP_1)
	v_and_b32_e32 v1, v2, v12
	s_wait_loadcnt 0x0
	v_mad_nc_u64_u32 v[6:7], v1, 24, v[10:11]
	s_delay_alu instid0(VALU_DEP_3) | instskip(NEXT) | instid1(VALU_DEP_1)
	v_and_b32_e32 v1, v3, v13
	v_mad_u32 v7, v1, 24, v7
	global_load_b64 v[10:11], v[6:7], off scope:SCOPE_SYS
	s_wait_xcnt 0x0
	s_wait_loadcnt 0x0
	global_atomic_cmpswap_b64 v[6:7], v0, v[10:13], s[2:3] offset:24 th:TH_ATOMIC_RETURN scope:SCOPE_SYS
	s_wait_loadcnt 0x0
	global_inv scope:SCOPE_SYS
	v_cmp_eq_u64_e32 vcc_lo, v[6:7], v[12:13]
	s_or_b32 s5, vcc_lo, s5
	s_wait_xcnt 0x0
	s_and_not1_b32 exec_lo, exec_lo, s5
	s_cbranch_execnz .LBB1_3
; %bb.4:
	s_or_b32 exec_lo, exec_lo, s5
.LBB1_5:
	s_delay_alu instid0(SALU_CYCLE_1)
	s_or_b32 exec_lo, exec_lo, s4
.LBB1_6:
	s_delay_alu instid0(SALU_CYCLE_1)
	s_or_b32 exec_lo, exec_lo, s1
	s_clause 0x1
	global_load_b64 v[10:11], v8, s[2:3] offset:40
	global_load_b128 v[0:3], v8, s[2:3]
	v_readfirstlane_b32 s4, v6
	v_readfirstlane_b32 s5, v7
	s_mov_b32 s1, exec_lo
	s_wait_loadcnt 0x1
	s_wait_xcnt 0x0
	v_and_b32_e32 v8, s4, v10
	v_and_b32_e32 v9, s5, v11
	s_delay_alu instid0(VALU_DEP_1) | instskip(SKIP_1) | instid1(VALU_DEP_1)
	v_mul_u64_e32 v[6:7], 24, v[8:9]
	s_wait_loadcnt 0x0
	v_add_nc_u64_e32 v[6:7], v[0:1], v[6:7]
	s_and_saveexec_b32 s6, s0
	s_cbranch_execz .LBB1_8
; %bb.7:
	v_mov_b64_e32 v[12:13], 0x100000002
	v_dual_mov_b32 v10, s1 :: v_dual_mov_b32 v11, 0
	global_store_b128 v[6:7], v[10:13], off offset:8
.LBB1_8:
	s_wait_xcnt 0x0
	s_or_b32 exec_lo, exec_lo, s6
	v_lshlrev_b64_e32 v[8:9], 12, v[8:9]
	s_mov_b32 s12, 0
	v_dual_mov_b32 v31, 0 :: v_dual_lshlrev_b32 v30, 6, v48
	s_mov_b32 s14, s12
	s_mov_b32 s15, s12
	;; [unrolled: 1-line block ×3, first 2 shown]
	s_delay_alu instid0(VALU_DEP_2)
	v_add_nc_u64_e32 v[8:9], v[2:3], v[8:9]
	v_mov_b64_e32 v[16:17], s[14:15]
	v_mov_b64_e32 v[14:15], s[12:13]
	v_dual_mov_b32 v10, 33 :: v_dual_mov_b32 v12, 1
	v_dual_mov_b32 v11, v31 :: v_dual_mov_b32 v13, v31
	v_readfirstlane_b32 s6, v8
	v_readfirstlane_b32 s7, v9
	s_clause 0x3
	global_store_b128 v30, v[10:13], s[6:7]
	global_store_b128 v30, v[14:17], s[6:7] offset:16
	global_store_b128 v30, v[14:17], s[6:7] offset:32
	;; [unrolled: 1-line block ×3, first 2 shown]
	s_wait_xcnt 0x0
	s_and_saveexec_b32 s1, s0
	s_cbranch_execz .LBB1_16
; %bb.9:
	s_clause 0x1
	global_load_b64 v[14:15], v31, s[2:3] offset:32 scope:SCOPE_SYS
	global_load_b64 v[2:3], v31, s[2:3] offset:40
	s_mov_b32 s6, exec_lo
	v_dual_mov_b32 v12, s4 :: v_dual_mov_b32 v13, s5
	s_wait_loadcnt 0x0
	v_and_b32_e32 v3, s5, v3
	v_and_b32_e32 v2, s4, v2
	s_delay_alu instid0(VALU_DEP_1) | instskip(NEXT) | instid1(VALU_DEP_1)
	v_mul_u64_e32 v[2:3], 24, v[2:3]
	v_add_nc_u64_e32 v[10:11], v[0:1], v[2:3]
	global_store_b64 v[10:11], v[14:15], off
	global_wb scope:SCOPE_SYS
	s_wait_storecnt 0x0
	s_wait_xcnt 0x0
	global_atomic_cmpswap_b64 v[2:3], v31, v[12:15], s[2:3] offset:32 th:TH_ATOMIC_RETURN scope:SCOPE_SYS
	s_wait_loadcnt 0x0
	v_cmpx_ne_u64_e64 v[2:3], v[14:15]
	s_cbranch_execz .LBB1_12
; %bb.10:
	v_mov_b32_e32 v12, 0
	s_mov_b32 s7, 0
.LBB1_11:                               ; =>This Inner Loop Header: Depth=1
	v_dual_mov_b32 v0, s4 :: v_dual_mov_b32 v1, s5
	s_sleep 1
	global_store_b64 v[10:11], v[2:3], off
	global_wb scope:SCOPE_SYS
	s_wait_storecnt 0x0
	s_wait_xcnt 0x0
	global_atomic_cmpswap_b64 v[0:1], v12, v[0:3], s[2:3] offset:32 th:TH_ATOMIC_RETURN scope:SCOPE_SYS
	s_wait_loadcnt 0x0
	v_cmp_eq_u64_e32 vcc_lo, v[0:1], v[2:3]
	v_mov_b64_e32 v[2:3], v[0:1]
	s_or_b32 s7, vcc_lo, s7
	s_delay_alu instid0(SALU_CYCLE_1)
	s_and_not1_b32 exec_lo, exec_lo, s7
	s_cbranch_execnz .LBB1_11
.LBB1_12:
	s_or_b32 exec_lo, exec_lo, s6
	v_mov_b32_e32 v3, 0
	s_mov_b32 s7, exec_lo
	s_mov_b32 s6, exec_lo
	v_mbcnt_lo_u32_b32 v2, s7, 0
	global_load_b64 v[0:1], v3, s[2:3] offset:16
	s_wait_xcnt 0x0
	v_cmpx_eq_u32_e32 0, v2
	s_cbranch_execz .LBB1_14
; %bb.13:
	s_bcnt1_i32_b32 s7, s7
	s_delay_alu instid0(SALU_CYCLE_1)
	v_mov_b32_e32 v2, s7
	global_wb scope:SCOPE_SYS
	s_wait_loadcnt 0x0
	s_wait_storecnt 0x0
	global_atomic_add_u64 v[0:1], v[2:3], off offset:8 scope:SCOPE_SYS
.LBB1_14:
	s_wait_xcnt 0x0
	s_or_b32 exec_lo, exec_lo, s6
	s_wait_loadcnt 0x0
	global_load_b64 v[2:3], v[0:1], off offset:16
	s_wait_loadcnt 0x0
	v_cmp_eq_u64_e32 vcc_lo, 0, v[2:3]
	s_cbranch_vccnz .LBB1_16
; %bb.15:
	global_load_b32 v0, v[0:1], off offset:24
	s_wait_xcnt 0x0
	v_mov_b32_e32 v1, 0
	s_wait_loadcnt 0x0
	v_readfirstlane_b32 s6, v0
	global_wb scope:SCOPE_SYS
	s_wait_storecnt 0x0
	global_store_b64 v[2:3], v[0:1], off scope:SCOPE_SYS
	s_and_b32 m0, s6, 0xffffff
	s_sendmsg sendmsg(MSG_INTERRUPT)
.LBB1_16:
	s_wait_xcnt 0x0
	s_or_b32 exec_lo, exec_lo, s1
	v_add_nc_u64_e32 v[0:1], v[8:9], v[30:31]
	s_branch .LBB1_20
.LBB1_17:                               ;   in Loop: Header=BB1_20 Depth=1
	s_wait_xcnt 0x0
	s_or_b32 exec_lo, exec_lo, s1
	s_delay_alu instid0(VALU_DEP_1)
	v_readfirstlane_b32 s1, v2
	s_cmp_eq_u32 s1, 0
	s_cbranch_scc1 .LBB1_19
; %bb.18:                               ;   in Loop: Header=BB1_20 Depth=1
	s_sleep 1
	s_cbranch_execnz .LBB1_20
	s_branch .LBB1_22
.LBB1_19:
	s_branch .LBB1_22
.LBB1_20:                               ; =>This Inner Loop Header: Depth=1
	v_mov_b32_e32 v2, 1
	s_and_saveexec_b32 s1, s0
	s_cbranch_execz .LBB1_17
; %bb.21:                               ;   in Loop: Header=BB1_20 Depth=1
	global_load_b32 v2, v[6:7], off offset:20 scope:SCOPE_SYS
	s_wait_loadcnt 0x0
	global_inv scope:SCOPE_SYS
	v_and_b32_e32 v2, 1, v2
	s_branch .LBB1_17
.LBB1_22:
	global_load_b64 v[6:7], v[0:1], off
	s_wait_xcnt 0x0
	s_and_saveexec_b32 s6, s0
	s_cbranch_execz .LBB1_26
; %bb.23:
	v_mov_b32_e32 v10, 0
	s_clause 0x2
	global_load_b64 v[0:1], v10, s[2:3] offset:40
	global_load_b64 v[14:15], v10, s[2:3] offset:24 scope:SCOPE_SYS
	global_load_b64 v[2:3], v10, s[2:3]
	s_wait_loadcnt 0x2
	v_readfirstlane_b32 s10, v0
	v_readfirstlane_b32 s11, v1
	s_add_nc_u64 s[0:1], s[10:11], 1
	s_delay_alu instid0(SALU_CYCLE_1) | instskip(NEXT) | instid1(SALU_CYCLE_1)
	s_add_nc_u64 s[4:5], s[0:1], s[4:5]
	s_cmp_eq_u64 s[4:5], 0
	s_cselect_b32 s1, s1, s5
	s_cselect_b32 s0, s0, s4
	v_mov_b32_e32 v13, s1
	s_and_b64 s[4:5], s[0:1], s[10:11]
	v_mov_b32_e32 v12, s0
	s_mul_u64 s[4:5], s[4:5], 24
	s_wait_loadcnt 0x0
	v_add_nc_u64_e32 v[8:9], s[4:5], v[2:3]
	global_store_b64 v[8:9], v[14:15], off
	global_wb scope:SCOPE_SYS
	s_wait_storecnt 0x0
	s_wait_xcnt 0x0
	global_atomic_cmpswap_b64 v[2:3], v10, v[12:15], s[2:3] offset:24 th:TH_ATOMIC_RETURN scope:SCOPE_SYS
	s_wait_loadcnt 0x0
	v_cmp_ne_u64_e32 vcc_lo, v[2:3], v[14:15]
	s_and_b32 exec_lo, exec_lo, vcc_lo
	s_cbranch_execz .LBB1_26
; %bb.24:
	s_mov_b32 s4, 0
.LBB1_25:                               ; =>This Inner Loop Header: Depth=1
	v_dual_mov_b32 v0, s0 :: v_dual_mov_b32 v1, s1
	s_sleep 1
	global_store_b64 v[8:9], v[2:3], off
	global_wb scope:SCOPE_SYS
	s_wait_storecnt 0x0
	s_wait_xcnt 0x0
	global_atomic_cmpswap_b64 v[0:1], v10, v[0:3], s[2:3] offset:24 th:TH_ATOMIC_RETURN scope:SCOPE_SYS
	s_wait_loadcnt 0x0
	v_cmp_eq_u64_e32 vcc_lo, v[0:1], v[2:3]
	v_mov_b64_e32 v[2:3], v[0:1]
	s_or_b32 s4, vcc_lo, s4
	s_delay_alu instid0(SALU_CYCLE_1)
	s_and_not1_b32 exec_lo, exec_lo, s4
	s_cbranch_execnz .LBB1_25
.LBB1_26:
	s_or_b32 exec_lo, exec_lo, s6
	s_mov_b32 s1, s33
	s_mov_b32 s0, 0
.LBB1_27:                               ; =>This Inner Loop Header: Depth=1
	scratch_load_u8 v0, off, s1
	s_wait_xcnt 0x0
	s_add_co_i32 s1, s1, 1
	s_wait_loadcnt 0x0
	v_cmp_eq_u16_e32 vcc_lo, 0, v0
	v_mov_b32_e32 v0, s1
	s_or_b32 s0, vcc_lo, s0
	s_delay_alu instid0(SALU_CYCLE_1)
	s_and_not1_b32 exec_lo, exec_lo, s0
	s_cbranch_execnz .LBB1_27
; %bb.28:
	s_or_b32 exec_lo, exec_lo, s0
	s_cmp_lg_u32 s33, -1
	s_cbranch_scc0 .LBB1_113
; %bb.29:
	s_mov_b64 s[0:1], src_flat_scratch_base_lo
	v_mov_b64_e32 v[10:11], 0x100000002
	v_dual_add_nc_u32 v0, s0, v0 :: v_dual_bitop2_b32 v28, 2, v6 bitop3:0x40
	s_add_co_i32 s0, s33, s0
	v_dual_mov_b32 v31, 0 :: v_dual_mov_b32 v29, s33
	s_delay_alu instid0(VALU_DEP_2) | instskip(SKIP_3) | instid1(VALU_DEP_2)
	v_subrev_nc_u32_e32 v32, s0, v0
	v_dual_mov_b32 v1, v7 :: v_dual_bitop2_b32 v0, -3, v6 bitop3:0x40
	s_mov_b32 s7, 0
	s_mov_b32 s6, 0
	v_ashrrev_i32_e32 v33, 31, v32
	s_branch .LBB1_31
.LBB1_30:                               ;   in Loop: Header=BB1_31 Depth=1
	s_or_b32 exec_lo, exec_lo, s10
	v_sub_nc_u64_e32 v[32:33], v[32:33], v[34:35]
	v_add_nc_u32_e32 v29, v29, v34
	s_delay_alu instid0(VALU_DEP_2) | instskip(SKIP_1) | instid1(SALU_CYCLE_1)
	v_cmp_eq_u64_e32 vcc_lo, 0, v[32:33]
	s_or_b32 s6, vcc_lo, s6
	s_and_not1_b32 exec_lo, exec_lo, s6
	s_cbranch_execz .LBB1_192
.LBB1_31:                               ; =>This Loop Header: Depth=1
                                        ;     Child Loop BB1_34 Depth 2
                                        ;     Child Loop BB1_42 Depth 2
	;; [unrolled: 1-line block ×11, first 2 shown]
	s_delay_alu instid0(VALU_DEP_1)
	v_min_u64 v[34:35], v[32:33], 56
	v_add_nc_u32_e32 v9, 8, v29
	s_mov_b32 s0, exec_lo
	v_cmpx_gt_u64_e32 8, v[32:33]
	s_xor_b32 s4, exec_lo, s0
	s_cbranch_execz .LBB1_37
; %bb.32:                               ;   in Loop: Header=BB1_31 Depth=1
	v_mov_b64_e32 v[2:3], 0
	s_mov_b32 s5, exec_lo
	v_cmpx_ne_u64_e32 0, v[32:33]
	s_cbranch_execz .LBB1_36
; %bb.33:                               ;   in Loop: Header=BB1_31 Depth=1
	v_mov_b64_e32 v[2:3], 0
	v_dual_mov_b32 v9, v29 :: v_dual_lshlrev_b32 v8, 3, v34
	s_mov_b64 s[0:1], 0
	s_mov_b32 s10, 0
.LBB1_34:                               ;   Parent Loop BB1_31 Depth=1
                                        ; =>  This Inner Loop Header: Depth=2
	scratch_load_u8 v12, v9, off
	s_wait_xcnt 0x0
	v_dual_mov_b32 v13, s7 :: v_dual_add_nc_u32 v9, 1, v9
	s_wait_loadcnt 0x0
	v_and_b32_e32 v12, 0xffff, v12
	s_delay_alu instid0(VALU_DEP_1) | instskip(SKIP_1) | instid1(SALU_CYCLE_1)
	v_lshlrev_b64_e32 v[12:13], s0, v[12:13]
	s_add_nc_u64 s[0:1], s[0:1], 8
	v_cmp_eq_u32_e32 vcc_lo, s0, v8
	s_delay_alu instid0(VALU_DEP_2) | instskip(NEXT) | instid1(VALU_DEP_3)
	v_or_b32_e32 v3, v13, v3
	v_or_b32_e32 v2, v12, v2
	s_or_b32 s10, vcc_lo, s10
	s_delay_alu instid0(SALU_CYCLE_1)
	s_and_not1_b32 exec_lo, exec_lo, s10
	s_cbranch_execnz .LBB1_34
; %bb.35:                               ;   in Loop: Header=BB1_31 Depth=1
	s_or_b32 exec_lo, exec_lo, s10
.LBB1_36:                               ;   in Loop: Header=BB1_31 Depth=1
	s_delay_alu instid0(SALU_CYCLE_1)
	s_or_b32 exec_lo, exec_lo, s5
	v_mov_b32_e32 v9, v29
.LBB1_37:                               ;   in Loop: Header=BB1_31 Depth=1
	s_or_saveexec_b32 s0, s4
	v_mov_b32_e32 v14, 0
	s_xor_b32 exec_lo, exec_lo, s0
	s_cbranch_execz .LBB1_39
; %bb.38:                               ;   in Loop: Header=BB1_31 Depth=1
	scratch_load_b64 v[2:3], v29, off
	v_add_nc_u32_e32 v14, -8, v34
.LBB1_39:                               ;   in Loop: Header=BB1_31 Depth=1
	s_wait_xcnt 0x0
	s_or_b32 exec_lo, exec_lo, s0
	v_add_nc_u32_e32 v8, 8, v9
                                        ; implicit-def: $vgpr12_vgpr13
	s_mov_b32 s0, exec_lo
	v_cmpx_gt_u32_e32 8, v14
	s_xor_b32 s4, exec_lo, s0
	s_cbranch_execz .LBB1_45
; %bb.40:                               ;   in Loop: Header=BB1_31 Depth=1
	v_mov_b64_e32 v[12:13], 0
	s_mov_b32 s5, exec_lo
	v_cmpx_ne_u32_e32 0, v14
	s_cbranch_execz .LBB1_44
; %bb.41:                               ;   in Loop: Header=BB1_31 Depth=1
	v_mov_b64_e32 v[12:13], 0
	s_mov_b64 s[0:1], 0
	s_mov_b32 s10, 0
	s_mov_b32 s11, 0
.LBB1_42:                               ;   Parent Loop BB1_31 Depth=1
                                        ; =>  This Inner Loop Header: Depth=2
	scratch_load_u8 v8, v9, s11
	v_mov_b32_e32 v17, s7
	s_wait_xcnt 0x0
	s_add_co_i32 s11, s11, 1
	s_delay_alu instid0(SALU_CYCLE_1) | instskip(SKIP_3) | instid1(VALU_DEP_1)
	v_cmp_eq_u32_e32 vcc_lo, s11, v14
	s_or_b32 s10, vcc_lo, s10
	s_wait_loadcnt 0x0
	v_and_b32_e32 v16, 0xffff, v8
	v_lshlrev_b64_e32 v[16:17], s0, v[16:17]
	s_add_nc_u64 s[0:1], s[0:1], 8
	s_delay_alu instid0(VALU_DEP_1) | instskip(NEXT) | instid1(VALU_DEP_2)
	v_or_b32_e32 v13, v17, v13
	v_or_b32_e32 v12, v16, v12
	s_and_not1_b32 exec_lo, exec_lo, s10
	s_cbranch_execnz .LBB1_42
; %bb.43:                               ;   in Loop: Header=BB1_31 Depth=1
	s_or_b32 exec_lo, exec_lo, s10
.LBB1_44:                               ;   in Loop: Header=BB1_31 Depth=1
	s_delay_alu instid0(SALU_CYCLE_1)
	s_or_b32 exec_lo, exec_lo, s5
	v_mov_b32_e32 v8, v9
                                        ; implicit-def: $vgpr14
.LBB1_45:                               ;   in Loop: Header=BB1_31 Depth=1
	s_or_saveexec_b32 s0, s4
	v_mov_b32_e32 v16, 0
	s_xor_b32 exec_lo, exec_lo, s0
	s_cbranch_execz .LBB1_47
; %bb.46:                               ;   in Loop: Header=BB1_31 Depth=1
	scratch_load_b64 v[12:13], v9, off
	v_add_nc_u32_e32 v16, -8, v14
.LBB1_47:                               ;   in Loop: Header=BB1_31 Depth=1
	s_wait_xcnt 0x0
	s_or_b32 exec_lo, exec_lo, s0
	v_add_nc_u32_e32 v9, 8, v8
	s_mov_b32 s0, exec_lo
	v_cmpx_gt_u32_e32 8, v16
	s_xor_b32 s4, exec_lo, s0
	s_cbranch_execz .LBB1_53
; %bb.48:                               ;   in Loop: Header=BB1_31 Depth=1
	v_mov_b64_e32 v[14:15], 0
	s_mov_b32 s5, exec_lo
	v_cmpx_ne_u32_e32 0, v16
	s_cbranch_execz .LBB1_52
; %bb.49:                               ;   in Loop: Header=BB1_31 Depth=1
	v_mov_b64_e32 v[14:15], 0
	s_mov_b64 s[0:1], 0
	s_mov_b32 s10, 0
	s_mov_b32 s11, 0
.LBB1_50:                               ;   Parent Loop BB1_31 Depth=1
                                        ; =>  This Inner Loop Header: Depth=2
	scratch_load_u8 v9, v8, s11
	v_mov_b32_e32 v19, s7
	s_wait_xcnt 0x0
	s_add_co_i32 s11, s11, 1
	s_delay_alu instid0(SALU_CYCLE_1) | instskip(SKIP_3) | instid1(VALU_DEP_1)
	v_cmp_eq_u32_e32 vcc_lo, s11, v16
	s_or_b32 s10, vcc_lo, s10
	s_wait_loadcnt 0x0
	v_and_b32_e32 v18, 0xffff, v9
	v_lshlrev_b64_e32 v[18:19], s0, v[18:19]
	s_add_nc_u64 s[0:1], s[0:1], 8
	s_delay_alu instid0(VALU_DEP_1) | instskip(NEXT) | instid1(VALU_DEP_2)
	v_or_b32_e32 v15, v19, v15
	v_or_b32_e32 v14, v18, v14
	s_and_not1_b32 exec_lo, exec_lo, s10
	s_cbranch_execnz .LBB1_50
; %bb.51:                               ;   in Loop: Header=BB1_31 Depth=1
	s_or_b32 exec_lo, exec_lo, s10
.LBB1_52:                               ;   in Loop: Header=BB1_31 Depth=1
	s_delay_alu instid0(SALU_CYCLE_1)
	s_or_b32 exec_lo, exec_lo, s5
	v_mov_b32_e32 v9, v8
                                        ; implicit-def: $vgpr16
.LBB1_53:                               ;   in Loop: Header=BB1_31 Depth=1
	s_or_saveexec_b32 s0, s4
	v_mov_b32_e32 v18, 0
	s_xor_b32 exec_lo, exec_lo, s0
	s_cbranch_execz .LBB1_55
; %bb.54:                               ;   in Loop: Header=BB1_31 Depth=1
	scratch_load_b64 v[14:15], v8, off
	v_add_nc_u32_e32 v18, -8, v16
.LBB1_55:                               ;   in Loop: Header=BB1_31 Depth=1
	s_wait_xcnt 0x0
	s_or_b32 exec_lo, exec_lo, s0
	v_add_nc_u32_e32 v8, 8, v9
                                        ; implicit-def: $vgpr16_vgpr17
	s_mov_b32 s0, exec_lo
	v_cmpx_gt_u32_e32 8, v18
	s_xor_b32 s4, exec_lo, s0
	s_cbranch_execz .LBB1_61
; %bb.56:                               ;   in Loop: Header=BB1_31 Depth=1
	v_mov_b64_e32 v[16:17], 0
	s_mov_b32 s5, exec_lo
	v_cmpx_ne_u32_e32 0, v18
	s_cbranch_execz .LBB1_60
; %bb.57:                               ;   in Loop: Header=BB1_31 Depth=1
	v_mov_b64_e32 v[16:17], 0
	s_mov_b64 s[0:1], 0
	s_mov_b32 s10, 0
	s_mov_b32 s11, 0
.LBB1_58:                               ;   Parent Loop BB1_31 Depth=1
                                        ; =>  This Inner Loop Header: Depth=2
	scratch_load_u8 v8, v9, s11
	v_mov_b32_e32 v21, s7
	s_wait_xcnt 0x0
	s_add_co_i32 s11, s11, 1
	s_delay_alu instid0(SALU_CYCLE_1) | instskip(SKIP_3) | instid1(VALU_DEP_1)
	v_cmp_eq_u32_e32 vcc_lo, s11, v18
	s_or_b32 s10, vcc_lo, s10
	s_wait_loadcnt 0x0
	v_and_b32_e32 v20, 0xffff, v8
	v_lshlrev_b64_e32 v[20:21], s0, v[20:21]
	s_add_nc_u64 s[0:1], s[0:1], 8
	s_delay_alu instid0(VALU_DEP_1) | instskip(NEXT) | instid1(VALU_DEP_2)
	v_or_b32_e32 v17, v21, v17
	v_or_b32_e32 v16, v20, v16
	s_and_not1_b32 exec_lo, exec_lo, s10
	s_cbranch_execnz .LBB1_58
; %bb.59:                               ;   in Loop: Header=BB1_31 Depth=1
	s_or_b32 exec_lo, exec_lo, s10
.LBB1_60:                               ;   in Loop: Header=BB1_31 Depth=1
	s_delay_alu instid0(SALU_CYCLE_1)
	s_or_b32 exec_lo, exec_lo, s5
	v_mov_b32_e32 v8, v9
                                        ; implicit-def: $vgpr18
.LBB1_61:                               ;   in Loop: Header=BB1_31 Depth=1
	s_or_saveexec_b32 s0, s4
	v_mov_b32_e32 v20, 0
	s_xor_b32 exec_lo, exec_lo, s0
	s_cbranch_execz .LBB1_63
; %bb.62:                               ;   in Loop: Header=BB1_31 Depth=1
	scratch_load_b64 v[16:17], v9, off
	v_add_nc_u32_e32 v20, -8, v18
.LBB1_63:                               ;   in Loop: Header=BB1_31 Depth=1
	s_wait_xcnt 0x0
	s_or_b32 exec_lo, exec_lo, s0
	v_add_nc_u32_e32 v9, 8, v8
	s_mov_b32 s0, exec_lo
	v_cmpx_gt_u32_e32 8, v20
	s_xor_b32 s4, exec_lo, s0
	s_cbranch_execz .LBB1_69
; %bb.64:                               ;   in Loop: Header=BB1_31 Depth=1
	v_mov_b64_e32 v[18:19], 0
	s_mov_b32 s5, exec_lo
	v_cmpx_ne_u32_e32 0, v20
	s_cbranch_execz .LBB1_68
; %bb.65:                               ;   in Loop: Header=BB1_31 Depth=1
	v_mov_b64_e32 v[18:19], 0
	s_mov_b64 s[0:1], 0
	s_mov_b32 s10, 0
	s_mov_b32 s11, 0
.LBB1_66:                               ;   Parent Loop BB1_31 Depth=1
                                        ; =>  This Inner Loop Header: Depth=2
	scratch_load_u8 v9, v8, s11
	v_mov_b32_e32 v23, s7
	s_wait_xcnt 0x0
	s_add_co_i32 s11, s11, 1
	s_delay_alu instid0(SALU_CYCLE_1) | instskip(SKIP_3) | instid1(VALU_DEP_1)
	v_cmp_eq_u32_e32 vcc_lo, s11, v20
	s_or_b32 s10, vcc_lo, s10
	s_wait_loadcnt 0x0
	v_and_b32_e32 v22, 0xffff, v9
	v_lshlrev_b64_e32 v[22:23], s0, v[22:23]
	s_add_nc_u64 s[0:1], s[0:1], 8
	s_delay_alu instid0(VALU_DEP_1) | instskip(NEXT) | instid1(VALU_DEP_2)
	v_or_b32_e32 v19, v23, v19
	v_or_b32_e32 v18, v22, v18
	s_and_not1_b32 exec_lo, exec_lo, s10
	s_cbranch_execnz .LBB1_66
; %bb.67:                               ;   in Loop: Header=BB1_31 Depth=1
	s_or_b32 exec_lo, exec_lo, s10
.LBB1_68:                               ;   in Loop: Header=BB1_31 Depth=1
	s_delay_alu instid0(SALU_CYCLE_1)
	s_or_b32 exec_lo, exec_lo, s5
	v_mov_b32_e32 v9, v8
                                        ; implicit-def: $vgpr20
.LBB1_69:                               ;   in Loop: Header=BB1_31 Depth=1
	s_or_saveexec_b32 s0, s4
	v_mov_b32_e32 v22, 0
	s_xor_b32 exec_lo, exec_lo, s0
	s_cbranch_execz .LBB1_71
; %bb.70:                               ;   in Loop: Header=BB1_31 Depth=1
	scratch_load_b64 v[18:19], v8, off
	v_add_nc_u32_e32 v22, -8, v20
.LBB1_71:                               ;   in Loop: Header=BB1_31 Depth=1
	s_wait_xcnt 0x0
	s_or_b32 exec_lo, exec_lo, s0
	v_add_nc_u32_e32 v8, 8, v9
                                        ; implicit-def: $vgpr20_vgpr21
	s_mov_b32 s0, exec_lo
	v_cmpx_gt_u32_e32 8, v22
	s_xor_b32 s4, exec_lo, s0
	s_cbranch_execz .LBB1_77
; %bb.72:                               ;   in Loop: Header=BB1_31 Depth=1
	v_mov_b64_e32 v[20:21], 0
	s_mov_b32 s5, exec_lo
	v_cmpx_ne_u32_e32 0, v22
	s_cbranch_execz .LBB1_76
; %bb.73:                               ;   in Loop: Header=BB1_31 Depth=1
	v_mov_b64_e32 v[20:21], 0
	s_mov_b64 s[0:1], 0
	s_mov_b32 s10, 0
	s_mov_b32 s11, 0
.LBB1_74:                               ;   Parent Loop BB1_31 Depth=1
                                        ; =>  This Inner Loop Header: Depth=2
	scratch_load_u8 v8, v9, s11
	v_mov_b32_e32 v25, s7
	s_wait_xcnt 0x0
	s_add_co_i32 s11, s11, 1
	s_delay_alu instid0(SALU_CYCLE_1) | instskip(SKIP_3) | instid1(VALU_DEP_1)
	v_cmp_eq_u32_e32 vcc_lo, s11, v22
	s_or_b32 s10, vcc_lo, s10
	s_wait_loadcnt 0x0
	v_and_b32_e32 v24, 0xffff, v8
	v_lshlrev_b64_e32 v[24:25], s0, v[24:25]
	s_add_nc_u64 s[0:1], s[0:1], 8
	s_delay_alu instid0(VALU_DEP_1) | instskip(NEXT) | instid1(VALU_DEP_2)
	v_or_b32_e32 v21, v25, v21
	v_or_b32_e32 v20, v24, v20
	s_and_not1_b32 exec_lo, exec_lo, s10
	s_cbranch_execnz .LBB1_74
; %bb.75:                               ;   in Loop: Header=BB1_31 Depth=1
	s_or_b32 exec_lo, exec_lo, s10
.LBB1_76:                               ;   in Loop: Header=BB1_31 Depth=1
	s_delay_alu instid0(SALU_CYCLE_1)
	s_or_b32 exec_lo, exec_lo, s5
	v_mov_b32_e32 v8, v9
                                        ; implicit-def: $vgpr22
.LBB1_77:                               ;   in Loop: Header=BB1_31 Depth=1
	s_or_saveexec_b32 s0, s4
	v_mov_b32_e32 v24, 0
	s_xor_b32 exec_lo, exec_lo, s0
	s_cbranch_execz .LBB1_79
; %bb.78:                               ;   in Loop: Header=BB1_31 Depth=1
	scratch_load_b64 v[20:21], v9, off
	v_add_nc_u32_e32 v24, -8, v22
.LBB1_79:                               ;   in Loop: Header=BB1_31 Depth=1
	s_wait_xcnt 0x0
	s_or_b32 exec_lo, exec_lo, s0
	s_delay_alu instid0(SALU_CYCLE_1) | instskip(NEXT) | instid1(VALU_DEP_1)
	s_mov_b32 s0, exec_lo
	v_cmpx_gt_u32_e32 8, v24
	s_xor_b32 s4, exec_lo, s0
	s_cbranch_execz .LBB1_85
; %bb.80:                               ;   in Loop: Header=BB1_31 Depth=1
	v_mov_b64_e32 v[22:23], 0
	s_mov_b32 s5, exec_lo
	v_cmpx_ne_u32_e32 0, v24
	s_cbranch_execz .LBB1_84
; %bb.81:                               ;   in Loop: Header=BB1_31 Depth=1
	v_mov_b64_e32 v[22:23], 0
	s_mov_b64 s[0:1], 0
	s_mov_b32 s10, 0
.LBB1_82:                               ;   Parent Loop BB1_31 Depth=1
                                        ; =>  This Inner Loop Header: Depth=2
	scratch_load_u8 v9, v8, off
	v_dual_mov_b32 v27, s7 :: v_dual_add_nc_u32 v24, -1, v24
	s_delay_alu instid0(VALU_DEP_1) | instskip(SKIP_3) | instid1(VALU_DEP_1)
	v_cmp_eq_u32_e32 vcc_lo, 0, v24
	s_or_b32 s10, vcc_lo, s10
	s_wait_loadcnt 0x0
	v_and_b32_e32 v26, 0xffff, v9
	v_lshlrev_b64_e32 v[26:27], s0, v[26:27]
	s_wait_xcnt 0x0
	v_add_nc_u32_e32 v8, 1, v8
	s_add_nc_u64 s[0:1], s[0:1], 8
	s_delay_alu instid0(VALU_DEP_2) | instskip(NEXT) | instid1(VALU_DEP_3)
	v_or_b32_e32 v23, v27, v23
	v_or_b32_e32 v22, v26, v22
	s_and_not1_b32 exec_lo, exec_lo, s10
	s_cbranch_execnz .LBB1_82
; %bb.83:                               ;   in Loop: Header=BB1_31 Depth=1
	s_or_b32 exec_lo, exec_lo, s10
.LBB1_84:                               ;   in Loop: Header=BB1_31 Depth=1
	s_delay_alu instid0(SALU_CYCLE_1)
	s_or_b32 exec_lo, exec_lo, s5
                                        ; implicit-def: $vgpr8
.LBB1_85:                               ;   in Loop: Header=BB1_31 Depth=1
	s_and_not1_saveexec_b32 s0, s4
	s_cbranch_execz .LBB1_87
; %bb.86:                               ;   in Loop: Header=BB1_31 Depth=1
	scratch_load_b64 v[22:23], v8, off
.LBB1_87:                               ;   in Loop: Header=BB1_31 Depth=1
	s_wait_xcnt 0x0
	s_or_b32 exec_lo, exec_lo, s0
	v_readfirstlane_b32 s0, v48
	v_mov_b64_e32 v[8:9], 0
	s_delay_alu instid0(VALU_DEP_2)
	v_cmp_eq_u32_e64 s0, s0, v48
	s_and_saveexec_b32 s1, s0
	s_cbranch_execz .LBB1_93
; %bb.88:                               ;   in Loop: Header=BB1_31 Depth=1
	global_load_b64 v[26:27], v31, s[2:3] offset:24 scope:SCOPE_SYS
	s_wait_loadcnt 0x0
	global_inv scope:SCOPE_SYS
	s_clause 0x1
	global_load_b64 v[8:9], v31, s[2:3] offset:40
	global_load_b64 v[24:25], v31, s[2:3]
	s_mov_b32 s4, exec_lo
	s_wait_loadcnt 0x1
	v_and_b32_e32 v8, v8, v26
	v_and_b32_e32 v9, v9, v27
	s_delay_alu instid0(VALU_DEP_1) | instskip(SKIP_1) | instid1(VALU_DEP_1)
	v_mul_u64_e32 v[8:9], 24, v[8:9]
	s_wait_loadcnt 0x0
	v_add_nc_u64_e32 v[8:9], v[24:25], v[8:9]
	global_load_b64 v[24:25], v[8:9], off scope:SCOPE_SYS
	s_wait_xcnt 0x0
	s_wait_loadcnt 0x0
	global_atomic_cmpswap_b64 v[8:9], v31, v[24:27], s[2:3] offset:24 th:TH_ATOMIC_RETURN scope:SCOPE_SYS
	s_wait_loadcnt 0x0
	global_inv scope:SCOPE_SYS
	s_wait_xcnt 0x0
	v_cmpx_ne_u64_e64 v[8:9], v[26:27]
	s_cbranch_execz .LBB1_92
; %bb.89:                               ;   in Loop: Header=BB1_31 Depth=1
	s_mov_b32 s5, 0
.LBB1_90:                               ;   Parent Loop BB1_31 Depth=1
                                        ; =>  This Inner Loop Header: Depth=2
	s_sleep 1
	s_clause 0x1
	global_load_b64 v[24:25], v31, s[2:3] offset:40
	global_load_b64 v[36:37], v31, s[2:3]
	v_mov_b64_e32 v[26:27], v[8:9]
	s_wait_loadcnt 0x1
	s_delay_alu instid0(VALU_DEP_1) | instskip(NEXT) | instid1(VALU_DEP_2)
	v_and_b32_e32 v8, v24, v26
	v_and_b32_e32 v24, v25, v27
	s_wait_loadcnt 0x0
	s_delay_alu instid0(VALU_DEP_2) | instskip(NEXT) | instid1(VALU_DEP_1)
	v_mad_nc_u64_u32 v[8:9], v8, 24, v[36:37]
	v_mad_u32 v9, v24, 24, v9
	global_load_b64 v[24:25], v[8:9], off scope:SCOPE_SYS
	s_wait_xcnt 0x0
	s_wait_loadcnt 0x0
	global_atomic_cmpswap_b64 v[8:9], v31, v[24:27], s[2:3] offset:24 th:TH_ATOMIC_RETURN scope:SCOPE_SYS
	s_wait_loadcnt 0x0
	global_inv scope:SCOPE_SYS
	v_cmp_eq_u64_e32 vcc_lo, v[8:9], v[26:27]
	s_or_b32 s5, vcc_lo, s5
	s_wait_xcnt 0x0
	s_and_not1_b32 exec_lo, exec_lo, s5
	s_cbranch_execnz .LBB1_90
; %bb.91:                               ;   in Loop: Header=BB1_31 Depth=1
	s_or_b32 exec_lo, exec_lo, s5
.LBB1_92:                               ;   in Loop: Header=BB1_31 Depth=1
	s_delay_alu instid0(SALU_CYCLE_1)
	s_or_b32 exec_lo, exec_lo, s4
.LBB1_93:                               ;   in Loop: Header=BB1_31 Depth=1
	s_delay_alu instid0(SALU_CYCLE_1)
	s_or_b32 exec_lo, exec_lo, s1
	s_clause 0x1
	global_load_b64 v[36:37], v31, s[2:3] offset:40
	global_load_b128 v[24:27], v31, s[2:3]
	v_readfirstlane_b32 s4, v8
	v_readfirstlane_b32 s5, v9
	s_mov_b32 s1, exec_lo
	s_wait_loadcnt 0x1
	v_and_b32_e32 v38, s4, v36
	v_and_b32_e32 v39, s5, v37
	s_delay_alu instid0(VALU_DEP_1) | instskip(SKIP_1) | instid1(VALU_DEP_1)
	v_mul_u64_e32 v[8:9], 24, v[38:39]
	s_wait_loadcnt 0x0
	v_add_nc_u64_e32 v[36:37], v[24:25], v[8:9]
	s_wait_xcnt 0x0
	s_and_saveexec_b32 s10, s0
	s_cbranch_execz .LBB1_95
; %bb.94:                               ;   in Loop: Header=BB1_31 Depth=1
	v_dual_mov_b32 v8, s1 :: v_dual_mov_b32 v9, v31
	global_store_b128 v[36:37], v[8:11], off offset:8
.LBB1_95:                               ;   in Loop: Header=BB1_31 Depth=1
	s_wait_xcnt 0x0
	s_or_b32 exec_lo, exec_lo, s10
	v_cmp_gt_u64_e32 vcc_lo, 57, v[32:33]
	v_lshlrev_b64_e32 v[8:9], 12, v[38:39]
	v_and_b32_e32 v0, 0xffffff1f, v0
	v_lshl_add_u32 v39, v34, 2, 28
	v_cndmask_b32_e32 v38, 0, v28, vcc_lo
	s_delay_alu instid0(VALU_DEP_4) | instskip(NEXT) | instid1(VALU_DEP_2)
	v_add_nc_u64_e32 v[8:9], v[26:27], v[8:9]
	v_or_b32_e32 v0, v0, v38
	s_delay_alu instid0(VALU_DEP_2) | instskip(NEXT) | instid1(VALU_DEP_3)
	v_readfirstlane_b32 s10, v8
	v_readfirstlane_b32 s11, v9
	s_delay_alu instid0(VALU_DEP_3)
	v_and_or_b32 v0, 0x1e0, v39, v0
	s_clause 0x3
	global_store_b128 v30, v[0:3], s[10:11]
	global_store_b128 v30, v[12:15], s[10:11] offset:16
	global_store_b128 v30, v[16:19], s[10:11] offset:32
	;; [unrolled: 1-line block ×3, first 2 shown]
	s_wait_xcnt 0x0
	s_and_saveexec_b32 s1, s0
	s_cbranch_execz .LBB1_103
; %bb.96:                               ;   in Loop: Header=BB1_31 Depth=1
	s_clause 0x1
	global_load_b64 v[16:17], v31, s[2:3] offset:32 scope:SCOPE_SYS
	global_load_b64 v[0:1], v31, s[2:3] offset:40
	s_mov_b32 s10, exec_lo
	v_dual_mov_b32 v14, s4 :: v_dual_mov_b32 v15, s5
	s_wait_loadcnt 0x0
	v_and_b32_e32 v1, s5, v1
	v_and_b32_e32 v0, s4, v0
	s_delay_alu instid0(VALU_DEP_1) | instskip(NEXT) | instid1(VALU_DEP_1)
	v_mul_u64_e32 v[0:1], 24, v[0:1]
	v_add_nc_u64_e32 v[12:13], v[24:25], v[0:1]
	global_store_b64 v[12:13], v[16:17], off
	global_wb scope:SCOPE_SYS
	s_wait_storecnt 0x0
	s_wait_xcnt 0x0
	global_atomic_cmpswap_b64 v[2:3], v31, v[14:17], s[2:3] offset:32 th:TH_ATOMIC_RETURN scope:SCOPE_SYS
	s_wait_loadcnt 0x0
	v_cmpx_ne_u64_e64 v[2:3], v[16:17]
	s_cbranch_execz .LBB1_99
; %bb.97:                               ;   in Loop: Header=BB1_31 Depth=1
	s_mov_b32 s11, 0
.LBB1_98:                               ;   Parent Loop BB1_31 Depth=1
                                        ; =>  This Inner Loop Header: Depth=2
	v_dual_mov_b32 v0, s4 :: v_dual_mov_b32 v1, s5
	s_sleep 1
	global_store_b64 v[12:13], v[2:3], off
	global_wb scope:SCOPE_SYS
	s_wait_storecnt 0x0
	s_wait_xcnt 0x0
	global_atomic_cmpswap_b64 v[0:1], v31, v[0:3], s[2:3] offset:32 th:TH_ATOMIC_RETURN scope:SCOPE_SYS
	s_wait_loadcnt 0x0
	v_cmp_eq_u64_e32 vcc_lo, v[0:1], v[2:3]
	v_mov_b64_e32 v[2:3], v[0:1]
	s_or_b32 s11, vcc_lo, s11
	s_delay_alu instid0(SALU_CYCLE_1)
	s_and_not1_b32 exec_lo, exec_lo, s11
	s_cbranch_execnz .LBB1_98
.LBB1_99:                               ;   in Loop: Header=BB1_31 Depth=1
	s_or_b32 exec_lo, exec_lo, s10
	global_load_b64 v[0:1], v31, s[2:3] offset:16
	s_mov_b32 s11, exec_lo
	s_mov_b32 s10, exec_lo
	v_mbcnt_lo_u32_b32 v2, s11, 0
	s_wait_xcnt 0x0
	s_delay_alu instid0(VALU_DEP_1)
	v_cmpx_eq_u32_e32 0, v2
	s_cbranch_execz .LBB1_101
; %bb.100:                              ;   in Loop: Header=BB1_31 Depth=1
	s_bcnt1_i32_b32 s11, s11
	s_delay_alu instid0(SALU_CYCLE_1)
	v_dual_mov_b32 v3, v31 :: v_dual_mov_b32 v2, s11
	global_wb scope:SCOPE_SYS
	s_wait_loadcnt 0x0
	s_wait_storecnt 0x0
	global_atomic_add_u64 v[0:1], v[2:3], off offset:8 scope:SCOPE_SYS
.LBB1_101:                              ;   in Loop: Header=BB1_31 Depth=1
	s_wait_xcnt 0x0
	s_or_b32 exec_lo, exec_lo, s10
	s_wait_loadcnt 0x0
	global_load_b64 v[2:3], v[0:1], off offset:16
	s_wait_loadcnt 0x0
	v_cmp_eq_u64_e32 vcc_lo, 0, v[2:3]
	s_cbranch_vccnz .LBB1_103
; %bb.102:                              ;   in Loop: Header=BB1_31 Depth=1
	global_load_b32 v0, v[0:1], off offset:24
	s_wait_xcnt 0x0
	v_mov_b32_e32 v1, v31
	s_wait_loadcnt 0x0
	v_readfirstlane_b32 s10, v0
	global_wb scope:SCOPE_SYS
	s_wait_storecnt 0x0
	global_store_b64 v[2:3], v[0:1], off scope:SCOPE_SYS
	s_and_b32 m0, s10, 0xffffff
	s_sendmsg sendmsg(MSG_INTERRUPT)
.LBB1_103:                              ;   in Loop: Header=BB1_31 Depth=1
	s_wait_xcnt 0x0
	s_or_b32 exec_lo, exec_lo, s1
	v_add_nc_u64_e32 v[0:1], v[8:9], v[30:31]
	s_branch .LBB1_107
.LBB1_104:                              ;   in Loop: Header=BB1_107 Depth=2
	s_wait_xcnt 0x0
	s_or_b32 exec_lo, exec_lo, s1
	s_delay_alu instid0(VALU_DEP_1)
	v_readfirstlane_b32 s1, v2
	s_cmp_eq_u32 s1, 0
	s_cbranch_scc1 .LBB1_106
; %bb.105:                              ;   in Loop: Header=BB1_107 Depth=2
	s_sleep 1
	s_cbranch_execnz .LBB1_107
	s_branch .LBB1_109
.LBB1_106:                              ;   in Loop: Header=BB1_31 Depth=1
	s_branch .LBB1_109
.LBB1_107:                              ;   Parent Loop BB1_31 Depth=1
                                        ; =>  This Inner Loop Header: Depth=2
	v_mov_b32_e32 v2, 1
	s_and_saveexec_b32 s1, s0
	s_cbranch_execz .LBB1_104
; %bb.108:                              ;   in Loop: Header=BB1_107 Depth=2
	global_load_b32 v2, v[36:37], off offset:20 scope:SCOPE_SYS
	s_wait_loadcnt 0x0
	global_inv scope:SCOPE_SYS
	v_and_b32_e32 v2, 1, v2
	s_branch .LBB1_104
.LBB1_109:                              ;   in Loop: Header=BB1_31 Depth=1
	global_load_b64 v[0:1], v[0:1], off
	s_wait_xcnt 0x0
	s_and_saveexec_b32 s10, s0
	s_cbranch_execz .LBB1_30
; %bb.110:                              ;   in Loop: Header=BB1_31 Depth=1
	s_clause 0x2
	global_load_b64 v[2:3], v31, s[2:3] offset:40
	global_load_b64 v[16:17], v31, s[2:3] offset:24 scope:SCOPE_SYS
	global_load_b64 v[8:9], v31, s[2:3]
	s_wait_loadcnt 0x2
	v_readfirstlane_b32 s12, v2
	v_readfirstlane_b32 s13, v3
	s_add_nc_u64 s[0:1], s[12:13], 1
	s_delay_alu instid0(SALU_CYCLE_1) | instskip(NEXT) | instid1(SALU_CYCLE_1)
	s_add_nc_u64 s[4:5], s[0:1], s[4:5]
	s_cmp_eq_u64 s[4:5], 0
	s_cselect_b32 s1, s1, s5
	s_cselect_b32 s0, s0, s4
	s_delay_alu instid0(SALU_CYCLE_1) | instskip(SKIP_1) | instid1(SALU_CYCLE_1)
	v_dual_mov_b32 v15, s1 :: v_dual_mov_b32 v14, s0
	s_and_b64 s[4:5], s[0:1], s[12:13]
	s_mul_u64 s[4:5], s[4:5], 24
	s_wait_loadcnt 0x0
	v_add_nc_u64_e32 v[2:3], s[4:5], v[8:9]
	global_store_b64 v[2:3], v[16:17], off
	global_wb scope:SCOPE_SYS
	s_wait_storecnt 0x0
	s_wait_xcnt 0x0
	global_atomic_cmpswap_b64 v[14:15], v31, v[14:17], s[2:3] offset:24 th:TH_ATOMIC_RETURN scope:SCOPE_SYS
	s_wait_loadcnt 0x0
	v_cmp_ne_u64_e32 vcc_lo, v[14:15], v[16:17]
	s_and_b32 exec_lo, exec_lo, vcc_lo
	s_cbranch_execz .LBB1_30
; %bb.111:                              ;   in Loop: Header=BB1_31 Depth=1
	s_mov_b32 s4, 0
.LBB1_112:                              ;   Parent Loop BB1_31 Depth=1
                                        ; =>  This Inner Loop Header: Depth=2
	v_dual_mov_b32 v12, s0 :: v_dual_mov_b32 v13, s1
	s_sleep 1
	global_store_b64 v[2:3], v[14:15], off
	global_wb scope:SCOPE_SYS
	s_wait_storecnt 0x0
	s_wait_xcnt 0x0
	global_atomic_cmpswap_b64 v[8:9], v31, v[12:15], s[2:3] offset:24 th:TH_ATOMIC_RETURN scope:SCOPE_SYS
	s_wait_loadcnt 0x0
	v_cmp_eq_u64_e32 vcc_lo, v[8:9], v[14:15]
	v_mov_b64_e32 v[14:15], v[8:9]
	s_or_b32 s4, vcc_lo, s4
	s_delay_alu instid0(SALU_CYCLE_1)
	s_and_not1_b32 exec_lo, exec_lo, s4
	s_cbranch_execnz .LBB1_112
	s_branch .LBB1_30
.LBB1_113:
                                        ; implicit-def: $vgpr0_vgpr1
	s_cbranch_execnz .LBB1_193
.LBB1_114:
	s_get_pc_i64 s[4:5]
	s_add_nc_u64 s[4:5], s[4:5], .str.4@rel64+4
	s_delay_alu instid0(SALU_CYCLE_1)
	s_cmp_lg_u64 s[4:5], 0
	s_cbranch_scc0 .LBB1_221
.LBB1_115:
	v_mov_b64_e32 v[12:13], 0x100000002
	s_get_pc_i64 s[0:1]
	s_add_nc_u64 s[0:1], s[0:1], .str.4@rel64+80
	s_wait_loadcnt 0x0
	v_dual_mov_b32 v11, 0 :: v_dual_bitop2_b32 v2, 2, v0 bitop3:0x40
	v_dual_mov_b32 v7, v1 :: v_dual_bitop2_b32 v6, -3, v0 bitop3:0x40
	s_sub_co_i32 s6, s0, s4
	s_delay_alu instid0(SALU_CYCLE_1)
	s_ashr_i32 s7, s6, 31
	s_branch .LBB1_117
.LBB1_116:                              ;   in Loop: Header=BB1_117 Depth=1
	s_or_b32 exec_lo, exec_lo, s14
	s_sub_nc_u64 s[6:7], s[6:7], s[10:11]
	s_add_nc_u64 s[4:5], s[4:5], s[10:11]
	s_cmp_lg_u64 s[6:7], 0
	s_cbranch_scc0 .LBB1_215
.LBB1_117:                              ; =>This Loop Header: Depth=1
                                        ;     Child Loop BB1_120 Depth 2
                                        ;     Child Loop BB1_127 Depth 2
	;; [unrolled: 1-line block ×11, first 2 shown]
	v_min_u64 v[8:9], s[6:7], 56
	v_cmp_gt_u64_e64 s0, s[6:7], 7
	s_and_b32 vcc_lo, exec_lo, s0
	v_readfirstlane_b32 s10, v8
	v_readfirstlane_b32 s11, v9
	s_cbranch_vccnz .LBB1_122
; %bb.118:                              ;   in Loop: Header=BB1_117 Depth=1
	v_mov_b64_e32 v[8:9], 0
	s_cmp_eq_u64 s[6:7], 0
	s_cbranch_scc1 .LBB1_121
; %bb.119:                              ;   in Loop: Header=BB1_117 Depth=1
	s_mov_b64 s[0:1], 0
	s_mov_b64 s[12:13], 0
.LBB1_120:                              ;   Parent Loop BB1_117 Depth=1
                                        ; =>  This Inner Loop Header: Depth=2
	s_wait_xcnt 0x0
	s_add_nc_u64 s[14:15], s[4:5], s[12:13]
	s_add_nc_u64 s[12:13], s[12:13], 1
	global_load_u8 v3, v11, s[14:15]
	s_cmp_lg_u32 s10, s12
	s_wait_loadcnt 0x0
	v_and_b32_e32 v10, 0xffff, v3
	s_delay_alu instid0(VALU_DEP_1) | instskip(SKIP_1) | instid1(VALU_DEP_1)
	v_lshlrev_b64_e32 v[14:15], s0, v[10:11]
	s_add_nc_u64 s[0:1], s[0:1], 8
	v_or_b32_e32 v8, v14, v8
	s_delay_alu instid0(VALU_DEP_2)
	v_or_b32_e32 v9, v15, v9
	s_cbranch_scc1 .LBB1_120
.LBB1_121:                              ;   in Loop: Header=BB1_117 Depth=1
	s_mov_b64 s[12:13], s[4:5]
	s_mov_b32 s16, 0
	s_cbranch_execz .LBB1_123
	s_branch .LBB1_124
.LBB1_122:                              ;   in Loop: Header=BB1_117 Depth=1
	s_add_nc_u64 s[12:13], s[4:5], 8
	s_mov_b32 s16, 0
.LBB1_123:                              ;   in Loop: Header=BB1_117 Depth=1
	global_load_b64 v[8:9], v11, s[4:5]
	s_add_co_i32 s16, s10, -8
.LBB1_124:                              ;   in Loop: Header=BB1_117 Depth=1
	s_delay_alu instid0(SALU_CYCLE_1)
	s_cmp_gt_u32 s16, 7
	s_cbranch_scc1 .LBB1_129
; %bb.125:                              ;   in Loop: Header=BB1_117 Depth=1
	v_mov_b64_e32 v[14:15], 0
	s_cmp_eq_u32 s16, 0
	s_cbranch_scc1 .LBB1_128
; %bb.126:                              ;   in Loop: Header=BB1_117 Depth=1
	s_mov_b64 s[0:1], 0
	s_wait_xcnt 0x0
	s_mov_b64 s[14:15], 0
.LBB1_127:                              ;   Parent Loop BB1_117 Depth=1
                                        ; =>  This Inner Loop Header: Depth=2
	s_wait_xcnt 0x0
	s_add_nc_u64 s[18:19], s[12:13], s[14:15]
	s_add_nc_u64 s[14:15], s[14:15], 1
	global_load_u8 v3, v11, s[18:19]
	s_cmp_lg_u32 s16, s14
	s_wait_loadcnt 0x0
	v_and_b32_e32 v10, 0xffff, v3
	s_delay_alu instid0(VALU_DEP_1) | instskip(SKIP_1) | instid1(VALU_DEP_1)
	v_lshlrev_b64_e32 v[16:17], s0, v[10:11]
	s_add_nc_u64 s[0:1], s[0:1], 8
	v_or_b32_e32 v14, v16, v14
	s_delay_alu instid0(VALU_DEP_2)
	v_or_b32_e32 v15, v17, v15
	s_cbranch_scc1 .LBB1_127
.LBB1_128:                              ;   in Loop: Header=BB1_117 Depth=1
	s_wait_xcnt 0x0
	s_mov_b64 s[0:1], s[12:13]
	s_mov_b32 s17, 0
	s_cbranch_execz .LBB1_130
	s_branch .LBB1_131
.LBB1_129:                              ;   in Loop: Header=BB1_117 Depth=1
	s_add_nc_u64 s[0:1], s[12:13], 8
	s_wait_xcnt 0x0
                                        ; implicit-def: $vgpr14_vgpr15
	s_mov_b32 s17, 0
.LBB1_130:                              ;   in Loop: Header=BB1_117 Depth=1
	global_load_b64 v[14:15], v11, s[12:13]
	s_add_co_i32 s17, s16, -8
.LBB1_131:                              ;   in Loop: Header=BB1_117 Depth=1
	s_delay_alu instid0(SALU_CYCLE_1)
	s_cmp_gt_u32 s17, 7
	s_cbranch_scc1 .LBB1_136
; %bb.132:                              ;   in Loop: Header=BB1_117 Depth=1
	v_mov_b64_e32 v[16:17], 0
	s_cmp_eq_u32 s17, 0
	s_cbranch_scc1 .LBB1_135
; %bb.133:                              ;   in Loop: Header=BB1_117 Depth=1
	s_wait_xcnt 0x0
	s_mov_b64 s[12:13], 0
	s_mov_b64 s[14:15], 0
.LBB1_134:                              ;   Parent Loop BB1_117 Depth=1
                                        ; =>  This Inner Loop Header: Depth=2
	s_wait_xcnt 0x0
	s_add_nc_u64 s[18:19], s[0:1], s[14:15]
	s_add_nc_u64 s[14:15], s[14:15], 1
	global_load_u8 v3, v11, s[18:19]
	s_cmp_lg_u32 s17, s14
	s_wait_loadcnt 0x0
	v_and_b32_e32 v10, 0xffff, v3
	s_delay_alu instid0(VALU_DEP_1) | instskip(SKIP_1) | instid1(VALU_DEP_1)
	v_lshlrev_b64_e32 v[18:19], s12, v[10:11]
	s_add_nc_u64 s[12:13], s[12:13], 8
	v_or_b32_e32 v16, v18, v16
	s_delay_alu instid0(VALU_DEP_2)
	v_or_b32_e32 v17, v19, v17
	s_cbranch_scc1 .LBB1_134
.LBB1_135:                              ;   in Loop: Header=BB1_117 Depth=1
	s_wait_xcnt 0x0
	s_mov_b64 s[12:13], s[0:1]
	s_mov_b32 s16, 0
	s_cbranch_execz .LBB1_137
	s_branch .LBB1_138
.LBB1_136:                              ;   in Loop: Header=BB1_117 Depth=1
	s_wait_xcnt 0x0
	s_add_nc_u64 s[12:13], s[0:1], 8
	s_mov_b32 s16, 0
.LBB1_137:                              ;   in Loop: Header=BB1_117 Depth=1
	global_load_b64 v[16:17], v11, s[0:1]
	s_add_co_i32 s16, s17, -8
.LBB1_138:                              ;   in Loop: Header=BB1_117 Depth=1
	s_delay_alu instid0(SALU_CYCLE_1)
	s_cmp_gt_u32 s16, 7
	s_cbranch_scc1 .LBB1_143
; %bb.139:                              ;   in Loop: Header=BB1_117 Depth=1
	v_mov_b64_e32 v[18:19], 0
	s_cmp_eq_u32 s16, 0
	s_cbranch_scc1 .LBB1_142
; %bb.140:                              ;   in Loop: Header=BB1_117 Depth=1
	s_wait_xcnt 0x0
	s_mov_b64 s[0:1], 0
	s_mov_b64 s[14:15], 0
.LBB1_141:                              ;   Parent Loop BB1_117 Depth=1
                                        ; =>  This Inner Loop Header: Depth=2
	s_wait_xcnt 0x0
	s_add_nc_u64 s[18:19], s[12:13], s[14:15]
	s_add_nc_u64 s[14:15], s[14:15], 1
	global_load_u8 v3, v11, s[18:19]
	s_cmp_lg_u32 s16, s14
	s_wait_loadcnt 0x0
	v_and_b32_e32 v10, 0xffff, v3
	s_delay_alu instid0(VALU_DEP_1) | instskip(SKIP_1) | instid1(VALU_DEP_1)
	v_lshlrev_b64_e32 v[20:21], s0, v[10:11]
	s_add_nc_u64 s[0:1], s[0:1], 8
	v_or_b32_e32 v18, v20, v18
	s_delay_alu instid0(VALU_DEP_2)
	v_or_b32_e32 v19, v21, v19
	s_cbranch_scc1 .LBB1_141
.LBB1_142:                              ;   in Loop: Header=BB1_117 Depth=1
	s_wait_xcnt 0x0
	s_mov_b64 s[0:1], s[12:13]
	s_mov_b32 s17, 0
	s_cbranch_execz .LBB1_144
	s_branch .LBB1_145
.LBB1_143:                              ;   in Loop: Header=BB1_117 Depth=1
	s_wait_xcnt 0x0
	s_add_nc_u64 s[0:1], s[12:13], 8
                                        ; implicit-def: $vgpr18_vgpr19
	s_mov_b32 s17, 0
.LBB1_144:                              ;   in Loop: Header=BB1_117 Depth=1
	global_load_b64 v[18:19], v11, s[12:13]
	s_add_co_i32 s17, s16, -8
.LBB1_145:                              ;   in Loop: Header=BB1_117 Depth=1
	s_delay_alu instid0(SALU_CYCLE_1)
	s_cmp_gt_u32 s17, 7
	s_cbranch_scc1 .LBB1_150
; %bb.146:                              ;   in Loop: Header=BB1_117 Depth=1
	v_mov_b64_e32 v[20:21], 0
	s_cmp_eq_u32 s17, 0
	s_cbranch_scc1 .LBB1_149
; %bb.147:                              ;   in Loop: Header=BB1_117 Depth=1
	s_wait_xcnt 0x0
	s_mov_b64 s[12:13], 0
	s_mov_b64 s[14:15], 0
.LBB1_148:                              ;   Parent Loop BB1_117 Depth=1
                                        ; =>  This Inner Loop Header: Depth=2
	s_wait_xcnt 0x0
	s_add_nc_u64 s[18:19], s[0:1], s[14:15]
	s_add_nc_u64 s[14:15], s[14:15], 1
	global_load_u8 v3, v11, s[18:19]
	s_cmp_lg_u32 s17, s14
	s_wait_loadcnt 0x0
	v_and_b32_e32 v10, 0xffff, v3
	s_delay_alu instid0(VALU_DEP_1) | instskip(SKIP_1) | instid1(VALU_DEP_1)
	v_lshlrev_b64_e32 v[22:23], s12, v[10:11]
	s_add_nc_u64 s[12:13], s[12:13], 8
	v_or_b32_e32 v20, v22, v20
	s_delay_alu instid0(VALU_DEP_2)
	v_or_b32_e32 v21, v23, v21
	s_cbranch_scc1 .LBB1_148
.LBB1_149:                              ;   in Loop: Header=BB1_117 Depth=1
	s_wait_xcnt 0x0
	s_mov_b64 s[12:13], s[0:1]
	s_mov_b32 s16, 0
	s_cbranch_execz .LBB1_151
	s_branch .LBB1_152
.LBB1_150:                              ;   in Loop: Header=BB1_117 Depth=1
	s_wait_xcnt 0x0
	s_add_nc_u64 s[12:13], s[0:1], 8
	s_mov_b32 s16, 0
.LBB1_151:                              ;   in Loop: Header=BB1_117 Depth=1
	global_load_b64 v[20:21], v11, s[0:1]
	s_add_co_i32 s16, s17, -8
.LBB1_152:                              ;   in Loop: Header=BB1_117 Depth=1
	s_delay_alu instid0(SALU_CYCLE_1)
	s_cmp_gt_u32 s16, 7
	s_cbranch_scc1 .LBB1_157
; %bb.153:                              ;   in Loop: Header=BB1_117 Depth=1
	v_mov_b64_e32 v[22:23], 0
	s_cmp_eq_u32 s16, 0
	s_cbranch_scc1 .LBB1_156
; %bb.154:                              ;   in Loop: Header=BB1_117 Depth=1
	s_wait_xcnt 0x0
	s_mov_b64 s[0:1], 0
	s_mov_b64 s[14:15], 0
.LBB1_155:                              ;   Parent Loop BB1_117 Depth=1
                                        ; =>  This Inner Loop Header: Depth=2
	s_wait_xcnt 0x0
	s_add_nc_u64 s[18:19], s[12:13], s[14:15]
	s_add_nc_u64 s[14:15], s[14:15], 1
	global_load_u8 v3, v11, s[18:19]
	s_cmp_lg_u32 s16, s14
	s_wait_loadcnt 0x0
	v_and_b32_e32 v10, 0xffff, v3
	s_delay_alu instid0(VALU_DEP_1) | instskip(SKIP_1) | instid1(VALU_DEP_1)
	v_lshlrev_b64_e32 v[24:25], s0, v[10:11]
	s_add_nc_u64 s[0:1], s[0:1], 8
	v_or_b32_e32 v22, v24, v22
	s_delay_alu instid0(VALU_DEP_2)
	v_or_b32_e32 v23, v25, v23
	s_cbranch_scc1 .LBB1_155
.LBB1_156:                              ;   in Loop: Header=BB1_117 Depth=1
	s_wait_xcnt 0x0
	s_mov_b64 s[0:1], s[12:13]
	s_mov_b32 s17, 0
	s_cbranch_execz .LBB1_158
	s_branch .LBB1_159
.LBB1_157:                              ;   in Loop: Header=BB1_117 Depth=1
	s_wait_xcnt 0x0
	s_add_nc_u64 s[0:1], s[12:13], 8
                                        ; implicit-def: $vgpr22_vgpr23
	s_mov_b32 s17, 0
.LBB1_158:                              ;   in Loop: Header=BB1_117 Depth=1
	global_load_b64 v[22:23], v11, s[12:13]
	s_add_co_i32 s17, s16, -8
.LBB1_159:                              ;   in Loop: Header=BB1_117 Depth=1
	s_delay_alu instid0(SALU_CYCLE_1)
	s_cmp_gt_u32 s17, 7
	s_cbranch_scc1 .LBB1_164
; %bb.160:                              ;   in Loop: Header=BB1_117 Depth=1
	v_mov_b64_e32 v[24:25], 0
	s_cmp_eq_u32 s17, 0
	s_cbranch_scc1 .LBB1_163
; %bb.161:                              ;   in Loop: Header=BB1_117 Depth=1
	s_wait_xcnt 0x0
	s_mov_b64 s[12:13], 0
	s_mov_b64 s[14:15], s[0:1]
.LBB1_162:                              ;   Parent Loop BB1_117 Depth=1
                                        ; =>  This Inner Loop Header: Depth=2
	global_load_u8 v3, v11, s[14:15]
	s_add_co_i32 s17, s17, -1
	s_wait_xcnt 0x0
	s_add_nc_u64 s[14:15], s[14:15], 1
	s_cmp_lg_u32 s17, 0
	s_wait_loadcnt 0x0
	v_and_b32_e32 v10, 0xffff, v3
	s_delay_alu instid0(VALU_DEP_1) | instskip(SKIP_1) | instid1(VALU_DEP_1)
	v_lshlrev_b64_e32 v[26:27], s12, v[10:11]
	s_add_nc_u64 s[12:13], s[12:13], 8
	v_or_b32_e32 v24, v26, v24
	s_delay_alu instid0(VALU_DEP_2)
	v_or_b32_e32 v25, v27, v25
	s_cbranch_scc1 .LBB1_162
.LBB1_163:                              ;   in Loop: Header=BB1_117 Depth=1
	s_wait_xcnt 0x0
	s_cbranch_execz .LBB1_165
	s_branch .LBB1_166
.LBB1_164:                              ;   in Loop: Header=BB1_117 Depth=1
	s_wait_xcnt 0x0
.LBB1_165:                              ;   in Loop: Header=BB1_117 Depth=1
	global_load_b64 v[24:25], v11, s[0:1]
.LBB1_166:                              ;   in Loop: Header=BB1_117 Depth=1
	s_wait_xcnt 0x0
	v_readfirstlane_b32 s0, v48
	v_mov_b64_e32 v[32:33], 0
	s_delay_alu instid0(VALU_DEP_2)
	v_cmp_eq_u32_e64 s0, s0, v48
	s_and_saveexec_b32 s1, s0
	s_cbranch_execz .LBB1_172
; %bb.167:                              ;   in Loop: Header=BB1_117 Depth=1
	global_load_b64 v[28:29], v11, s[2:3] offset:24 scope:SCOPE_SYS
	s_wait_loadcnt 0x0
	global_inv scope:SCOPE_SYS
	s_clause 0x1
	global_load_b64 v[26:27], v11, s[2:3] offset:40
	global_load_b64 v[32:33], v11, s[2:3]
	s_mov_b32 s12, exec_lo
	s_wait_loadcnt 0x1
	v_and_b32_e32 v26, v26, v28
	v_and_b32_e32 v27, v27, v29
	s_delay_alu instid0(VALU_DEP_1) | instskip(SKIP_1) | instid1(VALU_DEP_1)
	v_mul_u64_e32 v[26:27], 24, v[26:27]
	s_wait_loadcnt 0x0
	v_add_nc_u64_e32 v[26:27], v[32:33], v[26:27]
	global_load_b64 v[26:27], v[26:27], off scope:SCOPE_SYS
	s_wait_xcnt 0x0
	s_wait_loadcnt 0x0
	global_atomic_cmpswap_b64 v[32:33], v11, v[26:29], s[2:3] offset:24 th:TH_ATOMIC_RETURN scope:SCOPE_SYS
	s_wait_loadcnt 0x0
	global_inv scope:SCOPE_SYS
	s_wait_xcnt 0x0
	v_cmpx_ne_u64_e64 v[32:33], v[28:29]
	s_cbranch_execz .LBB1_171
; %bb.168:                              ;   in Loop: Header=BB1_117 Depth=1
	s_mov_b32 s13, 0
.LBB1_169:                              ;   Parent Loop BB1_117 Depth=1
                                        ; =>  This Inner Loop Header: Depth=2
	s_sleep 1
	s_clause 0x1
	global_load_b64 v[26:27], v11, s[2:3] offset:40
	global_load_b64 v[34:35], v11, s[2:3]
	v_mov_b64_e32 v[28:29], v[32:33]
	s_wait_loadcnt 0x1
	s_delay_alu instid0(VALU_DEP_1) | instskip(SKIP_1) | instid1(VALU_DEP_1)
	v_and_b32_e32 v3, v26, v28
	s_wait_loadcnt 0x0
	v_mad_nc_u64_u32 v[32:33], v3, 24, v[34:35]
	s_delay_alu instid0(VALU_DEP_3) | instskip(NEXT) | instid1(VALU_DEP_1)
	v_and_b32_e32 v3, v27, v29
	v_mad_u32 v33, v3, 24, v33
	global_load_b64 v[26:27], v[32:33], off scope:SCOPE_SYS
	s_wait_xcnt 0x0
	s_wait_loadcnt 0x0
	global_atomic_cmpswap_b64 v[32:33], v11, v[26:29], s[2:3] offset:24 th:TH_ATOMIC_RETURN scope:SCOPE_SYS
	s_wait_loadcnt 0x0
	global_inv scope:SCOPE_SYS
	v_cmp_eq_u64_e32 vcc_lo, v[32:33], v[28:29]
	s_or_b32 s13, vcc_lo, s13
	s_wait_xcnt 0x0
	s_and_not1_b32 exec_lo, exec_lo, s13
	s_cbranch_execnz .LBB1_169
; %bb.170:                              ;   in Loop: Header=BB1_117 Depth=1
	s_or_b32 exec_lo, exec_lo, s13
.LBB1_171:                              ;   in Loop: Header=BB1_117 Depth=1
	s_delay_alu instid0(SALU_CYCLE_1)
	s_or_b32 exec_lo, exec_lo, s12
.LBB1_172:                              ;   in Loop: Header=BB1_117 Depth=1
	s_delay_alu instid0(SALU_CYCLE_1)
	s_or_b32 exec_lo, exec_lo, s1
	s_clause 0x1
	global_load_b64 v[34:35], v11, s[2:3] offset:40
	global_load_b128 v[26:29], v11, s[2:3]
	v_readfirstlane_b32 s12, v32
	v_readfirstlane_b32 s13, v33
	s_mov_b32 s1, exec_lo
	s_wait_loadcnt 0x1
	v_and_b32_e32 v34, s12, v34
	v_and_b32_e32 v35, s13, v35
	s_delay_alu instid0(VALU_DEP_1) | instskip(SKIP_1) | instid1(VALU_DEP_1)
	v_mul_u64_e32 v[32:33], 24, v[34:35]
	s_wait_loadcnt 0x0
	v_add_nc_u64_e32 v[32:33], v[26:27], v[32:33]
	s_wait_xcnt 0x0
	s_and_saveexec_b32 s14, s0
	s_cbranch_execz .LBB1_174
; %bb.173:                              ;   in Loop: Header=BB1_117 Depth=1
	v_mov_b32_e32 v10, s1
	global_store_b128 v[32:33], v[10:13], off offset:8
.LBB1_174:                              ;   in Loop: Header=BB1_117 Depth=1
	s_wait_xcnt 0x0
	s_or_b32 exec_lo, exec_lo, s14
	v_cmp_lt_u64_e64 vcc_lo, s[6:7], 57
	v_lshlrev_b64_e32 v[34:35], 12, v[34:35]
	v_and_b32_e32 v6, 0xffffff1f, v6
	s_lshl_b32 s1, s10, 2
	s_delay_alu instid0(SALU_CYCLE_1) | instskip(SKIP_1) | instid1(VALU_DEP_3)
	s_add_co_i32 s1, s1, 28
	v_cndmask_b32_e32 v3, 0, v2, vcc_lo
	v_add_nc_u64_e32 v[28:29], v[28:29], v[34:35]
	s_delay_alu instid0(VALU_DEP_2) | instskip(NEXT) | instid1(VALU_DEP_2)
	v_or_b32_e32 v3, v6, v3
	v_readfirstlane_b32 s14, v28
	s_delay_alu instid0(VALU_DEP_3) | instskip(NEXT) | instid1(VALU_DEP_3)
	v_readfirstlane_b32 s15, v29
	v_and_or_b32 v6, 0x1e0, s1, v3
	s_clause 0x3
	global_store_b128 v30, v[6:9], s[14:15]
	global_store_b128 v30, v[14:17], s[14:15] offset:16
	global_store_b128 v30, v[18:21], s[14:15] offset:32
	;; [unrolled: 1-line block ×3, first 2 shown]
	s_wait_xcnt 0x0
	s_and_saveexec_b32 s1, s0
	s_cbranch_execz .LBB1_182
; %bb.175:                              ;   in Loop: Header=BB1_117 Depth=1
	s_clause 0x1
	global_load_b64 v[18:19], v11, s[2:3] offset:32 scope:SCOPE_SYS
	global_load_b64 v[6:7], v11, s[2:3] offset:40
	s_mov_b32 s14, exec_lo
	v_dual_mov_b32 v16, s12 :: v_dual_mov_b32 v17, s13
	s_wait_loadcnt 0x0
	v_and_b32_e32 v7, s13, v7
	v_and_b32_e32 v6, s12, v6
	s_delay_alu instid0(VALU_DEP_1) | instskip(NEXT) | instid1(VALU_DEP_1)
	v_mul_u64_e32 v[6:7], 24, v[6:7]
	v_add_nc_u64_e32 v[14:15], v[26:27], v[6:7]
	global_store_b64 v[14:15], v[18:19], off
	global_wb scope:SCOPE_SYS
	s_wait_storecnt 0x0
	s_wait_xcnt 0x0
	global_atomic_cmpswap_b64 v[8:9], v11, v[16:19], s[2:3] offset:32 th:TH_ATOMIC_RETURN scope:SCOPE_SYS
	s_wait_loadcnt 0x0
	v_cmpx_ne_u64_e64 v[8:9], v[18:19]
	s_cbranch_execz .LBB1_178
; %bb.176:                              ;   in Loop: Header=BB1_117 Depth=1
	s_mov_b32 s15, 0
.LBB1_177:                              ;   Parent Loop BB1_117 Depth=1
                                        ; =>  This Inner Loop Header: Depth=2
	v_dual_mov_b32 v6, s12 :: v_dual_mov_b32 v7, s13
	s_sleep 1
	global_store_b64 v[14:15], v[8:9], off
	global_wb scope:SCOPE_SYS
	s_wait_storecnt 0x0
	s_wait_xcnt 0x0
	global_atomic_cmpswap_b64 v[6:7], v11, v[6:9], s[2:3] offset:32 th:TH_ATOMIC_RETURN scope:SCOPE_SYS
	s_wait_loadcnt 0x0
	v_cmp_eq_u64_e32 vcc_lo, v[6:7], v[8:9]
	v_mov_b64_e32 v[8:9], v[6:7]
	s_or_b32 s15, vcc_lo, s15
	s_delay_alu instid0(SALU_CYCLE_1)
	s_and_not1_b32 exec_lo, exec_lo, s15
	s_cbranch_execnz .LBB1_177
.LBB1_178:                              ;   in Loop: Header=BB1_117 Depth=1
	s_or_b32 exec_lo, exec_lo, s14
	global_load_b64 v[6:7], v11, s[2:3] offset:16
	s_mov_b32 s15, exec_lo
	s_mov_b32 s14, exec_lo
	v_mbcnt_lo_u32_b32 v3, s15, 0
	s_wait_xcnt 0x0
	s_delay_alu instid0(VALU_DEP_1)
	v_cmpx_eq_u32_e32 0, v3
	s_cbranch_execz .LBB1_180
; %bb.179:                              ;   in Loop: Header=BB1_117 Depth=1
	s_bcnt1_i32_b32 s15, s15
	s_delay_alu instid0(SALU_CYCLE_1)
	v_mov_b32_e32 v10, s15
	global_wb scope:SCOPE_SYS
	s_wait_loadcnt 0x0
	s_wait_storecnt 0x0
	global_atomic_add_u64 v[6:7], v[10:11], off offset:8 scope:SCOPE_SYS
.LBB1_180:                              ;   in Loop: Header=BB1_117 Depth=1
	s_wait_xcnt 0x0
	s_or_b32 exec_lo, exec_lo, s14
	s_wait_loadcnt 0x0
	global_load_b64 v[8:9], v[6:7], off offset:16
	s_wait_loadcnt 0x0
	v_cmp_eq_u64_e32 vcc_lo, 0, v[8:9]
	s_cbranch_vccnz .LBB1_182
; %bb.181:                              ;   in Loop: Header=BB1_117 Depth=1
	global_load_b32 v10, v[6:7], off offset:24
	s_wait_loadcnt 0x0
	v_readfirstlane_b32 s14, v10
	global_wb scope:SCOPE_SYS
	s_wait_storecnt 0x0
	s_wait_xcnt 0x0
	global_store_b64 v[8:9], v[10:11], off scope:SCOPE_SYS
	s_and_b32 m0, s14, 0xffffff
	s_sendmsg sendmsg(MSG_INTERRUPT)
.LBB1_182:                              ;   in Loop: Header=BB1_117 Depth=1
	s_wait_xcnt 0x0
	s_or_b32 exec_lo, exec_lo, s1
	v_mov_b32_e32 v31, v11
	s_delay_alu instid0(VALU_DEP_1)
	v_add_nc_u64_e32 v[6:7], v[28:29], v[30:31]
	s_branch .LBB1_186
.LBB1_183:                              ;   in Loop: Header=BB1_186 Depth=2
	s_wait_xcnt 0x0
	s_or_b32 exec_lo, exec_lo, s1
	s_delay_alu instid0(VALU_DEP_1)
	v_readfirstlane_b32 s1, v3
	s_cmp_eq_u32 s1, 0
	s_cbranch_scc1 .LBB1_185
; %bb.184:                              ;   in Loop: Header=BB1_186 Depth=2
	s_sleep 1
	s_cbranch_execnz .LBB1_186
	s_branch .LBB1_188
.LBB1_185:                              ;   in Loop: Header=BB1_117 Depth=1
	s_branch .LBB1_188
.LBB1_186:                              ;   Parent Loop BB1_117 Depth=1
                                        ; =>  This Inner Loop Header: Depth=2
	v_mov_b32_e32 v3, 1
	s_and_saveexec_b32 s1, s0
	s_cbranch_execz .LBB1_183
; %bb.187:                              ;   in Loop: Header=BB1_186 Depth=2
	global_load_b32 v3, v[32:33], off offset:20 scope:SCOPE_SYS
	s_wait_loadcnt 0x0
	global_inv scope:SCOPE_SYS
	v_and_b32_e32 v3, 1, v3
	s_branch .LBB1_183
.LBB1_188:                              ;   in Loop: Header=BB1_117 Depth=1
	global_load_b64 v[6:7], v[6:7], off
	s_wait_xcnt 0x0
	s_and_saveexec_b32 s14, s0
	s_cbranch_execz .LBB1_116
; %bb.189:                              ;   in Loop: Header=BB1_117 Depth=1
	s_clause 0x2
	global_load_b64 v[8:9], v11, s[2:3] offset:40
	global_load_b64 v[18:19], v11, s[2:3] offset:24 scope:SCOPE_SYS
	global_load_b64 v[14:15], v11, s[2:3]
	s_wait_loadcnt 0x2
	v_readfirstlane_b32 s16, v8
	v_readfirstlane_b32 s17, v9
	s_add_nc_u64 s[0:1], s[16:17], 1
	s_delay_alu instid0(SALU_CYCLE_1) | instskip(NEXT) | instid1(SALU_CYCLE_1)
	s_add_nc_u64 s[12:13], s[0:1], s[12:13]
	s_cmp_eq_u64 s[12:13], 0
	s_cselect_b32 s1, s1, s13
	s_cselect_b32 s0, s0, s12
	s_delay_alu instid0(SALU_CYCLE_1) | instskip(SKIP_1) | instid1(SALU_CYCLE_1)
	v_dual_mov_b32 v17, s1 :: v_dual_mov_b32 v16, s0
	s_and_b64 s[12:13], s[0:1], s[16:17]
	s_mul_u64 s[12:13], s[12:13], 24
	s_wait_loadcnt 0x0
	v_add_nc_u64_e32 v[8:9], s[12:13], v[14:15]
	global_store_b64 v[8:9], v[18:19], off
	global_wb scope:SCOPE_SYS
	s_wait_storecnt 0x0
	s_wait_xcnt 0x0
	global_atomic_cmpswap_b64 v[16:17], v11, v[16:19], s[2:3] offset:24 th:TH_ATOMIC_RETURN scope:SCOPE_SYS
	s_wait_loadcnt 0x0
	v_cmp_ne_u64_e32 vcc_lo, v[16:17], v[18:19]
	s_and_b32 exec_lo, exec_lo, vcc_lo
	s_cbranch_execz .LBB1_116
; %bb.190:                              ;   in Loop: Header=BB1_117 Depth=1
	s_mov_b32 s12, 0
.LBB1_191:                              ;   Parent Loop BB1_117 Depth=1
                                        ; =>  This Inner Loop Header: Depth=2
	v_dual_mov_b32 v14, s0 :: v_dual_mov_b32 v15, s1
	s_sleep 1
	global_store_b64 v[8:9], v[16:17], off
	global_wb scope:SCOPE_SYS
	s_wait_storecnt 0x0
	s_wait_xcnt 0x0
	global_atomic_cmpswap_b64 v[14:15], v11, v[14:17], s[2:3] offset:24 th:TH_ATOMIC_RETURN scope:SCOPE_SYS
	s_wait_loadcnt 0x0
	v_cmp_eq_u64_e32 vcc_lo, v[14:15], v[16:17]
	v_mov_b64_e32 v[16:17], v[14:15]
	s_or_b32 s12, vcc_lo, s12
	s_delay_alu instid0(SALU_CYCLE_1)
	s_and_not1_b32 exec_lo, exec_lo, s12
	s_cbranch_execnz .LBB1_191
	s_branch .LBB1_116
.LBB1_192:
	s_or_b32 exec_lo, exec_lo, s6
	s_branch .LBB1_114
.LBB1_193:
	v_readfirstlane_b32 s0, v48
	v_mov_b64_e32 v[8:9], 0
	s_delay_alu instid0(VALU_DEP_2)
	v_cmp_eq_u32_e64 s0, s0, v48
	s_and_saveexec_b32 s1, s0
	s_cbranch_execz .LBB1_199
; %bb.194:
	s_wait_loadcnt 0x0
	v_mov_b32_e32 v0, 0
	s_mov_b32 s4, exec_lo
	global_load_b64 v[10:11], v0, s[2:3] offset:24 scope:SCOPE_SYS
	s_wait_loadcnt 0x0
	global_inv scope:SCOPE_SYS
	s_clause 0x1
	global_load_b64 v[2:3], v0, s[2:3] offset:40
	global_load_b64 v[8:9], v0, s[2:3]
	s_wait_loadcnt 0x1
	v_and_b32_e32 v2, v2, v10
	v_and_b32_e32 v3, v3, v11
	s_delay_alu instid0(VALU_DEP_1) | instskip(SKIP_1) | instid1(VALU_DEP_1)
	v_mul_u64_e32 v[2:3], 24, v[2:3]
	s_wait_loadcnt 0x0
	v_add_nc_u64_e32 v[2:3], v[8:9], v[2:3]
	global_load_b64 v[8:9], v[2:3], off scope:SCOPE_SYS
	s_wait_xcnt 0x0
	s_wait_loadcnt 0x0
	global_atomic_cmpswap_b64 v[8:9], v0, v[8:11], s[2:3] offset:24 th:TH_ATOMIC_RETURN scope:SCOPE_SYS
	s_wait_loadcnt 0x0
	global_inv scope:SCOPE_SYS
	s_wait_xcnt 0x0
	v_cmpx_ne_u64_e64 v[8:9], v[10:11]
	s_cbranch_execz .LBB1_198
; %bb.195:
	s_mov_b32 s5, 0
.LBB1_196:                              ; =>This Inner Loop Header: Depth=1
	s_sleep 1
	s_clause 0x1
	global_load_b64 v[2:3], v0, s[2:3] offset:40
	global_load_b64 v[12:13], v0, s[2:3]
	v_mov_b64_e32 v[10:11], v[8:9]
	s_wait_loadcnt 0x1
	s_delay_alu instid0(VALU_DEP_1) | instskip(SKIP_1) | instid1(VALU_DEP_1)
	v_and_b32_e32 v1, v2, v10
	s_wait_loadcnt 0x0
	v_mad_nc_u64_u32 v[8:9], v1, 24, v[12:13]
	s_delay_alu instid0(VALU_DEP_3) | instskip(NEXT) | instid1(VALU_DEP_1)
	v_and_b32_e32 v1, v3, v11
	v_mad_u32 v9, v1, 24, v9
	global_load_b64 v[8:9], v[8:9], off scope:SCOPE_SYS
	s_wait_xcnt 0x0
	s_wait_loadcnt 0x0
	global_atomic_cmpswap_b64 v[8:9], v0, v[8:11], s[2:3] offset:24 th:TH_ATOMIC_RETURN scope:SCOPE_SYS
	s_wait_loadcnt 0x0
	global_inv scope:SCOPE_SYS
	v_cmp_eq_u64_e32 vcc_lo, v[8:9], v[10:11]
	s_or_b32 s5, vcc_lo, s5
	s_wait_xcnt 0x0
	s_and_not1_b32 exec_lo, exec_lo, s5
	s_cbranch_execnz .LBB1_196
; %bb.197:
	s_or_b32 exec_lo, exec_lo, s5
.LBB1_198:
	s_delay_alu instid0(SALU_CYCLE_1)
	s_or_b32 exec_lo, exec_lo, s4
.LBB1_199:
	s_delay_alu instid0(SALU_CYCLE_1)
	s_or_b32 exec_lo, exec_lo, s1
	v_readfirstlane_b32 s4, v8
	v_mov_b32_e32 v31, 0
	v_readfirstlane_b32 s5, v9
	s_mov_b32 s1, exec_lo
	global_load_b64 v[10:11], v31, s[2:3] offset:40
	s_wait_loadcnt 0x1
	global_load_b128 v[0:3], v31, s[2:3]
	s_wait_loadcnt 0x1
	v_and_b32_e32 v8, s4, v10
	v_and_b32_e32 v9, s5, v11
	s_delay_alu instid0(VALU_DEP_1) | instskip(SKIP_1) | instid1(VALU_DEP_1)
	v_mul_u64_e32 v[10:11], 24, v[8:9]
	s_wait_loadcnt 0x0
	v_add_nc_u64_e32 v[10:11], v[0:1], v[10:11]
	s_wait_xcnt 0x0
	s_and_saveexec_b32 s6, s0
	s_cbranch_execz .LBB1_201
; %bb.200:
	v_mov_b64_e32 v[14:15], 0x100000002
	v_dual_mov_b32 v12, s1 :: v_dual_mov_b32 v13, v31
	global_store_b128 v[10:11], v[12:15], off offset:8
.LBB1_201:
	s_wait_xcnt 0x0
	s_or_b32 exec_lo, exec_lo, s6
	v_lshlrev_b64_e32 v[8:9], 12, v[8:9]
	s_mov_b32 s12, 0
	v_and_or_b32 v6, 0xffffff1f, v6, 32
	s_mov_b32 s14, s12
	s_mov_b32 s15, s12
	;; [unrolled: 1-line block ×3, first 2 shown]
	v_mov_b64_e32 v[16:17], s[14:15]
	v_add_nc_u64_e32 v[12:13], v[2:3], v[8:9]
	v_mov_b64_e32 v[14:15], s[12:13]
	v_dual_mov_b32 v8, v31 :: v_dual_mov_b32 v9, v31
	s_delay_alu instid0(VALU_DEP_3) | instskip(NEXT) | instid1(VALU_DEP_4)
	v_readfirstlane_b32 s6, v12
	v_readfirstlane_b32 s7, v13
	s_clause 0x3
	global_store_b128 v30, v[6:9], s[6:7]
	global_store_b128 v30, v[14:17], s[6:7] offset:16
	global_store_b128 v30, v[14:17], s[6:7] offset:32
	;; [unrolled: 1-line block ×3, first 2 shown]
	s_wait_xcnt 0x0
	s_and_saveexec_b32 s1, s0
	s_cbranch_execz .LBB1_209
; %bb.202:
	v_dual_mov_b32 v8, 0 :: v_dual_mov_b32 v15, s5
	s_mov_b32 s6, exec_lo
	s_clause 0x1
	global_load_b64 v[16:17], v8, s[2:3] offset:32 scope:SCOPE_SYS
	global_load_b64 v[2:3], v8, s[2:3] offset:40
	s_wait_loadcnt 0x0
	v_dual_mov_b32 v14, s4 :: v_dual_bitop2_b32 v3, s5, v3 bitop3:0x40
	v_and_b32_e32 v2, s4, v2
	s_delay_alu instid0(VALU_DEP_1) | instskip(NEXT) | instid1(VALU_DEP_1)
	v_mul_u64_e32 v[2:3], 24, v[2:3]
	v_add_nc_u64_e32 v[6:7], v[0:1], v[2:3]
	global_store_b64 v[6:7], v[16:17], off
	global_wb scope:SCOPE_SYS
	s_wait_storecnt 0x0
	s_wait_xcnt 0x0
	global_atomic_cmpswap_b64 v[2:3], v8, v[14:17], s[2:3] offset:32 th:TH_ATOMIC_RETURN scope:SCOPE_SYS
	s_wait_loadcnt 0x0
	v_cmpx_ne_u64_e64 v[2:3], v[16:17]
	s_cbranch_execz .LBB1_205
; %bb.203:
	s_mov_b32 s7, 0
.LBB1_204:                              ; =>This Inner Loop Header: Depth=1
	v_dual_mov_b32 v0, s4 :: v_dual_mov_b32 v1, s5
	s_sleep 1
	global_store_b64 v[6:7], v[2:3], off
	global_wb scope:SCOPE_SYS
	s_wait_storecnt 0x0
	s_wait_xcnt 0x0
	global_atomic_cmpswap_b64 v[0:1], v8, v[0:3], s[2:3] offset:32 th:TH_ATOMIC_RETURN scope:SCOPE_SYS
	s_wait_loadcnt 0x0
	v_cmp_eq_u64_e32 vcc_lo, v[0:1], v[2:3]
	v_mov_b64_e32 v[2:3], v[0:1]
	s_or_b32 s7, vcc_lo, s7
	s_delay_alu instid0(SALU_CYCLE_1)
	s_and_not1_b32 exec_lo, exec_lo, s7
	s_cbranch_execnz .LBB1_204
.LBB1_205:
	s_or_b32 exec_lo, exec_lo, s6
	v_mov_b32_e32 v3, 0
	s_mov_b32 s7, exec_lo
	s_mov_b32 s6, exec_lo
	v_mbcnt_lo_u32_b32 v2, s7, 0
	global_load_b64 v[0:1], v3, s[2:3] offset:16
	s_wait_xcnt 0x0
	v_cmpx_eq_u32_e32 0, v2
	s_cbranch_execz .LBB1_207
; %bb.206:
	s_bcnt1_i32_b32 s7, s7
	s_delay_alu instid0(SALU_CYCLE_1)
	v_mov_b32_e32 v2, s7
	global_wb scope:SCOPE_SYS
	s_wait_loadcnt 0x0
	s_wait_storecnt 0x0
	global_atomic_add_u64 v[0:1], v[2:3], off offset:8 scope:SCOPE_SYS
.LBB1_207:
	s_wait_xcnt 0x0
	s_or_b32 exec_lo, exec_lo, s6
	s_wait_loadcnt 0x0
	global_load_b64 v[2:3], v[0:1], off offset:16
	s_wait_loadcnt 0x0
	v_cmp_eq_u64_e32 vcc_lo, 0, v[2:3]
	s_cbranch_vccnz .LBB1_209
; %bb.208:
	global_load_b32 v0, v[0:1], off offset:24
	s_wait_xcnt 0x0
	v_mov_b32_e32 v1, 0
	s_wait_loadcnt 0x0
	v_readfirstlane_b32 s6, v0
	global_wb scope:SCOPE_SYS
	s_wait_storecnt 0x0
	global_store_b64 v[2:3], v[0:1], off scope:SCOPE_SYS
	s_and_b32 m0, s6, 0xffffff
	s_sendmsg sendmsg(MSG_INTERRUPT)
.LBB1_209:
	s_wait_xcnt 0x0
	s_or_b32 exec_lo, exec_lo, s1
	v_add_nc_u64_e32 v[0:1], v[12:13], v[30:31]
	s_branch .LBB1_213
.LBB1_210:                              ;   in Loop: Header=BB1_213 Depth=1
	s_wait_xcnt 0x0
	s_or_b32 exec_lo, exec_lo, s1
	s_delay_alu instid0(VALU_DEP_1)
	v_readfirstlane_b32 s1, v2
	s_cmp_eq_u32 s1, 0
	s_cbranch_scc1 .LBB1_212
; %bb.211:                              ;   in Loop: Header=BB1_213 Depth=1
	s_sleep 1
	s_cbranch_execnz .LBB1_213
	s_branch .LBB1_216
.LBB1_212:
	s_branch .LBB1_216
.LBB1_213:                              ; =>This Inner Loop Header: Depth=1
	v_mov_b32_e32 v2, 1
	s_and_saveexec_b32 s1, s0
	s_cbranch_execz .LBB1_210
; %bb.214:                              ;   in Loop: Header=BB1_213 Depth=1
	global_load_b32 v2, v[10:11], off offset:20 scope:SCOPE_SYS
	s_wait_loadcnt 0x0
	global_inv scope:SCOPE_SYS
	v_and_b32_e32 v2, 1, v2
	s_branch .LBB1_210
.LBB1_215:
	s_branch .LBB1_249
.LBB1_216:
	global_load_b64 v[0:1], v[0:1], off
	s_wait_xcnt 0x0
	s_and_saveexec_b32 s6, s0
	s_cbranch_execz .LBB1_220
; %bb.217:
	v_mov_b32_e32 v10, 0
	s_clause 0x2
	global_load_b64 v[2:3], v10, s[2:3] offset:40
	global_load_b64 v[14:15], v10, s[2:3] offset:24 scope:SCOPE_SYS
	global_load_b64 v[6:7], v10, s[2:3]
	s_wait_loadcnt 0x2
	v_readfirstlane_b32 s10, v2
	v_readfirstlane_b32 s11, v3
	s_add_nc_u64 s[0:1], s[10:11], 1
	s_delay_alu instid0(SALU_CYCLE_1) | instskip(NEXT) | instid1(SALU_CYCLE_1)
	s_add_nc_u64 s[4:5], s[0:1], s[4:5]
	s_cmp_eq_u64 s[4:5], 0
	s_cselect_b32 s1, s1, s5
	s_cselect_b32 s0, s0, s4
	v_mov_b32_e32 v13, s1
	s_and_b64 s[4:5], s[0:1], s[10:11]
	v_mov_b32_e32 v12, s0
	s_mul_u64 s[4:5], s[4:5], 24
	s_wait_loadcnt 0x0
	v_add_nc_u64_e32 v[2:3], s[4:5], v[6:7]
	global_store_b64 v[2:3], v[14:15], off
	global_wb scope:SCOPE_SYS
	s_wait_storecnt 0x0
	s_wait_xcnt 0x0
	global_atomic_cmpswap_b64 v[8:9], v10, v[12:15], s[2:3] offset:24 th:TH_ATOMIC_RETURN scope:SCOPE_SYS
	s_wait_loadcnt 0x0
	v_cmp_ne_u64_e32 vcc_lo, v[8:9], v[14:15]
	s_and_b32 exec_lo, exec_lo, vcc_lo
	s_cbranch_execz .LBB1_220
; %bb.218:
	s_mov_b32 s4, 0
.LBB1_219:                              ; =>This Inner Loop Header: Depth=1
	v_dual_mov_b32 v6, s0 :: v_dual_mov_b32 v7, s1
	s_sleep 1
	global_store_b64 v[2:3], v[8:9], off
	global_wb scope:SCOPE_SYS
	s_wait_storecnt 0x0
	s_wait_xcnt 0x0
	global_atomic_cmpswap_b64 v[6:7], v10, v[6:9], s[2:3] offset:24 th:TH_ATOMIC_RETURN scope:SCOPE_SYS
	s_wait_loadcnt 0x0
	v_cmp_eq_u64_e32 vcc_lo, v[6:7], v[8:9]
	v_mov_b64_e32 v[8:9], v[6:7]
	s_or_b32 s4, vcc_lo, s4
	s_delay_alu instid0(SALU_CYCLE_1)
	s_and_not1_b32 exec_lo, exec_lo, s4
	s_cbranch_execnz .LBB1_219
.LBB1_220:
	s_or_b32 exec_lo, exec_lo, s6
	s_get_pc_i64 s[4:5]
	s_add_nc_u64 s[4:5], s[4:5], .str.4@rel64+4
	s_delay_alu instid0(SALU_CYCLE_1)
	s_cmp_lg_u64 s[4:5], 0
	s_cbranch_scc1 .LBB1_115
.LBB1_221:
                                        ; implicit-def: $vgpr6_vgpr7
	s_cbranch_execz .LBB1_249
; %bb.222:
	v_readfirstlane_b32 s0, v48
	v_mov_b64_e32 v[2:3], 0
	s_delay_alu instid0(VALU_DEP_2)
	v_cmp_eq_u32_e64 s0, s0, v48
	s_and_saveexec_b32 s1, s0
	s_cbranch_execz .LBB1_228
; %bb.223:
	s_wait_loadcnt 0x0
	v_mov_b32_e32 v6, 0
	s_mov_b32 s4, exec_lo
	global_load_b64 v[10:11], v6, s[2:3] offset:24 scope:SCOPE_SYS
	s_wait_loadcnt 0x0
	global_inv scope:SCOPE_SYS
	s_clause 0x1
	global_load_b64 v[2:3], v6, s[2:3] offset:40
	global_load_b64 v[8:9], v6, s[2:3]
	s_wait_loadcnt 0x1
	v_and_b32_e32 v2, v2, v10
	v_and_b32_e32 v3, v3, v11
	s_delay_alu instid0(VALU_DEP_1) | instskip(SKIP_1) | instid1(VALU_DEP_1)
	v_mul_u64_e32 v[2:3], 24, v[2:3]
	s_wait_loadcnt 0x0
	v_add_nc_u64_e32 v[2:3], v[8:9], v[2:3]
	global_load_b64 v[8:9], v[2:3], off scope:SCOPE_SYS
	s_wait_xcnt 0x0
	s_wait_loadcnt 0x0
	global_atomic_cmpswap_b64 v[2:3], v6, v[8:11], s[2:3] offset:24 th:TH_ATOMIC_RETURN scope:SCOPE_SYS
	s_wait_loadcnt 0x0
	global_inv scope:SCOPE_SYS
	s_wait_xcnt 0x0
	v_cmpx_ne_u64_e64 v[2:3], v[10:11]
	s_cbranch_execz .LBB1_227
; %bb.224:
	s_mov_b32 s5, 0
.LBB1_225:                              ; =>This Inner Loop Header: Depth=1
	s_sleep 1
	s_clause 0x1
	global_load_b64 v[8:9], v6, s[2:3] offset:40
	global_load_b64 v[12:13], v6, s[2:3]
	v_mov_b64_e32 v[10:11], v[2:3]
	s_wait_loadcnt 0x1
	s_delay_alu instid0(VALU_DEP_1) | instskip(NEXT) | instid1(VALU_DEP_2)
	v_and_b32_e32 v2, v8, v10
	v_and_b32_e32 v7, v9, v11
	s_wait_loadcnt 0x0
	s_delay_alu instid0(VALU_DEP_2) | instskip(NEXT) | instid1(VALU_DEP_1)
	v_mad_nc_u64_u32 v[2:3], v2, 24, v[12:13]
	v_mad_u32 v3, v7, 24, v3
	global_load_b64 v[8:9], v[2:3], off scope:SCOPE_SYS
	s_wait_xcnt 0x0
	s_wait_loadcnt 0x0
	global_atomic_cmpswap_b64 v[2:3], v6, v[8:11], s[2:3] offset:24 th:TH_ATOMIC_RETURN scope:SCOPE_SYS
	s_wait_loadcnt 0x0
	global_inv scope:SCOPE_SYS
	v_cmp_eq_u64_e32 vcc_lo, v[2:3], v[10:11]
	s_or_b32 s5, vcc_lo, s5
	s_wait_xcnt 0x0
	s_and_not1_b32 exec_lo, exec_lo, s5
	s_cbranch_execnz .LBB1_225
; %bb.226:
	s_or_b32 exec_lo, exec_lo, s5
.LBB1_227:
	s_delay_alu instid0(SALU_CYCLE_1)
	s_or_b32 exec_lo, exec_lo, s4
.LBB1_228:
	s_delay_alu instid0(SALU_CYCLE_1)
	s_or_b32 exec_lo, exec_lo, s1
	v_readfirstlane_b32 s4, v2
	v_mov_b32_e32 v31, 0
	v_readfirstlane_b32 s5, v3
	s_mov_b32 s1, exec_lo
	global_load_b64 v[10:11], v31, s[2:3] offset:40
	s_wait_loadcnt 0x1
	global_load_b128 v[6:9], v31, s[2:3]
	s_wait_loadcnt 0x1
	v_and_b32_e32 v2, s4, v10
	v_and_b32_e32 v3, s5, v11
	s_delay_alu instid0(VALU_DEP_1) | instskip(SKIP_1) | instid1(VALU_DEP_1)
	v_mul_u64_e32 v[10:11], 24, v[2:3]
	s_wait_loadcnt 0x0
	v_add_nc_u64_e32 v[10:11], v[6:7], v[10:11]
	s_wait_xcnt 0x0
	s_and_saveexec_b32 s6, s0
	s_cbranch_execz .LBB1_230
; %bb.229:
	v_mov_b64_e32 v[14:15], 0x100000002
	v_dual_mov_b32 v12, s1 :: v_dual_mov_b32 v13, v31
	global_store_b128 v[10:11], v[12:15], off offset:8
.LBB1_230:
	s_wait_xcnt 0x0
	s_or_b32 exec_lo, exec_lo, s6
	v_lshlrev_b64_e32 v[2:3], 12, v[2:3]
	s_mov_b32 s12, 0
	v_and_or_b32 v0, 0xffffff1f, v0, 32
	s_mov_b32 s13, s12
	s_mov_b32 s14, s12
	;; [unrolled: 1-line block ×3, first 2 shown]
	v_mov_b64_e32 v[12:13], s[12:13]
	v_add_nc_u64_e32 v[8:9], v[8:9], v[2:3]
	v_mov_b64_e32 v[14:15], s[14:15]
	v_dual_mov_b32 v2, v31 :: v_dual_mov_b32 v3, v31
	s_delay_alu instid0(VALU_DEP_3) | instskip(NEXT) | instid1(VALU_DEP_4)
	v_readfirstlane_b32 s6, v8
	v_readfirstlane_b32 s7, v9
	s_clause 0x3
	global_store_b128 v30, v[0:3], s[6:7]
	global_store_b128 v30, v[12:15], s[6:7] offset:16
	global_store_b128 v30, v[12:15], s[6:7] offset:32
	;; [unrolled: 1-line block ×3, first 2 shown]
	s_wait_xcnt 0x0
	s_and_saveexec_b32 s1, s0
	s_cbranch_execz .LBB1_238
; %bb.231:
	v_dual_mov_b32 v12, 0 :: v_dual_mov_b32 v15, s5
	s_mov_b32 s6, exec_lo
	s_clause 0x1
	global_load_b64 v[16:17], v12, s[2:3] offset:32 scope:SCOPE_SYS
	global_load_b64 v[0:1], v12, s[2:3] offset:40
	s_wait_loadcnt 0x0
	v_dual_mov_b32 v14, s4 :: v_dual_bitop2_b32 v1, s5, v1 bitop3:0x40
	v_and_b32_e32 v0, s4, v0
	s_delay_alu instid0(VALU_DEP_1) | instskip(NEXT) | instid1(VALU_DEP_1)
	v_mul_u64_e32 v[0:1], 24, v[0:1]
	v_add_nc_u64_e32 v[6:7], v[6:7], v[0:1]
	global_store_b64 v[6:7], v[16:17], off
	global_wb scope:SCOPE_SYS
	s_wait_storecnt 0x0
	s_wait_xcnt 0x0
	global_atomic_cmpswap_b64 v[2:3], v12, v[14:17], s[2:3] offset:32 th:TH_ATOMIC_RETURN scope:SCOPE_SYS
	s_wait_loadcnt 0x0
	v_cmpx_ne_u64_e64 v[2:3], v[16:17]
	s_cbranch_execz .LBB1_234
; %bb.232:
	s_mov_b32 s7, 0
.LBB1_233:                              ; =>This Inner Loop Header: Depth=1
	v_dual_mov_b32 v0, s4 :: v_dual_mov_b32 v1, s5
	s_sleep 1
	global_store_b64 v[6:7], v[2:3], off
	global_wb scope:SCOPE_SYS
	s_wait_storecnt 0x0
	s_wait_xcnt 0x0
	global_atomic_cmpswap_b64 v[0:1], v12, v[0:3], s[2:3] offset:32 th:TH_ATOMIC_RETURN scope:SCOPE_SYS
	s_wait_loadcnt 0x0
	v_cmp_eq_u64_e32 vcc_lo, v[0:1], v[2:3]
	v_mov_b64_e32 v[2:3], v[0:1]
	s_or_b32 s7, vcc_lo, s7
	s_delay_alu instid0(SALU_CYCLE_1)
	s_and_not1_b32 exec_lo, exec_lo, s7
	s_cbranch_execnz .LBB1_233
.LBB1_234:
	s_or_b32 exec_lo, exec_lo, s6
	v_mov_b32_e32 v3, 0
	s_mov_b32 s7, exec_lo
	s_mov_b32 s6, exec_lo
	v_mbcnt_lo_u32_b32 v2, s7, 0
	global_load_b64 v[0:1], v3, s[2:3] offset:16
	s_wait_xcnt 0x0
	v_cmpx_eq_u32_e32 0, v2
	s_cbranch_execz .LBB1_236
; %bb.235:
	s_bcnt1_i32_b32 s7, s7
	s_delay_alu instid0(SALU_CYCLE_1)
	v_mov_b32_e32 v2, s7
	global_wb scope:SCOPE_SYS
	s_wait_loadcnt 0x0
	s_wait_storecnt 0x0
	global_atomic_add_u64 v[0:1], v[2:3], off offset:8 scope:SCOPE_SYS
.LBB1_236:
	s_wait_xcnt 0x0
	s_or_b32 exec_lo, exec_lo, s6
	s_wait_loadcnt 0x0
	global_load_b64 v[2:3], v[0:1], off offset:16
	s_wait_loadcnt 0x0
	v_cmp_eq_u64_e32 vcc_lo, 0, v[2:3]
	s_cbranch_vccnz .LBB1_238
; %bb.237:
	global_load_b32 v0, v[0:1], off offset:24
	s_wait_xcnt 0x0
	v_mov_b32_e32 v1, 0
	s_wait_loadcnt 0x0
	v_readfirstlane_b32 s6, v0
	global_wb scope:SCOPE_SYS
	s_wait_storecnt 0x0
	global_store_b64 v[2:3], v[0:1], off scope:SCOPE_SYS
	s_and_b32 m0, s6, 0xffffff
	s_sendmsg sendmsg(MSG_INTERRUPT)
.LBB1_238:
	s_wait_xcnt 0x0
	s_or_b32 exec_lo, exec_lo, s1
	v_add_nc_u64_e32 v[0:1], v[8:9], v[30:31]
	s_branch .LBB1_242
.LBB1_239:                              ;   in Loop: Header=BB1_242 Depth=1
	s_wait_xcnt 0x0
	s_or_b32 exec_lo, exec_lo, s1
	s_delay_alu instid0(VALU_DEP_1)
	v_readfirstlane_b32 s1, v2
	s_cmp_eq_u32 s1, 0
	s_cbranch_scc1 .LBB1_241
; %bb.240:                              ;   in Loop: Header=BB1_242 Depth=1
	s_sleep 1
	s_cbranch_execnz .LBB1_242
	s_branch .LBB1_244
.LBB1_241:
	s_branch .LBB1_244
.LBB1_242:                              ; =>This Inner Loop Header: Depth=1
	v_mov_b32_e32 v2, 1
	s_and_saveexec_b32 s1, s0
	s_cbranch_execz .LBB1_239
; %bb.243:                              ;   in Loop: Header=BB1_242 Depth=1
	global_load_b32 v2, v[10:11], off offset:20 scope:SCOPE_SYS
	s_wait_loadcnt 0x0
	global_inv scope:SCOPE_SYS
	v_and_b32_e32 v2, 1, v2
	s_branch .LBB1_239
.LBB1_244:
	global_load_b64 v[6:7], v[0:1], off
	s_wait_xcnt 0x0
	s_and_saveexec_b32 s6, s0
	s_cbranch_execz .LBB1_248
; %bb.245:
	v_mov_b32_e32 v10, 0
	s_clause 0x2
	global_load_b64 v[0:1], v10, s[2:3] offset:40
	global_load_b64 v[14:15], v10, s[2:3] offset:24 scope:SCOPE_SYS
	global_load_b64 v[2:3], v10, s[2:3]
	s_wait_loadcnt 0x2
	v_readfirstlane_b32 s10, v0
	v_readfirstlane_b32 s11, v1
	s_add_nc_u64 s[0:1], s[10:11], 1
	s_delay_alu instid0(SALU_CYCLE_1) | instskip(NEXT) | instid1(SALU_CYCLE_1)
	s_add_nc_u64 s[4:5], s[0:1], s[4:5]
	s_cmp_eq_u64 s[4:5], 0
	s_cselect_b32 s1, s1, s5
	s_cselect_b32 s0, s0, s4
	v_mov_b32_e32 v13, s1
	s_and_b64 s[4:5], s[0:1], s[10:11]
	v_mov_b32_e32 v12, s0
	s_mul_u64 s[4:5], s[4:5], 24
	s_wait_loadcnt 0x0
	v_add_nc_u64_e32 v[8:9], s[4:5], v[2:3]
	global_store_b64 v[8:9], v[14:15], off
	global_wb scope:SCOPE_SYS
	s_wait_storecnt 0x0
	s_wait_xcnt 0x0
	global_atomic_cmpswap_b64 v[2:3], v10, v[12:15], s[2:3] offset:24 th:TH_ATOMIC_RETURN scope:SCOPE_SYS
	s_wait_loadcnt 0x0
	v_cmp_ne_u64_e32 vcc_lo, v[2:3], v[14:15]
	s_and_b32 exec_lo, exec_lo, vcc_lo
	s_cbranch_execz .LBB1_248
; %bb.246:
	s_mov_b32 s4, 0
.LBB1_247:                              ; =>This Inner Loop Header: Depth=1
	v_dual_mov_b32 v0, s0 :: v_dual_mov_b32 v1, s1
	s_sleep 1
	global_store_b64 v[8:9], v[2:3], off
	global_wb scope:SCOPE_SYS
	s_wait_storecnt 0x0
	s_wait_xcnt 0x0
	global_atomic_cmpswap_b64 v[0:1], v10, v[0:3], s[2:3] offset:24 th:TH_ATOMIC_RETURN scope:SCOPE_SYS
	s_wait_loadcnt 0x0
	v_cmp_eq_u64_e32 vcc_lo, v[0:1], v[2:3]
	v_mov_b64_e32 v[2:3], v[0:1]
	s_or_b32 s4, vcc_lo, s4
	s_delay_alu instid0(SALU_CYCLE_1)
	s_and_not1_b32 exec_lo, exec_lo, s4
	s_cbranch_execnz .LBB1_247
.LBB1_248:
	s_or_b32 exec_lo, exec_lo, s6
.LBB1_249:
	v_readfirstlane_b32 s0, v48
	v_mov_b64_e32 v[8:9], 0
	s_delay_alu instid0(VALU_DEP_2)
	v_cmp_eq_u32_e64 s0, s0, v48
	s_and_saveexec_b32 s1, s0
	s_cbranch_execz .LBB1_255
; %bb.250:
	s_wait_loadcnt 0x0
	v_mov_b32_e32 v0, 0
	s_mov_b32 s4, exec_lo
	global_load_b64 v[10:11], v0, s[2:3] offset:24 scope:SCOPE_SYS
	s_wait_loadcnt 0x0
	global_inv scope:SCOPE_SYS
	s_clause 0x1
	global_load_b64 v[2:3], v0, s[2:3] offset:40
	global_load_b64 v[8:9], v0, s[2:3]
	s_wait_loadcnt 0x1
	v_and_b32_e32 v2, v2, v10
	v_and_b32_e32 v3, v3, v11
	s_delay_alu instid0(VALU_DEP_1) | instskip(SKIP_1) | instid1(VALU_DEP_1)
	v_mul_u64_e32 v[2:3], 24, v[2:3]
	s_wait_loadcnt 0x0
	v_add_nc_u64_e32 v[2:3], v[8:9], v[2:3]
	global_load_b64 v[8:9], v[2:3], off scope:SCOPE_SYS
	s_wait_xcnt 0x0
	s_wait_loadcnt 0x0
	global_atomic_cmpswap_b64 v[8:9], v0, v[8:11], s[2:3] offset:24 th:TH_ATOMIC_RETURN scope:SCOPE_SYS
	s_wait_loadcnt 0x0
	global_inv scope:SCOPE_SYS
	s_wait_xcnt 0x0
	v_cmpx_ne_u64_e64 v[8:9], v[10:11]
	s_cbranch_execz .LBB1_254
; %bb.251:
	s_mov_b32 s5, 0
.LBB1_252:                              ; =>This Inner Loop Header: Depth=1
	s_sleep 1
	s_clause 0x1
	global_load_b64 v[2:3], v0, s[2:3] offset:40
	global_load_b64 v[12:13], v0, s[2:3]
	v_mov_b64_e32 v[10:11], v[8:9]
	s_wait_loadcnt 0x1
	s_delay_alu instid0(VALU_DEP_1) | instskip(SKIP_1) | instid1(VALU_DEP_1)
	v_and_b32_e32 v1, v2, v10
	s_wait_loadcnt 0x0
	v_mad_nc_u64_u32 v[8:9], v1, 24, v[12:13]
	s_delay_alu instid0(VALU_DEP_3) | instskip(NEXT) | instid1(VALU_DEP_1)
	v_and_b32_e32 v1, v3, v11
	v_mad_u32 v9, v1, 24, v9
	global_load_b64 v[8:9], v[8:9], off scope:SCOPE_SYS
	s_wait_xcnt 0x0
	s_wait_loadcnt 0x0
	global_atomic_cmpswap_b64 v[8:9], v0, v[8:11], s[2:3] offset:24 th:TH_ATOMIC_RETURN scope:SCOPE_SYS
	s_wait_loadcnt 0x0
	global_inv scope:SCOPE_SYS
	v_cmp_eq_u64_e32 vcc_lo, v[8:9], v[10:11]
	s_or_b32 s5, vcc_lo, s5
	s_wait_xcnt 0x0
	s_and_not1_b32 exec_lo, exec_lo, s5
	s_cbranch_execnz .LBB1_252
; %bb.253:
	s_or_b32 exec_lo, exec_lo, s5
.LBB1_254:
	s_delay_alu instid0(SALU_CYCLE_1)
	s_or_b32 exec_lo, exec_lo, s4
.LBB1_255:
	s_delay_alu instid0(SALU_CYCLE_1)
	s_or_b32 exec_lo, exec_lo, s1
	v_readfirstlane_b32 s4, v8
	v_mov_b32_e32 v31, 0
	v_readfirstlane_b32 s5, v9
	s_mov_b32 s1, exec_lo
	global_load_b64 v[10:11], v31, s[2:3] offset:40
	s_wait_loadcnt 0x1
	global_load_b128 v[0:3], v31, s[2:3]
	s_wait_loadcnt 0x1
	v_and_b32_e32 v8, s4, v10
	v_and_b32_e32 v9, s5, v11
	s_delay_alu instid0(VALU_DEP_1) | instskip(SKIP_1) | instid1(VALU_DEP_1)
	v_mul_u64_e32 v[10:11], 24, v[8:9]
	s_wait_loadcnt 0x0
	v_add_nc_u64_e32 v[10:11], v[0:1], v[10:11]
	s_wait_xcnt 0x0
	s_and_saveexec_b32 s6, s0
	s_cbranch_execz .LBB1_257
; %bb.256:
	v_mov_b64_e32 v[14:15], 0x100000002
	v_dual_mov_b32 v12, s1 :: v_dual_mov_b32 v13, v31
	global_store_b128 v[10:11], v[12:15], off offset:8
.LBB1_257:
	s_wait_xcnt 0x0
	s_or_b32 exec_lo, exec_lo, s6
	v_lshlrev_b64_e32 v[8:9], 12, v[8:9]
	s_mov_b32 s12, 0
	v_and_or_b32 v6, 0xffffff1f, v6, 32
	s_mov_b32 s14, s12
	s_mov_b32 s15, s12
	s_mov_b32 s13, s12
	v_mov_b64_e32 v[16:17], s[14:15]
	v_add_nc_u64_e32 v[12:13], v[2:3], v[8:9]
	v_mov_b64_e32 v[14:15], s[12:13]
	v_dual_mov_b32 v8, 0x331 :: v_dual_mov_b32 v9, v31
	s_delay_alu instid0(VALU_DEP_3) | instskip(NEXT) | instid1(VALU_DEP_4)
	v_readfirstlane_b32 s6, v12
	v_readfirstlane_b32 s7, v13
	s_clause 0x3
	global_store_b128 v30, v[6:9], s[6:7]
	global_store_b128 v30, v[14:17], s[6:7] offset:16
	global_store_b128 v30, v[14:17], s[6:7] offset:32
	;; [unrolled: 1-line block ×3, first 2 shown]
	s_wait_xcnt 0x0
	s_and_saveexec_b32 s1, s0
	s_cbranch_execz .LBB1_265
; %bb.258:
	v_dual_mov_b32 v8, 0 :: v_dual_mov_b32 v15, s5
	s_mov_b32 s6, exec_lo
	s_clause 0x1
	global_load_b64 v[16:17], v8, s[2:3] offset:32 scope:SCOPE_SYS
	global_load_b64 v[2:3], v8, s[2:3] offset:40
	s_wait_loadcnt 0x0
	v_dual_mov_b32 v14, s4 :: v_dual_bitop2_b32 v3, s5, v3 bitop3:0x40
	v_and_b32_e32 v2, s4, v2
	s_delay_alu instid0(VALU_DEP_1) | instskip(NEXT) | instid1(VALU_DEP_1)
	v_mul_u64_e32 v[2:3], 24, v[2:3]
	v_add_nc_u64_e32 v[6:7], v[0:1], v[2:3]
	global_store_b64 v[6:7], v[16:17], off
	global_wb scope:SCOPE_SYS
	s_wait_storecnt 0x0
	s_wait_xcnt 0x0
	global_atomic_cmpswap_b64 v[2:3], v8, v[14:17], s[2:3] offset:32 th:TH_ATOMIC_RETURN scope:SCOPE_SYS
	s_wait_loadcnt 0x0
	v_cmpx_ne_u64_e64 v[2:3], v[16:17]
	s_cbranch_execz .LBB1_261
; %bb.259:
	s_mov_b32 s7, 0
.LBB1_260:                              ; =>This Inner Loop Header: Depth=1
	v_dual_mov_b32 v0, s4 :: v_dual_mov_b32 v1, s5
	s_sleep 1
	global_store_b64 v[6:7], v[2:3], off
	global_wb scope:SCOPE_SYS
	s_wait_storecnt 0x0
	s_wait_xcnt 0x0
	global_atomic_cmpswap_b64 v[0:1], v8, v[0:3], s[2:3] offset:32 th:TH_ATOMIC_RETURN scope:SCOPE_SYS
	s_wait_loadcnt 0x0
	v_cmp_eq_u64_e32 vcc_lo, v[0:1], v[2:3]
	v_mov_b64_e32 v[2:3], v[0:1]
	s_or_b32 s7, vcc_lo, s7
	s_delay_alu instid0(SALU_CYCLE_1)
	s_and_not1_b32 exec_lo, exec_lo, s7
	s_cbranch_execnz .LBB1_260
.LBB1_261:
	s_or_b32 exec_lo, exec_lo, s6
	v_mov_b32_e32 v3, 0
	s_mov_b32 s7, exec_lo
	s_mov_b32 s6, exec_lo
	v_mbcnt_lo_u32_b32 v2, s7, 0
	global_load_b64 v[0:1], v3, s[2:3] offset:16
	s_wait_xcnt 0x0
	v_cmpx_eq_u32_e32 0, v2
	s_cbranch_execz .LBB1_263
; %bb.262:
	s_bcnt1_i32_b32 s7, s7
	s_delay_alu instid0(SALU_CYCLE_1)
	v_mov_b32_e32 v2, s7
	global_wb scope:SCOPE_SYS
	s_wait_loadcnt 0x0
	s_wait_storecnt 0x0
	global_atomic_add_u64 v[0:1], v[2:3], off offset:8 scope:SCOPE_SYS
.LBB1_263:
	s_wait_xcnt 0x0
	s_or_b32 exec_lo, exec_lo, s6
	s_wait_loadcnt 0x0
	global_load_b64 v[2:3], v[0:1], off offset:16
	s_wait_loadcnt 0x0
	v_cmp_eq_u64_e32 vcc_lo, 0, v[2:3]
	s_cbranch_vccnz .LBB1_265
; %bb.264:
	global_load_b32 v0, v[0:1], off offset:24
	s_wait_xcnt 0x0
	v_mov_b32_e32 v1, 0
	s_wait_loadcnt 0x0
	v_readfirstlane_b32 s6, v0
	global_wb scope:SCOPE_SYS
	s_wait_storecnt 0x0
	global_store_b64 v[2:3], v[0:1], off scope:SCOPE_SYS
	s_and_b32 m0, s6, 0xffffff
	s_sendmsg sendmsg(MSG_INTERRUPT)
.LBB1_265:
	s_wait_xcnt 0x0
	s_or_b32 exec_lo, exec_lo, s1
	v_add_nc_u64_e32 v[0:1], v[12:13], v[30:31]
	s_branch .LBB1_269
.LBB1_266:                              ;   in Loop: Header=BB1_269 Depth=1
	s_wait_xcnt 0x0
	s_or_b32 exec_lo, exec_lo, s1
	s_delay_alu instid0(VALU_DEP_1)
	v_readfirstlane_b32 s1, v2
	s_cmp_eq_u32 s1, 0
	s_cbranch_scc1 .LBB1_268
; %bb.267:                              ;   in Loop: Header=BB1_269 Depth=1
	s_sleep 1
	s_cbranch_execnz .LBB1_269
	s_branch .LBB1_271
.LBB1_268:
	s_branch .LBB1_271
.LBB1_269:                              ; =>This Inner Loop Header: Depth=1
	v_mov_b32_e32 v2, 1
	s_and_saveexec_b32 s1, s0
	s_cbranch_execz .LBB1_266
; %bb.270:                              ;   in Loop: Header=BB1_269 Depth=1
	global_load_b32 v2, v[10:11], off offset:20 scope:SCOPE_SYS
	s_wait_loadcnt 0x0
	global_inv scope:SCOPE_SYS
	v_and_b32_e32 v2, 1, v2
	s_branch .LBB1_266
.LBB1_271:
	global_load_b64 v[0:1], v[0:1], off
	s_wait_xcnt 0x0
	s_and_saveexec_b32 s6, s0
	s_cbranch_execz .LBB1_275
; %bb.272:
	v_mov_b32_e32 v10, 0
	s_clause 0x2
	global_load_b64 v[2:3], v10, s[2:3] offset:40
	global_load_b64 v[14:15], v10, s[2:3] offset:24 scope:SCOPE_SYS
	global_load_b64 v[6:7], v10, s[2:3]
	s_wait_loadcnt 0x2
	v_readfirstlane_b32 s10, v2
	v_readfirstlane_b32 s11, v3
	s_add_nc_u64 s[0:1], s[10:11], 1
	s_delay_alu instid0(SALU_CYCLE_1) | instskip(NEXT) | instid1(SALU_CYCLE_1)
	s_add_nc_u64 s[4:5], s[0:1], s[4:5]
	s_cmp_eq_u64 s[4:5], 0
	s_cselect_b32 s1, s1, s5
	s_cselect_b32 s0, s0, s4
	v_mov_b32_e32 v13, s1
	s_and_b64 s[4:5], s[0:1], s[10:11]
	v_mov_b32_e32 v12, s0
	s_mul_u64 s[4:5], s[4:5], 24
	s_wait_loadcnt 0x0
	v_add_nc_u64_e32 v[2:3], s[4:5], v[6:7]
	global_store_b64 v[2:3], v[14:15], off
	global_wb scope:SCOPE_SYS
	s_wait_storecnt 0x0
	s_wait_xcnt 0x0
	global_atomic_cmpswap_b64 v[8:9], v10, v[12:15], s[2:3] offset:24 th:TH_ATOMIC_RETURN scope:SCOPE_SYS
	s_wait_loadcnt 0x0
	v_cmp_ne_u64_e32 vcc_lo, v[8:9], v[14:15]
	s_and_b32 exec_lo, exec_lo, vcc_lo
	s_cbranch_execz .LBB1_275
; %bb.273:
	s_mov_b32 s4, 0
.LBB1_274:                              ; =>This Inner Loop Header: Depth=1
	v_dual_mov_b32 v6, s0 :: v_dual_mov_b32 v7, s1
	s_sleep 1
	global_store_b64 v[2:3], v[8:9], off
	global_wb scope:SCOPE_SYS
	s_wait_storecnt 0x0
	s_wait_xcnt 0x0
	global_atomic_cmpswap_b64 v[6:7], v10, v[6:9], s[2:3] offset:24 th:TH_ATOMIC_RETURN scope:SCOPE_SYS
	s_wait_loadcnt 0x0
	v_cmp_eq_u64_e32 vcc_lo, v[6:7], v[8:9]
	v_mov_b64_e32 v[8:9], v[6:7]
	s_or_b32 s4, vcc_lo, s4
	s_delay_alu instid0(SALU_CYCLE_1)
	s_and_not1_b32 exec_lo, exec_lo, s4
	s_cbranch_execnz .LBB1_274
.LBB1_275:
	s_or_b32 exec_lo, exec_lo, s6
	v_mov_b64_e32 v[2:3], v[4:5]
	s_mov_b32 s0, 0
.LBB1_276:                              ; =>This Inner Loop Header: Depth=1
	global_load_u8 v6, v[2:3], off
	s_wait_xcnt 0x0
	v_add_nc_u64_e32 v[2:3], 1, v[2:3]
	s_wait_loadcnt 0x0
	v_cmp_eq_u16_e32 vcc_lo, 0, v6
	s_or_b32 s0, vcc_lo, s0
	s_delay_alu instid0(SALU_CYCLE_1)
	s_and_not1_b32 exec_lo, exec_lo, s0
	s_cbranch_execnz .LBB1_276
; %bb.277:
	s_or_b32 exec_lo, exec_lo, s0
	s_delay_alu instid0(SALU_CYCLE_1)
	s_mov_b32 s0, exec_lo
	v_cmpx_ne_u64_e32 0, v[4:5]
	s_xor_b32 s6, exec_lo, s0
	s_cbranch_execz .LBB1_363
; %bb.278:
	v_dual_mov_b32 v31, 0 :: v_dual_sub_nc_u32 v26, v2, v4
	v_mov_b64_e32 v[8:9], 0x100000002
	v_and_b32_e32 v28, 2, v0
	s_delay_alu instid0(VALU_DEP_3)
	v_dual_ashrrev_i32 v27, 31, v26 :: v_dual_bitop2_b32 v0, -3, v0 bitop3:0x40
	s_mov_b32 s10, 0
	s_mov_b32 s7, 0
	s_branch .LBB1_280
.LBB1_279:                              ;   in Loop: Header=BB1_280 Depth=1
	s_or_b32 exec_lo, exec_lo, s11
	v_sub_nc_u64_e32 v[26:27], v[26:27], v[32:33]
	v_add_nc_u64_e32 v[4:5], v[4:5], v[32:33]
	s_delay_alu instid0(VALU_DEP_2) | instskip(SKIP_1) | instid1(SALU_CYCLE_1)
	v_cmp_eq_u64_e32 vcc_lo, 0, v[26:27]
	s_or_b32 s7, vcc_lo, s7
	s_and_not1_b32 exec_lo, exec_lo, s7
	s_cbranch_execz .LBB1_362
.LBB1_280:                              ; =>This Loop Header: Depth=1
                                        ;     Child Loop BB1_283 Depth 2
                                        ;     Child Loop BB1_291 Depth 2
	;; [unrolled: 1-line block ×11, first 2 shown]
	s_delay_alu instid0(VALU_DEP_1) | instskip(NEXT) | instid1(VALU_DEP_3)
	v_min_u64 v[32:33], v[26:27], 56
	v_add_nc_u64_e32 v[12:13], 8, v[4:5]
	s_mov_b32 s0, exec_lo
	v_cmpx_gt_u64_e32 8, v[26:27]
	s_xor_b32 s4, exec_lo, s0
	s_cbranch_execz .LBB1_286
; %bb.281:                              ;   in Loop: Header=BB1_280 Depth=1
	v_mov_b64_e32 v[2:3], 0
	s_mov_b32 s5, exec_lo
	v_cmpx_ne_u64_e32 0, v[26:27]
	s_cbranch_execz .LBB1_285
; %bb.282:                              ;   in Loop: Header=BB1_280 Depth=1
	v_mov_b64_e32 v[2:3], 0
	v_mov_b64_e32 v[10:11], v[4:5]
	v_lshlrev_b32_e32 v6, 3, v32
	s_mov_b64 s[0:1], 0
	s_mov_b32 s11, 0
.LBB1_283:                              ;   Parent Loop BB1_280 Depth=1
                                        ; =>  This Inner Loop Header: Depth=2
	global_load_u8 v7, v[10:11], off
	v_mov_b32_e32 v13, s10
	s_wait_xcnt 0x0
	v_add_nc_u64_e32 v[10:11], 1, v[10:11]
	s_wait_loadcnt 0x0
	v_and_b32_e32 v12, 0xffff, v7
	s_delay_alu instid0(VALU_DEP_1) | instskip(SKIP_1) | instid1(SALU_CYCLE_1)
	v_lshlrev_b64_e32 v[12:13], s0, v[12:13]
	s_add_nc_u64 s[0:1], s[0:1], 8
	v_cmp_eq_u32_e32 vcc_lo, s0, v6
	s_delay_alu instid0(VALU_DEP_2) | instskip(NEXT) | instid1(VALU_DEP_3)
	v_or_b32_e32 v3, v13, v3
	v_or_b32_e32 v2, v12, v2
	s_or_b32 s11, vcc_lo, s11
	s_delay_alu instid0(SALU_CYCLE_1)
	s_and_not1_b32 exec_lo, exec_lo, s11
	s_cbranch_execnz .LBB1_283
; %bb.284:                              ;   in Loop: Header=BB1_280 Depth=1
	s_or_b32 exec_lo, exec_lo, s11
.LBB1_285:                              ;   in Loop: Header=BB1_280 Depth=1
	s_delay_alu instid0(SALU_CYCLE_1)
	s_or_b32 exec_lo, exec_lo, s5
	v_mov_b64_e32 v[12:13], v[4:5]
.LBB1_286:                              ;   in Loop: Header=BB1_280 Depth=1
	s_or_saveexec_b32 s0, s4
	v_mov_b32_e32 v14, 0
	s_xor_b32 exec_lo, exec_lo, s0
	s_cbranch_execz .LBB1_288
; %bb.287:                              ;   in Loop: Header=BB1_280 Depth=1
	global_load_b64 v[2:3], v[4:5], off
	v_add_nc_u32_e32 v14, -8, v32
.LBB1_288:                              ;   in Loop: Header=BB1_280 Depth=1
	s_wait_xcnt 0x0
	s_or_b32 exec_lo, exec_lo, s0
	v_add_nc_u64_e32 v[6:7], 8, v[12:13]
                                        ; implicit-def: $vgpr10_vgpr11
	s_mov_b32 s0, exec_lo
	v_cmpx_gt_u32_e32 8, v14
	s_xor_b32 s11, exec_lo, s0
	s_cbranch_execz .LBB1_294
; %bb.289:                              ;   in Loop: Header=BB1_280 Depth=1
	v_mov_b64_e32 v[10:11], 0
	s_mov_b32 s12, exec_lo
	v_cmpx_ne_u32_e32 0, v14
	s_cbranch_execz .LBB1_293
; %bb.290:                              ;   in Loop: Header=BB1_280 Depth=1
	v_mov_b64_e32 v[10:11], 0
	s_mov_b64 s[0:1], 0
	s_mov_b32 s13, 0
	s_mov_b64 s[4:5], 0
.LBB1_291:                              ;   Parent Loop BB1_280 Depth=1
                                        ; =>  This Inner Loop Header: Depth=2
	s_delay_alu instid0(SALU_CYCLE_1) | instskip(SKIP_1) | instid1(SALU_CYCLE_1)
	v_add_nc_u64_e32 v[6:7], s[4:5], v[12:13]
	s_add_nc_u64 s[4:5], s[4:5], 1
	v_cmp_eq_u32_e32 vcc_lo, s4, v14
	global_load_u8 v6, v[6:7], off
	s_wait_xcnt 0x0
	v_mov_b32_e32 v7, s10
	s_or_b32 s13, vcc_lo, s13
	s_wait_loadcnt 0x0
	v_and_b32_e32 v6, 0xffff, v6
	s_delay_alu instid0(VALU_DEP_1) | instskip(SKIP_1) | instid1(VALU_DEP_1)
	v_lshlrev_b64_e32 v[6:7], s0, v[6:7]
	s_add_nc_u64 s[0:1], s[0:1], 8
	v_or_b32_e32 v11, v7, v11
	s_delay_alu instid0(VALU_DEP_2)
	v_or_b32_e32 v10, v6, v10
	s_and_not1_b32 exec_lo, exec_lo, s13
	s_cbranch_execnz .LBB1_291
; %bb.292:                              ;   in Loop: Header=BB1_280 Depth=1
	s_or_b32 exec_lo, exec_lo, s13
.LBB1_293:                              ;   in Loop: Header=BB1_280 Depth=1
	s_delay_alu instid0(SALU_CYCLE_1)
	s_or_b32 exec_lo, exec_lo, s12
	v_mov_b64_e32 v[6:7], v[12:13]
                                        ; implicit-def: $vgpr14
.LBB1_294:                              ;   in Loop: Header=BB1_280 Depth=1
	s_or_saveexec_b32 s0, s11
	v_mov_b32_e32 v15, 0
	s_xor_b32 exec_lo, exec_lo, s0
	s_cbranch_execz .LBB1_296
; %bb.295:                              ;   in Loop: Header=BB1_280 Depth=1
	global_load_b64 v[10:11], v[12:13], off
	v_add_nc_u32_e32 v15, -8, v14
.LBB1_296:                              ;   in Loop: Header=BB1_280 Depth=1
	s_wait_xcnt 0x0
	s_or_b32 exec_lo, exec_lo, s0
	v_add_nc_u64_e32 v[16:17], 8, v[6:7]
	s_mov_b32 s0, exec_lo
	v_cmpx_gt_u32_e32 8, v15
	s_xor_b32 s11, exec_lo, s0
	s_cbranch_execz .LBB1_302
; %bb.297:                              ;   in Loop: Header=BB1_280 Depth=1
	v_mov_b64_e32 v[12:13], 0
	s_mov_b32 s12, exec_lo
	v_cmpx_ne_u32_e32 0, v15
	s_cbranch_execz .LBB1_301
; %bb.298:                              ;   in Loop: Header=BB1_280 Depth=1
	v_mov_b64_e32 v[12:13], 0
	s_mov_b64 s[0:1], 0
	s_mov_b32 s13, 0
	s_mov_b64 s[4:5], 0
.LBB1_299:                              ;   Parent Loop BB1_280 Depth=1
                                        ; =>  This Inner Loop Header: Depth=2
	s_delay_alu instid0(SALU_CYCLE_1) | instskip(SKIP_1) | instid1(SALU_CYCLE_1)
	v_add_nc_u64_e32 v[16:17], s[4:5], v[6:7]
	s_add_nc_u64 s[4:5], s[4:5], 1
	v_cmp_eq_u32_e32 vcc_lo, s4, v15
	global_load_u8 v14, v[16:17], off
	s_wait_xcnt 0x0
	v_mov_b32_e32 v17, s10
	s_or_b32 s13, vcc_lo, s13
	s_wait_loadcnt 0x0
	v_and_b32_e32 v16, 0xffff, v14
	s_delay_alu instid0(VALU_DEP_1) | instskip(SKIP_1) | instid1(VALU_DEP_1)
	v_lshlrev_b64_e32 v[16:17], s0, v[16:17]
	s_add_nc_u64 s[0:1], s[0:1], 8
	v_or_b32_e32 v13, v17, v13
	s_delay_alu instid0(VALU_DEP_2)
	v_or_b32_e32 v12, v16, v12
	s_and_not1_b32 exec_lo, exec_lo, s13
	s_cbranch_execnz .LBB1_299
; %bb.300:                              ;   in Loop: Header=BB1_280 Depth=1
	s_or_b32 exec_lo, exec_lo, s13
.LBB1_301:                              ;   in Loop: Header=BB1_280 Depth=1
	s_delay_alu instid0(SALU_CYCLE_1)
	s_or_b32 exec_lo, exec_lo, s12
	v_mov_b64_e32 v[16:17], v[6:7]
                                        ; implicit-def: $vgpr15
.LBB1_302:                              ;   in Loop: Header=BB1_280 Depth=1
	s_or_saveexec_b32 s0, s11
	v_mov_b32_e32 v18, 0
	s_xor_b32 exec_lo, exec_lo, s0
	s_cbranch_execz .LBB1_304
; %bb.303:                              ;   in Loop: Header=BB1_280 Depth=1
	global_load_b64 v[12:13], v[6:7], off
	v_add_nc_u32_e32 v18, -8, v15
.LBB1_304:                              ;   in Loop: Header=BB1_280 Depth=1
	s_wait_xcnt 0x0
	s_or_b32 exec_lo, exec_lo, s0
	v_add_nc_u64_e32 v[6:7], 8, v[16:17]
                                        ; implicit-def: $vgpr14_vgpr15
	s_mov_b32 s0, exec_lo
	v_cmpx_gt_u32_e32 8, v18
	s_xor_b32 s11, exec_lo, s0
	s_cbranch_execz .LBB1_310
; %bb.305:                              ;   in Loop: Header=BB1_280 Depth=1
	v_mov_b64_e32 v[14:15], 0
	s_mov_b32 s12, exec_lo
	v_cmpx_ne_u32_e32 0, v18
	s_cbranch_execz .LBB1_309
; %bb.306:                              ;   in Loop: Header=BB1_280 Depth=1
	v_mov_b64_e32 v[14:15], 0
	s_mov_b64 s[0:1], 0
	s_mov_b32 s13, 0
	s_mov_b64 s[4:5], 0
.LBB1_307:                              ;   Parent Loop BB1_280 Depth=1
                                        ; =>  This Inner Loop Header: Depth=2
	s_delay_alu instid0(SALU_CYCLE_1) | instskip(SKIP_1) | instid1(SALU_CYCLE_1)
	v_add_nc_u64_e32 v[6:7], s[4:5], v[16:17]
	s_add_nc_u64 s[4:5], s[4:5], 1
	v_cmp_eq_u32_e32 vcc_lo, s4, v18
	global_load_u8 v6, v[6:7], off
	s_wait_xcnt 0x0
	v_mov_b32_e32 v7, s10
	s_or_b32 s13, vcc_lo, s13
	s_wait_loadcnt 0x0
	v_and_b32_e32 v6, 0xffff, v6
	s_delay_alu instid0(VALU_DEP_1) | instskip(SKIP_1) | instid1(VALU_DEP_1)
	v_lshlrev_b64_e32 v[6:7], s0, v[6:7]
	s_add_nc_u64 s[0:1], s[0:1], 8
	v_or_b32_e32 v15, v7, v15
	s_delay_alu instid0(VALU_DEP_2)
	v_or_b32_e32 v14, v6, v14
	s_and_not1_b32 exec_lo, exec_lo, s13
	s_cbranch_execnz .LBB1_307
; %bb.308:                              ;   in Loop: Header=BB1_280 Depth=1
	s_or_b32 exec_lo, exec_lo, s13
.LBB1_309:                              ;   in Loop: Header=BB1_280 Depth=1
	s_delay_alu instid0(SALU_CYCLE_1)
	s_or_b32 exec_lo, exec_lo, s12
	v_mov_b64_e32 v[6:7], v[16:17]
                                        ; implicit-def: $vgpr18
.LBB1_310:                              ;   in Loop: Header=BB1_280 Depth=1
	s_or_saveexec_b32 s0, s11
	v_mov_b32_e32 v19, 0
	s_xor_b32 exec_lo, exec_lo, s0
	s_cbranch_execz .LBB1_312
; %bb.311:                              ;   in Loop: Header=BB1_280 Depth=1
	global_load_b64 v[14:15], v[16:17], off
	v_add_nc_u32_e32 v19, -8, v18
.LBB1_312:                              ;   in Loop: Header=BB1_280 Depth=1
	s_wait_xcnt 0x0
	s_or_b32 exec_lo, exec_lo, s0
	v_add_nc_u64_e32 v[20:21], 8, v[6:7]
	s_mov_b32 s0, exec_lo
	v_cmpx_gt_u32_e32 8, v19
	s_xor_b32 s11, exec_lo, s0
	s_cbranch_execz .LBB1_318
; %bb.313:                              ;   in Loop: Header=BB1_280 Depth=1
	v_mov_b64_e32 v[16:17], 0
	s_mov_b32 s12, exec_lo
	v_cmpx_ne_u32_e32 0, v19
	s_cbranch_execz .LBB1_317
; %bb.314:                              ;   in Loop: Header=BB1_280 Depth=1
	v_mov_b64_e32 v[16:17], 0
	s_mov_b64 s[0:1], 0
	s_mov_b32 s13, 0
	s_mov_b64 s[4:5], 0
.LBB1_315:                              ;   Parent Loop BB1_280 Depth=1
                                        ; =>  This Inner Loop Header: Depth=2
	s_delay_alu instid0(SALU_CYCLE_1) | instskip(SKIP_1) | instid1(SALU_CYCLE_1)
	v_add_nc_u64_e32 v[20:21], s[4:5], v[6:7]
	s_add_nc_u64 s[4:5], s[4:5], 1
	v_cmp_eq_u32_e32 vcc_lo, s4, v19
	global_load_u8 v18, v[20:21], off
	s_wait_xcnt 0x0
	v_mov_b32_e32 v21, s10
	s_or_b32 s13, vcc_lo, s13
	s_wait_loadcnt 0x0
	v_and_b32_e32 v20, 0xffff, v18
	s_delay_alu instid0(VALU_DEP_1) | instskip(SKIP_1) | instid1(VALU_DEP_1)
	v_lshlrev_b64_e32 v[20:21], s0, v[20:21]
	s_add_nc_u64 s[0:1], s[0:1], 8
	v_or_b32_e32 v17, v21, v17
	s_delay_alu instid0(VALU_DEP_2)
	v_or_b32_e32 v16, v20, v16
	s_and_not1_b32 exec_lo, exec_lo, s13
	s_cbranch_execnz .LBB1_315
; %bb.316:                              ;   in Loop: Header=BB1_280 Depth=1
	s_or_b32 exec_lo, exec_lo, s13
.LBB1_317:                              ;   in Loop: Header=BB1_280 Depth=1
	s_delay_alu instid0(SALU_CYCLE_1)
	s_or_b32 exec_lo, exec_lo, s12
	v_mov_b64_e32 v[20:21], v[6:7]
                                        ; implicit-def: $vgpr19
.LBB1_318:                              ;   in Loop: Header=BB1_280 Depth=1
	s_or_saveexec_b32 s0, s11
	v_mov_b32_e32 v22, 0
	s_xor_b32 exec_lo, exec_lo, s0
	s_cbranch_execz .LBB1_320
; %bb.319:                              ;   in Loop: Header=BB1_280 Depth=1
	global_load_b64 v[16:17], v[6:7], off
	v_add_nc_u32_e32 v22, -8, v19
.LBB1_320:                              ;   in Loop: Header=BB1_280 Depth=1
	s_wait_xcnt 0x0
	s_or_b32 exec_lo, exec_lo, s0
	v_add_nc_u64_e32 v[6:7], 8, v[20:21]
                                        ; implicit-def: $vgpr18_vgpr19
	s_mov_b32 s0, exec_lo
	v_cmpx_gt_u32_e32 8, v22
	s_xor_b32 s11, exec_lo, s0
	s_cbranch_execz .LBB1_326
; %bb.321:                              ;   in Loop: Header=BB1_280 Depth=1
	v_mov_b64_e32 v[18:19], 0
	s_mov_b32 s12, exec_lo
	v_cmpx_ne_u32_e32 0, v22
	s_cbranch_execz .LBB1_325
; %bb.322:                              ;   in Loop: Header=BB1_280 Depth=1
	v_mov_b64_e32 v[18:19], 0
	s_mov_b64 s[0:1], 0
	s_mov_b32 s13, 0
	s_mov_b64 s[4:5], 0
.LBB1_323:                              ;   Parent Loop BB1_280 Depth=1
                                        ; =>  This Inner Loop Header: Depth=2
	s_delay_alu instid0(SALU_CYCLE_1) | instskip(SKIP_1) | instid1(SALU_CYCLE_1)
	v_add_nc_u64_e32 v[6:7], s[4:5], v[20:21]
	s_add_nc_u64 s[4:5], s[4:5], 1
	v_cmp_eq_u32_e32 vcc_lo, s4, v22
	global_load_u8 v6, v[6:7], off
	s_wait_xcnt 0x0
	v_mov_b32_e32 v7, s10
	s_or_b32 s13, vcc_lo, s13
	s_wait_loadcnt 0x0
	v_and_b32_e32 v6, 0xffff, v6
	s_delay_alu instid0(VALU_DEP_1) | instskip(SKIP_1) | instid1(VALU_DEP_1)
	v_lshlrev_b64_e32 v[6:7], s0, v[6:7]
	s_add_nc_u64 s[0:1], s[0:1], 8
	v_or_b32_e32 v19, v7, v19
	s_delay_alu instid0(VALU_DEP_2)
	v_or_b32_e32 v18, v6, v18
	s_and_not1_b32 exec_lo, exec_lo, s13
	s_cbranch_execnz .LBB1_323
; %bb.324:                              ;   in Loop: Header=BB1_280 Depth=1
	s_or_b32 exec_lo, exec_lo, s13
.LBB1_325:                              ;   in Loop: Header=BB1_280 Depth=1
	s_delay_alu instid0(SALU_CYCLE_1)
	s_or_b32 exec_lo, exec_lo, s12
	v_mov_b64_e32 v[6:7], v[20:21]
                                        ; implicit-def: $vgpr22
.LBB1_326:                              ;   in Loop: Header=BB1_280 Depth=1
	s_or_saveexec_b32 s0, s11
	v_mov_b32_e32 v23, 0
	s_xor_b32 exec_lo, exec_lo, s0
	s_cbranch_execz .LBB1_328
; %bb.327:                              ;   in Loop: Header=BB1_280 Depth=1
	global_load_b64 v[18:19], v[20:21], off
	v_add_nc_u32_e32 v23, -8, v22
.LBB1_328:                              ;   in Loop: Header=BB1_280 Depth=1
	s_wait_xcnt 0x0
	s_or_b32 exec_lo, exec_lo, s0
	s_delay_alu instid0(SALU_CYCLE_1) | instskip(NEXT) | instid1(VALU_DEP_1)
	s_mov_b32 s0, exec_lo
	v_cmpx_gt_u32_e32 8, v23
	s_xor_b32 s4, exec_lo, s0
	s_cbranch_execz .LBB1_334
; %bb.329:                              ;   in Loop: Header=BB1_280 Depth=1
	v_mov_b64_e32 v[20:21], 0
	s_mov_b32 s5, exec_lo
	v_cmpx_ne_u32_e32 0, v23
	s_cbranch_execz .LBB1_333
; %bb.330:                              ;   in Loop: Header=BB1_280 Depth=1
	v_mov_b64_e32 v[20:21], 0
	s_mov_b64 s[0:1], 0
	s_mov_b32 s11, 0
.LBB1_331:                              ;   Parent Loop BB1_280 Depth=1
                                        ; =>  This Inner Loop Header: Depth=2
	global_load_u8 v22, v[6:7], off
	v_dual_mov_b32 v25, s10 :: v_dual_add_nc_u32 v23, -1, v23
	s_wait_xcnt 0x0
	v_add_nc_u64_e32 v[6:7], 1, v[6:7]
	s_delay_alu instid0(VALU_DEP_2) | instskip(SKIP_3) | instid1(VALU_DEP_1)
	v_cmp_eq_u32_e32 vcc_lo, 0, v23
	s_or_b32 s11, vcc_lo, s11
	s_wait_loadcnt 0x0
	v_and_b32_e32 v24, 0xffff, v22
	v_lshlrev_b64_e32 v[24:25], s0, v[24:25]
	s_add_nc_u64 s[0:1], s[0:1], 8
	s_delay_alu instid0(VALU_DEP_1) | instskip(NEXT) | instid1(VALU_DEP_2)
	v_or_b32_e32 v21, v25, v21
	v_or_b32_e32 v20, v24, v20
	s_and_not1_b32 exec_lo, exec_lo, s11
	s_cbranch_execnz .LBB1_331
; %bb.332:                              ;   in Loop: Header=BB1_280 Depth=1
	s_or_b32 exec_lo, exec_lo, s11
.LBB1_333:                              ;   in Loop: Header=BB1_280 Depth=1
	s_delay_alu instid0(SALU_CYCLE_1)
	s_or_b32 exec_lo, exec_lo, s5
                                        ; implicit-def: $vgpr6_vgpr7
.LBB1_334:                              ;   in Loop: Header=BB1_280 Depth=1
	s_and_not1_saveexec_b32 s0, s4
	s_cbranch_execz .LBB1_336
; %bb.335:                              ;   in Loop: Header=BB1_280 Depth=1
	global_load_b64 v[20:21], v[6:7], off
.LBB1_336:                              ;   in Loop: Header=BB1_280 Depth=1
	s_wait_xcnt 0x0
	s_or_b32 exec_lo, exec_lo, s0
	v_readfirstlane_b32 s0, v48
	v_mov_b64_e32 v[6:7], 0
	s_delay_alu instid0(VALU_DEP_2)
	v_cmp_eq_u32_e64 s0, s0, v48
	s_and_saveexec_b32 s1, s0
	s_cbranch_execz .LBB1_342
; %bb.337:                              ;   in Loop: Header=BB1_280 Depth=1
	global_load_b64 v[24:25], v31, s[2:3] offset:24 scope:SCOPE_SYS
	s_wait_loadcnt 0x0
	global_inv scope:SCOPE_SYS
	s_clause 0x1
	global_load_b64 v[6:7], v31, s[2:3] offset:40
	global_load_b64 v[22:23], v31, s[2:3]
	s_mov_b32 s4, exec_lo
	s_wait_loadcnt 0x1
	v_and_b32_e32 v6, v6, v24
	v_and_b32_e32 v7, v7, v25
	s_delay_alu instid0(VALU_DEP_1) | instskip(SKIP_1) | instid1(VALU_DEP_1)
	v_mul_u64_e32 v[6:7], 24, v[6:7]
	s_wait_loadcnt 0x0
	v_add_nc_u64_e32 v[6:7], v[22:23], v[6:7]
	global_load_b64 v[22:23], v[6:7], off scope:SCOPE_SYS
	s_wait_xcnt 0x0
	s_wait_loadcnt 0x0
	global_atomic_cmpswap_b64 v[6:7], v31, v[22:25], s[2:3] offset:24 th:TH_ATOMIC_RETURN scope:SCOPE_SYS
	s_wait_loadcnt 0x0
	global_inv scope:SCOPE_SYS
	s_wait_xcnt 0x0
	v_cmpx_ne_u64_e64 v[6:7], v[24:25]
	s_cbranch_execz .LBB1_341
; %bb.338:                              ;   in Loop: Header=BB1_280 Depth=1
	s_mov_b32 s5, 0
.LBB1_339:                              ;   Parent Loop BB1_280 Depth=1
                                        ; =>  This Inner Loop Header: Depth=2
	s_sleep 1
	s_clause 0x1
	global_load_b64 v[22:23], v31, s[2:3] offset:40
	global_load_b64 v[34:35], v31, s[2:3]
	v_mov_b64_e32 v[24:25], v[6:7]
	s_wait_loadcnt 0x1
	s_delay_alu instid0(VALU_DEP_1) | instskip(NEXT) | instid1(VALU_DEP_2)
	v_and_b32_e32 v6, v22, v24
	v_and_b32_e32 v22, v23, v25
	s_wait_loadcnt 0x0
	s_delay_alu instid0(VALU_DEP_2) | instskip(NEXT) | instid1(VALU_DEP_1)
	v_mad_nc_u64_u32 v[6:7], v6, 24, v[34:35]
	v_mad_u32 v7, v22, 24, v7
	global_load_b64 v[22:23], v[6:7], off scope:SCOPE_SYS
	s_wait_xcnt 0x0
	s_wait_loadcnt 0x0
	global_atomic_cmpswap_b64 v[6:7], v31, v[22:25], s[2:3] offset:24 th:TH_ATOMIC_RETURN scope:SCOPE_SYS
	s_wait_loadcnt 0x0
	global_inv scope:SCOPE_SYS
	v_cmp_eq_u64_e32 vcc_lo, v[6:7], v[24:25]
	s_or_b32 s5, vcc_lo, s5
	s_wait_xcnt 0x0
	s_and_not1_b32 exec_lo, exec_lo, s5
	s_cbranch_execnz .LBB1_339
; %bb.340:                              ;   in Loop: Header=BB1_280 Depth=1
	s_or_b32 exec_lo, exec_lo, s5
.LBB1_341:                              ;   in Loop: Header=BB1_280 Depth=1
	s_delay_alu instid0(SALU_CYCLE_1)
	s_or_b32 exec_lo, exec_lo, s4
.LBB1_342:                              ;   in Loop: Header=BB1_280 Depth=1
	s_delay_alu instid0(SALU_CYCLE_1)
	s_or_b32 exec_lo, exec_lo, s1
	s_clause 0x1
	global_load_b64 v[34:35], v31, s[2:3] offset:40
	global_load_b128 v[22:25], v31, s[2:3]
	v_readfirstlane_b32 s4, v6
	v_readfirstlane_b32 s5, v7
	s_mov_b32 s1, exec_lo
	s_wait_loadcnt 0x1
	v_and_b32_e32 v36, s4, v34
	v_and_b32_e32 v37, s5, v35
	s_delay_alu instid0(VALU_DEP_1) | instskip(SKIP_1) | instid1(VALU_DEP_1)
	v_mul_u64_e32 v[6:7], 24, v[36:37]
	s_wait_loadcnt 0x0
	v_add_nc_u64_e32 v[34:35], v[22:23], v[6:7]
	s_wait_xcnt 0x0
	s_and_saveexec_b32 s11, s0
	s_cbranch_execz .LBB1_344
; %bb.343:                              ;   in Loop: Header=BB1_280 Depth=1
	v_dual_mov_b32 v6, s1 :: v_dual_mov_b32 v7, v31
	global_store_b128 v[34:35], v[6:9], off offset:8
.LBB1_344:                              ;   in Loop: Header=BB1_280 Depth=1
	s_wait_xcnt 0x0
	s_or_b32 exec_lo, exec_lo, s11
	v_cmp_gt_u64_e32 vcc_lo, 57, v[26:27]
	v_lshlrev_b64_e32 v[6:7], 12, v[36:37]
	v_and_b32_e32 v0, 0xffffff1f, v0
	v_lshl_add_u32 v36, v32, 2, 28
	v_cndmask_b32_e32 v29, 0, v28, vcc_lo
	s_delay_alu instid0(VALU_DEP_4) | instskip(NEXT) | instid1(VALU_DEP_2)
	v_add_nc_u64_e32 v[6:7], v[24:25], v[6:7]
	v_or_b32_e32 v0, v0, v29
	s_delay_alu instid0(VALU_DEP_2) | instskip(NEXT) | instid1(VALU_DEP_3)
	v_readfirstlane_b32 s12, v6
	v_readfirstlane_b32 s13, v7
	s_delay_alu instid0(VALU_DEP_3)
	v_and_or_b32 v0, 0x1e0, v36, v0
	s_clause 0x3
	global_store_b128 v30, v[0:3], s[12:13]
	global_store_b128 v30, v[10:13], s[12:13] offset:16
	global_store_b128 v30, v[14:17], s[12:13] offset:32
	;; [unrolled: 1-line block ×3, first 2 shown]
	s_wait_xcnt 0x0
	s_and_saveexec_b32 s1, s0
	s_cbranch_execz .LBB1_352
; %bb.345:                              ;   in Loop: Header=BB1_280 Depth=1
	s_clause 0x1
	global_load_b64 v[14:15], v31, s[2:3] offset:32 scope:SCOPE_SYS
	global_load_b64 v[0:1], v31, s[2:3] offset:40
	s_mov_b32 s11, exec_lo
	v_dual_mov_b32 v12, s4 :: v_dual_mov_b32 v13, s5
	s_wait_loadcnt 0x0
	v_and_b32_e32 v1, s5, v1
	v_and_b32_e32 v0, s4, v0
	s_delay_alu instid0(VALU_DEP_1) | instskip(NEXT) | instid1(VALU_DEP_1)
	v_mul_u64_e32 v[0:1], 24, v[0:1]
	v_add_nc_u64_e32 v[10:11], v[22:23], v[0:1]
	global_store_b64 v[10:11], v[14:15], off
	global_wb scope:SCOPE_SYS
	s_wait_storecnt 0x0
	s_wait_xcnt 0x0
	global_atomic_cmpswap_b64 v[2:3], v31, v[12:15], s[2:3] offset:32 th:TH_ATOMIC_RETURN scope:SCOPE_SYS
	s_wait_loadcnt 0x0
	v_cmpx_ne_u64_e64 v[2:3], v[14:15]
	s_cbranch_execz .LBB1_348
; %bb.346:                              ;   in Loop: Header=BB1_280 Depth=1
	s_mov_b32 s12, 0
.LBB1_347:                              ;   Parent Loop BB1_280 Depth=1
                                        ; =>  This Inner Loop Header: Depth=2
	v_dual_mov_b32 v0, s4 :: v_dual_mov_b32 v1, s5
	s_sleep 1
	global_store_b64 v[10:11], v[2:3], off
	global_wb scope:SCOPE_SYS
	s_wait_storecnt 0x0
	s_wait_xcnt 0x0
	global_atomic_cmpswap_b64 v[0:1], v31, v[0:3], s[2:3] offset:32 th:TH_ATOMIC_RETURN scope:SCOPE_SYS
	s_wait_loadcnt 0x0
	v_cmp_eq_u64_e32 vcc_lo, v[0:1], v[2:3]
	v_mov_b64_e32 v[2:3], v[0:1]
	s_or_b32 s12, vcc_lo, s12
	s_delay_alu instid0(SALU_CYCLE_1)
	s_and_not1_b32 exec_lo, exec_lo, s12
	s_cbranch_execnz .LBB1_347
.LBB1_348:                              ;   in Loop: Header=BB1_280 Depth=1
	s_or_b32 exec_lo, exec_lo, s11
	global_load_b64 v[0:1], v31, s[2:3] offset:16
	s_mov_b32 s12, exec_lo
	s_mov_b32 s11, exec_lo
	v_mbcnt_lo_u32_b32 v2, s12, 0
	s_wait_xcnt 0x0
	s_delay_alu instid0(VALU_DEP_1)
	v_cmpx_eq_u32_e32 0, v2
	s_cbranch_execz .LBB1_350
; %bb.349:                              ;   in Loop: Header=BB1_280 Depth=1
	s_bcnt1_i32_b32 s12, s12
	s_delay_alu instid0(SALU_CYCLE_1)
	v_dual_mov_b32 v3, v31 :: v_dual_mov_b32 v2, s12
	global_wb scope:SCOPE_SYS
	s_wait_loadcnt 0x0
	s_wait_storecnt 0x0
	global_atomic_add_u64 v[0:1], v[2:3], off offset:8 scope:SCOPE_SYS
.LBB1_350:                              ;   in Loop: Header=BB1_280 Depth=1
	s_wait_xcnt 0x0
	s_or_b32 exec_lo, exec_lo, s11
	s_wait_loadcnt 0x0
	global_load_b64 v[2:3], v[0:1], off offset:16
	s_wait_loadcnt 0x0
	v_cmp_eq_u64_e32 vcc_lo, 0, v[2:3]
	s_cbranch_vccnz .LBB1_352
; %bb.351:                              ;   in Loop: Header=BB1_280 Depth=1
	global_load_b32 v0, v[0:1], off offset:24
	s_wait_xcnt 0x0
	v_mov_b32_e32 v1, v31
	s_wait_loadcnt 0x0
	v_readfirstlane_b32 s11, v0
	global_wb scope:SCOPE_SYS
	s_wait_storecnt 0x0
	global_store_b64 v[2:3], v[0:1], off scope:SCOPE_SYS
	s_and_b32 m0, s11, 0xffffff
	s_sendmsg sendmsg(MSG_INTERRUPT)
.LBB1_352:                              ;   in Loop: Header=BB1_280 Depth=1
	s_wait_xcnt 0x0
	s_or_b32 exec_lo, exec_lo, s1
	v_add_nc_u64_e32 v[0:1], v[6:7], v[30:31]
	s_branch .LBB1_356
.LBB1_353:                              ;   in Loop: Header=BB1_356 Depth=2
	s_wait_xcnt 0x0
	s_or_b32 exec_lo, exec_lo, s1
	s_delay_alu instid0(VALU_DEP_1)
	v_readfirstlane_b32 s1, v2
	s_cmp_eq_u32 s1, 0
	s_cbranch_scc1 .LBB1_355
; %bb.354:                              ;   in Loop: Header=BB1_356 Depth=2
	s_sleep 1
	s_cbranch_execnz .LBB1_356
	s_branch .LBB1_358
.LBB1_355:                              ;   in Loop: Header=BB1_280 Depth=1
	s_branch .LBB1_358
.LBB1_356:                              ;   Parent Loop BB1_280 Depth=1
                                        ; =>  This Inner Loop Header: Depth=2
	v_mov_b32_e32 v2, 1
	s_and_saveexec_b32 s1, s0
	s_cbranch_execz .LBB1_353
; %bb.357:                              ;   in Loop: Header=BB1_356 Depth=2
	global_load_b32 v2, v[34:35], off offset:20 scope:SCOPE_SYS
	s_wait_loadcnt 0x0
	global_inv scope:SCOPE_SYS
	v_and_b32_e32 v2, 1, v2
	s_branch .LBB1_353
.LBB1_358:                              ;   in Loop: Header=BB1_280 Depth=1
	global_load_b64 v[0:1], v[0:1], off
	s_wait_xcnt 0x0
	s_and_saveexec_b32 s11, s0
	s_cbranch_execz .LBB1_279
; %bb.359:                              ;   in Loop: Header=BB1_280 Depth=1
	s_clause 0x2
	global_load_b64 v[2:3], v31, s[2:3] offset:40
	global_load_b64 v[14:15], v31, s[2:3] offset:24 scope:SCOPE_SYS
	global_load_b64 v[6:7], v31, s[2:3]
	s_wait_loadcnt 0x2
	v_readfirstlane_b32 s12, v2
	v_readfirstlane_b32 s13, v3
	s_add_nc_u64 s[0:1], s[12:13], 1
	s_delay_alu instid0(SALU_CYCLE_1) | instskip(NEXT) | instid1(SALU_CYCLE_1)
	s_add_nc_u64 s[4:5], s[0:1], s[4:5]
	s_cmp_eq_u64 s[4:5], 0
	s_cselect_b32 s1, s1, s5
	s_cselect_b32 s0, s0, s4
	s_delay_alu instid0(SALU_CYCLE_1) | instskip(SKIP_1) | instid1(SALU_CYCLE_1)
	v_dual_mov_b32 v13, s1 :: v_dual_mov_b32 v12, s0
	s_and_b64 s[4:5], s[0:1], s[12:13]
	s_mul_u64 s[4:5], s[4:5], 24
	s_wait_loadcnt 0x0
	v_add_nc_u64_e32 v[2:3], s[4:5], v[6:7]
	global_store_b64 v[2:3], v[14:15], off
	global_wb scope:SCOPE_SYS
	s_wait_storecnt 0x0
	s_wait_xcnt 0x0
	global_atomic_cmpswap_b64 v[12:13], v31, v[12:15], s[2:3] offset:24 th:TH_ATOMIC_RETURN scope:SCOPE_SYS
	s_wait_loadcnt 0x0
	v_cmp_ne_u64_e32 vcc_lo, v[12:13], v[14:15]
	s_and_b32 exec_lo, exec_lo, vcc_lo
	s_cbranch_execz .LBB1_279
; %bb.360:                              ;   in Loop: Header=BB1_280 Depth=1
	s_mov_b32 s4, 0
.LBB1_361:                              ;   Parent Loop BB1_280 Depth=1
                                        ; =>  This Inner Loop Header: Depth=2
	v_dual_mov_b32 v10, s0 :: v_dual_mov_b32 v11, s1
	s_sleep 1
	global_store_b64 v[2:3], v[12:13], off
	global_wb scope:SCOPE_SYS
	s_wait_storecnt 0x0
	s_wait_xcnt 0x0
	global_atomic_cmpswap_b64 v[6:7], v31, v[10:13], s[2:3] offset:24 th:TH_ATOMIC_RETURN scope:SCOPE_SYS
	s_wait_loadcnt 0x0
	v_cmp_eq_u64_e32 vcc_lo, v[6:7], v[12:13]
	v_mov_b64_e32 v[12:13], v[6:7]
	s_or_b32 s4, vcc_lo, s4
	s_delay_alu instid0(SALU_CYCLE_1)
	s_and_not1_b32 exec_lo, exec_lo, s4
	s_cbranch_execnz .LBB1_361
	s_branch .LBB1_279
.LBB1_362:
	s_or_b32 exec_lo, exec_lo, s7
                                        ; implicit-def: $vgpr30
                                        ; implicit-def: $vgpr48
.LBB1_363:
	s_and_not1_saveexec_b32 s6, s6
	s_cbranch_execz .LBB1_391
; %bb.364:
	v_readfirstlane_b32 s0, v48
	v_mov_b64_e32 v[2:3], 0
	s_delay_alu instid0(VALU_DEP_2)
	v_cmp_eq_u32_e64 s0, s0, v48
	s_and_saveexec_b32 s1, s0
	s_cbranch_execz .LBB1_370
; %bb.365:
	v_mov_b32_e32 v4, 0
	s_mov_b32 s4, exec_lo
	global_load_b64 v[8:9], v4, s[2:3] offset:24 scope:SCOPE_SYS
	s_wait_loadcnt 0x0
	global_inv scope:SCOPE_SYS
	s_clause 0x1
	global_load_b64 v[2:3], v4, s[2:3] offset:40
	global_load_b64 v[6:7], v4, s[2:3]
	s_wait_loadcnt 0x1
	v_and_b32_e32 v2, v2, v8
	v_and_b32_e32 v3, v3, v9
	s_delay_alu instid0(VALU_DEP_1) | instskip(SKIP_1) | instid1(VALU_DEP_1)
	v_mul_u64_e32 v[2:3], 24, v[2:3]
	s_wait_loadcnt 0x0
	v_add_nc_u64_e32 v[2:3], v[6:7], v[2:3]
	global_load_b64 v[6:7], v[2:3], off scope:SCOPE_SYS
	s_wait_xcnt 0x0
	s_wait_loadcnt 0x0
	global_atomic_cmpswap_b64 v[2:3], v4, v[6:9], s[2:3] offset:24 th:TH_ATOMIC_RETURN scope:SCOPE_SYS
	s_wait_loadcnt 0x0
	global_inv scope:SCOPE_SYS
	s_wait_xcnt 0x0
	v_cmpx_ne_u64_e64 v[2:3], v[8:9]
	s_cbranch_execz .LBB1_369
; %bb.366:
	s_mov_b32 s5, 0
.LBB1_367:                              ; =>This Inner Loop Header: Depth=1
	s_sleep 1
	s_clause 0x1
	global_load_b64 v[6:7], v4, s[2:3] offset:40
	global_load_b64 v[10:11], v4, s[2:3]
	v_mov_b64_e32 v[8:9], v[2:3]
	s_wait_loadcnt 0x1
	s_delay_alu instid0(VALU_DEP_1) | instskip(NEXT) | instid1(VALU_DEP_2)
	v_and_b32_e32 v2, v6, v8
	v_and_b32_e32 v5, v7, v9
	s_wait_loadcnt 0x0
	s_delay_alu instid0(VALU_DEP_2) | instskip(NEXT) | instid1(VALU_DEP_1)
	v_mad_nc_u64_u32 v[2:3], v2, 24, v[10:11]
	v_mad_u32 v3, v5, 24, v3
	global_load_b64 v[6:7], v[2:3], off scope:SCOPE_SYS
	s_wait_xcnt 0x0
	s_wait_loadcnt 0x0
	global_atomic_cmpswap_b64 v[2:3], v4, v[6:9], s[2:3] offset:24 th:TH_ATOMIC_RETURN scope:SCOPE_SYS
	s_wait_loadcnt 0x0
	global_inv scope:SCOPE_SYS
	v_cmp_eq_u64_e32 vcc_lo, v[2:3], v[8:9]
	s_or_b32 s5, vcc_lo, s5
	s_wait_xcnt 0x0
	s_and_not1_b32 exec_lo, exec_lo, s5
	s_cbranch_execnz .LBB1_367
; %bb.368:
	s_or_b32 exec_lo, exec_lo, s5
.LBB1_369:
	s_delay_alu instid0(SALU_CYCLE_1)
	s_or_b32 exec_lo, exec_lo, s4
.LBB1_370:
	s_delay_alu instid0(SALU_CYCLE_1)
	s_or_b32 exec_lo, exec_lo, s1
	v_readfirstlane_b32 s4, v2
	v_mov_b32_e32 v31, 0
	v_readfirstlane_b32 s5, v3
	s_mov_b32 s1, exec_lo
	s_clause 0x1
	global_load_b64 v[8:9], v31, s[2:3] offset:40
	global_load_b128 v[4:7], v31, s[2:3]
	s_wait_loadcnt 0x1
	v_and_b32_e32 v2, s4, v8
	v_and_b32_e32 v3, s5, v9
	s_delay_alu instid0(VALU_DEP_1) | instskip(SKIP_1) | instid1(VALU_DEP_1)
	v_mul_u64_e32 v[8:9], 24, v[2:3]
	s_wait_loadcnt 0x0
	v_add_nc_u64_e32 v[8:9], v[4:5], v[8:9]
	s_wait_xcnt 0x0
	s_and_saveexec_b32 s7, s0
	s_cbranch_execz .LBB1_372
; %bb.371:
	v_mov_b64_e32 v[12:13], 0x100000002
	v_dual_mov_b32 v10, s1 :: v_dual_mov_b32 v11, v31
	global_store_b128 v[8:9], v[10:13], off offset:8
.LBB1_372:
	s_wait_xcnt 0x0
	s_or_b32 exec_lo, exec_lo, s7
	v_lshlrev_b64_e32 v[2:3], 12, v[2:3]
	s_mov_b32 s12, 0
	v_and_or_b32 v0, 0xffffff1f, v0, 32
	s_mov_b32 s13, s12
	s_mov_b32 s14, s12
	;; [unrolled: 1-line block ×3, first 2 shown]
	v_mov_b64_e32 v[10:11], s[12:13]
	v_add_nc_u64_e32 v[6:7], v[6:7], v[2:3]
	v_mov_b64_e32 v[12:13], s[14:15]
	v_dual_mov_b32 v2, v31 :: v_dual_mov_b32 v3, v31
	s_delay_alu instid0(VALU_DEP_3) | instskip(NEXT) | instid1(VALU_DEP_4)
	v_readfirstlane_b32 s10, v6
	v_readfirstlane_b32 s11, v7
	s_clause 0x3
	global_store_b128 v30, v[0:3], s[10:11]
	global_store_b128 v30, v[10:13], s[10:11] offset:16
	global_store_b128 v30, v[10:13], s[10:11] offset:32
	global_store_b128 v30, v[10:13], s[10:11] offset:48
	s_wait_xcnt 0x0
	s_and_saveexec_b32 s1, s0
	s_cbranch_execz .LBB1_380
; %bb.373:
	v_dual_mov_b32 v10, 0 :: v_dual_mov_b32 v13, s5
	s_mov_b32 s7, exec_lo
	s_clause 0x1
	global_load_b64 v[14:15], v10, s[2:3] offset:32 scope:SCOPE_SYS
	global_load_b64 v[0:1], v10, s[2:3] offset:40
	s_wait_loadcnt 0x0
	v_dual_mov_b32 v12, s4 :: v_dual_bitop2_b32 v1, s5, v1 bitop3:0x40
	v_and_b32_e32 v0, s4, v0
	s_delay_alu instid0(VALU_DEP_1) | instskip(NEXT) | instid1(VALU_DEP_1)
	v_mul_u64_e32 v[0:1], 24, v[0:1]
	v_add_nc_u64_e32 v[4:5], v[4:5], v[0:1]
	global_store_b64 v[4:5], v[14:15], off
	global_wb scope:SCOPE_SYS
	s_wait_storecnt 0x0
	s_wait_xcnt 0x0
	global_atomic_cmpswap_b64 v[2:3], v10, v[12:15], s[2:3] offset:32 th:TH_ATOMIC_RETURN scope:SCOPE_SYS
	s_wait_loadcnt 0x0
	v_cmpx_ne_u64_e64 v[2:3], v[14:15]
	s_cbranch_execz .LBB1_376
; %bb.374:
	s_mov_b32 s10, 0
.LBB1_375:                              ; =>This Inner Loop Header: Depth=1
	v_dual_mov_b32 v0, s4 :: v_dual_mov_b32 v1, s5
	s_sleep 1
	global_store_b64 v[4:5], v[2:3], off
	global_wb scope:SCOPE_SYS
	s_wait_storecnt 0x0
	s_wait_xcnt 0x0
	global_atomic_cmpswap_b64 v[0:1], v10, v[0:3], s[2:3] offset:32 th:TH_ATOMIC_RETURN scope:SCOPE_SYS
	s_wait_loadcnt 0x0
	v_cmp_eq_u64_e32 vcc_lo, v[0:1], v[2:3]
	v_mov_b64_e32 v[2:3], v[0:1]
	s_or_b32 s10, vcc_lo, s10
	s_delay_alu instid0(SALU_CYCLE_1)
	s_and_not1_b32 exec_lo, exec_lo, s10
	s_cbranch_execnz .LBB1_375
.LBB1_376:
	s_or_b32 exec_lo, exec_lo, s7
	v_mov_b32_e32 v3, 0
	s_mov_b32 s10, exec_lo
	s_mov_b32 s7, exec_lo
	v_mbcnt_lo_u32_b32 v2, s10, 0
	global_load_b64 v[0:1], v3, s[2:3] offset:16
	s_wait_xcnt 0x0
	v_cmpx_eq_u32_e32 0, v2
	s_cbranch_execz .LBB1_378
; %bb.377:
	s_bcnt1_i32_b32 s10, s10
	s_delay_alu instid0(SALU_CYCLE_1)
	v_mov_b32_e32 v2, s10
	global_wb scope:SCOPE_SYS
	s_wait_loadcnt 0x0
	s_wait_storecnt 0x0
	global_atomic_add_u64 v[0:1], v[2:3], off offset:8 scope:SCOPE_SYS
.LBB1_378:
	s_wait_xcnt 0x0
	s_or_b32 exec_lo, exec_lo, s7
	s_wait_loadcnt 0x0
	global_load_b64 v[2:3], v[0:1], off offset:16
	s_wait_loadcnt 0x0
	v_cmp_eq_u64_e32 vcc_lo, 0, v[2:3]
	s_cbranch_vccnz .LBB1_380
; %bb.379:
	global_load_b32 v0, v[0:1], off offset:24
	s_wait_xcnt 0x0
	v_mov_b32_e32 v1, 0
	s_wait_loadcnt 0x0
	v_readfirstlane_b32 s7, v0
	global_wb scope:SCOPE_SYS
	s_wait_storecnt 0x0
	global_store_b64 v[2:3], v[0:1], off scope:SCOPE_SYS
	s_and_b32 m0, s7, 0xffffff
	s_sendmsg sendmsg(MSG_INTERRUPT)
.LBB1_380:
	s_wait_xcnt 0x0
	s_or_b32 exec_lo, exec_lo, s1
	v_add_nc_u64_e32 v[0:1], v[6:7], v[30:31]
	s_branch .LBB1_384
.LBB1_381:                              ;   in Loop: Header=BB1_384 Depth=1
	s_wait_xcnt 0x0
	s_or_b32 exec_lo, exec_lo, s1
	s_delay_alu instid0(VALU_DEP_1)
	v_readfirstlane_b32 s1, v2
	s_cmp_eq_u32 s1, 0
	s_cbranch_scc1 .LBB1_383
; %bb.382:                              ;   in Loop: Header=BB1_384 Depth=1
	s_sleep 1
	s_cbranch_execnz .LBB1_384
	s_branch .LBB1_386
.LBB1_383:
	s_branch .LBB1_386
.LBB1_384:                              ; =>This Inner Loop Header: Depth=1
	v_mov_b32_e32 v2, 1
	s_and_saveexec_b32 s1, s0
	s_cbranch_execz .LBB1_381
; %bb.385:                              ;   in Loop: Header=BB1_384 Depth=1
	global_load_b32 v2, v[8:9], off offset:20 scope:SCOPE_SYS
	s_wait_loadcnt 0x0
	global_inv scope:SCOPE_SYS
	v_and_b32_e32 v2, 1, v2
	s_branch .LBB1_381
.LBB1_386:
	global_load_b64 v[0:1], v[0:1], off
	s_wait_xcnt 0x0
	s_and_saveexec_b32 s7, s0
	s_cbranch_execz .LBB1_390
; %bb.387:
	v_mov_b32_e32 v8, 0
	s_clause 0x2
	global_load_b64 v[2:3], v8, s[2:3] offset:40
	global_load_b64 v[12:13], v8, s[2:3] offset:24 scope:SCOPE_SYS
	global_load_b64 v[4:5], v8, s[2:3]
	s_wait_loadcnt 0x2
	v_readfirstlane_b32 s10, v2
	v_readfirstlane_b32 s11, v3
	s_add_nc_u64 s[0:1], s[10:11], 1
	s_delay_alu instid0(SALU_CYCLE_1) | instskip(NEXT) | instid1(SALU_CYCLE_1)
	s_add_nc_u64 s[4:5], s[0:1], s[4:5]
	s_cmp_eq_u64 s[4:5], 0
	s_cselect_b32 s1, s1, s5
	s_cselect_b32 s0, s0, s4
	v_mov_b32_e32 v11, s1
	s_and_b64 s[4:5], s[0:1], s[10:11]
	v_mov_b32_e32 v10, s0
	s_mul_u64 s[4:5], s[4:5], 24
	s_wait_loadcnt 0x0
	v_add_nc_u64_e32 v[6:7], s[4:5], v[4:5]
	global_store_b64 v[6:7], v[12:13], off
	global_wb scope:SCOPE_SYS
	s_wait_storecnt 0x0
	s_wait_xcnt 0x0
	global_atomic_cmpswap_b64 v[4:5], v8, v[10:13], s[2:3] offset:24 th:TH_ATOMIC_RETURN scope:SCOPE_SYS
	s_wait_loadcnt 0x0
	v_cmp_ne_u64_e32 vcc_lo, v[4:5], v[12:13]
	s_and_b32 exec_lo, exec_lo, vcc_lo
	s_cbranch_execz .LBB1_390
; %bb.388:
	s_mov_b32 s4, 0
.LBB1_389:                              ; =>This Inner Loop Header: Depth=1
	v_dual_mov_b32 v2, s0 :: v_dual_mov_b32 v3, s1
	s_sleep 1
	global_store_b64 v[6:7], v[4:5], off
	global_wb scope:SCOPE_SYS
	s_wait_storecnt 0x0
	s_wait_xcnt 0x0
	global_atomic_cmpswap_b64 v[2:3], v8, v[2:5], s[2:3] offset:24 th:TH_ATOMIC_RETURN scope:SCOPE_SYS
	s_wait_loadcnt 0x0
	v_cmp_eq_u64_e32 vcc_lo, v[2:3], v[4:5]
	v_mov_b64_e32 v[4:5], v[2:3]
	s_or_b32 s4, vcc_lo, s4
	s_delay_alu instid0(SALU_CYCLE_1)
	s_and_not1_b32 exec_lo, exec_lo, s4
	s_cbranch_execnz .LBB1_389
.LBB1_390:
	s_or_b32 exec_lo, exec_lo, s7
.LBB1_391:
	s_delay_alu instid0(SALU_CYCLE_1)
	s_or_b32 exec_lo, exec_lo, s6
	s_get_pc_i64 s[0:1]
	s_add_nc_u64 s[0:1], s[0:1], .str.3@rel64+4
	s_get_pc_i64 s[2:3]
	s_add_nc_u64 s[2:3], s[2:3], .str.3@rel64+32
	v_dual_mov_b32 v2, s0 :: v_dual_mov_b32 v3, s1
	s_sub_co_i32 s4, s2, s0
	v_mov_b32_e32 v6, 1
	s_ashr_i32 s5, s4, 31
	s_delay_alu instid0(SALU_CYCLE_1) | instskip(SKIP_2) | instid1(SALU_CYCLE_1)
	v_dual_mov_b32 v4, s4 :: v_dual_mov_b32 v5, s5
	s_get_pc_i64 s[2:3]
	s_add_nc_u64 s[2:3], s[2:3], __ockl_fprintf_append_string_n@rel64+4
	s_swap_pc_i64 s[30:31], s[2:3]
	s_trap 2
.Lfunc_end1:
	.size	__assert_fail, .Lfunc_end1-__assert_fail
                                        ; -- End function
	.set .L__assert_fail.num_vgpr, max(49, .L__ockl_fprintf_append_string_n.num_vgpr)
	.set .L__assert_fail.num_agpr, max(0, .L__ockl_fprintf_append_string_n.num_agpr)
	.set .L__assert_fail.numbered_sgpr, max(34, .L__ockl_fprintf_append_string_n.numbered_sgpr)
	.set .L__assert_fail.num_named_barrier, max(0, .L__ockl_fprintf_append_string_n.num_named_barrier)
	.set .L__assert_fail.private_seg_size, 64+max(.L__ockl_fprintf_append_string_n.private_seg_size)
	.set .L__assert_fail.uses_vcc, or(1, .L__ockl_fprintf_append_string_n.uses_vcc)
	.set .L__assert_fail.uses_flat_scratch, or(1, .L__ockl_fprintf_append_string_n.uses_flat_scratch)
	.set .L__assert_fail.has_dyn_sized_stack, or(0, .L__ockl_fprintf_append_string_n.has_dyn_sized_stack)
	.set .L__assert_fail.has_recursion, or(0, .L__ockl_fprintf_append_string_n.has_recursion)
	.set .L__assert_fail.has_indirect_call, or(0, .L__ockl_fprintf_append_string_n.has_indirect_call)
	.section	.AMDGPU.csdata,"",@progbits
; Function info:
; codeLenInByte = 15740
; TotalNumSgprs: 36
; NumVgprs: 49
; ScratchSize: 64
; MemoryBound: 0
	.text
	.p2align	2                               ; -- Begin function _ZN12_GLOBAL__N_17runRingI14__hip_fp8_e5m213FuncPreMulSumIS1_E11ProtoSimpleILi2ELi2ELi0ELi1ELi0ELi0EELi0ELi0ELi1ELi0EEEviiP15ncclDevWorkColl
	.type	_ZN12_GLOBAL__N_17runRingI14__hip_fp8_e5m213FuncPreMulSumIS1_E11ProtoSimpleILi2ELi2ELi0ELi1ELi0ELi0EELi0ELi0ELi1ELi0EEEviiP15ncclDevWorkColl,@function
_ZN12_GLOBAL__N_17runRingI14__hip_fp8_e5m213FuncPreMulSumIS1_E11ProtoSimpleILi2ELi2ELi0ELi1ELi0ELi0EELi0ELi0ELi1ELi0EEEviiP15ncclDevWorkColl: ; @_ZN12_GLOBAL__N_17runRingI14__hip_fp8_e5m213FuncPreMulSumIS1_E11ProtoSimpleILi2ELi2ELi0ELi1ELi0ELi0EELi0ELi0ELi1ELi0EEEviiP15ncclDevWorkColl
; %bb.0:
	s_wait_loadcnt_dscnt 0x0
	s_wait_kmcnt 0x0
	s_mov_b32 s90, s33
	s_mov_b32 s33, s32
	s_or_saveexec_b32 s0, -1
	scratch_store_b32 off, v127, s33 offset:204 ; 4-byte Folded Spill
	s_wait_xcnt 0x0
	s_mov_b32 exec_lo, s0
	s_addk_co_i32 s32, 0xe0
	s_clause 0x2e
	scratch_store_b32 off, v40, s33 offset:184
	; meta instruction
	scratch_store_b32 off, v41, s33 offset:180
	; meta instruction
	;; [unrolled: 2-line block ×46, first 2 shown]
	scratch_store_b32 off, v126, s33
	v_writelane_b32 v127, s30, 0
	v_writelane_b32 v127, s31, 1
	s_trap 2
	flat_load_b32 v7, v[2:3]
	ds_load_b32 v6, v0
	s_mov_b32 s0, exec_lo
                                        ; implicit-def: $vgpr32_vgpr33
                                        ; implicit-def: $vgpr14_vgpr15
                                        ; implicit-def: $vgpr4_vgpr5
	s_wait_dscnt 0x0
	v_readfirstlane_b32 s16, v6
	s_wait_loadcnt 0x0
	v_and_b32_e32 v8, 0xff, v7
	s_wait_xcnt 0x0
	s_delay_alu instid0(VALU_DEP_1)
	v_cmpx_ne_u32_e64 v6, v8
	s_xor_b32 s0, exec_lo, s0
	s_cbranch_execz .LBB2_6
; %bb.1:
	v_bfe_u32 v9, v7, 8, 8
	v_not_b32_e32 v8, v8
	s_mov_b32 s1, exec_lo
                                        ; implicit-def: $vgpr32_vgpr33
                                        ; implicit-def: $vgpr14_vgpr15
                                        ; implicit-def: $vgpr4_vgpr5
	s_delay_alu instid0(VALU_DEP_2)
	v_cmpx_ne_u32_e64 v6, v9
	s_xor_b32 s1, exec_lo, s1
	s_cbranch_execz .LBB2_3
; %bb.2:
	s_clause 0x1
	flat_load_b128 v[10:13], v[2:3] offset:72
	flat_load_b64 v[4:5], v[2:3] offset:96
	v_add_nc_u32_e32 v6, v6, v8
                                        ; implicit-def: $vgpr9
                                        ; implicit-def: $vgpr8
	s_wait_loadcnt_dscnt 0x101
	s_delay_alu instid0(VALU_DEP_1) | instskip(SKIP_3) | instid1(VALU_DEP_3)
	v_mad_nc_u64_u32 v[14:15], v12, v6, v[10:11]
	s_wait_loadcnt_dscnt 0x0
	v_lshrrev_b64 v[32:33], 12, v[4:5]
	v_mov_b64_e32 v[4:5], v[12:13]
	v_mad_u32 v7, v13, v6, v15
	v_ashrrev_i32_e32 v6, 31, v6
	s_delay_alu instid0(VALU_DEP_1)
	v_mad_u32 v15, v12, v6, v7
.LBB2_3:
	s_wait_xcnt 0x0
	s_and_not1_saveexec_b32 s1, s1
	s_cbranch_execz .LBB2_5
; %bb.4:
	s_clause 0x1
	flat_load_b128 v[10:13], v[2:3] offset:72
	flat_load_b128 v[4:7], v[2:3] offset:88
	s_wait_loadcnt_dscnt 0x0
	v_dual_add_nc_u32 v6, v9, v8 :: v_dual_lshrrev_b32 v32, 1, v7
	s_delay_alu instid0(VALU_DEP_1) | instskip(NEXT) | instid1(VALU_DEP_1)
	v_mad_nc_u64_u32 v[14:15], v12, v6, v[10:11]
	v_mad_u32 v8, v13, v6, v15
	v_ashrrev_i32_e32 v6, 31, v6
	s_delay_alu instid0(VALU_DEP_1)
	v_mad_u32 v15, v12, v6, v8
.LBB2_5:
	s_wait_xcnt 0x0
	s_or_b32 exec_lo, exec_lo, s1
.LBB2_6:
	s_and_not1_saveexec_b32 s0, s0
	s_cbranch_execz .LBB2_8
; %bb.7:
	s_clause 0x1
	flat_load_b64 v[6:7], v[2:3] offset:96
	flat_load_b64 v[4:5], v[2:3] offset:72
	v_mov_b64_e32 v[14:15], 0
	s_wait_loadcnt_dscnt 0x101
	v_lshlrev_b64_e32 v[32:33], 9, v[6:7]
.LBB2_8:
	s_wait_xcnt 0x0
	s_or_b32 exec_lo, exec_lo, s0
	s_trap 2
	ds_load_b64 v[6:7], v0
	s_mov_b32 s1, 0
	s_mov_b32 s2, exec_lo
	s_wait_dscnt 0x0
	v_cmp_ne_u32_e32 vcc_lo, -1, v6
	v_cndmask_b32_e64 v16, 0, 1, vcc_lo
	v_cmp_ne_u32_e32 vcc_lo, -1, v7
	s_delay_alu instid0(VALU_DEP_2) | instskip(NEXT) | instid1(VALU_DEP_1)
	v_add_co_ci_u32_e64 v8, null, 0, v16, vcc_lo
	v_lshlrev_b32_e32 v6, 1, v8
	s_delay_alu instid0(VALU_DEP_1)
	v_cmpx_le_u32_e64 v6, v1
	s_xor_b32 s44, exec_lo, s2
	s_cbranch_execnz .LBB2_9
; %bb.11567:
	s_add_pc_i64 .LBB2_11560-.Lpost_addpc2
.Lpost_addpc2:
.LBB2_9:
	s_clause 0x3
	flat_load_b128 v[10:13], v[2:3] offset:16
	flat_load_b64 v[34:35], v[2:3] offset:104
	flat_load_u16 v7, v[2:3] offset:8
	flat_load_b32 v6, v[2:3] offset:4
	s_trap 2
	s_load_b32 s0, s[8:9], 0x0
	s_bfe_u32 s2, ttmp6, 0x4000c
	s_and_b32 s3, ttmp6, 15
	s_add_co_i32 s2, s2, 1
	s_getreg_b32 s4, hwreg(HW_REG_IB_STS2, 6, 4)
	s_mul_i32 s2, ttmp9, s2
	v_dual_mov_b32 v9, 0 :: v_dual_mov_b32 v106, 4
	s_add_co_i32 s3, s3, s2
	s_cmp_eq_u32 s4, 0
	s_cselect_b32 s2, ttmp9, s3
	s_wait_kmcnt 0x0
	s_cmp_lt_u32 s2, s0
	s_cselect_b32 s0, 12, 18
	s_delay_alu instid0(SALU_CYCLE_1)
	s_add_nc_u64 s[0:1], s[8:9], s[0:1]
	global_load_u16 v17, v9, s[0:1]
	s_wait_xcnt 0x0
	ds_load_b32 v9, v0
	s_mov_b32 s1, exec_lo
	s_wait_dscnt 0x0
	v_readfirstlane_b32 s12, v9
	v_cmpx_ge_u32_e64 v0, v16
	s_cbranch_execz .LBB2_19
; %bb.10:
	v_cmp_ge_u32_e64 s0, v0, v8
                                        ; implicit-def: $vgpr106
	s_and_saveexec_b32 s2, s0
	s_delay_alu instid0(SALU_CYCLE_1)
	s_xor_b32 s0, exec_lo, s2
	s_cbranch_execz .LBB2_16
; %bb.11:
	v_cndmask_b32_e64 v9, 0, 1, vcc_lo
	s_mov_b32 s2, exec_lo
	s_delay_alu instid0(VALU_DEP_1) | instskip(NEXT) | instid1(VALU_DEP_1)
	v_sub_nc_u32_e32 v9, v1, v9
	v_cmpx_ge_u32_e64 v0, v9
	s_xor_b32 s2, exec_lo, s2
; %bb.12:
                                        ; implicit-def: $vgpr8
; %bb.13:
	s_delay_alu instid0(SALU_CYCLE_1)
	s_or_saveexec_b32 s2, s2
	v_mov_b32_e32 v106, 16
	s_xor_b32 exec_lo, exec_lo, s2
; %bb.14:
	v_sub_nc_u32_e32 v8, v1, v8
	s_delay_alu instid0(VALU_DEP_1)
	v_cmp_lt_i32_e32 vcc_lo, v0, v8
	v_cndmask_b32_e64 v106, 32, 0, vcc_lo
; %bb.15:
	s_or_b32 exec_lo, exec_lo, s2
.LBB2_16:
	s_and_not1_saveexec_b32 s0, s0
; %bb.17:
	v_mov_b32_e32 v106, 8
; %bb.18:
	s_or_b32 exec_lo, exec_lo, s0
.LBB2_19:
	s_delay_alu instid0(SALU_CYCLE_1) | instskip(NEXT) | instid1(VALU_DEP_1)
	s_or_b32 exec_lo, exec_lo, s1
	v_dual_mov_b32 v23, -1 :: v_dual_bitop2_b32 v8, 36, v106 bitop3:0x40
	s_delay_alu instid0(VALU_DEP_1)
	v_cmp_ne_u32_e32 vcc_lo, 0, v8
	s_and_saveexec_b32 s0, vcc_lo
	s_cbranch_execz .LBB2_21
; %bb.20:
	s_trap 2
	ds_load_b32 v23, v0
.LBB2_21:
	s_or_b32 exec_lo, exec_lo, s0
	v_and_b32_e32 v8, 24, v106
	s_mov_b32 s1, exec_lo
	s_delay_alu instid0(VALU_DEP_1)
	v_cmpx_ne_u32_e32 0, v8
	s_cbranch_execz .LBB2_23
; %bb.22:
	s_trap 2
	s_wait_dscnt 0x0
	ds_load_b32 v23, v0
.LBB2_23:
	s_or_b32 exec_lo, exec_lo, s1
	s_wait_loadcnt 0x1
	v_lshrrev_b64 v[6:7], 31, v[6:7]
	v_mov_b64_e32 v[36:37], 0
                                        ; implicit-def: $vgpr22
                                        ; implicit-def: $vgpr86_vgpr87
                                        ; implicit-def: $vgpr24_vgpr25
                                        ; implicit-def: $vgpr28_vgpr29
                                        ; implicit-def: $vgpr20_vgpr21
	s_delay_alu instid0(VALU_DEP_2) | instskip(SKIP_1) | instid1(VALU_DEP_2)
	v_and_b32_e32 v8, 3, v6
	v_mov_b64_e32 v[6:7], 0
	v_and_b32_e32 v30, 0xffff, v8
                                        ; implicit-def: $vgpr8_vgpr9
                                        ; kill: killed $vgpr8_vgpr9
	s_and_saveexec_b32 s0, vcc_lo
	s_cbranch_execz .LBB2_33
; %bb.24:
	s_trap 2
	ds_load_b64 v[6:7], v0
	s_wait_dscnt 0x0
	v_readfirstlane_b32 s2, v6
	v_readfirstlane_b32 s3, v7
	flat_load_b64 v[6:7], v23, s[2:3] scale_offset
	s_wait_loadcnt_dscnt 0x0
	v_mad_nc_u64_u32 v[8:9], 0xa8, v30, v[6:7]
	flat_load_b32 v6, v[8:9] offset:640
	s_wait_loadcnt_dscnt 0x0
	v_cmp_eq_u32_e32 vcc_lo, 1, v6
                                        ; implicit-def: $vgpr6_vgpr7
                                        ; kill: killed $vgpr6_vgpr7
	s_wait_xcnt 0x0
	s_and_saveexec_b32 s1, vcc_lo
	s_cbranch_execz .LBB2_26
; %bb.25:
	flat_load_b64 v[18:19], v[8:9] offset:648
	v_or_b32_e32 v106, 0x2000, v106
	s_wait_loadcnt_dscnt 0x0
	flat_load_b64 v[6:7], v[18:19]
	s_trap 2
	scratch_store_b64 off, v[18:19], s33 offset:196 ; 8-byte Folded Spill
	s_wait_loadcnt_dscnt 0x0
	ds_store_b64 v0, v[6:7]
	flat_load_b64 v[6:7], v[18:19] offset:8
	s_wait_loadcnt_dscnt 0x0
	ds_store_b64 v0, v[6:7]
	flat_load_b64 v[6:7], v[18:19] offset:16
	s_wait_loadcnt_dscnt 0x0
	ds_store_b64 v0, v[6:7]
.LBB2_26:
	s_wait_xcnt 0x0
	s_or_b32 exec_lo, exec_lo, s1
	flat_load_b64 v[6:7], v[8:9] offset:608
	s_mov_b32 s1, exec_lo
                                        ; implicit-def: $vgpr20_vgpr21
	s_wait_loadcnt_dscnt 0x0
	v_add_nc_u64_e32 v[86:87], 3, v[6:7]
	v_and_b32_e32 v6, 32, v106
	s_delay_alu instid0(VALU_DEP_2) | instskip(SKIP_1) | instid1(VALU_DEP_2)
	v_and_b32_e32 v86, -4, v86
	s_wait_xcnt 0x0
	v_cmpx_ne_u32_e32 0, v6
	s_cbranch_execz .LBB2_28
; %bb.27:
	flat_load_b64 v[20:21], v[8:9] offset:560
	global_wb scope:SCOPE_SYS
	s_wait_storecnt 0x0
	s_wait_xcnt 0x0
	s_wait_loadcnt_dscnt 0x0
	flat_store_b64 v[20:21], v[86:87] scope:SCOPE_SYS
.LBB2_28:
	s_wait_xcnt 0x0
	s_or_b32 exec_lo, exec_lo, s1
	v_add_nc_u64_e32 v[36:37], 0x1f8, v[8:9]
	v_mov_b64_e32 v[6:7], 0
	v_and_b32_e32 v18, 4, v106
	s_mov_b32 s1, exec_lo
                                        ; implicit-def: $vgpr22
                                        ; implicit-def: $vgpr24_vgpr25
                                        ; implicit-def: $vgpr28_vgpr29
	s_delay_alu instid0(VALU_DEP_1)
	v_cmpx_ne_u32_e32 0, v18
	s_cbranch_execz .LBB2_32
; %bb.29:
	v_and_b32_e32 v6, 0x800, v106
	s_mov_b32 s2, exec_lo
	s_delay_alu instid0(VALU_DEP_1)
	v_cmpx_eq_u32_e32 0, v6
	s_cbranch_execz .LBB2_31
; %bb.30:
	s_trap 2
	ds_store_b64 v0, v[36:37]
.LBB2_31:
	s_or_b32 exec_lo, exec_lo, s2
	flat_load_b64 v[20:21], v[8:9] offset:552
	s_wait_loadcnt_dscnt 0x0
	flat_load_b64 v[28:29], v[20:21] scope:SCOPE_SYS
	s_clause 0x2
	flat_load_b64 v[6:7], v[8:9] offset:600
	flat_load_b32 v22, v[8:9] offset:576
	flat_load_b64 v[24:25], v[8:9] offset:520
	s_wait_xcnt 0x0
	v_or_b32_e32 v8, 0x100, v106
	s_wait_loadcnt_dscnt 0x202
	v_cmp_eq_u64_e32 vcc_lo, 0, v[6:7]
	s_delay_alu instid0(VALU_DEP_2)
	v_cndmask_b32_e32 v106, v8, v106, vcc_lo
.LBB2_32:
	s_or_b32 exec_lo, exec_lo, s1
.LBB2_33:
	s_delay_alu instid0(SALU_CYCLE_1) | instskip(NEXT) | instid1(VALU_DEP_1)
	s_or_b32 exec_lo, exec_lo, s0
	v_and_b32_e32 v8, 24, v106
	s_mov_b32 s0, exec_lo
                                        ; implicit-def: $vgpr26_vgpr27
	s_delay_alu instid0(VALU_DEP_1)
	v_cmpx_ne_u32_e32 0, v8
	s_cbranch_execz .LBB2_41
; %bb.34:
	s_trap 2
	ds_load_b64 v[6:7], v0
	v_or_b32_e32 v18, 0x100, v106
	s_mov_b32 s1, exec_lo
                                        ; implicit-def: $vgpr26_vgpr27
	s_wait_dscnt 0x0
	v_readfirstlane_b32 s2, v6
	v_readfirstlane_b32 s3, v7
	flat_load_b64 v[6:7], v23, s[2:3] scale_offset
	s_wait_loadcnt_dscnt 0x0
	v_mad_nc_u64_u32 v[36:37], 0xa8, v30, v[6:7]
	flat_load_b128 v[6:9], v[36:37] offset:96
	s_wait_loadcnt_dscnt 0x0
	v_cmp_eq_u64_e32 vcc_lo, 0, v[6:7]
	v_cndmask_b32_e32 v106, v18, v106, vcc_lo
	s_delay_alu instid0(VALU_DEP_1) | instskip(SKIP_1) | instid1(VALU_DEP_1)
	v_and_b32_e32 v18, 16, v106
	s_wait_xcnt 0x0
	v_cmpx_ne_u32_e32 0, v18
	s_cbranch_execz .LBB2_36
; %bb.35:
	s_clause 0x2
	flat_load_b64 v[20:21], v[36:37] offset:48
	flat_load_b64 v[26:27], v[36:37] offset:120
	;; [unrolled: 1-line block ×3, first 2 shown]
.LBB2_36:
	s_wait_xcnt 0x0
	s_or_b32 exec_lo, exec_lo, s1
	v_add_nc_u64_e32 v[86:87], 3, v[8:9]
	v_and_b32_e32 v8, 8, v106
	s_mov_b32 s1, exec_lo
	s_delay_alu instid0(VALU_DEP_2) | instskip(NEXT) | instid1(VALU_DEP_2)
	v_and_b32_e32 v86, -4, v86
	v_cmpx_ne_u32_e32 0, v8
	s_cbranch_execz .LBB2_40
; %bb.37:
	v_and_b32_e32 v8, 0x800, v106
	s_mov_b32 s2, exec_lo
	s_delay_alu instid0(VALU_DEP_1)
	v_cmpx_eq_u32_e32 0, v8
	s_cbranch_execz .LBB2_39
; %bb.38:
	s_trap 2
	ds_store_b64 v0, v[36:37]
.LBB2_39:
	s_or_b32 exec_lo, exec_lo, s2
	s_wait_loadcnt_dscnt 0x202
	flat_load_b64 v[20:21], v[36:37] offset:56
	s_wait_loadcnt_dscnt 0x0
	flat_load_b64 v[28:29], v[20:21] scope:SCOPE_SYS
	s_clause 0x1
	flat_load_b32 v22, v[36:37] offset:72
	flat_load_b64 v[24:25], v[36:37] offset:16
.LBB2_40:
	s_wait_xcnt 0x0
	s_or_b32 exec_lo, exec_lo, s1
.LBB2_41:
	s_delay_alu instid0(SALU_CYCLE_1)
	s_or_b32 exec_lo, exec_lo, s0
	v_cmp_eq_u32_e64 s0, 0, v0
	s_and_saveexec_b32 s1, s0
	s_cbranch_execz .LBB2_43
; %bb.42:
	flat_load_b64 v[8:9], v[2:3] offset:32
	ds_store_2addr_b64 v0, v[12:13], v[10:11] offset1:1
	s_trap 2
	s_wait_loadcnt_dscnt 0x1
	ds_store_b64 v0, v[8:9]
	ds_store_b64 v0, v[34:35]
.LBB2_43:
	s_wait_xcnt 0x0
	s_or_b32 exec_lo, exec_lo, s1
	v_mov_b64_e32 v[12:13], 0
	s_wait_loadcnt 0x0
	v_and_b32_e32 v107, 0xffff, v17
	s_mov_b32 s45, exec_lo
	v_cmpx_lt_i64_e32 0, v[4:5]
	s_cbranch_execnz .LBB2_44
; %bb.11569:
	s_add_pc_i64 .LBB2_11526-.Lpost_addpc3
.Lpost_addpc3:
.LBB2_44:
	flat_load_b32 v2, v[2:3] offset:4
	s_wait_xcnt 0x0
	v_dual_mov_b32 v3, 0 :: v_dual_bitop2_b32 v8, 31, v31 bitop3:0x40
	v_and_b32_e32 v84, 0x3ffffe00, v32
	v_mov_b32_e32 v120, 0x7c
	s_ashr_i32 s17, s16, 31
	s_wait_dscnt 0x1
	v_dual_mov_b32 v85, v3 :: v_dual_ashrrev_i32 v23, 31, v22
	v_lshrrev_b32_e32 v32, 5, v1
	s_add_co_i32 s46, s16, s16
	s_not_b32 s6, s16
	s_delay_alu instid0(VALU_DEP_2)
	v_mul_u64_e32 v[64:65], s[16:17], v[84:85]
	v_and_b32_e32 v34, 0x1fe0, v1
	s_cmp_gt_i32 s16, 0
	v_dual_mov_b32 v51, v3 :: v_dual_lshlrev_b32 v52, 9, v32
	s_cselect_b32 s6, s6, -1
	s_ashr_i32 s7, s12, 31
	v_subrev_nc_u32_e32 v66, 32, v34
	s_lshr_b32 s13, s7, 25
	v_add_nc_u32_e32 v70, 0xfffffe00, v52
	s_add_co_i32 s12, s12, s13
	v_dual_lshrrev_b32 v109, 5, v0 :: v_dual_bitop2_b32 v108, 31, v0 bitop3:0x40
	s_add_co_i32 s26, s6, s46
	s_ashr_i32 s56, s12, 7
	s_ashr_i32 s27, s26, 31
	s_cmp_gt_i32 s16, 2
	v_ashrrev_i32_e32 v67, 31, v66
	v_ashrrev_i32_e32 v71, 31, v70
	v_mov_b32_e32 v111, 0x7f800000
	v_cmp_eq_u32_e64 s6, 0, v8
	v_lshlrev_b32_e32 v8, 4, v108
	s_cselect_b32 s57, -1, 0
	s_add_co_i32 s13, s16, 1
	scratch_store_b64 off, v[36:37], s33 offset:188 ; 8-byte Folded Spill
	v_cmp_ge_u32_e32 vcc_lo, v0, v1
	s_wait_xcnt 0x0
	v_mov_b64_e32 v[36:37], 0
	v_cmp_eq_u64_e64 s4, 0, v[26:27]
	v_cmp_ne_u64_e64 s5, 0, v[26:27]
	v_mov_b64_e32 v[48:49], 0
	v_mov_b64_e32 v[12:13], 0
	v_add_nc_u64_e32 v[80:81], 32, v[66:67]
	v_add_nc_u64_e32 v[82:83], 0x200, v[70:71]
	v_cmp_eq_u32_e64 s1, 32, v1
	v_cmp_ne_u32_e64 s2, 32, v1
	v_cmp_ne_u32_e64 s3, v1, v107
	v_dual_lshlrev_b32 v38, 4, v0 :: v_dual_mov_b32 v110, 1
	v_dual_mov_b32 v121, 0x90 :: v_dual_lshlrev_b32 v50, 10, v32
	v_dual_mov_b32 v122, 0x88 :: v_dual_mov_b32 v33, v3
	v_cmp_eq_u32_e64 s7, 0, v108
	v_cmp_lt_u32_e64 s10, v108, v16
	v_dual_mov_b32 v53, v3 :: v_dual_lshlrev_b32 v54, 8, v32
	v_dual_mov_b32 v55, v3 :: v_dual_mov_b32 v35, v3
	v_cmp_le_u32_e64 s11, v108, v16
	v_dual_mov_b32 v39, v3 :: v_dual_mov_b32 v69, v3
	v_lshl_or_b32 v68, v109, 10, v8
	s_mov_b32 s19, 0
	s_mov_b64 s[20:21], 0xffffffff
	s_mov_b32 s47, 0x7f800000
	s_mov_b64 s[22:23], 0xffffffffffffff
	s_add_nc_u64 s[24:25], s[16:17], -1
	s_mov_b32 s62, 0
	s_trap 2
	s_wait_loadcnt_dscnt 0x0
	v_and_b32_e32 v2, 1, v2
	s_delay_alu instid0(VALU_DEP_1)
	v_cmp_eq_u32_e64 s12, 1, v2
	s_xor_b32 s58, s12, -1
	s_cmp_ge_i32 s13, s16
	s_cselect_b32 s14, s16, 0
	s_add_co_i32 s59, s16, -2
	s_sub_co_i32 s40, s13, s14
	s_xor_b32 s60, vcc_lo, -1
	s_ashr_i32 s28, s17, 31
	s_sub_co_i32 s61, 0, s16
	s_ashr_i32 s41, s40, 31
	s_branch .LBB2_47
.LBB2_45:                               ;   in Loop: Header=BB2_47 Depth=1
	s_or_b32 exec_lo, exec_lo, s15
.LBB2_46:                               ;   in Loop: Header=BB2_47 Depth=1
	s_delay_alu instid0(SALU_CYCLE_1) | instskip(SKIP_1) | instid1(VALU_DEP_1)
	s_or_b32 exec_lo, exec_lo, s14
	v_add_nc_u64_e32 v[48:49], v[48:49], v[64:65]
	v_cmp_ge_i64_e32 vcc_lo, v[48:49], v[4:5]
	s_or_b32 s62, vcc_lo, s62
	s_delay_alu instid0(SALU_CYCLE_1)
	s_and_not1_b32 exec_lo, exec_lo, s62
	s_cbranch_execnz .LBB2_47
; %bb.11571:
	s_add_pc_i64 .LBB2_11525-.Lpost_addpc4
.Lpost_addpc4:
.LBB2_47:                               ; =>This Loop Header: Depth=1
                                        ;     Child Loop BB2_57 Depth 2
                                        ;       Child Loop BB2_65 Depth 3
                                        ;       Child Loop BB2_89 Depth 3
	;; [unrolled: 1-line block ×9, first 2 shown]
                                        ;     Child Loop BB2_1975 Depth 2
                                        ;       Child Loop BB2_1981 Depth 3
                                        ;       Child Loop BB2_2005 Depth 3
	;; [unrolled: 1-line block ×3, first 2 shown]
                                        ;     Child Loop BB2_2047 Depth 2
                                        ;       Child Loop BB2_2050 Depth 3
                                        ;         Child Loop BB2_2058 Depth 4
                                        ;         Child Loop BB2_2086 Depth 4
	;; [unrolled: 1-line block ×9, first 2 shown]
                                        ;       Child Loop BB2_5040 Depth 3
                                        ;         Child Loop BB2_5046 Depth 4
                                        ;         Child Loop BB2_5074 Depth 4
	;; [unrolled: 1-line block ×3, first 2 shown]
                                        ;     Child Loop BB2_5115 Depth 2
                                        ;       Child Loop BB2_5123 Depth 3
                                        ;       Child Loop BB2_5151 Depth 3
	;; [unrolled: 1-line block ×4, first 2 shown]
                                        ;         Child Loop BB2_6234 Depth 4
                                        ;       Child Loop BB2_6264 Depth 3
                                        ;         Child Loop BB2_7305 Depth 4
                                        ;       Child Loop BB2_7338 Depth 3
                                        ;       Child Loop BB2_7973 Depth 3
                                        ;         Child Loop BB2_8060 Depth 4
                                        ;       Child Loop BB2_8074 Depth 3
                                        ;       Child Loop BB2_9143 Depth 3
	;; [unrolled: 1-line block ×6, first 2 shown]
                                        ;     Child Loop BB2_10986 Depth 2
                                        ;       Child Loop BB2_10992 Depth 3
                                        ;       Child Loop BB2_11020 Depth 3
	;; [unrolled: 1-line block ×3, first 2 shown]
                                        ;     Child Loop BB2_11061 Depth 2
                                        ;       Child Loop BB2_11064 Depth 3
                                        ;         Child Loop BB2_11072 Depth 4
                                        ;         Child Loop BB2_11100 Depth 4
	;; [unrolled: 1-line block ×4, first 2 shown]
                                        ;           Child Loop BB2_11143 Depth 5
                                        ;         Child Loop BB2_11149 Depth 4
                                        ;           Child Loop BB2_11150 Depth 5
                                        ;         Child Loop BB2_11157 Depth 4
                                        ;         Child Loop BB2_11162 Depth 4
                                        ;           Child Loop BB2_11163 Depth 5
                                        ;         Child Loop BB2_11175 Depth 4
                                        ;         Child Loop BB2_11180 Depth 4
	;; [unrolled: 1-line block ×6, first 2 shown]
                                        ;       Child Loop BB2_11243 Depth 3
                                        ;         Child Loop BB2_11249 Depth 4
                                        ;         Child Loop BB2_11277 Depth 4
	;; [unrolled: 1-line block ×3, first 2 shown]
                                        ;     Child Loop BB2_11321 Depth 2
                                        ;       Child Loop BB2_11329 Depth 3
                                        ;       Child Loop BB2_11353 Depth 3
	;; [unrolled: 1-line block ×9, first 2 shown]
                                        ;     Child Loop BB2_11459 Depth 2
                                        ;       Child Loop BB2_11465 Depth 3
                                        ;       Child Loop BB2_11489 Depth 3
	;; [unrolled: 1-line block ×3, first 2 shown]
	v_sub_nc_u64_e32 v[96:97], v[4:5], v[48:49]
	s_mov_b32 s42, exec_lo
	s_delay_alu instid0(VALU_DEP_1)
	v_cmpx_lt_i64_e64 v[96:97], v[64:65]
	s_cbranch_execz .LBB2_53
; %bb.48:                               ;   in Loop: Header=BB2_47 Depth=1
	v_add_nc_u64_e32 v[8:9], s[24:25], v[96:97]
	s_delay_alu instid0(VALU_DEP_1) | instskip(NEXT) | instid1(VALU_DEP_1)
	v_dual_mov_b32 v10, v3 :: v_dual_bitop2_b32 v11, s17, v9 bitop3:0x54
	v_cmp_ne_u64_e32 vcc_lo, 0, v[10:11]
                                        ; implicit-def: $vgpr10_vgpr11
	s_and_saveexec_b32 s13, vcc_lo
	s_delay_alu instid0(SALU_CYCLE_1)
	s_xor_b32 s43, exec_lo, s13
	s_cbranch_execz .LBB2_50
; %bb.49:                               ;   in Loop: Header=BB2_47 Depth=1
	s_mov_b32 s29, s28
	v_dual_mov_b32 v17, v3 :: v_dual_ashrrev_i32 v10, 31, v9
	s_add_nc_u64 s[14:15], s[16:17], s[28:29]
	s_delay_alu instid0(SALU_CYCLE_1) | instskip(NEXT) | instid1(VALU_DEP_1)
	s_xor_b64 s[14:15], s[14:15], s[28:29]
	v_mov_b32_e32 v11, v10
	s_cvt_f32_u32 s13, s14
	s_cvt_f32_u32 s18, s15
	s_sub_nc_u64 s[74:75], 0, s[14:15]
	s_delay_alu instid0(VALU_DEP_1) | instskip(NEXT) | instid1(SALU_CYCLE_1)
	v_add_nc_u64_e32 v[8:9], v[8:9], v[10:11]
	s_fmamk_f32 s13, s18, 0x4f800000, s13
	v_mov_b32_e32 v99, v3
	s_delay_alu instid0(SALU_CYCLE_2) | instskip(NEXT) | instid1(VALU_DEP_2)
	v_s_rcp_f32 s13, s13
	v_xor_b32_e32 v16, v8, v10
	s_delay_alu instid0(VALU_DEP_3) | instskip(NEXT) | instid1(TRANS32_DEP_1)
	v_dual_mov_b32 v103, v3 :: v_dual_bitop2_b32 v98, v9, v10 bitop3:0x14
	s_mul_f32 s13, s13, 0x5f7ffffc
	s_delay_alu instid0(SALU_CYCLE_3) | instskip(NEXT) | instid1(SALU_CYCLE_3)
	s_mul_f32 s18, s13, 0x2f800000
	s_trunc_f32 s18, s18
	s_delay_alu instid0(SALU_CYCLE_3) | instskip(SKIP_1) | instid1(SALU_CYCLE_2)
	s_fmamk_f32 s13, s18, 0xcf800000, s13
	s_cvt_u32_f32 s73, s18
	s_cvt_u32_f32 s72, s13
	s_delay_alu instid0(SALU_CYCLE_3) | instskip(NEXT) | instid1(SALU_CYCLE_1)
	s_mul_u64 s[76:77], s[74:75], s[72:73]
	s_mul_hi_u32 s79, s72, s77
	s_mul_i32 s78, s72, s77
	s_mul_hi_u32 s18, s72, s76
	s_mul_i32 s29, s73, s76
	s_add_nc_u64 s[78:79], s[18:19], s[78:79]
	s_mul_hi_u32 s13, s73, s76
	s_mul_hi_u32 s63, s73, s77
	s_add_co_u32 s18, s78, s29
	s_add_co_ci_u32 s18, s79, s13
	s_mul_i32 s76, s73, s77
	s_add_co_ci_u32 s77, s63, 0
	s_delay_alu instid0(SALU_CYCLE_1) | instskip(NEXT) | instid1(SALU_CYCLE_1)
	s_add_nc_u64 s[76:77], s[18:19], s[76:77]
	s_add_co_u32 s72, s72, s76
	s_cselect_b32 s13, -1, 0
	s_delay_alu instid0(SALU_CYCLE_1) | instskip(SKIP_1) | instid1(SALU_CYCLE_1)
	s_cmp_lg_u32 s13, 0
	s_add_co_ci_u32 s73, s73, s77
	s_mul_u64 s[74:75], s[74:75], s[72:73]
	s_delay_alu instid0(SALU_CYCLE_1)
	s_mul_hi_u32 s77, s72, s75
	s_mul_i32 s76, s72, s75
	s_mul_hi_u32 s18, s72, s74
	s_mul_i32 s29, s73, s74
	s_add_nc_u64 s[76:77], s[18:19], s[76:77]
	s_mul_hi_u32 s13, s73, s74
	s_mul_hi_u32 s63, s73, s75
	s_add_co_u32 s18, s76, s29
	s_add_co_ci_u32 s18, s77, s13
	s_mul_i32 s74, s73, s75
	s_add_co_ci_u32 s75, s63, 0
	s_delay_alu instid0(SALU_CYCLE_1) | instskip(NEXT) | instid1(SALU_CYCLE_1)
	s_add_nc_u64 s[74:75], s[18:19], s[74:75]
	s_add_co_u32 s72, s72, s74
	s_cselect_b32 s13, -1, 0
	v_mul_hi_u32 v102, v16, s72
	s_cmp_lg_u32 s13, 0
	s_add_co_ci_u32 s18, s73, s75
	s_and_b64 s[74:75], s[72:73], s[20:21]
	v_mul_u64_e32 v[84:85], s[18:19], v[16:17]
	v_mul_u64_e32 v[8:9], s[74:75], v[98:99]
	;; [unrolled: 1-line block ×3, first 2 shown]
	s_delay_alu instid0(VALU_DEP_3) | instskip(NEXT) | instid1(VALU_DEP_1)
	v_add_nc_u64_e32 v[84:85], v[102:103], v[84:85]
	v_add_co_u32 v2, vcc_lo, v84, v8
	s_delay_alu instid0(VALU_DEP_2) | instskip(NEXT) | instid1(VALU_DEP_4)
	v_add_co_ci_u32_e32 v102, vcc_lo, v85, v9, vcc_lo
	v_add_co_ci_u32_e32 v101, vcc_lo, 0, v101, vcc_lo
	s_delay_alu instid0(VALU_DEP_1) | instskip(NEXT) | instid1(VALU_DEP_1)
	v_add_nc_u64_e32 v[8:9], v[102:103], v[100:101]
	v_mul_u64_e32 v[84:85], s[14:15], v[8:9]
	s_delay_alu instid0(VALU_DEP_1) | instskip(NEXT) | instid1(VALU_DEP_2)
	v_sub_nc_u32_e32 v2, v98, v85
	v_sub_co_u32 v11, vcc_lo, v16, v84
	s_delay_alu instid0(VALU_DEP_1) | instskip(NEXT) | instid1(VALU_DEP_3)
	v_sub_co_ci_u32_e64 v18, null, v98, v85, vcc_lo
	v_subrev_co_ci_u32_e64 v2, null, s15, v2, vcc_lo
	s_delay_alu instid0(VALU_DEP_3) | instskip(SKIP_1) | instid1(VALU_DEP_3)
	v_sub_co_u32 v16, s13, v11, s14
	v_add_nc_u64_e32 v[84:85], 1, v[8:9]
	v_subrev_co_ci_u32_e64 v2, null, 0, v2, s13
	s_delay_alu instid0(VALU_DEP_3) | instskip(SKIP_1) | instid1(VALU_DEP_3)
	v_cmp_le_u32_e32 vcc_lo, s14, v16
	v_cndmask_b32_e64 v16, 0, -1, vcc_lo
	v_cmp_le_u32_e32 vcc_lo, s15, v2
	v_cndmask_b32_e64 v17, 0, -1, vcc_lo
	;; [unrolled: 2-line block ×4, first 2 shown]
	v_cmp_eq_u32_e32 vcc_lo, s15, v2
	v_cndmask_b32_e32 v2, v17, v16, vcc_lo
	v_cmp_eq_u32_e32 vcc_lo, s15, v18
	v_add_nc_u64_e32 v[16:17], 2, v[8:9]
	v_cndmask_b32_e32 v11, v19, v11, vcc_lo
	s_delay_alu instid0(VALU_DEP_4) | instskip(NEXT) | instid1(VALU_DEP_2)
	v_cmp_ne_u32_e32 vcc_lo, 0, v2
	v_cmp_ne_u32_e64 s13, 0, v11
	s_delay_alu instid0(VALU_DEP_4) | instskip(SKIP_1) | instid1(VALU_DEP_2)
	v_dual_cndmask_b32 v2, v85, v17 :: v_dual_cndmask_b32 v11, v84, v16
	v_xor_b32_e32 v10, s28, v10
	v_dual_cndmask_b32 v2, v9, v2, s13 :: v_dual_cndmask_b32 v8, v8, v11, s13
	s_delay_alu instid0(VALU_DEP_2) | instskip(NEXT) | instid1(VALU_DEP_2)
	v_mov_b32_e32 v11, v10
	v_xor_b32_e32 v9, v2, v10
	s_delay_alu instid0(VALU_DEP_3) | instskip(NEXT) | instid1(VALU_DEP_1)
	v_xor_b32_e32 v8, v8, v10
	v_sub_nc_u64_e32 v[10:11], v[8:9], v[10:11]
                                        ; implicit-def: $vgpr8_vgpr9
.LBB2_50:                               ;   in Loop: Header=BB2_47 Depth=1
	s_and_not1_saveexec_b32 s13, s43
	s_cbranch_execz .LBB2_52
; %bb.51:                               ;   in Loop: Header=BB2_47 Depth=1
	v_cvt_f32_u32_e32 v2, s16
	v_mov_b32_e32 v11, v3
	s_delay_alu instid0(VALU_DEP_2) | instskip(SKIP_1) | instid1(TRANS32_DEP_1)
	v_rcp_iflag_f32_e32 v2, v2
	v_nop
	v_mul_f32_e32 v2, 0x4f7ffffe, v2
	s_delay_alu instid0(VALU_DEP_1) | instskip(NEXT) | instid1(VALU_DEP_1)
	v_cvt_u32_f32_e32 v2, v2
	v_mul_lo_u32 v9, s61, v2
	s_delay_alu instid0(VALU_DEP_1) | instskip(NEXT) | instid1(VALU_DEP_1)
	v_mul_hi_u32 v9, v2, v9
	v_add_nc_u32_e32 v2, v2, v9
	s_delay_alu instid0(VALU_DEP_1) | instskip(NEXT) | instid1(VALU_DEP_1)
	v_mul_hi_u32 v2, v8, v2
	v_mul_lo_u32 v9, v2, s16
	s_delay_alu instid0(VALU_DEP_1) | instskip(NEXT) | instid1(VALU_DEP_1)
	v_dual_sub_nc_u32 v8, v8, v9 :: v_dual_add_nc_u32 v9, 1, v2
	v_subrev_nc_u32_e32 v10, s16, v8
	v_cmp_le_u32_e32 vcc_lo, s16, v8
	s_delay_alu instid0(VALU_DEP_2) | instskip(NEXT) | instid1(VALU_DEP_1)
	v_dual_cndmask_b32 v8, v8, v10, vcc_lo :: v_dual_cndmask_b32 v2, v2, v9, vcc_lo
	v_cmp_le_u32_e32 vcc_lo, s16, v8
	s_delay_alu instid0(VALU_DEP_2) | instskip(NEXT) | instid1(VALU_DEP_1)
	v_add_nc_u32_e32 v9, 1, v2
	v_cndmask_b32_e32 v10, v2, v9, vcc_lo
.LBB2_52:                               ;   in Loop: Header=BB2_47 Depth=1
	s_or_b32 exec_lo, exec_lo, s13
	s_delay_alu instid0(VALU_DEP_1) | instskip(NEXT) | instid1(VALU_DEP_1)
	v_add_nc_u64_e32 v[84:85], 15, v[10:11]
	v_and_b32_e32 v84, -16, v84
.LBB2_53:                               ;   in Loop: Header=BB2_47 Depth=1
	s_or_b32 exec_lo, exec_lo, s42
	s_delay_alu instid0(VALU_DEP_1) | instskip(SKIP_2) | instid1(VALU_DEP_3)
	v_mul_u64_e32 v[112:113], s[26:27], v[84:85]
	v_add_nc_u64_e32 v[98:99], v[48:49], v[14:15]
	v_mov_b32_e32 v102, 0
	v_sub_nc_u64_e32 v[8:9], v[96:97], v[112:113]
	s_delay_alu instid0(VALU_DEP_1) | instskip(NEXT) | instid1(VALU_DEP_1)
	v_min_i64 v[8:9], v[84:85], v[8:9]
	v_max_i32_e32 v30, 0, v8
	v_cmp_lt_i32_e32 vcc_lo, 0, v8
	s_delay_alu instid0(VALU_DEP_2) | instskip(SKIP_1) | instid1(VALU_DEP_1)
	v_add_nc_u32_e32 v2, 31, v30
	s_and_b32 s13, s60, vcc_lo
	v_lshrrev_b32_e32 v2, 1, v2
	s_delay_alu instid0(VALU_DEP_1) | instskip(NEXT) | instid1(VALU_DEP_1)
	v_and_b32_e32 v9, 0x3ffffff0, v2
	v_dual_mov_b32 v2, 0 :: v_dual_max_i32 v100, s56, v9
	s_and_saveexec_b32 s18, s13
	s_cbranch_execz .LBB2_1971
; %bb.54:                               ;   in Loop: Header=BB2_47 Depth=1
	v_mov_b32_e32 v102, 0
	s_mov_b32 s43, 1
	s_mov_b32 s42, -1
	s_mov_b32 s29, 0
	s_branch .LBB2_57
.LBB2_55:                               ;   in Loop: Header=BB2_57 Depth=2
	s_wait_xcnt 0x0
	s_or_b32 exec_lo, exec_lo, s14
	v_add_nc_u64_e32 v[86:87], 2, v[86:87]
	global_wb scope:SCOPE_SYS
	s_wait_storecnt 0x0
	s_wait_loadcnt_dscnt 0x0
	flat_store_b64 v[20:21], v[86:87] scope:SCOPE_SYS
.LBB2_56:                               ;   in Loop: Header=BB2_57 Depth=2
	s_wait_xcnt 0x0
	s_or_b32 exec_lo, exec_lo, s13
	v_dual_add_nc_u32 v102, v100, v102 :: v_dual_mov_b32 v2, s43
	s_xor_b32 s13, s42, -1
	s_mov_b32 s42, 0
	s_mov_b32 s43, 2
	s_delay_alu instid0(VALU_DEP_1) | instskip(SKIP_1) | instid1(SALU_CYCLE_1)
	v_cmp_ge_i32_e32 vcc_lo, v102, v30
	s_or_b32 s13, s13, vcc_lo
	s_and_b32 s13, exec_lo, s13
	s_delay_alu instid0(SALU_CYCLE_1) | instskip(NEXT) | instid1(SALU_CYCLE_1)
	s_or_b32 s29, s13, s29
	s_and_not1_b32 exec_lo, exec_lo, s29
	s_cbranch_execz .LBB2_1970
.LBB2_57:                               ;   Parent Loop BB2_47 Depth=1
                                        ; =>  This Loop Header: Depth=2
                                        ;       Child Loop BB2_65 Depth 3
                                        ;       Child Loop BB2_89 Depth 3
	;; [unrolled: 1-line block ×9, first 2 shown]
	s_and_saveexec_b32 s13, s0
	s_cbranch_execz .LBB2_59
; %bb.58:                               ;   in Loop: Header=BB2_57 Depth=2
	s_trap 2
	ds_load_b64 v[8:9], v0
	v_ashrrev_i32_e32 v103, 31, v102
	s_wait_dscnt 0x0
	v_add_nc_u64_e32 v[8:9], v[8:9], v[98:99]
	s_delay_alu instid0(VALU_DEP_1) | instskip(NEXT) | instid1(VALU_DEP_1)
	v_add_nc_u64_e32 v[8:9], v[8:9], v[112:113]
	v_add_nc_u64_e32 v[8:9], v[8:9], v[102:103]
	ds_store_b64 v0, v[8:9]
	ds_store_b64 v0, v[36:37]
.LBB2_59:                               ;   in Loop: Header=BB2_57 Depth=2
	s_or_b32 exec_lo, exec_lo, s13
	v_sub_nc_u32_e32 v2, v30, v102
	v_and_b32_e32 v8, 8, v106
	s_mov_b32 s14, exec_lo
	s_delay_alu instid0(VALU_DEP_2) | instskip(NEXT) | instid1(VALU_DEP_2)
	v_min_i32_e32 v100, v100, v2
	v_cmpx_ne_u32_e32 0, v8
	s_cbranch_execz .LBB2_81
; %bb.60:                               ;   in Loop: Header=BB2_57 Depth=2
	s_wait_loadcnt_dscnt 0x1
	v_add_nc_u64_e32 v[10:11], 8, v[28:29]
	v_add_nc_u64_e32 v[8:9], 2, v[86:87]
	s_mov_b32 s15, exec_lo
	s_delay_alu instid0(VALU_DEP_1)
	v_cmpx_lt_u64_e64 v[10:11], v[8:9]
	s_cbranch_execz .LBB2_72
; %bb.61:                               ;   in Loop: Header=BB2_57 Depth=2
	v_and_b32_e32 v2, 64, v106
	s_mov_b32 s63, 0
	s_mov_b32 s75, 0
                                        ; implicit-def: $sgpr72
                                        ; implicit-def: $sgpr73
                                        ; implicit-def: $sgpr74
	s_delay_alu instid0(VALU_DEP_1)
	v_cmp_eq_u32_e32 vcc_lo, 0, v2
	s_branch .LBB2_65
.LBB2_62:                               ;   in Loop: Header=BB2_65 Depth=3
	s_wait_loadcnt_dscnt 0x0
	v_add_nc_u64_e32 v[10:11], 8, v[28:29]
	s_or_b32 s78, s78, exec_lo
	s_delay_alu instid0(VALU_DEP_1)
	v_cmp_ge_u64_e64 s13, v[10:11], v[8:9]
	s_or_not1_b32 s77, s13, exec_lo
.LBB2_63:                               ;   in Loop: Header=BB2_65 Depth=3
	s_or_b32 exec_lo, exec_lo, s88
	s_delay_alu instid0(SALU_CYCLE_1)
	s_and_not1_b32 s13, s74, exec_lo
	s_and_b32 s74, s78, exec_lo
	s_and_not1_b32 s73, s73, exec_lo
	s_and_b32 s77, s77, exec_lo
	s_or_b32 s74, s13, s74
	s_or_b32 s73, s73, s77
.LBB2_64:                               ;   in Loop: Header=BB2_65 Depth=3
	s_or_b32 exec_lo, exec_lo, s76
	s_delay_alu instid0(SALU_CYCLE_1) | instskip(NEXT) | instid1(SALU_CYCLE_1)
	s_and_b32 s13, exec_lo, s73
	s_or_b32 s63, s13, s63
	s_and_not1_b32 s13, s72, exec_lo
	s_and_b32 s72, s74, exec_lo
	s_delay_alu instid0(SALU_CYCLE_1)
	s_or_b32 s72, s13, s72
	s_and_not1_b32 exec_lo, exec_lo, s63
	s_cbranch_execz .LBB2_69
.LBB2_65:                               ;   Parent Loop BB2_47 Depth=1
                                        ;     Parent Loop BB2_57 Depth=2
                                        ; =>    This Inner Loop Header: Depth=3
	s_sleep 1
	s_wait_loadcnt_dscnt 0x0
	flat_load_b64 v[28:29], v[20:21] scope:SCOPE_SYS
	s_or_b32 s74, s74, exec_lo
	s_or_b32 s73, s73, exec_lo
                                        ; implicit-def: $vgpr2
	s_wait_xcnt 0x0
	s_and_saveexec_b32 s76, vcc_lo
	s_cbranch_execz .LBB2_64
; %bb.66:                               ;   in Loop: Header=BB2_65 Depth=3
	s_cmp_lt_i32 s75, 0x270f
	s_mov_b32 s77, -1
	s_cselect_b32 s79, -1, 0
	s_cmp_gt_i32 s75, 0x270e
	s_cbranch_scc0 .LBB2_68
; %bb.67:                               ;   in Loop: Header=BB2_65 Depth=3
	s_trap 2
	ds_load_b64 v[10:11], v0
	s_and_not1_b32 s75, s79, exec_lo
	s_mov_b32 s78, 0
	s_wait_storecnt 0x0
	s_wait_loadcnt_dscnt 0x0
	flat_load_b32 v2, v[10:11] scope:SCOPE_SYS
	s_wait_loadcnt_dscnt 0x0
	global_inv scope:SCOPE_SYS
	v_cmp_eq_u32_e64 s13, 0, v2
	s_and_b32 s13, s13, exec_lo
	s_delay_alu instid0(SALU_CYCLE_1)
	s_or_b32 s79, s75, s13
	s_mov_b32 s75, 0
	s_and_saveexec_b32 s88, s79
	s_cbranch_execz .LBB2_63
	s_branch .LBB2_62
.LBB2_68:                               ;   in Loop: Header=BB2_65 Depth=3
	s_add_co_i32 s75, s75, 1
	s_mov_b32 s78, -1
                                        ; implicit-def: $vgpr2
	s_and_saveexec_b32 s88, s79
	s_cbranch_execz .LBB2_63
	s_branch .LBB2_62
.LBB2_69:                               ;   in Loop: Header=BB2_57 Depth=2
	s_or_b32 exec_lo, exec_lo, s63
	s_xor_b32 s13, s72, -1
	s_delay_alu instid0(SALU_CYCLE_1) | instskip(NEXT) | instid1(SALU_CYCLE_1)
	s_and_saveexec_b32 s63, s13
	s_xor_b32 s13, exec_lo, s63
	s_cbranch_execz .LBB2_71
; %bb.70:                               ;   in Loop: Header=BB2_57 Depth=2
	v_or_b32_e32 v106, 64, v106
	s_wait_storecnt 0x0
	s_wait_loadcnt_dscnt 0x0
	ds_store_b32 v0, v2
	s_trap 2
.LBB2_71:                               ;   in Loop: Header=BB2_57 Depth=2
	s_or_b32 exec_lo, exec_lo, s13
.LBB2_72:                               ;   in Loop: Header=BB2_57 Depth=2
	s_delay_alu instid0(SALU_CYCLE_1)
	s_or_b32 exec_lo, exec_lo, s15
	v_and_b32_e32 v2, 0x100, v106
	v_dual_mov_b32 v11, v3 :: v_dual_bitop2_b32 v10, 7, v86 bitop3:0x40
	s_mov_b32 s13, -1
	s_mov_b32 s15, exec_lo
	;;#ASMSTART
	s_wakeup
	;;#ASMEND
                                        ; implicit-def: $vgpr86_vgpr87
	v_cmpx_ne_u32_e32 0, v2
	s_cbranch_execz .LBB2_76
; %bb.73:                               ;   in Loop: Header=BB2_57 Depth=2
	v_mad_nc_u64_u32 v[114:115], v10, 24, v[6:7]
	v_ashrrev_i32_e32 v101, 31, v100
	s_mov_b32 s63, exec_lo
                                        ; implicit-def: $vgpr86_vgpr87
	s_clause 0x1
	flat_load_b32 v2, v[114:115]
	flat_store_b64 v[114:115], v[100:101] offset:8
	s_wait_loadcnt_dscnt 0x1
	v_cmp_ne_u32_e32 vcc_lo, 1, v2
	s_wait_xcnt 0x0
	v_cmpx_eq_u32_e32 1, v2
	s_cbranch_execz .LBB2_75
; %bb.74:                               ;   in Loop: Header=BB2_57 Depth=2
	flat_load_b32 v86, v[114:115] offset:4 scope:SCOPE_SYS
	s_wait_loadcnt_dscnt 0x0
	v_ashrrev_i32_e32 v87, 31, v86
.LBB2_75:                               ;   in Loop: Header=BB2_57 Depth=2
	s_wait_xcnt 0x0
	s_or_b32 exec_lo, exec_lo, s63
	s_delay_alu instid0(SALU_CYCLE_1)
	s_or_not1_b32 s13, vcc_lo, exec_lo
.LBB2_76:                               ;   in Loop: Header=BB2_57 Depth=2
	s_or_b32 exec_lo, exec_lo, s15
	s_and_saveexec_b32 s15, s13
; %bb.77:                               ;   in Loop: Header=BB2_57 Depth=2
	v_mul_u64_e32 v[86:87], v[10:11], v[22:23]
; %bb.78:                               ;   in Loop: Header=BB2_57 Depth=2
	s_or_b32 exec_lo, exec_lo, s15
	s_delay_alu instid0(VALU_DEP_1)
	v_add_nc_u64_e32 v[10:11], v[24:25], v[86:87]
	v_and_b32_e32 v2, 0x2000, v106
	s_mov_b32 s13, exec_lo
	ds_store_b64 v0, v[10:11] offset:784
	v_cmpx_ne_u32_e32 0, v2
	s_cbranch_execz .LBB2_80
; %bb.79:                               ;   in Loop: Header=BB2_57 Depth=2
	ds_load_b64 v[10:11], v0 offset:872
	s_wait_dscnt 0x0
	v_add_nc_u64_e32 v[10:11], 1, v[10:11]
	ds_store_b64 v0, v[10:11] offset:872
.LBB2_80:                               ;   in Loop: Header=BB2_57 Depth=2
	s_or_b32 exec_lo, exec_lo, s13
	v_mov_b64_e32 v[86:87], v[8:9]
.LBB2_81:                               ;   in Loop: Header=BB2_57 Depth=2
	s_or_b32 exec_lo, exec_lo, s14
	s_and_saveexec_b32 s13, s2
	s_cbranch_execz .LBB2_100
; %bb.82:                               ;   in Loop: Header=BB2_57 Depth=2
	s_and_saveexec_b32 s14, s3
	s_delay_alu instid0(SALU_CYCLE_1)
	s_xor_b32 s14, exec_lo, s14
	s_cbranch_execz .LBB2_97
; %bb.83:                               ;   in Loop: Header=BB2_57 Depth=2
	s_and_saveexec_b32 s15, s6
	s_cbranch_execz .LBB2_96
; %bb.84:                               ;   in Loop: Header=BB2_57 Depth=2
	s_mov_b32 s72, exec_lo
	s_mov_b32 s63, exec_lo
	v_mbcnt_lo_u32_b32 v2, s72, 0
	global_wb scope:SCOPE_DEV
	s_wait_storecnt 0x0
	s_wait_loadcnt_dscnt 0x0
	global_inv scope:SCOPE_DEV
	v_cmpx_eq_u32_e32 0, v2
	s_cbranch_execz .LBB2_86
; %bb.85:                               ;   in Loop: Header=BB2_57 Depth=2
	s_bcnt1_i32_b32 s72, s72
	s_delay_alu instid0(SALU_CYCLE_1)
	v_dual_mov_b32 v9, v3 :: v_dual_mov_b32 v8, s72
	s_wait_loadcnt 0x0
	ds_add_u64 v0, v[8:9]
	s_trap 2
.LBB2_86:                               ;   in Loop: Header=BB2_57 Depth=2
	s_or_b32 exec_lo, exec_lo, s63
	s_trap 2
	ds_load_b64 v[8:9], v0
	s_wait_dscnt 0x0
	v_add_nc_u64_e32 v[12:13], v[12:13], v[32:33]
	s_mov_b32 s63, exec_lo
	s_delay_alu instid0(VALU_DEP_1)
	v_cmpx_lt_u64_e64 v[8:9], v[12:13]
	s_cbranch_execz .LBB2_95
; %bb.87:                               ;   in Loop: Header=BB2_57 Depth=2
	s_mov_b32 s72, 0
	s_mov_b32 s75, 0
                                        ; implicit-def: $sgpr73
                                        ; implicit-def: $sgpr74
	s_branch .LBB2_89
.LBB2_88:                               ;   in Loop: Header=BB2_89 Depth=3
	s_or_b32 exec_lo, exec_lo, s77
	s_delay_alu instid0(SALU_CYCLE_1) | instskip(NEXT) | instid1(SALU_CYCLE_1)
	s_and_b32 s76, exec_lo, s78
	s_or_b32 s72, s76, s72
	s_and_not1_b32 s73, s73, exec_lo
	s_and_b32 s76, s74, exec_lo
	s_delay_alu instid0(SALU_CYCLE_1)
	s_or_b32 s73, s73, s76
	s_and_not1_b32 exec_lo, exec_lo, s72
	s_cbranch_execz .LBB2_93
.LBB2_89:                               ;   Parent Loop BB2_47 Depth=1
                                        ;     Parent Loop BB2_57 Depth=2
                                        ; =>    This Inner Loop Header: Depth=3
	s_add_co_i32 s75, s75, 1
	s_delay_alu instid0(SALU_CYCLE_1) | instskip(SKIP_1) | instid1(SALU_CYCLE_1)
	s_cmp_lg_u32 s75, 0x2710
	s_cselect_b32 s76, -1, 0
	s_and_b32 vcc_lo, exec_lo, s76
	s_cbranch_vccz .LBB2_91
; %bb.90:                               ;   in Loop: Header=BB2_89 Depth=3
	s_mov_b32 s78, -1
	s_or_b32 s74, s74, exec_lo
	s_and_saveexec_b32 s77, s76
	s_cbranch_execz .LBB2_88
	s_branch .LBB2_92
.LBB2_91:                               ;   in Loop: Header=BB2_89 Depth=3
	s_trap 2
	ds_load_b64 v[8:9], v0
	s_and_not1_b32 s76, s76, exec_lo
	s_mov_b32 s75, 0
	s_wait_loadcnt_dscnt 0x0
	flat_load_b32 v2, v[8:9] scope:SCOPE_SYS
	s_wait_loadcnt_dscnt 0x0
	global_inv scope:SCOPE_SYS
	v_cmp_eq_u32_e32 vcc_lo, 0, v2
	s_and_b32 s77, vcc_lo, exec_lo
	s_delay_alu instid0(SALU_CYCLE_1)
	s_or_b32 s76, s76, s77
	s_mov_b32 s78, -1
	s_or_b32 s74, s74, exec_lo
	s_and_saveexec_b32 s77, s76
	s_cbranch_execz .LBB2_88
.LBB2_92:                               ;   in Loop: Header=BB2_89 Depth=3
	s_sleep 1
	s_trap 2
	ds_load_b64 v[8:9], v0
	s_wait_dscnt 0x0
	s_and_not1_b32 s74, s74, exec_lo
	v_cmp_ge_u64_e32 vcc_lo, v[8:9], v[12:13]
	s_or_not1_b32 s78, vcc_lo, exec_lo
	s_branch .LBB2_88
.LBB2_93:                               ;   in Loop: Header=BB2_57 Depth=2
	s_or_b32 exec_lo, exec_lo, s72
	s_and_saveexec_b32 s72, s73
	s_delay_alu instid0(SALU_CYCLE_1)
	s_xor_b32 s72, exec_lo, s72
	s_cbranch_execz .LBB2_95
; %bb.94:                               ;   in Loop: Header=BB2_57 Depth=2
	ds_store_b32 v0, v110
	s_trap 2
.LBB2_95:                               ;   in Loop: Header=BB2_57 Depth=2
	s_or_b32 exec_lo, exec_lo, s63
	;;#ASMSTART
	s_wakeup
	;;#ASMEND
.LBB2_96:                               ;   in Loop: Header=BB2_57 Depth=2
	s_or_b32 exec_lo, exec_lo, s15
.LBB2_97:                               ;   in Loop: Header=BB2_57 Depth=2
	s_and_not1_saveexec_b32 s14, s14
	s_cbranch_execz .LBB2_99
; %bb.98:                               ;   in Loop: Header=BB2_57 Depth=2
	global_wb scope:SCOPE_DEV
	s_wait_storecnt 0x0
	s_wait_loadcnt_dscnt 0x0
	global_inv scope:SCOPE_DEV
	s_barrier_signal -1
	s_barrier_wait -1
.LBB2_99:                               ;   in Loop: Header=BB2_57 Depth=2
	s_or_b32 exec_lo, exec_lo, s14
.LBB2_100:                              ;   in Loop: Header=BB2_57 Depth=2
	s_delay_alu instid0(SALU_CYCLE_1) | instskip(SKIP_4) | instid1(VALU_DEP_1)
	s_or_b32 exec_lo, exec_lo, s13
	s_trap 2
	ds_load_b32 v2, v0
	v_and_b32_e32 v8, 0x4000, v106
	s_xor_b32 s13, s1, -1
	v_cmp_ne_u32_e32 vcc_lo, 0, v8
	s_and_b32 s14, s13, vcc_lo
	s_delay_alu instid0(SALU_CYCLE_1)
	s_and_saveexec_b32 s13, s14
	s_cbranch_execz .LBB2_119
; %bb.101:                              ;   in Loop: Header=BB2_57 Depth=2
	s_and_saveexec_b32 s14, s3
	s_delay_alu instid0(SALU_CYCLE_1)
	s_xor_b32 s14, exec_lo, s14
	s_cbranch_execz .LBB2_116
; %bb.102:                              ;   in Loop: Header=BB2_57 Depth=2
	s_and_saveexec_b32 s15, s6
	s_cbranch_execz .LBB2_115
; %bb.103:                              ;   in Loop: Header=BB2_57 Depth=2
	s_mov_b32 s72, exec_lo
	s_mov_b32 s63, exec_lo
	v_mbcnt_lo_u32_b32 v8, s72, 0
	global_wb scope:SCOPE_DEV
	s_wait_storecnt 0x0
	s_wait_loadcnt_dscnt 0x0
	global_inv scope:SCOPE_DEV
	v_cmpx_eq_u32_e32 0, v8
	s_cbranch_execz .LBB2_105
; %bb.104:                              ;   in Loop: Header=BB2_57 Depth=2
	s_bcnt1_i32_b32 s72, s72
	s_delay_alu instid0(SALU_CYCLE_1)
	v_dual_mov_b32 v9, v3 :: v_dual_mov_b32 v8, s72
	s_wait_loadcnt 0x0
	ds_add_u64 v0, v[8:9]
	s_trap 2
.LBB2_105:                              ;   in Loop: Header=BB2_57 Depth=2
	s_or_b32 exec_lo, exec_lo, s63
	s_trap 2
	ds_load_b64 v[8:9], v0
	s_wait_dscnt 0x0
	v_add_nc_u64_e32 v[12:13], v[12:13], v[32:33]
	s_mov_b32 s63, exec_lo
	s_delay_alu instid0(VALU_DEP_1)
	v_cmpx_lt_u64_e64 v[8:9], v[12:13]
	s_cbranch_execz .LBB2_114
; %bb.106:                              ;   in Loop: Header=BB2_57 Depth=2
	s_mov_b32 s72, 0
	s_mov_b32 s75, 0
                                        ; implicit-def: $sgpr73
                                        ; implicit-def: $sgpr74
	s_branch .LBB2_108
.LBB2_107:                              ;   in Loop: Header=BB2_108 Depth=3
	s_or_b32 exec_lo, exec_lo, s77
	s_delay_alu instid0(SALU_CYCLE_1) | instskip(NEXT) | instid1(SALU_CYCLE_1)
	s_and_b32 s76, exec_lo, s78
	s_or_b32 s72, s76, s72
	s_and_not1_b32 s73, s73, exec_lo
	s_and_b32 s76, s74, exec_lo
	s_delay_alu instid0(SALU_CYCLE_1)
	s_or_b32 s73, s73, s76
	s_and_not1_b32 exec_lo, exec_lo, s72
	s_cbranch_execz .LBB2_112
.LBB2_108:                              ;   Parent Loop BB2_47 Depth=1
                                        ;     Parent Loop BB2_57 Depth=2
                                        ; =>    This Inner Loop Header: Depth=3
	s_add_co_i32 s75, s75, 1
	s_delay_alu instid0(SALU_CYCLE_1) | instskip(SKIP_1) | instid1(SALU_CYCLE_1)
	s_cmp_lg_u32 s75, 0x2710
	s_cselect_b32 s76, -1, 0
	s_and_b32 vcc_lo, exec_lo, s76
	s_cbranch_vccz .LBB2_110
; %bb.109:                              ;   in Loop: Header=BB2_108 Depth=3
	s_mov_b32 s78, -1
	s_or_b32 s74, s74, exec_lo
	s_and_saveexec_b32 s77, s76
	s_cbranch_execz .LBB2_107
	s_branch .LBB2_111
.LBB2_110:                              ;   in Loop: Header=BB2_108 Depth=3
	s_trap 2
	ds_load_b64 v[8:9], v0
	s_and_not1_b32 s76, s76, exec_lo
	s_mov_b32 s75, 0
	s_wait_loadcnt_dscnt 0x0
	flat_load_b32 v8, v[8:9] scope:SCOPE_SYS
	s_wait_loadcnt_dscnt 0x0
	global_inv scope:SCOPE_SYS
	v_cmp_eq_u32_e32 vcc_lo, 0, v8
	s_and_b32 s77, vcc_lo, exec_lo
	s_delay_alu instid0(SALU_CYCLE_1)
	s_or_b32 s76, s76, s77
	s_mov_b32 s78, -1
	s_or_b32 s74, s74, exec_lo
	s_and_saveexec_b32 s77, s76
	s_cbranch_execz .LBB2_107
.LBB2_111:                              ;   in Loop: Header=BB2_108 Depth=3
	s_sleep 1
	s_trap 2
	ds_load_b64 v[8:9], v0
	s_wait_dscnt 0x0
	s_and_not1_b32 s74, s74, exec_lo
	v_cmp_ge_u64_e32 vcc_lo, v[8:9], v[12:13]
	s_or_not1_b32 s78, vcc_lo, exec_lo
	s_branch .LBB2_107
.LBB2_112:                              ;   in Loop: Header=BB2_57 Depth=2
	s_or_b32 exec_lo, exec_lo, s72
	s_and_saveexec_b32 s72, s73
	s_delay_alu instid0(SALU_CYCLE_1)
	s_xor_b32 s72, exec_lo, s72
	s_cbranch_execz .LBB2_114
; %bb.113:                              ;   in Loop: Header=BB2_57 Depth=2
	ds_store_b32 v0, v110
	s_trap 2
.LBB2_114:                              ;   in Loop: Header=BB2_57 Depth=2
	s_or_b32 exec_lo, exec_lo, s63
	;;#ASMSTART
	s_wakeup
	;;#ASMEND
.LBB2_115:                              ;   in Loop: Header=BB2_57 Depth=2
	s_or_b32 exec_lo, exec_lo, s15
.LBB2_116:                              ;   in Loop: Header=BB2_57 Depth=2
	s_and_not1_saveexec_b32 s14, s14
	s_cbranch_execz .LBB2_118
; %bb.117:                              ;   in Loop: Header=BB2_57 Depth=2
	global_wb scope:SCOPE_DEV
	s_wait_storecnt 0x0
	s_wait_loadcnt_dscnt 0x0
	global_inv scope:SCOPE_DEV
	s_barrier_signal -1
	s_barrier_wait -1
.LBB2_118:                              ;   in Loop: Header=BB2_57 Depth=2
	s_or_b32 exec_lo, exec_lo, s14
.LBB2_119:                              ;   in Loop: Header=BB2_57 Depth=2
	s_delay_alu instid0(SALU_CYCLE_1)
	s_or_b32 exec_lo, exec_lo, s13
	s_trap 2
	ds_load_b64 v[114:115], v0
	s_wait_dscnt 0x0
	v_cmp_eq_u64_e32 vcc_lo, 0, v[114:115]
	s_cbranch_vccnz .LBB2_127
; %bb.120:                              ;   in Loop: Header=BB2_57 Depth=2
	s_trap 2
	ds_load_b64 v[116:117], v0
	s_wait_dscnt 0x0
	v_cmp_eq_u64_e32 vcc_lo, 0, v[116:117]
	s_cbranch_vccnz .LBB2_127
; %bb.121:                              ;   in Loop: Header=BB2_57 Depth=2
	s_mov_b32 s13, -1
	s_and_saveexec_b32 s14, s7
	s_cbranch_execz .LBB2_123
; %bb.122:                              ;   in Loop: Header=BB2_57 Depth=2
	ds_load_b32 v8, v0 offset:720
	s_wait_dscnt 0x0
	v_and_b32_e32 v8, 15, v8
	s_delay_alu instid0(VALU_DEP_1)
	v_cmp_eq_u32_e32 vcc_lo, 0, v8
	s_or_not1_b32 s13, vcc_lo, exec_lo
.LBB2_123:                              ;   in Loop: Header=BB2_57 Depth=2
	s_or_b32 exec_lo, exec_lo, s14
	s_and_saveexec_b32 s14, s10
	s_cbranch_execz .LBB2_125
; %bb.124:                              ;   in Loop: Header=BB2_57 Depth=2
	ds_load_b32 v8, v0 offset:784
	s_wait_dscnt 0x0
	v_and_b32_e32 v8, 15, v8
	s_delay_alu instid0(VALU_DEP_1) | instskip(SKIP_3) | instid1(SALU_CYCLE_1)
	v_cmp_eq_u32_e32 vcc_lo, 0, v8
	s_and_b32 s15, s13, vcc_lo
	s_and_not1_b32 s13, s13, exec_lo
	s_and_b32 s15, s15, exec_lo
	s_or_b32 s13, s13, s15
.LBB2_125:                              ;   in Loop: Header=BB2_57 Depth=2
	s_or_b32 exec_lo, exec_lo, s14
	v_cmp_eq_u32_e32 vcc_lo, 0, v2
	s_xor_b32 s13, s13, -1
	v_mov_b32_e32 v42, 0
	v_cndmask_b32_e64 v8, 0, 1, s13
	s_mov_b32 s13, -1
	v_dual_cndmask_b32 v101, 0, v100, vcc_lo :: v_dual_mov_b32 v17, v0
	s_delay_alu instid0(VALU_DEP_2) | instskip(NEXT) | instid1(VALU_DEP_2)
	v_cmp_ne_u32_e32 vcc_lo, 0, v8
	v_mov_b32_e32 v43, v101
	s_cbranch_vccz .LBB2_128
; %bb.126:                              ;   in Loop: Header=BB2_57 Depth=2
	s_and_saveexec_b32 s63, s13
	s_cbranch_execnz .LBB2_1595
	s_branch .LBB2_1925
.LBB2_127:                              ;   in Loop: Header=BB2_57 Depth=2
	s_mov_b32 s13, 0
	s_and_saveexec_b32 s14, s2
	s_cbranch_execnz .LBB2_1926
	s_branch .LBB2_1944
.LBB2_128:                              ;   in Loop: Header=BB2_57 Depth=2
	v_ashrrev_i32_e32 v2, 31, v101
	s_mov_b32 s14, exec_lo
	s_delay_alu instid0(VALU_DEP_1) | instskip(NEXT) | instid1(VALU_DEP_1)
	v_lshrrev_b32_e32 v2, 22, v2
	v_add_nc_u32_e32 v2, v101, v2
	s_delay_alu instid0(VALU_DEP_1) | instskip(NEXT) | instid1(VALU_DEP_1)
	v_ashrrev_i32_e32 v46, 10, v2
	v_sub_nc_u32_e32 v103, v46, v109
	s_delay_alu instid0(VALU_DEP_1)
	v_cmpx_lt_i32_e32 0, v103
	s_cbranch_execz .LBB2_1100
; %bb.129:                              ;   in Loop: Header=BB2_57 Depth=2
	s_trap 2
	ds_load_b64 v[8:9], v0
	v_mov_b64_e32 v[118:119], v[68:69]
	s_wait_dscnt 0x0
	v_readfirstlane_b32 s72, v8
	v_readfirstlane_b32 s73, v9
	s_and_b32 s15, s72, 3
	s_bfe_i32 s13, s72, 0x80000
	s_clz_i32_u32 s75, s15
	s_bfe_u32 s63, s72, 0x50002
	s_min_u32 s75, s75, 32
	s_and_b32 s74, s72, 0x7c
	s_sub_co_i32 s78, s75, 29
	s_lshl_b32 s76, s72, 24
	s_sext_i32_i8 s77, s72
	s_lshl_b64 s[72:73], s[72:73], s78
	s_and_b32 s76, s76, 0x80000000
	s_sub_co_i32 s73, 30, s75
	s_and_b32 s72, s72, 3
	s_cmp_gt_i32 s77, -1
	s_cselect_b32 s75, s47, 0xff800000
	s_cmp_eq_u32 s15, 0
	s_cselect_b32 s75, s75, 0x7f800001
	s_cmp_eq_u32 s63, 0
	s_cselect_b32 s63, s73, s63
	s_cselect_b32 s15, s72, s15
	s_lshl_b32 s63, s63, 23
	s_lshl_b32 s15, s15, 21
	s_add_co_i32 s63, s63, s76
	s_delay_alu instid0(SALU_CYCLE_1) | instskip(NEXT) | instid1(SALU_CYCLE_1)
	s_or_b32 s15, s63, s15
	s_add_co_i32 s63, s15, 0x38000000
	s_cmp_eq_u32 s74, 0x7c
	s_mov_b32 s15, 0
	s_cselect_b32 s63, s75, s63
	s_and_b32 s72, s13, 0xff
	s_branch .LBB2_132
.LBB2_130:                              ;   in Loop: Header=BB2_132 Depth=3
	s_or_b32 exec_lo, exec_lo, s73
.LBB2_131:                              ;   in Loop: Header=BB2_132 Depth=3
	s_delay_alu instid0(SALU_CYCLE_1)
	s_or_b32 exec_lo, exec_lo, s13
	v_lshl_or_b32 v2, v60, 8, v59
	v_dual_lshlrev_b32 v9, 16, v44 :: v_dual_lshlrev_b32 v10, 24, v45
	v_lshl_or_b32 v11, v56, 8, v47
	v_dual_lshlrev_b32 v18, 16, v57 :: v_dual_lshlrev_b32 v19, 24, v72
	v_dual_lshlrev_b32 v41, 24, v74 :: v_dual_lshlrev_b32 v44, 16, v73
	s_delay_alu instid0(VALU_DEP_4)
	v_or3_b32 v57, v2, v9, v10
	v_lshlrev_b32_e32 v2, 24, v58
	v_lshl_or_b32 v9, v62, 8, v61
	v_lshlrev_b32_e32 v10, 16, v63
	v_lshl_or_b32 v16, v17, 8, v16
	v_lshl_or_b32 v45, v88, 8, v79
	v_dual_lshlrev_b32 v42, 16, v42 :: v_dual_lshlrev_b32 v43, 24, v43
	v_sub_nc_u32_e32 v103, v103, v32
	v_or3_b32 v56, v11, v18, v2
	v_or3_b32 v58, v9, v10, v19
	;; [unrolled: 1-line block ×4, first 2 shown]
	v_lshl_or_b32 v2, v76, 8, v75
	v_dual_lshlrev_b32 v10, 16, v77 :: v_dual_lshlrev_b32 v11, 24, v78
	v_lshl_or_b32 v18, v90, 8, v89
	v_dual_lshlrev_b32 v19, 16, v91 :: v_dual_lshlrev_b32 v41, 24, v92
	v_lshlrev_b32_e32 v42, 24, v8
	v_lshlrev_b32_e32 v40, 16, v40
	v_lshl_or_b32 v43, v94, 8, v93
	v_add_nc_u64_e32 v[16:17], v[116:117], v[118:119]
	v_cmp_gt_i32_e32 vcc_lo, 1, v103
	v_add_nc_u64_e32 v[118:119], v[118:119], v[50:51]
	v_or3_b32 v8, v2, v10, v11
	v_or3_b32 v10, v18, v19, v41
	;; [unrolled: 1-line block ×3, first 2 shown]
	s_or_b32 s15, vcc_lo, s15
	s_clause 0x1
	global_store_b128 v[16:17], v[56:59], off th:TH_STORE_NT
	global_store_b128 v[16:17], v[8:11], off offset:512 th:TH_STORE_NT
	s_wait_xcnt 0x0
	s_and_not1_b32 exec_lo, exec_lo, s15
	s_cbranch_execz .LBB2_1099
.LBB2_132:                              ;   Parent Loop BB2_47 Depth=1
                                        ;     Parent Loop BB2_57 Depth=2
                                        ; =>    This Inner Loop Header: Depth=3
	s_cmp_lt_i32 s72, 0x80
	s_cbranch_scc1 .LBB2_136
; %bb.133:                              ;   in Loop: Header=BB2_132 Depth=3
	s_and_b32 s13, 0xffff, s72
	s_delay_alu instid0(SALU_CYCLE_1)
	s_cmp_eq_u32 s13, 0x80
	s_mov_b32 s13, -1
	s_cbranch_scc0 .LBB2_135
; %bb.134:                              ;   in Loop: Header=BB2_132 Depth=3
	s_mov_b32 s13, 0
.LBB2_135:                              ;   in Loop: Header=BB2_132 Depth=3
	s_brev_b32 s73, 1
	s_branch .LBB2_138
.LBB2_136:                              ;   in Loop: Header=BB2_132 Depth=3
	s_mov_b32 s13, 0
	s_brev_b32 s73, 1
	s_cbranch_execz .LBB2_138
; %bb.137:                              ;   in Loop: Header=BB2_132 Depth=3
	s_and_b32 s13, 0xffff, s72
	s_mov_b32 s73, 0
	s_cmp_lg_u32 s13, 0
	s_cselect_b32 s13, -1, 0
.LBB2_138:                              ;   in Loop: Header=BB2_132 Depth=3
	s_delay_alu instid0(SALU_CYCLE_1)
	s_and_not1_b32 vcc_lo, exec_lo, s13
	s_cbranch_vccnz .LBB2_140
; %bb.139:                              ;   in Loop: Header=BB2_132 Depth=3
	s_mov_b32 s73, s63
.LBB2_140:                              ;   in Loop: Header=BB2_132 Depth=3
	v_add_nc_u64_e32 v[40:41], v[114:115], v[118:119]
	global_load_b128 v[8:11], v[40:41], off th:TH_LOAD_NT
	s_wait_loadcnt 0x0
	v_and_b32_e32 v2, 0xff, v8
	s_delay_alu instid0(VALU_DEP_1)
	v_cmp_ne_u16_e32 vcc_lo, 0, v2
	v_mov_b32_e32 v2, 0
	s_wait_xcnt 0x0
	s_and_saveexec_b32 s13, vcc_lo
	s_cbranch_execz .LBB2_150
; %bb.141:                              ;   in Loop: Header=BB2_132 Depth=3
	v_bfe_i32 v17, v8, 0, 8
	v_bfrev_b32_e32 v2, 1
	s_mov_b32 s74, exec_lo
	s_delay_alu instid0(VALU_DEP_2)
	v_cmpx_ne_u16_e32 0xff80, v17
	s_cbranch_execz .LBB2_149
; %bb.142:                              ;   in Loop: Header=BB2_132 Depth=3
	v_and_b32_e32 v2, 0x7c, v8
	v_and_b32_e32 v16, 3, v8
	s_delay_alu instid0(VALU_DEP_2) | instskip(SKIP_1) | instid1(SALU_CYCLE_1)
	v_cmp_ne_u32_e32 vcc_lo, 0x7c, v2
                                        ; implicit-def: $vgpr2
	s_and_saveexec_b32 s75, vcc_lo
	s_xor_b32 s75, exec_lo, s75
	s_cbranch_execz .LBB2_146
; %bb.143:                              ;   in Loop: Header=BB2_132 Depth=3
	v_bfe_u32 v2, v8, 2, 5
	s_mov_b32 s76, exec_lo
	s_delay_alu instid0(VALU_DEP_1)
	v_cmpx_eq_u32_e32 0, v2
; %bb.144:                              ;   in Loop: Header=BB2_132 Depth=3
	v_clz_i32_u32_e32 v2, v16
	s_delay_alu instid0(VALU_DEP_1) | instskip(NEXT) | instid1(VALU_DEP_1)
	v_min_u32_e32 v2, 32, v2
	v_subrev_nc_u32_e32 v16, 29, v2
	s_delay_alu instid0(VALU_DEP_1) | instskip(NEXT) | instid1(VALU_DEP_1)
	v_lshlrev_b64_e32 v[16:17], v16, v[8:9]
	v_dual_sub_nc_u32 v2, 30, v2 :: v_dual_bitop2_b32 v16, 3, v16 bitop3:0x40
; %bb.145:                              ;   in Loop: Header=BB2_132 Depth=3
	s_or_b32 exec_lo, exec_lo, s76
	v_lshlrev_b32_e32 v17, 24, v8
	s_delay_alu instid0(VALU_DEP_1) | instskip(NEXT) | instid1(VALU_DEP_1)
	v_and_b32_e32 v17, 0x80000000, v17
	v_lshl_add_u32 v2, v2, 23, v17
                                        ; implicit-def: $vgpr17
	s_delay_alu instid0(VALU_DEP_1) | instskip(NEXT) | instid1(VALU_DEP_1)
	v_lshl_or_b32 v2, v16, 21, v2
                                        ; implicit-def: $vgpr16
	v_add_nc_u32_e32 v2, 0x38000000, v2
.LBB2_146:                              ;   in Loop: Header=BB2_132 Depth=3
	s_and_not1_saveexec_b32 s75, s75
; %bb.147:                              ;   in Loop: Header=BB2_132 Depth=3
	v_cmp_lt_i16_e32 vcc_lo, -1, v17
	v_cndmask_b32_e32 v2, 0xff800000, v111, vcc_lo
	v_cmp_eq_u32_e32 vcc_lo, 0, v16
	s_delay_alu instid0(VALU_DEP_2)
	v_cndmask_b32_e32 v2, 0x7f800001, v2, vcc_lo
; %bb.148:                              ;   in Loop: Header=BB2_132 Depth=3
	s_or_b32 exec_lo, exec_lo, s75
.LBB2_149:                              ;   in Loop: Header=BB2_132 Depth=3
	s_delay_alu instid0(SALU_CYCLE_1)
	s_or_b32 exec_lo, exec_lo, s74
.LBB2_150:                              ;   in Loop: Header=BB2_132 Depth=3
	s_delay_alu instid0(SALU_CYCLE_1) | instskip(NEXT) | instid1(VALU_DEP_1)
	s_or_b32 exec_lo, exec_lo, s13
	v_dual_mul_f32 v17, s73, v2 :: v_dual_mov_b32 v43, v3
                                        ; implicit-def: $vgpr47
	s_mov_b32 s13, exec_lo
	s_delay_alu instid0(VALU_DEP_1) | instskip(SKIP_2) | instid1(VALU_DEP_3)
	v_and_b32_e32 v42, 0x7f800000, v17
	v_and_b32_e32 v2, 0x7fffff, v17
	v_lshrrev_b32_e32 v16, 24, v17
	v_cmpx_ne_u64_e32 0x7f800000, v[42:43]
	s_xor_b32 s74, exec_lo, s13
	s_cbranch_execz .LBB2_164
; %bb.151:                              ;   in Loop: Header=BB2_132 Depth=3
	v_and_b32_e32 v42, 0x7fffffff, v17
	v_mov_b32_e32 v43, v3
	v_and_b32_e32 v16, 0x80, v16
                                        ; implicit-def: $vgpr47
	s_mov_b32 s13, exec_lo
	s_delay_alu instid0(VALU_DEP_2)
	v_cmpx_gt_u64_e32 0x47600001, v[42:43]
	s_xor_b32 s75, exec_lo, s13
	s_cbranch_execz .LBB2_161
; %bb.152:                              ;   in Loop: Header=BB2_132 Depth=3
	v_mov_b32_e32 v47, 0
	s_mov_b32 s76, exec_lo
	v_cmpx_ne_u32_e32 0, v17
	s_cbranch_execz .LBB2_160
; %bb.153:                              ;   in Loop: Header=BB2_132 Depth=3
	v_bfe_u32 v17, v17, 23, 8
	v_or_b32_e32 v19, 0x800000, v2
	s_mov_b32 s77, exec_lo
	s_delay_alu instid0(VALU_DEP_2) | instskip(SKIP_1) | instid1(VALU_DEP_2)
	v_dual_mov_b32 v45, v3 :: v_dual_sub_nc_u32 v18, 0x71, v17
	v_cmp_gt_u32_e32 vcc_lo, 0x72, v17
	v_cndmask_b32_e32 v18, 0, v18, vcc_lo
	v_cmp_eq_u32_e32 vcc_lo, 0, v17
	s_delay_alu instid0(VALU_DEP_2) | instskip(NEXT) | instid1(VALU_DEP_1)
	v_cndmask_b32_e64 v47, v18, 0x70, vcc_lo
	v_dual_cndmask_b32 v44, v19, v2, vcc_lo :: v_dual_add_nc_u32 v18, 21, v47
	s_delay_alu instid0(VALU_DEP_1) | instskip(SKIP_1) | instid1(VALU_DEP_1)
	v_lshlrev_b64_e64 v[42:43], v18, -1
	v_add_nc_u32_e32 v18, 20, v47
	v_lshlrev_b64_e64 v[56:57], v18, 1
	s_delay_alu instid0(VALU_DEP_3) | instskip(NEXT) | instid1(VALU_DEP_4)
	v_bfi_b32 v59, v43, 0, 0
	v_bfi_b32 v58, v42, 0, v44
	v_lshrrev_b64 v[42:43], v47, v[44:45]
	s_delay_alu instid0(VALU_DEP_1) | instskip(NEXT) | instid1(VALU_DEP_3)
	v_mov_b64_e32 v[44:45], v[42:43]
	v_cmpx_eq_u64_e64 v[58:59], v[56:57]
; %bb.154:                              ;   in Loop: Header=BB2_132 Depth=3
	v_bfe_u32 v44, v42, 21, 1
	v_mov_b32_e32 v45, v3
	s_delay_alu instid0(VALU_DEP_1) | instskip(NEXT) | instid1(VALU_DEP_1)
	v_add_nc_u64_e32 v[44:45], v[42:43], v[44:45]
	v_add_nc_u64_e32 v[44:45], -1, v[44:45]
; %bb.155:                              ;   in Loop: Header=BB2_132 Depth=3
	s_or_b32 exec_lo, exec_lo, s77
	v_add_nc_u32_e32 v2, 0xffffff81, v17
	v_lshrrev_b32_e32 v17, 23, v42
	s_mov_b32 s13, exec_lo
	s_delay_alu instid0(VALU_DEP_2) | instskip(NEXT) | instid1(VALU_DEP_1)
	v_cndmask_b32_e64 v2, v2, 0xffffff82, vcc_lo
	v_add3_u32 v45, v47, v2, v17
	v_and_b32_e32 v2, 0x1fffff, v44
                                        ; implicit-def: $vgpr17
	s_delay_alu instid0(VALU_DEP_1) | instskip(NEXT) | instid1(VALU_DEP_1)
	v_dual_add_nc_u32 v44, 14, v45 :: v_dual_add_nc_u32 v2, v2, v42
                                        ; implicit-def: $vgpr42_vgpr43
	v_cmpx_ne_u32_e32 0, v44
	s_xor_b32 s13, exec_lo, s13
; %bb.156:                              ;   in Loop: Header=BB2_132 Depth=3
	s_delay_alu instid0(VALU_DEP_2) | instskip(SKIP_2) | instid1(VALU_DEP_2)
	v_cmp_lt_u64_e32 vcc_lo, 0xffffff, v[2:3]
	v_add_nc_u32_e32 v17, 15, v45
	v_cndmask_b32_e64 v18, 0, 1, vcc_lo
	v_cndmask_b32_e32 v17, v44, v17, vcc_lo
	s_delay_alu instid0(VALU_DEP_2)
	v_lshrrev_b64 v[42:43], v18, v[2:3]
; %bb.157:                              ;   in Loop: Header=BB2_132 Depth=3
	s_and_not1_saveexec_b32 s13, s13
; %bb.158:                              ;   in Loop: Header=BB2_132 Depth=3
	v_mov_b64_e32 v[42:43], v[2:3]
	v_bfe_u32 v17, v2, 23, 1
; %bb.159:                              ;   in Loop: Header=BB2_132 Depth=3
	s_or_b32 exec_lo, exec_lo, s13
	s_delay_alu instid0(VALU_DEP_2) | instskip(NEXT) | instid1(VALU_DEP_2)
	v_lshrrev_b64 v[42:43], 21, v[42:43]
	v_cmp_gt_i32_e32 vcc_lo, 32, v17
	v_min_i32_e32 v2, 31, v17
	v_cmp_eq_u32_e64 s13, 0, v17
	s_delay_alu instid0(VALU_DEP_2) | instskip(SKIP_1) | instid1(VALU_DEP_2)
	v_dual_cndmask_b32 v43, 0, v43 :: v_dual_lshlrev_b32 v2, 2, v2
	v_cndmask_b32_e32 v42, 3, v42, vcc_lo
	v_and_b32_e32 v2, 0xfc, v2
	s_delay_alu instid0(VALU_DEP_2) | instskip(NEXT) | instid1(VALU_DEP_2)
	v_cmp_eq_u64_e32 vcc_lo, 0, v[42:43]
	v_and_or_b32 v2, v42, 3, v2
	s_and_b32 s13, s13, vcc_lo
	s_delay_alu instid0(VALU_DEP_1) | instid1(SALU_CYCLE_1)
	v_cndmask_b32_e64 v2, v2, 0, s13
	s_delay_alu instid0(VALU_DEP_1)
	v_or_b32_e32 v47, v2, v16
.LBB2_160:                              ;   in Loop: Header=BB2_132 Depth=3
	s_or_b32 exec_lo, exec_lo, s76
                                        ; implicit-def: $vgpr16
.LBB2_161:                              ;   in Loop: Header=BB2_132 Depth=3
	s_and_not1_saveexec_b32 s13, s75
; %bb.162:                              ;   in Loop: Header=BB2_132 Depth=3
	v_or_b32_e32 v47, 0x7b, v16
; %bb.163:                              ;   in Loop: Header=BB2_132 Depth=3
	s_or_b32 exec_lo, exec_lo, s13
                                        ; implicit-def: $vgpr17
                                        ; implicit-def: $vgpr16
.LBB2_164:                              ;   in Loop: Header=BB2_132 Depth=3
	s_and_not1_saveexec_b32 s13, s74
	s_cbranch_execz .LBB2_170
; %bb.165:                              ;   in Loop: Header=BB2_132 Depth=3
	s_mov_b32 s74, exec_lo
                                        ; implicit-def: $vgpr47
	v_cmpx_ne_u64_e32 0, v[2:3]
	s_xor_b32 s74, exec_lo, s74
; %bb.166:                              ;   in Loop: Header=BB2_132 Depth=3
	v_or_b32_e32 v47, 0x7f, v16
                                        ; implicit-def: $vgpr17
; %bb.167:                              ;   in Loop: Header=BB2_132 Depth=3
	s_and_not1_saveexec_b32 s74, s74
; %bb.168:                              ;   in Loop: Header=BB2_132 Depth=3
	v_cmp_lt_i32_e32 vcc_lo, -1, v17
	v_cndmask_b32_e32 v47, 0xfc, v120, vcc_lo
; %bb.169:                              ;   in Loop: Header=BB2_132 Depth=3
	s_or_b32 exec_lo, exec_lo, s74
.LBB2_170:                              ;   in Loop: Header=BB2_132 Depth=3
	s_delay_alu instid0(SALU_CYCLE_1) | instskip(SKIP_3) | instid1(VALU_DEP_2)
	s_or_b32 exec_lo, exec_lo, s13
	v_lshrrev_b16 v42, 8, v8
	v_mov_b32_e32 v16, 0
	s_mov_b32 s13, exec_lo
	v_cmpx_ne_u16_e32 0, v42
	s_cbranch_execz .LBB2_180
; %bb.171:                              ;   in Loop: Header=BB2_132 Depth=3
	v_bfrev_b32_e32 v16, 1
	s_mov_b32 s74, exec_lo
	v_cmpx_ne_u16_e32 0x80, v42
	s_cbranch_execz .LBB2_179
; %bb.172:                              ;   in Loop: Header=BB2_132 Depth=3
	v_and_b32_e32 v17, 0xffff, v42
	s_delay_alu instid0(VALU_DEP_1) | instskip(SKIP_1) | instid1(VALU_DEP_2)
	v_and_b32_e32 v16, 0x7c, v17
	v_and_b32_e32 v2, 3, v17
	v_cmp_ne_u32_e32 vcc_lo, 0x7c, v16
                                        ; implicit-def: $vgpr16
	s_and_saveexec_b32 s75, vcc_lo
	s_delay_alu instid0(SALU_CYCLE_1)
	s_xor_b32 s75, exec_lo, s75
	s_cbranch_execz .LBB2_176
; %bb.173:                              ;   in Loop: Header=BB2_132 Depth=3
	v_bfe_u32 v16, v17, 2, 5
	s_mov_b32 s76, exec_lo
	s_delay_alu instid0(VALU_DEP_1)
	v_cmpx_eq_u32_e32 0, v16
	s_cbranch_execz .LBB2_175
; %bb.174:                              ;   in Loop: Header=BB2_132 Depth=3
	v_clz_i32_u32_e32 v2, v2
	s_delay_alu instid0(VALU_DEP_1) | instskip(SKIP_1) | instid1(VALU_DEP_2)
	v_min_u32_e32 v2, 32, v2
	v_mov_b32_e32 v43, v3
	v_subrev_nc_u32_e32 v16, 29, v2
	s_delay_alu instid0(VALU_DEP_1) | instskip(SKIP_1) | instid1(VALU_DEP_2)
	v_lshlrev_b64_e32 v[42:43], v16, v[42:43]
	v_sub_nc_u32_e32 v16, 30, v2
	v_and_b32_e32 v2, 3, v42
.LBB2_175:                              ;   in Loop: Header=BB2_132 Depth=3
	s_or_b32 exec_lo, exec_lo, s76
	v_lshlrev_b32_e32 v17, 16, v8
	s_delay_alu instid0(VALU_DEP_1) | instskip(NEXT) | instid1(VALU_DEP_1)
	v_and_b32_e32 v17, 0x80000000, v17
	v_lshl_add_u32 v16, v16, 23, v17
	s_delay_alu instid0(VALU_DEP_1) | instskip(NEXT) | instid1(VALU_DEP_1)
	v_lshl_or_b32 v2, v2, 21, v16
	v_add_nc_u32_e32 v16, 0x38000000, v2
                                        ; implicit-def: $vgpr2
.LBB2_176:                              ;   in Loop: Header=BB2_132 Depth=3
	s_and_not1_saveexec_b32 s75, s75
; %bb.177:                              ;   in Loop: Header=BB2_132 Depth=3
	v_cmp_lt_i16_e32 vcc_lo, -1, v8
	v_cndmask_b32_e32 v16, 0xff800000, v111, vcc_lo
	v_cmp_eq_u32_e32 vcc_lo, 0, v2
	s_delay_alu instid0(VALU_DEP_2)
	v_cndmask_b32_e32 v16, 0x7f800001, v16, vcc_lo
; %bb.178:                              ;   in Loop: Header=BB2_132 Depth=3
	s_or_b32 exec_lo, exec_lo, s75
.LBB2_179:                              ;   in Loop: Header=BB2_132 Depth=3
	s_delay_alu instid0(SALU_CYCLE_1)
	s_or_b32 exec_lo, exec_lo, s74
.LBB2_180:                              ;   in Loop: Header=BB2_132 Depth=3
	s_delay_alu instid0(SALU_CYCLE_1) | instskip(NEXT) | instid1(VALU_DEP_1)
	s_or_b32 exec_lo, exec_lo, s13
	v_dual_mul_f32 v17, s73, v16 :: v_dual_mov_b32 v43, v3
                                        ; implicit-def: $vgpr56
	s_mov_b32 s13, exec_lo
	s_delay_alu instid0(VALU_DEP_1) | instskip(SKIP_2) | instid1(VALU_DEP_3)
	v_and_b32_e32 v42, 0x7f800000, v17
	v_and_b32_e32 v2, 0x7fffff, v17
	v_lshrrev_b32_e32 v16, 24, v17
	v_cmpx_ne_u64_e32 0x7f800000, v[42:43]
	s_xor_b32 s74, exec_lo, s13
	s_cbranch_execz .LBB2_194
; %bb.181:                              ;   in Loop: Header=BB2_132 Depth=3
	v_and_b32_e32 v42, 0x7fffffff, v17
	v_mov_b32_e32 v43, v3
	v_and_b32_e32 v16, 0x80, v16
                                        ; implicit-def: $vgpr56
	s_mov_b32 s13, exec_lo
	s_delay_alu instid0(VALU_DEP_2)
	v_cmpx_gt_u64_e32 0x47600001, v[42:43]
	s_xor_b32 s75, exec_lo, s13
	s_cbranch_execz .LBB2_191
; %bb.182:                              ;   in Loop: Header=BB2_132 Depth=3
	v_mov_b32_e32 v56, 0
	s_mov_b32 s76, exec_lo
	v_cmpx_ne_u32_e32 0, v17
	s_cbranch_execz .LBB2_190
; %bb.183:                              ;   in Loop: Header=BB2_132 Depth=3
	v_bfe_u32 v17, v17, 23, 8
	v_or_b32_e32 v19, 0x800000, v2
	s_mov_b32 s77, exec_lo
	s_delay_alu instid0(VALU_DEP_2) | instskip(SKIP_1) | instid1(VALU_DEP_2)
	v_dual_mov_b32 v45, v3 :: v_dual_sub_nc_u32 v18, 0x71, v17
	v_cmp_gt_u32_e32 vcc_lo, 0x72, v17
	v_cndmask_b32_e32 v18, 0, v18, vcc_lo
	v_cmp_eq_u32_e32 vcc_lo, 0, v17
	s_delay_alu instid0(VALU_DEP_2) | instskip(NEXT) | instid1(VALU_DEP_1)
	v_cndmask_b32_e64 v56, v18, 0x70, vcc_lo
	v_dual_cndmask_b32 v44, v19, v2, vcc_lo :: v_dual_add_nc_u32 v18, 21, v56
	s_delay_alu instid0(VALU_DEP_1) | instskip(SKIP_1) | instid1(VALU_DEP_1)
	v_lshlrev_b64_e64 v[42:43], v18, -1
	v_add_nc_u32_e32 v18, 20, v56
	v_lshlrev_b64_e64 v[58:59], v18, 1
	s_delay_alu instid0(VALU_DEP_3) | instskip(NEXT) | instid1(VALU_DEP_4)
	v_bfi_b32 v61, v43, 0, 0
	v_bfi_b32 v60, v42, 0, v44
	v_lshrrev_b64 v[42:43], v56, v[44:45]
	s_delay_alu instid0(VALU_DEP_1) | instskip(NEXT) | instid1(VALU_DEP_3)
	v_mov_b64_e32 v[44:45], v[42:43]
	v_cmpx_eq_u64_e64 v[60:61], v[58:59]
; %bb.184:                              ;   in Loop: Header=BB2_132 Depth=3
	v_bfe_u32 v44, v42, 21, 1
	v_mov_b32_e32 v45, v3
	s_delay_alu instid0(VALU_DEP_1) | instskip(NEXT) | instid1(VALU_DEP_1)
	v_add_nc_u64_e32 v[44:45], v[42:43], v[44:45]
	v_add_nc_u64_e32 v[44:45], -1, v[44:45]
; %bb.185:                              ;   in Loop: Header=BB2_132 Depth=3
	s_or_b32 exec_lo, exec_lo, s77
	v_add_nc_u32_e32 v2, 0xffffff81, v17
	v_lshrrev_b32_e32 v17, 23, v42
	s_mov_b32 s13, exec_lo
	s_delay_alu instid0(VALU_DEP_2) | instskip(NEXT) | instid1(VALU_DEP_1)
	v_cndmask_b32_e64 v2, v2, 0xffffff82, vcc_lo
	v_add3_u32 v45, v56, v2, v17
	v_and_b32_e32 v2, 0x1fffff, v44
                                        ; implicit-def: $vgpr17
	s_delay_alu instid0(VALU_DEP_1) | instskip(NEXT) | instid1(VALU_DEP_1)
	v_dual_add_nc_u32 v44, 14, v45 :: v_dual_add_nc_u32 v2, v2, v42
                                        ; implicit-def: $vgpr42_vgpr43
	v_cmpx_ne_u32_e32 0, v44
	s_xor_b32 s13, exec_lo, s13
; %bb.186:                              ;   in Loop: Header=BB2_132 Depth=3
	s_delay_alu instid0(VALU_DEP_2) | instskip(SKIP_2) | instid1(VALU_DEP_2)
	v_cmp_lt_u64_e32 vcc_lo, 0xffffff, v[2:3]
	v_add_nc_u32_e32 v17, 15, v45
	v_cndmask_b32_e64 v18, 0, 1, vcc_lo
	v_cndmask_b32_e32 v17, v44, v17, vcc_lo
	s_delay_alu instid0(VALU_DEP_2)
	v_lshrrev_b64 v[42:43], v18, v[2:3]
; %bb.187:                              ;   in Loop: Header=BB2_132 Depth=3
	s_and_not1_saveexec_b32 s13, s13
; %bb.188:                              ;   in Loop: Header=BB2_132 Depth=3
	v_mov_b64_e32 v[42:43], v[2:3]
	v_bfe_u32 v17, v2, 23, 1
; %bb.189:                              ;   in Loop: Header=BB2_132 Depth=3
	s_or_b32 exec_lo, exec_lo, s13
	s_delay_alu instid0(VALU_DEP_2) | instskip(NEXT) | instid1(VALU_DEP_2)
	v_lshrrev_b64 v[42:43], 21, v[42:43]
	v_cmp_gt_i32_e32 vcc_lo, 32, v17
	v_min_i32_e32 v2, 31, v17
	v_cmp_eq_u32_e64 s13, 0, v17
	s_delay_alu instid0(VALU_DEP_2) | instskip(SKIP_1) | instid1(VALU_DEP_2)
	v_dual_cndmask_b32 v43, 0, v43 :: v_dual_lshlrev_b32 v2, 2, v2
	v_cndmask_b32_e32 v42, 3, v42, vcc_lo
	v_and_b32_e32 v2, 0xfc, v2
	s_delay_alu instid0(VALU_DEP_2) | instskip(NEXT) | instid1(VALU_DEP_2)
	v_cmp_eq_u64_e32 vcc_lo, 0, v[42:43]
	v_and_or_b32 v2, v42, 3, v2
	s_and_b32 s13, s13, vcc_lo
	s_delay_alu instid0(VALU_DEP_1) | instid1(SALU_CYCLE_1)
	v_cndmask_b32_e64 v2, v2, 0, s13
	s_delay_alu instid0(VALU_DEP_1)
	v_or_b32_e32 v56, v2, v16
.LBB2_190:                              ;   in Loop: Header=BB2_132 Depth=3
	s_or_b32 exec_lo, exec_lo, s76
                                        ; implicit-def: $vgpr16
.LBB2_191:                              ;   in Loop: Header=BB2_132 Depth=3
	s_and_not1_saveexec_b32 s13, s75
; %bb.192:                              ;   in Loop: Header=BB2_132 Depth=3
	v_or_b32_e32 v56, 0x7b, v16
; %bb.193:                              ;   in Loop: Header=BB2_132 Depth=3
	s_or_b32 exec_lo, exec_lo, s13
                                        ; implicit-def: $vgpr17
                                        ; implicit-def: $vgpr16
.LBB2_194:                              ;   in Loop: Header=BB2_132 Depth=3
	s_and_not1_saveexec_b32 s13, s74
	s_cbranch_execz .LBB2_200
; %bb.195:                              ;   in Loop: Header=BB2_132 Depth=3
	s_mov_b32 s74, exec_lo
                                        ; implicit-def: $vgpr56
	v_cmpx_ne_u64_e32 0, v[2:3]
	s_xor_b32 s74, exec_lo, s74
; %bb.196:                              ;   in Loop: Header=BB2_132 Depth=3
	v_or_b32_e32 v56, 0x7f, v16
                                        ; implicit-def: $vgpr17
; %bb.197:                              ;   in Loop: Header=BB2_132 Depth=3
	s_and_not1_saveexec_b32 s74, s74
; %bb.198:                              ;   in Loop: Header=BB2_132 Depth=3
	v_cmp_lt_i32_e32 vcc_lo, -1, v17
	v_cndmask_b32_e32 v56, 0xfc, v120, vcc_lo
; %bb.199:                              ;   in Loop: Header=BB2_132 Depth=3
	s_or_b32 exec_lo, exec_lo, s74
.LBB2_200:                              ;   in Loop: Header=BB2_132 Depth=3
	s_delay_alu instid0(SALU_CYCLE_1) | instskip(SKIP_2) | instid1(VALU_DEP_1)
	s_or_b32 exec_lo, exec_lo, s13
	v_dual_lshrrev_b32 v2, 16, v8 :: v_dual_mov_b32 v16, 0
	s_mov_b32 s13, exec_lo
	v_and_b32_e32 v17, 0xff, v2
	s_delay_alu instid0(VALU_DEP_1)
	v_cmpx_ne_u16_e32 0, v17
	s_cbranch_execz .LBB2_210
; %bb.201:                              ;   in Loop: Header=BB2_132 Depth=3
	v_bfrev_b32_e32 v16, 1
	s_mov_b32 s74, exec_lo
	v_cmpx_ne_u16_e32 0x80, v17
	s_cbranch_execz .LBB2_209
; %bb.202:                              ;   in Loop: Header=BB2_132 Depth=3
	v_and_b32_e32 v16, 0x7c0000, v8
	v_bfe_u32 v17, v8, 16, 2
	s_delay_alu instid0(VALU_DEP_2) | instskip(SKIP_1) | instid1(SALU_CYCLE_1)
	v_cmp_ne_u32_e32 vcc_lo, 0x7c0000, v16
                                        ; implicit-def: $vgpr16
	s_and_saveexec_b32 s75, vcc_lo
	s_xor_b32 s75, exec_lo, s75
	s_cbranch_execz .LBB2_206
; %bb.203:                              ;   in Loop: Header=BB2_132 Depth=3
	v_bfe_u32 v16, v8, 18, 5
	s_mov_b32 s76, exec_lo
	s_delay_alu instid0(VALU_DEP_1)
	v_cmpx_eq_u32_e32 0, v16
; %bb.204:                              ;   in Loop: Header=BB2_132 Depth=3
	v_clz_i32_u32_e32 v16, v17
	s_delay_alu instid0(VALU_DEP_1) | instskip(NEXT) | instid1(VALU_DEP_1)
	v_min_u32_e32 v16, 32, v16
	v_subrev_nc_u32_e32 v17, 29, v16
	s_delay_alu instid0(VALU_DEP_1) | instskip(NEXT) | instid1(VALU_DEP_1)
	v_lshlrev_b64_e32 v[42:43], v17, v[2:3]
	v_dual_sub_nc_u32 v16, 30, v16 :: v_dual_bitop2_b32 v17, 3, v42 bitop3:0x40
; %bb.205:                              ;   in Loop: Header=BB2_132 Depth=3
	s_or_b32 exec_lo, exec_lo, s76
	v_lshlrev_b32_e32 v2, 24, v2
	s_delay_alu instid0(VALU_DEP_1) | instskip(NEXT) | instid1(VALU_DEP_1)
	v_and_b32_e32 v2, 0x80000000, v2
	v_lshl_add_u32 v2, v16, 23, v2
	s_delay_alu instid0(VALU_DEP_1) | instskip(NEXT) | instid1(VALU_DEP_1)
	v_lshl_or_b32 v2, v17, 21, v2
                                        ; implicit-def: $vgpr17
	v_add_nc_u32_e32 v16, 0x38000000, v2
                                        ; implicit-def: $vgpr2
.LBB2_206:                              ;   in Loop: Header=BB2_132 Depth=3
	s_and_not1_saveexec_b32 s75, s75
; %bb.207:                              ;   in Loop: Header=BB2_132 Depth=3
	v_bfe_i32 v2, v2, 0, 8
	s_delay_alu instid0(VALU_DEP_1) | instskip(SKIP_2) | instid1(VALU_DEP_2)
	v_cmp_lt_i16_e32 vcc_lo, -1, v2
	v_cndmask_b32_e32 v2, 0xff800000, v111, vcc_lo
	v_cmp_eq_u32_e32 vcc_lo, 0, v17
	v_cndmask_b32_e32 v16, 0x7f800001, v2, vcc_lo
; %bb.208:                              ;   in Loop: Header=BB2_132 Depth=3
	s_or_b32 exec_lo, exec_lo, s75
.LBB2_209:                              ;   in Loop: Header=BB2_132 Depth=3
	s_delay_alu instid0(SALU_CYCLE_1)
	s_or_b32 exec_lo, exec_lo, s74
.LBB2_210:                              ;   in Loop: Header=BB2_132 Depth=3
	s_delay_alu instid0(SALU_CYCLE_1) | instskip(NEXT) | instid1(VALU_DEP_1)
	s_or_b32 exec_lo, exec_lo, s13
	v_dual_mul_f32 v17, s73, v16 :: v_dual_mov_b32 v43, v3
                                        ; implicit-def: $vgpr57
	s_mov_b32 s13, exec_lo
	s_delay_alu instid0(VALU_DEP_1) | instskip(SKIP_2) | instid1(VALU_DEP_3)
	v_and_b32_e32 v42, 0x7f800000, v17
	v_and_b32_e32 v2, 0x7fffff, v17
	v_lshrrev_b32_e32 v16, 24, v17
	v_cmpx_ne_u64_e32 0x7f800000, v[42:43]
	s_xor_b32 s74, exec_lo, s13
	s_cbranch_execz .LBB2_224
; %bb.211:                              ;   in Loop: Header=BB2_132 Depth=3
	v_and_b32_e32 v42, 0x7fffffff, v17
	v_mov_b32_e32 v43, v3
	v_and_b32_e32 v16, 0x80, v16
                                        ; implicit-def: $vgpr57
	s_mov_b32 s13, exec_lo
	s_delay_alu instid0(VALU_DEP_2)
	v_cmpx_gt_u64_e32 0x47600001, v[42:43]
	s_xor_b32 s75, exec_lo, s13
	s_cbranch_execz .LBB2_221
; %bb.212:                              ;   in Loop: Header=BB2_132 Depth=3
	v_mov_b32_e32 v57, 0
	s_mov_b32 s76, exec_lo
	v_cmpx_ne_u32_e32 0, v17
	s_cbranch_execz .LBB2_220
; %bb.213:                              ;   in Loop: Header=BB2_132 Depth=3
	v_bfe_u32 v17, v17, 23, 8
	v_or_b32_e32 v19, 0x800000, v2
	s_mov_b32 s77, exec_lo
	s_delay_alu instid0(VALU_DEP_2) | instskip(SKIP_1) | instid1(VALU_DEP_2)
	v_dual_mov_b32 v45, v3 :: v_dual_sub_nc_u32 v18, 0x71, v17
	v_cmp_gt_u32_e32 vcc_lo, 0x72, v17
	v_cndmask_b32_e32 v18, 0, v18, vcc_lo
	v_cmp_eq_u32_e32 vcc_lo, 0, v17
	s_delay_alu instid0(VALU_DEP_2) | instskip(NEXT) | instid1(VALU_DEP_1)
	v_cndmask_b32_e64 v57, v18, 0x70, vcc_lo
	v_dual_cndmask_b32 v44, v19, v2, vcc_lo :: v_dual_add_nc_u32 v18, 21, v57
	s_delay_alu instid0(VALU_DEP_1) | instskip(SKIP_1) | instid1(VALU_DEP_1)
	v_lshlrev_b64_e64 v[42:43], v18, -1
	v_add_nc_u32_e32 v18, 20, v57
	v_lshlrev_b64_e64 v[58:59], v18, 1
	s_delay_alu instid0(VALU_DEP_3) | instskip(NEXT) | instid1(VALU_DEP_4)
	v_bfi_b32 v61, v43, 0, 0
	v_bfi_b32 v60, v42, 0, v44
	v_lshrrev_b64 v[42:43], v57, v[44:45]
	s_delay_alu instid0(VALU_DEP_1) | instskip(NEXT) | instid1(VALU_DEP_3)
	v_mov_b64_e32 v[44:45], v[42:43]
	v_cmpx_eq_u64_e64 v[60:61], v[58:59]
; %bb.214:                              ;   in Loop: Header=BB2_132 Depth=3
	v_bfe_u32 v44, v42, 21, 1
	v_mov_b32_e32 v45, v3
	s_delay_alu instid0(VALU_DEP_1) | instskip(NEXT) | instid1(VALU_DEP_1)
	v_add_nc_u64_e32 v[44:45], v[42:43], v[44:45]
	v_add_nc_u64_e32 v[44:45], -1, v[44:45]
; %bb.215:                              ;   in Loop: Header=BB2_132 Depth=3
	s_or_b32 exec_lo, exec_lo, s77
	v_add_nc_u32_e32 v2, 0xffffff81, v17
	v_lshrrev_b32_e32 v17, 23, v42
	s_mov_b32 s13, exec_lo
	s_delay_alu instid0(VALU_DEP_2) | instskip(NEXT) | instid1(VALU_DEP_1)
	v_cndmask_b32_e64 v2, v2, 0xffffff82, vcc_lo
	v_add3_u32 v45, v57, v2, v17
	v_and_b32_e32 v2, 0x1fffff, v44
                                        ; implicit-def: $vgpr17
	s_delay_alu instid0(VALU_DEP_1) | instskip(NEXT) | instid1(VALU_DEP_1)
	v_dual_add_nc_u32 v44, 14, v45 :: v_dual_add_nc_u32 v2, v2, v42
                                        ; implicit-def: $vgpr42_vgpr43
	v_cmpx_ne_u32_e32 0, v44
	s_xor_b32 s13, exec_lo, s13
; %bb.216:                              ;   in Loop: Header=BB2_132 Depth=3
	s_delay_alu instid0(VALU_DEP_2) | instskip(SKIP_2) | instid1(VALU_DEP_2)
	v_cmp_lt_u64_e32 vcc_lo, 0xffffff, v[2:3]
	v_add_nc_u32_e32 v17, 15, v45
	v_cndmask_b32_e64 v18, 0, 1, vcc_lo
	v_cndmask_b32_e32 v17, v44, v17, vcc_lo
	s_delay_alu instid0(VALU_DEP_2)
	v_lshrrev_b64 v[42:43], v18, v[2:3]
; %bb.217:                              ;   in Loop: Header=BB2_132 Depth=3
	s_and_not1_saveexec_b32 s13, s13
; %bb.218:                              ;   in Loop: Header=BB2_132 Depth=3
	v_mov_b64_e32 v[42:43], v[2:3]
	v_bfe_u32 v17, v2, 23, 1
; %bb.219:                              ;   in Loop: Header=BB2_132 Depth=3
	s_or_b32 exec_lo, exec_lo, s13
	s_delay_alu instid0(VALU_DEP_2) | instskip(NEXT) | instid1(VALU_DEP_2)
	v_lshrrev_b64 v[42:43], 21, v[42:43]
	v_cmp_gt_i32_e32 vcc_lo, 32, v17
	v_min_i32_e32 v2, 31, v17
	v_cmp_eq_u32_e64 s13, 0, v17
	s_delay_alu instid0(VALU_DEP_2) | instskip(SKIP_1) | instid1(VALU_DEP_2)
	v_dual_cndmask_b32 v43, 0, v43 :: v_dual_lshlrev_b32 v2, 2, v2
	v_cndmask_b32_e32 v42, 3, v42, vcc_lo
	v_and_b32_e32 v2, 0xfc, v2
	s_delay_alu instid0(VALU_DEP_2) | instskip(NEXT) | instid1(VALU_DEP_2)
	v_cmp_eq_u64_e32 vcc_lo, 0, v[42:43]
	v_and_or_b32 v2, v42, 3, v2
	s_and_b32 s13, s13, vcc_lo
	s_delay_alu instid0(VALU_DEP_1) | instid1(SALU_CYCLE_1)
	v_cndmask_b32_e64 v2, v2, 0, s13
	s_delay_alu instid0(VALU_DEP_1)
	v_or_b32_e32 v57, v2, v16
.LBB2_220:                              ;   in Loop: Header=BB2_132 Depth=3
	s_or_b32 exec_lo, exec_lo, s76
                                        ; implicit-def: $vgpr16
.LBB2_221:                              ;   in Loop: Header=BB2_132 Depth=3
	s_and_not1_saveexec_b32 s13, s75
; %bb.222:                              ;   in Loop: Header=BB2_132 Depth=3
	v_or_b32_e32 v57, 0x7b, v16
; %bb.223:                              ;   in Loop: Header=BB2_132 Depth=3
	s_or_b32 exec_lo, exec_lo, s13
                                        ; implicit-def: $vgpr17
                                        ; implicit-def: $vgpr16
.LBB2_224:                              ;   in Loop: Header=BB2_132 Depth=3
	s_and_not1_saveexec_b32 s13, s74
	s_cbranch_execz .LBB2_230
; %bb.225:                              ;   in Loop: Header=BB2_132 Depth=3
	s_mov_b32 s74, exec_lo
                                        ; implicit-def: $vgpr57
	v_cmpx_ne_u64_e32 0, v[2:3]
	s_xor_b32 s74, exec_lo, s74
; %bb.226:                              ;   in Loop: Header=BB2_132 Depth=3
	v_or_b32_e32 v57, 0x7f, v16
                                        ; implicit-def: $vgpr17
; %bb.227:                              ;   in Loop: Header=BB2_132 Depth=3
	s_and_not1_saveexec_b32 s74, s74
; %bb.228:                              ;   in Loop: Header=BB2_132 Depth=3
	v_cmp_lt_i32_e32 vcc_lo, -1, v17
	v_cndmask_b32_e32 v57, 0xfc, v120, vcc_lo
; %bb.229:                              ;   in Loop: Header=BB2_132 Depth=3
	s_or_b32 exec_lo, exec_lo, s74
.LBB2_230:                              ;   in Loop: Header=BB2_132 Depth=3
	s_delay_alu instid0(SALU_CYCLE_1)
	s_or_b32 exec_lo, exec_lo, s13
	v_mov_b32_e32 v16, 0
	s_mov_b32 s13, exec_lo
	v_cmpx_lt_u32_e32 0xffffff, v8
	s_cbranch_execz .LBB2_240
; %bb.231:                              ;   in Loop: Header=BB2_132 Depth=3
	v_lshrrev_b32_e32 v2, 24, v8
	v_bfrev_b32_e32 v16, 1
	s_mov_b32 s74, exec_lo
	s_delay_alu instid0(VALU_DEP_2)
	v_cmpx_ne_u32_e32 0x80, v2
	s_cbranch_execz .LBB2_239
; %bb.232:                              ;   in Loop: Header=BB2_132 Depth=3
	v_and_b32_e32 v16, 0x7c000000, v8
	v_bfe_u32 v17, v8, 24, 2
	s_delay_alu instid0(VALU_DEP_2) | instskip(SKIP_1) | instid1(SALU_CYCLE_1)
	v_cmp_ne_u32_e32 vcc_lo, 0x7c000000, v16
                                        ; implicit-def: $vgpr16
	s_and_saveexec_b32 s75, vcc_lo
	s_xor_b32 s75, exec_lo, s75
	s_cbranch_execz .LBB2_236
; %bb.233:                              ;   in Loop: Header=BB2_132 Depth=3
	v_bfe_u32 v16, v8, 26, 5
	s_mov_b32 s76, exec_lo
	s_delay_alu instid0(VALU_DEP_1)
	v_cmpx_eq_u32_e32 0, v16
; %bb.234:                              ;   in Loop: Header=BB2_132 Depth=3
	v_clz_i32_u32_e32 v16, v17
	s_delay_alu instid0(VALU_DEP_1) | instskip(NEXT) | instid1(VALU_DEP_1)
	v_min_u32_e32 v16, 32, v16
	v_subrev_nc_u32_e32 v17, 29, v16
	s_delay_alu instid0(VALU_DEP_1) | instskip(NEXT) | instid1(VALU_DEP_1)
	v_lshlrev_b64_e32 v[42:43], v17, v[2:3]
	v_dual_sub_nc_u32 v16, 30, v16 :: v_dual_bitop2_b32 v17, 3, v42 bitop3:0x40
; %bb.235:                              ;   in Loop: Header=BB2_132 Depth=3
	s_or_b32 exec_lo, exec_lo, s76
	v_and_b32_e32 v2, 0x80000000, v8
	s_delay_alu instid0(VALU_DEP_1) | instskip(NEXT) | instid1(VALU_DEP_1)
	v_lshl_add_u32 v2, v16, 23, v2
	v_lshl_or_b32 v2, v17, 21, v2
                                        ; implicit-def: $vgpr17
	s_delay_alu instid0(VALU_DEP_1)
	v_add_nc_u32_e32 v16, 0x38000000, v2
.LBB2_236:                              ;   in Loop: Header=BB2_132 Depth=3
	s_and_not1_saveexec_b32 s75, s75
; %bb.237:                              ;   in Loop: Header=BB2_132 Depth=3
	v_cmp_lt_i32_e32 vcc_lo, -1, v8
	v_cndmask_b32_e32 v2, 0xff800000, v111, vcc_lo
	v_cmp_eq_u32_e32 vcc_lo, 0, v17
	s_delay_alu instid0(VALU_DEP_2)
	v_cndmask_b32_e32 v16, 0x7f800001, v2, vcc_lo
; %bb.238:                              ;   in Loop: Header=BB2_132 Depth=3
	s_or_b32 exec_lo, exec_lo, s75
.LBB2_239:                              ;   in Loop: Header=BB2_132 Depth=3
	s_delay_alu instid0(SALU_CYCLE_1)
	s_or_b32 exec_lo, exec_lo, s74
.LBB2_240:                              ;   in Loop: Header=BB2_132 Depth=3
	s_delay_alu instid0(SALU_CYCLE_1) | instskip(NEXT) | instid1(VALU_DEP_1)
	s_or_b32 exec_lo, exec_lo, s13
	v_dual_mul_f32 v17, s73, v16 :: v_dual_mov_b32 v43, v3
                                        ; implicit-def: $vgpr58
	s_mov_b32 s13, exec_lo
	s_delay_alu instid0(VALU_DEP_1) | instskip(SKIP_2) | instid1(VALU_DEP_3)
	v_and_b32_e32 v42, 0x7f800000, v17
	v_and_b32_e32 v2, 0x7fffff, v17
	v_lshrrev_b32_e32 v16, 24, v17
	v_cmpx_ne_u64_e32 0x7f800000, v[42:43]
	s_xor_b32 s74, exec_lo, s13
	s_cbranch_execz .LBB2_254
; %bb.241:                              ;   in Loop: Header=BB2_132 Depth=3
	v_and_b32_e32 v42, 0x7fffffff, v17
	v_mov_b32_e32 v43, v3
	v_and_b32_e32 v16, 0x80, v16
                                        ; implicit-def: $vgpr58
	s_mov_b32 s13, exec_lo
	s_delay_alu instid0(VALU_DEP_2)
	v_cmpx_gt_u64_e32 0x47600001, v[42:43]
	s_xor_b32 s75, exec_lo, s13
	s_cbranch_execz .LBB2_251
; %bb.242:                              ;   in Loop: Header=BB2_132 Depth=3
	v_mov_b32_e32 v58, 0
	s_mov_b32 s76, exec_lo
	v_cmpx_ne_u32_e32 0, v17
	s_cbranch_execz .LBB2_250
; %bb.243:                              ;   in Loop: Header=BB2_132 Depth=3
	v_bfe_u32 v17, v17, 23, 8
	v_or_b32_e32 v19, 0x800000, v2
	s_mov_b32 s77, exec_lo
	s_delay_alu instid0(VALU_DEP_2) | instskip(SKIP_1) | instid1(VALU_DEP_2)
	v_dual_mov_b32 v45, v3 :: v_dual_sub_nc_u32 v18, 0x71, v17
	v_cmp_gt_u32_e32 vcc_lo, 0x72, v17
	v_cndmask_b32_e32 v18, 0, v18, vcc_lo
	v_cmp_eq_u32_e32 vcc_lo, 0, v17
	s_delay_alu instid0(VALU_DEP_2) | instskip(SKIP_1) | instid1(VALU_DEP_2)
	v_cndmask_b32_e64 v58, v18, 0x70, vcc_lo
	v_cndmask_b32_e32 v44, v19, v2, vcc_lo
	v_add_nc_u32_e32 v18, 21, v58
	s_delay_alu instid0(VALU_DEP_1) | instskip(SKIP_1) | instid1(VALU_DEP_1)
	v_lshlrev_b64_e64 v[42:43], v18, -1
	v_add_nc_u32_e32 v18, 20, v58
	v_lshlrev_b64_e64 v[60:61], v18, 1
	s_delay_alu instid0(VALU_DEP_3) | instskip(NEXT) | instid1(VALU_DEP_4)
	v_bfi_b32 v63, v43, 0, 0
	v_bfi_b32 v62, v42, 0, v44
	v_lshrrev_b64 v[42:43], v58, v[44:45]
	s_delay_alu instid0(VALU_DEP_1) | instskip(NEXT) | instid1(VALU_DEP_3)
	v_mov_b64_e32 v[44:45], v[42:43]
	v_cmpx_eq_u64_e64 v[62:63], v[60:61]
; %bb.244:                              ;   in Loop: Header=BB2_132 Depth=3
	v_bfe_u32 v44, v42, 21, 1
	v_mov_b32_e32 v45, v3
	s_delay_alu instid0(VALU_DEP_1) | instskip(NEXT) | instid1(VALU_DEP_1)
	v_add_nc_u64_e32 v[44:45], v[42:43], v[44:45]
	v_add_nc_u64_e32 v[44:45], -1, v[44:45]
; %bb.245:                              ;   in Loop: Header=BB2_132 Depth=3
	s_or_b32 exec_lo, exec_lo, s77
	v_add_nc_u32_e32 v2, 0xffffff81, v17
	v_lshrrev_b32_e32 v17, 23, v42
	s_mov_b32 s13, exec_lo
	s_delay_alu instid0(VALU_DEP_2) | instskip(NEXT) | instid1(VALU_DEP_1)
	v_cndmask_b32_e64 v2, v2, 0xffffff82, vcc_lo
	v_add3_u32 v45, v58, v2, v17
	v_and_b32_e32 v2, 0x1fffff, v44
                                        ; implicit-def: $vgpr17
	s_delay_alu instid0(VALU_DEP_1) | instskip(NEXT) | instid1(VALU_DEP_1)
	v_dual_add_nc_u32 v44, 14, v45 :: v_dual_add_nc_u32 v2, v2, v42
                                        ; implicit-def: $vgpr42_vgpr43
	v_cmpx_ne_u32_e32 0, v44
	s_xor_b32 s13, exec_lo, s13
; %bb.246:                              ;   in Loop: Header=BB2_132 Depth=3
	s_delay_alu instid0(VALU_DEP_2) | instskip(SKIP_2) | instid1(VALU_DEP_2)
	v_cmp_lt_u64_e32 vcc_lo, 0xffffff, v[2:3]
	v_add_nc_u32_e32 v17, 15, v45
	v_cndmask_b32_e64 v18, 0, 1, vcc_lo
	v_cndmask_b32_e32 v17, v44, v17, vcc_lo
	s_delay_alu instid0(VALU_DEP_2)
	v_lshrrev_b64 v[42:43], v18, v[2:3]
; %bb.247:                              ;   in Loop: Header=BB2_132 Depth=3
	s_and_not1_saveexec_b32 s13, s13
; %bb.248:                              ;   in Loop: Header=BB2_132 Depth=3
	v_mov_b64_e32 v[42:43], v[2:3]
	v_bfe_u32 v17, v2, 23, 1
; %bb.249:                              ;   in Loop: Header=BB2_132 Depth=3
	s_or_b32 exec_lo, exec_lo, s13
	s_delay_alu instid0(VALU_DEP_2) | instskip(NEXT) | instid1(VALU_DEP_2)
	v_lshrrev_b64 v[42:43], 21, v[42:43]
	v_cmp_gt_i32_e32 vcc_lo, 32, v17
	v_min_i32_e32 v2, 31, v17
	v_cmp_eq_u32_e64 s13, 0, v17
	s_delay_alu instid0(VALU_DEP_2) | instskip(SKIP_1) | instid1(VALU_DEP_2)
	v_dual_cndmask_b32 v43, 0, v43 :: v_dual_lshlrev_b32 v2, 2, v2
	v_cndmask_b32_e32 v42, 3, v42, vcc_lo
	v_and_b32_e32 v2, 0xfc, v2
	s_delay_alu instid0(VALU_DEP_2) | instskip(NEXT) | instid1(VALU_DEP_2)
	v_cmp_eq_u64_e32 vcc_lo, 0, v[42:43]
	v_and_or_b32 v2, v42, 3, v2
	s_and_b32 s13, s13, vcc_lo
	s_delay_alu instid0(VALU_DEP_1) | instid1(SALU_CYCLE_1)
	v_cndmask_b32_e64 v2, v2, 0, s13
	s_delay_alu instid0(VALU_DEP_1)
	v_or_b32_e32 v58, v2, v16
.LBB2_250:                              ;   in Loop: Header=BB2_132 Depth=3
	s_or_b32 exec_lo, exec_lo, s76
                                        ; implicit-def: $vgpr16
.LBB2_251:                              ;   in Loop: Header=BB2_132 Depth=3
	s_and_not1_saveexec_b32 s13, s75
; %bb.252:                              ;   in Loop: Header=BB2_132 Depth=3
	v_or_b32_e32 v58, 0x7b, v16
; %bb.253:                              ;   in Loop: Header=BB2_132 Depth=3
	s_or_b32 exec_lo, exec_lo, s13
                                        ; implicit-def: $vgpr17
                                        ; implicit-def: $vgpr16
.LBB2_254:                              ;   in Loop: Header=BB2_132 Depth=3
	s_and_not1_saveexec_b32 s13, s74
	s_cbranch_execz .LBB2_260
; %bb.255:                              ;   in Loop: Header=BB2_132 Depth=3
	s_mov_b32 s74, exec_lo
                                        ; implicit-def: $vgpr58
	v_cmpx_ne_u64_e32 0, v[2:3]
	s_xor_b32 s74, exec_lo, s74
; %bb.256:                              ;   in Loop: Header=BB2_132 Depth=3
	v_or_b32_e32 v58, 0x7f, v16
                                        ; implicit-def: $vgpr17
; %bb.257:                              ;   in Loop: Header=BB2_132 Depth=3
	s_and_not1_saveexec_b32 s74, s74
; %bb.258:                              ;   in Loop: Header=BB2_132 Depth=3
	v_cmp_lt_i32_e32 vcc_lo, -1, v17
	v_cndmask_b32_e32 v58, 0xfc, v120, vcc_lo
; %bb.259:                              ;   in Loop: Header=BB2_132 Depth=3
	s_or_b32 exec_lo, exec_lo, s74
.LBB2_260:                              ;   in Loop: Header=BB2_132 Depth=3
	s_delay_alu instid0(SALU_CYCLE_1) | instskip(SKIP_3) | instid1(VALU_DEP_2)
	s_or_b32 exec_lo, exec_lo, s13
	v_and_b32_e32 v17, 0xff, v9
	v_dual_mov_b32 v2, v9 :: v_dual_mov_b32 v16, 0
	s_mov_b32 s13, exec_lo
	v_cmpx_ne_u16_e32 0, v17
	s_cbranch_execz .LBB2_270
; %bb.261:                              ;   in Loop: Header=BB2_132 Depth=3
	v_bfrev_b32_e32 v16, 1
	s_mov_b32 s74, exec_lo
	v_cmpx_ne_u16_e32 0x80, v17
	s_cbranch_execz .LBB2_269
; %bb.262:                              ;   in Loop: Header=BB2_132 Depth=3
	v_and_b32_e32 v16, 0x7c, v9
	v_and_b32_e32 v17, 3, v9
	s_delay_alu instid0(VALU_DEP_2) | instskip(SKIP_1) | instid1(SALU_CYCLE_1)
	v_cmp_ne_u32_e32 vcc_lo, 0x7c, v16
                                        ; implicit-def: $vgpr16
	s_and_saveexec_b32 s75, vcc_lo
	s_xor_b32 s75, exec_lo, s75
	s_cbranch_execz .LBB2_266
; %bb.263:                              ;   in Loop: Header=BB2_132 Depth=3
	v_bfe_u32 v16, v9, 2, 5
	s_mov_b32 s76, exec_lo
	s_delay_alu instid0(VALU_DEP_1)
	v_cmpx_eq_u32_e32 0, v16
; %bb.264:                              ;   in Loop: Header=BB2_132 Depth=3
	v_clz_i32_u32_e32 v16, v17
	s_delay_alu instid0(VALU_DEP_1) | instskip(NEXT) | instid1(VALU_DEP_1)
	v_min_u32_e32 v16, 32, v16
	v_subrev_nc_u32_e32 v17, 29, v16
	s_delay_alu instid0(VALU_DEP_1) | instskip(NEXT) | instid1(VALU_DEP_1)
	v_lshlrev_b64_e32 v[42:43], v17, v[2:3]
	v_dual_sub_nc_u32 v16, 30, v16 :: v_dual_bitop2_b32 v17, 3, v42 bitop3:0x40
; %bb.265:                              ;   in Loop: Header=BB2_132 Depth=3
	s_or_b32 exec_lo, exec_lo, s76
	v_lshlrev_b32_e32 v18, 24, v9
	s_delay_alu instid0(VALU_DEP_1) | instskip(NEXT) | instid1(VALU_DEP_1)
	v_and_b32_e32 v18, 0x80000000, v18
	v_lshl_add_u32 v16, v16, 23, v18
	s_delay_alu instid0(VALU_DEP_1) | instskip(NEXT) | instid1(VALU_DEP_1)
	v_lshl_or_b32 v16, v17, 21, v16
                                        ; implicit-def: $vgpr17
	v_add_nc_u32_e32 v16, 0x38000000, v16
.LBB2_266:                              ;   in Loop: Header=BB2_132 Depth=3
	s_and_not1_saveexec_b32 s75, s75
; %bb.267:                              ;   in Loop: Header=BB2_132 Depth=3
	v_bfe_i32 v16, v9, 0, 8
	s_delay_alu instid0(VALU_DEP_1) | instskip(SKIP_2) | instid1(VALU_DEP_2)
	v_cmp_lt_i16_e32 vcc_lo, -1, v16
	v_cndmask_b32_e32 v16, 0xff800000, v111, vcc_lo
	v_cmp_eq_u32_e32 vcc_lo, 0, v17
	v_cndmask_b32_e32 v16, 0x7f800001, v16, vcc_lo
; %bb.268:                              ;   in Loop: Header=BB2_132 Depth=3
	s_or_b32 exec_lo, exec_lo, s75
.LBB2_269:                              ;   in Loop: Header=BB2_132 Depth=3
	s_delay_alu instid0(SALU_CYCLE_1)
	s_or_b32 exec_lo, exec_lo, s74
.LBB2_270:                              ;   in Loop: Header=BB2_132 Depth=3
	s_delay_alu instid0(SALU_CYCLE_1) | instskip(NEXT) | instid1(VALU_DEP_1)
	s_or_b32 exec_lo, exec_lo, s13
	v_dual_mul_f32 v17, s73, v16 :: v_dual_mov_b32 v45, v3
	v_mov_b32_e32 v43, v3
                                        ; implicit-def: $vgpr59
	s_mov_b32 s13, exec_lo
	s_delay_alu instid0(VALU_DEP_2) | instskip(SKIP_2) | instid1(VALU_DEP_3)
	v_and_b32_e32 v44, 0x7f800000, v17
	v_and_b32_e32 v42, 0x7fffff, v17
	v_lshrrev_b32_e32 v16, 24, v17
	v_cmpx_ne_u64_e32 0x7f800000, v[44:45]
	s_xor_b32 s74, exec_lo, s13
	s_cbranch_execz .LBB2_284
; %bb.271:                              ;   in Loop: Header=BB2_132 Depth=3
	v_and_b32_e32 v44, 0x7fffffff, v17
	v_mov_b32_e32 v45, v3
	v_and_b32_e32 v16, 0x80, v16
                                        ; implicit-def: $vgpr59
	s_mov_b32 s13, exec_lo
	s_delay_alu instid0(VALU_DEP_2)
	v_cmpx_gt_u64_e32 0x47600001, v[44:45]
	s_xor_b32 s75, exec_lo, s13
	s_cbranch_execz .LBB2_281
; %bb.272:                              ;   in Loop: Header=BB2_132 Depth=3
	v_mov_b32_e32 v59, 0
	s_mov_b32 s76, exec_lo
	v_cmpx_ne_u32_e32 0, v17
	s_cbranch_execz .LBB2_280
; %bb.273:                              ;   in Loop: Header=BB2_132 Depth=3
	v_bfe_u32 v17, v17, 23, 8
	v_or_b32_e32 v19, 0x800000, v42
	s_delay_alu instid0(VALU_DEP_2) | instskip(SKIP_1) | instid1(VALU_DEP_2)
	v_sub_nc_u32_e32 v18, 0x71, v17
	v_cmp_gt_u32_e32 vcc_lo, 0x72, v17
	v_cndmask_b32_e32 v18, 0, v18, vcc_lo
	v_cmp_eq_u32_e32 vcc_lo, 0, v17
	s_delay_alu instid0(VALU_DEP_2) | instskip(NEXT) | instid1(VALU_DEP_1)
	v_cndmask_b32_e64 v59, v18, 0x70, vcc_lo
	v_dual_cndmask_b32 v42, v19, v42, vcc_lo :: v_dual_add_nc_u32 v18, 21, v59
	s_delay_alu instid0(VALU_DEP_1) | instskip(SKIP_1) | instid1(VALU_DEP_1)
	v_lshlrev_b64_e64 v[44:45], v18, -1
	v_add_nc_u32_e32 v18, 20, v59
	v_lshlrev_b64_e64 v[60:61], v18, 1
	s_delay_alu instid0(VALU_DEP_3) | instskip(SKIP_2) | instid1(VALU_DEP_1)
	v_bfi_b32 v44, v44, 0, v42
	v_lshrrev_b64 v[42:43], v59, v[42:43]
	v_bfi_b32 v45, v45, 0, 0
	v_cmp_eq_u64_e64 s13, v[44:45], v[60:61]
	s_delay_alu instid0(VALU_DEP_3)
	v_mov_b64_e32 v[44:45], v[42:43]
	s_and_saveexec_b32 s77, s13
; %bb.274:                              ;   in Loop: Header=BB2_132 Depth=3
	v_bfe_u32 v44, v42, 21, 1
	v_mov_b32_e32 v45, v3
	s_delay_alu instid0(VALU_DEP_1) | instskip(NEXT) | instid1(VALU_DEP_1)
	v_add_nc_u64_e32 v[44:45], v[42:43], v[44:45]
	v_add_nc_u64_e32 v[44:45], -1, v[44:45]
; %bb.275:                              ;   in Loop: Header=BB2_132 Depth=3
	s_or_b32 exec_lo, exec_lo, s77
	v_add_nc_u32_e32 v17, 0xffffff81, v17
	v_lshrrev_b32_e32 v18, 23, v42
	s_mov_b32 s13, exec_lo
	v_mov_b32_e32 v43, v3
	s_delay_alu instid0(VALU_DEP_3) | instskip(NEXT) | instid1(VALU_DEP_1)
	v_cndmask_b32_e64 v17, v17, 0xffffff82, vcc_lo
	v_add3_u32 v45, v59, v17, v18
	v_and_b32_e32 v17, 0x1fffff, v44
	s_delay_alu instid0(VALU_DEP_1) | instskip(NEXT) | instid1(VALU_DEP_1)
	v_dual_add_nc_u32 v44, 14, v45 :: v_dual_add_nc_u32 v42, v17, v42
                                        ; implicit-def: $vgpr17
	v_cmpx_ne_u32_e32 0, v44
	s_xor_b32 s13, exec_lo, s13
; %bb.276:                              ;   in Loop: Header=BB2_132 Depth=3
	s_delay_alu instid0(VALU_DEP_2) | instskip(SKIP_2) | instid1(VALU_DEP_2)
	v_cmp_lt_u64_e32 vcc_lo, 0xffffff, v[42:43]
	v_add_nc_u32_e32 v17, 15, v45
	v_cndmask_b32_e64 v18, 0, 1, vcc_lo
	v_cndmask_b32_e32 v17, v44, v17, vcc_lo
	s_delay_alu instid0(VALU_DEP_2)
	v_lshrrev_b64 v[42:43], v18, v[42:43]
; %bb.277:                              ;   in Loop: Header=BB2_132 Depth=3
	s_and_not1_saveexec_b32 s13, s13
; %bb.278:                              ;   in Loop: Header=BB2_132 Depth=3
	s_delay_alu instid0(VALU_DEP_1)
	v_bfe_u32 v17, v42, 23, 1
; %bb.279:                              ;   in Loop: Header=BB2_132 Depth=3
	s_or_b32 exec_lo, exec_lo, s13
	s_delay_alu instid0(VALU_DEP_2) | instskip(NEXT) | instid1(VALU_DEP_2)
	v_lshrrev_b64 v[42:43], 21, v[42:43]
	v_cmp_gt_i32_e32 vcc_lo, 32, v17
	v_min_i32_e32 v18, 31, v17
	v_cmp_eq_u32_e64 s13, 0, v17
	s_delay_alu instid0(VALU_DEP_2) | instskip(SKIP_1) | instid1(VALU_DEP_2)
	v_dual_cndmask_b32 v43, 0, v43 :: v_dual_lshlrev_b32 v18, 2, v18
	v_cndmask_b32_e32 v42, 3, v42, vcc_lo
	v_and_b32_e32 v18, 0xfc, v18
	s_delay_alu instid0(VALU_DEP_2) | instskip(NEXT) | instid1(VALU_DEP_2)
	v_cmp_eq_u64_e32 vcc_lo, 0, v[42:43]
	v_and_or_b32 v17, v42, 3, v18
	s_and_b32 s13, s13, vcc_lo
	s_delay_alu instid0(VALU_DEP_1) | instid1(SALU_CYCLE_1)
	v_cndmask_b32_e64 v17, v17, 0, s13
	s_delay_alu instid0(VALU_DEP_1)
	v_or_b32_e32 v59, v17, v16
.LBB2_280:                              ;   in Loop: Header=BB2_132 Depth=3
	s_or_b32 exec_lo, exec_lo, s76
                                        ; implicit-def: $vgpr16
.LBB2_281:                              ;   in Loop: Header=BB2_132 Depth=3
	s_and_not1_saveexec_b32 s13, s75
; %bb.282:                              ;   in Loop: Header=BB2_132 Depth=3
	v_or_b32_e32 v59, 0x7b, v16
; %bb.283:                              ;   in Loop: Header=BB2_132 Depth=3
	s_or_b32 exec_lo, exec_lo, s13
                                        ; implicit-def: $vgpr17
                                        ; implicit-def: $vgpr42_vgpr43
                                        ; implicit-def: $vgpr16
.LBB2_284:                              ;   in Loop: Header=BB2_132 Depth=3
	s_and_not1_saveexec_b32 s13, s74
	s_cbranch_execz .LBB2_290
; %bb.285:                              ;   in Loop: Header=BB2_132 Depth=3
	s_mov_b32 s74, exec_lo
                                        ; implicit-def: $vgpr59
	v_cmpx_ne_u64_e32 0, v[42:43]
	s_xor_b32 s74, exec_lo, s74
; %bb.286:                              ;   in Loop: Header=BB2_132 Depth=3
	v_or_b32_e32 v59, 0x7f, v16
                                        ; implicit-def: $vgpr17
; %bb.287:                              ;   in Loop: Header=BB2_132 Depth=3
	s_and_not1_saveexec_b32 s74, s74
; %bb.288:                              ;   in Loop: Header=BB2_132 Depth=3
	v_cmp_lt_i32_e32 vcc_lo, -1, v17
	v_cndmask_b32_e32 v59, 0xfc, v120, vcc_lo
; %bb.289:                              ;   in Loop: Header=BB2_132 Depth=3
	s_or_b32 exec_lo, exec_lo, s74
.LBB2_290:                              ;   in Loop: Header=BB2_132 Depth=3
	s_delay_alu instid0(SALU_CYCLE_1) | instskip(SKIP_3) | instid1(VALU_DEP_2)
	s_or_b32 exec_lo, exec_lo, s13
	v_lshrrev_b16 v42, 8, v2
	v_mov_b32_e32 v17, 0
	s_mov_b32 s13, exec_lo
	v_cmpx_ne_u16_e32 0, v42
	s_cbranch_execz .LBB2_300
; %bb.291:                              ;   in Loop: Header=BB2_132 Depth=3
	v_bfrev_b32_e32 v17, 1
	s_mov_b32 s74, exec_lo
	v_cmpx_ne_u16_e32 0x80, v42
	s_cbranch_execz .LBB2_299
; %bb.292:                              ;   in Loop: Header=BB2_132 Depth=3
	v_and_b32_e32 v43, 0xffff, v42
	s_delay_alu instid0(VALU_DEP_1) | instskip(SKIP_1) | instid1(VALU_DEP_2)
	v_and_b32_e32 v17, 0x7c, v43
	v_and_b32_e32 v16, 3, v43
	v_cmp_ne_u32_e32 vcc_lo, 0x7c, v17
                                        ; implicit-def: $vgpr17
	s_and_saveexec_b32 s75, vcc_lo
	s_delay_alu instid0(SALU_CYCLE_1)
	s_xor_b32 s75, exec_lo, s75
	s_cbranch_execz .LBB2_296
; %bb.293:                              ;   in Loop: Header=BB2_132 Depth=3
	v_bfe_u32 v17, v43, 2, 5
	s_mov_b32 s76, exec_lo
	s_delay_alu instid0(VALU_DEP_1)
	v_cmpx_eq_u32_e32 0, v17
; %bb.294:                              ;   in Loop: Header=BB2_132 Depth=3
	v_clz_i32_u32_e32 v16, v16
	s_delay_alu instid0(VALU_DEP_1) | instskip(SKIP_1) | instid1(VALU_DEP_2)
	v_min_u32_e32 v18, 32, v16
	v_mov_b32_e32 v43, v3
	v_subrev_nc_u32_e32 v16, 29, v18
	s_delay_alu instid0(VALU_DEP_1) | instskip(NEXT) | instid1(VALU_DEP_1)
	v_lshlrev_b64_e32 v[16:17], v16, v[42:43]
	v_dual_sub_nc_u32 v17, 30, v18 :: v_dual_bitop2_b32 v16, 3, v16 bitop3:0x40
; %bb.295:                              ;   in Loop: Header=BB2_132 Depth=3
	s_or_b32 exec_lo, exec_lo, s76
	v_lshlrev_b32_e32 v2, 16, v2
	s_delay_alu instid0(VALU_DEP_1) | instskip(NEXT) | instid1(VALU_DEP_1)
	v_and_b32_e32 v2, 0x80000000, v2
	v_lshl_add_u32 v2, v17, 23, v2
	s_delay_alu instid0(VALU_DEP_1) | instskip(NEXT) | instid1(VALU_DEP_1)
	v_lshl_or_b32 v2, v16, 21, v2
                                        ; implicit-def: $vgpr16
	v_add_nc_u32_e32 v17, 0x38000000, v2
.LBB2_296:                              ;   in Loop: Header=BB2_132 Depth=3
	s_and_not1_saveexec_b32 s75, s75
; %bb.297:                              ;   in Loop: Header=BB2_132 Depth=3
	v_cmp_lt_i16_e32 vcc_lo, -1, v2
	v_cndmask_b32_e32 v2, 0xff800000, v111, vcc_lo
	v_cmp_eq_u32_e32 vcc_lo, 0, v16
	s_delay_alu instid0(VALU_DEP_2)
	v_cndmask_b32_e32 v17, 0x7f800001, v2, vcc_lo
; %bb.298:                              ;   in Loop: Header=BB2_132 Depth=3
	s_or_b32 exec_lo, exec_lo, s75
.LBB2_299:                              ;   in Loop: Header=BB2_132 Depth=3
	s_delay_alu instid0(SALU_CYCLE_1)
	s_or_b32 exec_lo, exec_lo, s74
.LBB2_300:                              ;   in Loop: Header=BB2_132 Depth=3
	s_delay_alu instid0(SALU_CYCLE_1) | instskip(NEXT) | instid1(VALU_DEP_1)
	s_or_b32 exec_lo, exec_lo, s13
	v_dual_mul_f32 v17, s73, v17 :: v_dual_mov_b32 v43, v3
                                        ; implicit-def: $vgpr60
	s_mov_b32 s13, exec_lo
	s_delay_alu instid0(VALU_DEP_1) | instskip(SKIP_2) | instid1(VALU_DEP_3)
	v_and_b32_e32 v42, 0x7f800000, v17
	v_and_b32_e32 v2, 0x7fffff, v17
	v_lshrrev_b32_e32 v16, 24, v17
	v_cmpx_ne_u64_e32 0x7f800000, v[42:43]
	s_xor_b32 s74, exec_lo, s13
	s_cbranch_execz .LBB2_314
; %bb.301:                              ;   in Loop: Header=BB2_132 Depth=3
	v_and_b32_e32 v42, 0x7fffffff, v17
	v_mov_b32_e32 v43, v3
	v_and_b32_e32 v16, 0x80, v16
                                        ; implicit-def: $vgpr60
	s_mov_b32 s13, exec_lo
	s_delay_alu instid0(VALU_DEP_2)
	v_cmpx_gt_u64_e32 0x47600001, v[42:43]
	s_xor_b32 s75, exec_lo, s13
	s_cbranch_execz .LBB2_311
; %bb.302:                              ;   in Loop: Header=BB2_132 Depth=3
	v_mov_b32_e32 v60, 0
	s_mov_b32 s76, exec_lo
	v_cmpx_ne_u32_e32 0, v17
	s_cbranch_execz .LBB2_310
; %bb.303:                              ;   in Loop: Header=BB2_132 Depth=3
	v_bfe_u32 v17, v17, 23, 8
	v_or_b32_e32 v19, 0x800000, v2
	s_mov_b32 s77, exec_lo
	s_delay_alu instid0(VALU_DEP_2) | instskip(SKIP_1) | instid1(VALU_DEP_2)
	v_dual_mov_b32 v45, v3 :: v_dual_sub_nc_u32 v18, 0x71, v17
	v_cmp_gt_u32_e32 vcc_lo, 0x72, v17
	v_cndmask_b32_e32 v18, 0, v18, vcc_lo
	v_cmp_eq_u32_e32 vcc_lo, 0, v17
	s_delay_alu instid0(VALU_DEP_2) | instskip(NEXT) | instid1(VALU_DEP_1)
	v_cndmask_b32_e64 v60, v18, 0x70, vcc_lo
	v_dual_cndmask_b32 v44, v19, v2, vcc_lo :: v_dual_add_nc_u32 v18, 21, v60
	s_delay_alu instid0(VALU_DEP_1) | instskip(SKIP_1) | instid1(VALU_DEP_1)
	v_lshlrev_b64_e64 v[42:43], v18, -1
	v_add_nc_u32_e32 v18, 20, v60
	v_lshlrev_b64_e64 v[62:63], v18, 1
	s_delay_alu instid0(VALU_DEP_3) | instskip(NEXT) | instid1(VALU_DEP_4)
	v_bfi_b32 v73, v43, 0, 0
	v_bfi_b32 v72, v42, 0, v44
	v_lshrrev_b64 v[42:43], v60, v[44:45]
	s_delay_alu instid0(VALU_DEP_1) | instskip(NEXT) | instid1(VALU_DEP_3)
	v_mov_b64_e32 v[44:45], v[42:43]
	v_cmpx_eq_u64_e64 v[72:73], v[62:63]
; %bb.304:                              ;   in Loop: Header=BB2_132 Depth=3
	v_bfe_u32 v44, v42, 21, 1
	v_mov_b32_e32 v45, v3
	s_delay_alu instid0(VALU_DEP_1) | instskip(NEXT) | instid1(VALU_DEP_1)
	v_add_nc_u64_e32 v[44:45], v[42:43], v[44:45]
	v_add_nc_u64_e32 v[44:45], -1, v[44:45]
; %bb.305:                              ;   in Loop: Header=BB2_132 Depth=3
	s_or_b32 exec_lo, exec_lo, s77
	v_add_nc_u32_e32 v2, 0xffffff81, v17
	v_lshrrev_b32_e32 v17, 23, v42
	s_mov_b32 s13, exec_lo
	s_delay_alu instid0(VALU_DEP_2) | instskip(NEXT) | instid1(VALU_DEP_1)
	v_cndmask_b32_e64 v2, v2, 0xffffff82, vcc_lo
	v_add3_u32 v45, v60, v2, v17
	v_and_b32_e32 v2, 0x1fffff, v44
                                        ; implicit-def: $vgpr17
	s_delay_alu instid0(VALU_DEP_1) | instskip(NEXT) | instid1(VALU_DEP_1)
	v_dual_add_nc_u32 v44, 14, v45 :: v_dual_add_nc_u32 v2, v2, v42
                                        ; implicit-def: $vgpr42_vgpr43
	v_cmpx_ne_u32_e32 0, v44
	s_xor_b32 s13, exec_lo, s13
; %bb.306:                              ;   in Loop: Header=BB2_132 Depth=3
	s_delay_alu instid0(VALU_DEP_2) | instskip(SKIP_2) | instid1(VALU_DEP_2)
	v_cmp_lt_u64_e32 vcc_lo, 0xffffff, v[2:3]
	v_add_nc_u32_e32 v17, 15, v45
	v_cndmask_b32_e64 v18, 0, 1, vcc_lo
	v_cndmask_b32_e32 v17, v44, v17, vcc_lo
	s_delay_alu instid0(VALU_DEP_2)
	v_lshrrev_b64 v[42:43], v18, v[2:3]
; %bb.307:                              ;   in Loop: Header=BB2_132 Depth=3
	s_and_not1_saveexec_b32 s13, s13
; %bb.308:                              ;   in Loop: Header=BB2_132 Depth=3
	v_mov_b64_e32 v[42:43], v[2:3]
	v_bfe_u32 v17, v2, 23, 1
; %bb.309:                              ;   in Loop: Header=BB2_132 Depth=3
	s_or_b32 exec_lo, exec_lo, s13
	s_delay_alu instid0(VALU_DEP_2) | instskip(NEXT) | instid1(VALU_DEP_2)
	v_lshrrev_b64 v[42:43], 21, v[42:43]
	v_cmp_gt_i32_e32 vcc_lo, 32, v17
	v_min_i32_e32 v2, 31, v17
	v_cmp_eq_u32_e64 s13, 0, v17
	s_delay_alu instid0(VALU_DEP_2) | instskip(SKIP_1) | instid1(VALU_DEP_2)
	v_dual_cndmask_b32 v43, 0, v43 :: v_dual_lshlrev_b32 v2, 2, v2
	v_cndmask_b32_e32 v42, 3, v42, vcc_lo
	v_and_b32_e32 v2, 0xfc, v2
	s_delay_alu instid0(VALU_DEP_2) | instskip(NEXT) | instid1(VALU_DEP_2)
	v_cmp_eq_u64_e32 vcc_lo, 0, v[42:43]
	v_and_or_b32 v2, v42, 3, v2
	s_and_b32 s13, s13, vcc_lo
	s_delay_alu instid0(VALU_DEP_1) | instid1(SALU_CYCLE_1)
	v_cndmask_b32_e64 v2, v2, 0, s13
	s_delay_alu instid0(VALU_DEP_1)
	v_or_b32_e32 v60, v2, v16
.LBB2_310:                              ;   in Loop: Header=BB2_132 Depth=3
	s_or_b32 exec_lo, exec_lo, s76
                                        ; implicit-def: $vgpr16
.LBB2_311:                              ;   in Loop: Header=BB2_132 Depth=3
	s_and_not1_saveexec_b32 s13, s75
; %bb.312:                              ;   in Loop: Header=BB2_132 Depth=3
	v_or_b32_e32 v60, 0x7b, v16
; %bb.313:                              ;   in Loop: Header=BB2_132 Depth=3
	s_or_b32 exec_lo, exec_lo, s13
                                        ; implicit-def: $vgpr17
                                        ; implicit-def: $vgpr16
.LBB2_314:                              ;   in Loop: Header=BB2_132 Depth=3
	s_and_not1_saveexec_b32 s13, s74
	s_cbranch_execz .LBB2_320
; %bb.315:                              ;   in Loop: Header=BB2_132 Depth=3
	s_mov_b32 s74, exec_lo
                                        ; implicit-def: $vgpr60
	v_cmpx_ne_u64_e32 0, v[2:3]
	s_xor_b32 s74, exec_lo, s74
; %bb.316:                              ;   in Loop: Header=BB2_132 Depth=3
	v_or_b32_e32 v60, 0x7f, v16
                                        ; implicit-def: $vgpr17
; %bb.317:                              ;   in Loop: Header=BB2_132 Depth=3
	s_and_not1_saveexec_b32 s74, s74
; %bb.318:                              ;   in Loop: Header=BB2_132 Depth=3
	v_cmp_lt_i32_e32 vcc_lo, -1, v17
	v_cndmask_b32_e32 v60, 0xfc, v120, vcc_lo
; %bb.319:                              ;   in Loop: Header=BB2_132 Depth=3
	s_or_b32 exec_lo, exec_lo, s74
.LBB2_320:                              ;   in Loop: Header=BB2_132 Depth=3
	s_delay_alu instid0(SALU_CYCLE_1) | instskip(SKIP_2) | instid1(VALU_DEP_1)
	s_or_b32 exec_lo, exec_lo, s13
	v_dual_lshrrev_b32 v2, 16, v9 :: v_dual_mov_b32 v16, 0
	s_mov_b32 s13, exec_lo
	v_and_b32_e32 v17, 0xff, v2
	s_delay_alu instid0(VALU_DEP_1)
	v_cmpx_ne_u16_e32 0, v17
	s_cbranch_execz .LBB2_330
; %bb.321:                              ;   in Loop: Header=BB2_132 Depth=3
	v_bfrev_b32_e32 v16, 1
	s_mov_b32 s74, exec_lo
	v_cmpx_ne_u16_e32 0x80, v17
	s_cbranch_execz .LBB2_329
; %bb.322:                              ;   in Loop: Header=BB2_132 Depth=3
	v_and_b32_e32 v16, 0x7c0000, v9
	v_bfe_u32 v17, v9, 16, 2
	s_delay_alu instid0(VALU_DEP_2) | instskip(SKIP_1) | instid1(SALU_CYCLE_1)
	v_cmp_ne_u32_e32 vcc_lo, 0x7c0000, v16
                                        ; implicit-def: $vgpr16
	s_and_saveexec_b32 s75, vcc_lo
	s_xor_b32 s75, exec_lo, s75
	s_cbranch_execz .LBB2_326
; %bb.323:                              ;   in Loop: Header=BB2_132 Depth=3
	v_bfe_u32 v16, v9, 18, 5
	s_mov_b32 s76, exec_lo
	s_delay_alu instid0(VALU_DEP_1)
	v_cmpx_eq_u32_e32 0, v16
; %bb.324:                              ;   in Loop: Header=BB2_132 Depth=3
	v_clz_i32_u32_e32 v16, v17
	s_delay_alu instid0(VALU_DEP_1) | instskip(NEXT) | instid1(VALU_DEP_1)
	v_min_u32_e32 v16, 32, v16
	v_subrev_nc_u32_e32 v17, 29, v16
	s_delay_alu instid0(VALU_DEP_1) | instskip(NEXT) | instid1(VALU_DEP_1)
	v_lshlrev_b64_e32 v[42:43], v17, v[2:3]
	v_dual_sub_nc_u32 v16, 30, v16 :: v_dual_bitop2_b32 v17, 3, v42 bitop3:0x40
; %bb.325:                              ;   in Loop: Header=BB2_132 Depth=3
	s_or_b32 exec_lo, exec_lo, s76
	v_lshlrev_b32_e32 v2, 24, v2
	s_delay_alu instid0(VALU_DEP_1) | instskip(NEXT) | instid1(VALU_DEP_1)
	v_and_b32_e32 v2, 0x80000000, v2
	v_lshl_add_u32 v2, v16, 23, v2
	s_delay_alu instid0(VALU_DEP_1) | instskip(NEXT) | instid1(VALU_DEP_1)
	v_lshl_or_b32 v2, v17, 21, v2
                                        ; implicit-def: $vgpr17
	v_add_nc_u32_e32 v16, 0x38000000, v2
                                        ; implicit-def: $vgpr2
.LBB2_326:                              ;   in Loop: Header=BB2_132 Depth=3
	s_and_not1_saveexec_b32 s75, s75
; %bb.327:                              ;   in Loop: Header=BB2_132 Depth=3
	v_bfe_i32 v2, v2, 0, 8
	s_delay_alu instid0(VALU_DEP_1) | instskip(SKIP_2) | instid1(VALU_DEP_2)
	v_cmp_lt_i16_e32 vcc_lo, -1, v2
	v_cndmask_b32_e32 v2, 0xff800000, v111, vcc_lo
	v_cmp_eq_u32_e32 vcc_lo, 0, v17
	v_cndmask_b32_e32 v16, 0x7f800001, v2, vcc_lo
; %bb.328:                              ;   in Loop: Header=BB2_132 Depth=3
	s_or_b32 exec_lo, exec_lo, s75
.LBB2_329:                              ;   in Loop: Header=BB2_132 Depth=3
	s_delay_alu instid0(SALU_CYCLE_1)
	s_or_b32 exec_lo, exec_lo, s74
.LBB2_330:                              ;   in Loop: Header=BB2_132 Depth=3
	s_delay_alu instid0(SALU_CYCLE_1) | instskip(NEXT) | instid1(VALU_DEP_1)
	s_or_b32 exec_lo, exec_lo, s13
	v_dual_mul_f32 v17, s73, v16 :: v_dual_mov_b32 v43, v3
                                        ; implicit-def: $vgpr44
	s_mov_b32 s13, exec_lo
	s_delay_alu instid0(VALU_DEP_1) | instskip(SKIP_2) | instid1(VALU_DEP_3)
	v_and_b32_e32 v42, 0x7f800000, v17
	v_and_b32_e32 v2, 0x7fffff, v17
	v_lshrrev_b32_e32 v16, 24, v17
	v_cmpx_ne_u64_e32 0x7f800000, v[42:43]
	s_xor_b32 s74, exec_lo, s13
	s_cbranch_execz .LBB2_344
; %bb.331:                              ;   in Loop: Header=BB2_132 Depth=3
	v_and_b32_e32 v42, 0x7fffffff, v17
	v_mov_b32_e32 v43, v3
	v_and_b32_e32 v16, 0x80, v16
                                        ; implicit-def: $vgpr44
	s_mov_b32 s13, exec_lo
	s_delay_alu instid0(VALU_DEP_2)
	v_cmpx_gt_u64_e32 0x47600001, v[42:43]
	s_xor_b32 s75, exec_lo, s13
	s_cbranch_execz .LBB2_341
; %bb.332:                              ;   in Loop: Header=BB2_132 Depth=3
	v_mov_b32_e32 v44, 0
	s_mov_b32 s76, exec_lo
	v_cmpx_ne_u32_e32 0, v17
	s_cbranch_execz .LBB2_340
; %bb.333:                              ;   in Loop: Header=BB2_132 Depth=3
	v_bfe_u32 v17, v17, 23, 8
	v_or_b32_e32 v19, 0x800000, v2
	s_mov_b32 s77, exec_lo
	s_delay_alu instid0(VALU_DEP_2) | instskip(SKIP_1) | instid1(VALU_DEP_2)
	v_dual_mov_b32 v45, v3 :: v_dual_sub_nc_u32 v18, 0x71, v17
	v_cmp_gt_u32_e32 vcc_lo, 0x72, v17
	v_cndmask_b32_e32 v18, 0, v18, vcc_lo
	v_cmp_eq_u32_e32 vcc_lo, 0, v17
	s_delay_alu instid0(VALU_DEP_2) | instskip(NEXT) | instid1(VALU_DEP_1)
	v_cndmask_b32_e64 v61, v18, 0x70, vcc_lo
	v_dual_cndmask_b32 v44, v19, v2, vcc_lo :: v_dual_add_nc_u32 v18, 21, v61
	s_delay_alu instid0(VALU_DEP_1) | instskip(SKIP_1) | instid1(VALU_DEP_1)
	v_lshlrev_b64_e64 v[42:43], v18, -1
	v_add_nc_u32_e32 v18, 20, v61
	v_lshlrev_b64_e64 v[62:63], v18, 1
	s_delay_alu instid0(VALU_DEP_3) | instskip(NEXT) | instid1(VALU_DEP_4)
	v_bfi_b32 v73, v43, 0, 0
	v_bfi_b32 v72, v42, 0, v44
	v_lshrrev_b64 v[42:43], v61, v[44:45]
	s_delay_alu instid0(VALU_DEP_1) | instskip(NEXT) | instid1(VALU_DEP_3)
	v_mov_b64_e32 v[44:45], v[42:43]
	v_cmpx_eq_u64_e64 v[72:73], v[62:63]
; %bb.334:                              ;   in Loop: Header=BB2_132 Depth=3
	v_bfe_u32 v44, v42, 21, 1
	v_mov_b32_e32 v45, v3
	s_delay_alu instid0(VALU_DEP_1) | instskip(NEXT) | instid1(VALU_DEP_1)
	v_add_nc_u64_e32 v[44:45], v[42:43], v[44:45]
	v_add_nc_u64_e32 v[44:45], -1, v[44:45]
; %bb.335:                              ;   in Loop: Header=BB2_132 Depth=3
	s_or_b32 exec_lo, exec_lo, s77
	v_add_nc_u32_e32 v2, 0xffffff81, v17
	v_lshrrev_b32_e32 v17, 23, v42
	s_mov_b32 s13, exec_lo
	s_delay_alu instid0(VALU_DEP_2) | instskip(NEXT) | instid1(VALU_DEP_1)
	v_cndmask_b32_e64 v2, v2, 0xffffff82, vcc_lo
	v_add3_u32 v45, v61, v2, v17
	v_and_b32_e32 v2, 0x1fffff, v44
                                        ; implicit-def: $vgpr17
	s_delay_alu instid0(VALU_DEP_1) | instskip(NEXT) | instid1(VALU_DEP_1)
	v_dual_add_nc_u32 v44, 14, v45 :: v_dual_add_nc_u32 v2, v2, v42
                                        ; implicit-def: $vgpr42_vgpr43
	v_cmpx_ne_u32_e32 0, v44
	s_xor_b32 s13, exec_lo, s13
; %bb.336:                              ;   in Loop: Header=BB2_132 Depth=3
	s_delay_alu instid0(VALU_DEP_2) | instskip(SKIP_2) | instid1(VALU_DEP_2)
	v_cmp_lt_u64_e32 vcc_lo, 0xffffff, v[2:3]
	v_add_nc_u32_e32 v17, 15, v45
	v_cndmask_b32_e64 v18, 0, 1, vcc_lo
	v_cndmask_b32_e32 v17, v44, v17, vcc_lo
	s_delay_alu instid0(VALU_DEP_2)
	v_lshrrev_b64 v[42:43], v18, v[2:3]
; %bb.337:                              ;   in Loop: Header=BB2_132 Depth=3
	s_and_not1_saveexec_b32 s13, s13
; %bb.338:                              ;   in Loop: Header=BB2_132 Depth=3
	v_mov_b64_e32 v[42:43], v[2:3]
	v_bfe_u32 v17, v2, 23, 1
; %bb.339:                              ;   in Loop: Header=BB2_132 Depth=3
	s_or_b32 exec_lo, exec_lo, s13
	s_delay_alu instid0(VALU_DEP_2) | instskip(NEXT) | instid1(VALU_DEP_2)
	v_lshrrev_b64 v[42:43], 21, v[42:43]
	v_cmp_gt_i32_e32 vcc_lo, 32, v17
	v_min_i32_e32 v2, 31, v17
	v_cmp_eq_u32_e64 s13, 0, v17
	s_delay_alu instid0(VALU_DEP_2) | instskip(SKIP_1) | instid1(VALU_DEP_2)
	v_dual_cndmask_b32 v43, 0, v43 :: v_dual_lshlrev_b32 v2, 2, v2
	v_cndmask_b32_e32 v42, 3, v42, vcc_lo
	v_and_b32_e32 v2, 0xfc, v2
	s_delay_alu instid0(VALU_DEP_2) | instskip(NEXT) | instid1(VALU_DEP_2)
	v_cmp_eq_u64_e32 vcc_lo, 0, v[42:43]
	v_and_or_b32 v2, v42, 3, v2
	s_and_b32 s13, s13, vcc_lo
	s_delay_alu instid0(VALU_DEP_1) | instid1(SALU_CYCLE_1)
	v_cndmask_b32_e64 v2, v2, 0, s13
	s_delay_alu instid0(VALU_DEP_1)
	v_or_b32_e32 v44, v2, v16
.LBB2_340:                              ;   in Loop: Header=BB2_132 Depth=3
	s_or_b32 exec_lo, exec_lo, s76
                                        ; implicit-def: $vgpr16
.LBB2_341:                              ;   in Loop: Header=BB2_132 Depth=3
	s_and_not1_saveexec_b32 s13, s75
; %bb.342:                              ;   in Loop: Header=BB2_132 Depth=3
	v_or_b32_e32 v44, 0x7b, v16
; %bb.343:                              ;   in Loop: Header=BB2_132 Depth=3
	s_or_b32 exec_lo, exec_lo, s13
                                        ; implicit-def: $vgpr17
                                        ; implicit-def: $vgpr16
.LBB2_344:                              ;   in Loop: Header=BB2_132 Depth=3
	s_and_not1_saveexec_b32 s13, s74
	s_cbranch_execz .LBB2_350
; %bb.345:                              ;   in Loop: Header=BB2_132 Depth=3
	s_mov_b32 s74, exec_lo
                                        ; implicit-def: $vgpr44
	v_cmpx_ne_u64_e32 0, v[2:3]
	s_xor_b32 s74, exec_lo, s74
; %bb.346:                              ;   in Loop: Header=BB2_132 Depth=3
	v_or_b32_e32 v44, 0x7f, v16
                                        ; implicit-def: $vgpr17
; %bb.347:                              ;   in Loop: Header=BB2_132 Depth=3
	s_and_not1_saveexec_b32 s74, s74
; %bb.348:                              ;   in Loop: Header=BB2_132 Depth=3
	v_cmp_lt_i32_e32 vcc_lo, -1, v17
	v_cndmask_b32_e32 v44, 0xfc, v120, vcc_lo
; %bb.349:                              ;   in Loop: Header=BB2_132 Depth=3
	s_or_b32 exec_lo, exec_lo, s74
.LBB2_350:                              ;   in Loop: Header=BB2_132 Depth=3
	s_delay_alu instid0(SALU_CYCLE_1)
	s_or_b32 exec_lo, exec_lo, s13
	v_mov_b32_e32 v16, 0
	s_mov_b32 s13, exec_lo
	v_cmpx_lt_u64_e64 s[22:23], v[8:9]
	s_cbranch_execz .LBB2_360
; %bb.351:                              ;   in Loop: Header=BB2_132 Depth=3
	v_lshrrev_b32_e32 v2, 24, v9
	v_bfrev_b32_e32 v16, 1
	s_mov_b32 s74, exec_lo
	s_delay_alu instid0(VALU_DEP_2)
	v_cmpx_ne_u32_e32 0x80, v2
	s_cbranch_execz .LBB2_359
; %bb.352:                              ;   in Loop: Header=BB2_132 Depth=3
	v_and_b32_e32 v16, 0x7c000000, v9
	v_bfe_u32 v17, v9, 24, 2
	s_delay_alu instid0(VALU_DEP_2) | instskip(SKIP_1) | instid1(SALU_CYCLE_1)
	v_cmp_ne_u32_e32 vcc_lo, 0x7c000000, v16
                                        ; implicit-def: $vgpr16
	s_and_saveexec_b32 s75, vcc_lo
	s_xor_b32 s75, exec_lo, s75
	s_cbranch_execz .LBB2_356
; %bb.353:                              ;   in Loop: Header=BB2_132 Depth=3
	v_bfe_u32 v16, v9, 26, 5
	s_mov_b32 s76, exec_lo
	s_delay_alu instid0(VALU_DEP_1)
	v_cmpx_eq_u32_e32 0, v16
; %bb.354:                              ;   in Loop: Header=BB2_132 Depth=3
	v_clz_i32_u32_e32 v16, v17
	s_delay_alu instid0(VALU_DEP_1) | instskip(NEXT) | instid1(VALU_DEP_1)
	v_min_u32_e32 v16, 32, v16
	v_subrev_nc_u32_e32 v17, 29, v16
	s_delay_alu instid0(VALU_DEP_1) | instskip(NEXT) | instid1(VALU_DEP_1)
	v_lshlrev_b64_e32 v[42:43], v17, v[2:3]
	v_dual_sub_nc_u32 v16, 30, v16 :: v_dual_bitop2_b32 v17, 3, v42 bitop3:0x40
; %bb.355:                              ;   in Loop: Header=BB2_132 Depth=3
	s_or_b32 exec_lo, exec_lo, s76
	v_and_b32_e32 v2, 0x80000000, v9
	s_delay_alu instid0(VALU_DEP_1) | instskip(NEXT) | instid1(VALU_DEP_1)
	v_lshl_add_u32 v2, v16, 23, v2
	v_lshl_or_b32 v2, v17, 21, v2
                                        ; implicit-def: $vgpr17
	s_delay_alu instid0(VALU_DEP_1)
	v_add_nc_u32_e32 v16, 0x38000000, v2
.LBB2_356:                              ;   in Loop: Header=BB2_132 Depth=3
	s_and_not1_saveexec_b32 s75, s75
; %bb.357:                              ;   in Loop: Header=BB2_132 Depth=3
	v_cmp_lt_i64_e32 vcc_lo, -1, v[8:9]
	v_cndmask_b32_e32 v2, 0xff800000, v111, vcc_lo
	v_cmp_eq_u32_e32 vcc_lo, 0, v17
	s_delay_alu instid0(VALU_DEP_2)
	v_cndmask_b32_e32 v16, 0x7f800001, v2, vcc_lo
; %bb.358:                              ;   in Loop: Header=BB2_132 Depth=3
	s_or_b32 exec_lo, exec_lo, s75
.LBB2_359:                              ;   in Loop: Header=BB2_132 Depth=3
	s_delay_alu instid0(SALU_CYCLE_1)
	s_or_b32 exec_lo, exec_lo, s74
.LBB2_360:                              ;   in Loop: Header=BB2_132 Depth=3
	s_delay_alu instid0(SALU_CYCLE_1) | instskip(NEXT) | instid1(VALU_DEP_1)
	s_or_b32 exec_lo, exec_lo, s13
	v_dual_mul_f32 v8, s73, v16 :: v_dual_mov_b32 v17, v3
                                        ; implicit-def: $vgpr45
	s_mov_b32 s13, exec_lo
	s_delay_alu instid0(VALU_DEP_1) | instskip(SKIP_2) | instid1(VALU_DEP_3)
	v_and_b32_e32 v16, 0x7f800000, v8
	v_and_b32_e32 v2, 0x7fffff, v8
	v_lshrrev_b32_e32 v9, 24, v8
	v_cmpx_ne_u64_e32 0x7f800000, v[16:17]
	s_xor_b32 s74, exec_lo, s13
	s_cbranch_execz .LBB2_374
; %bb.361:                              ;   in Loop: Header=BB2_132 Depth=3
	v_and_b32_e32 v16, 0x7fffffff, v8
	v_mov_b32_e32 v17, v3
                                        ; implicit-def: $vgpr45
	s_delay_alu instid0(VALU_DEP_1) | instskip(SKIP_2) | instid1(SALU_CYCLE_1)
	v_cmp_gt_u64_e32 vcc_lo, 0x47600001, v[16:17]
	v_and_b32_e32 v16, 0x80, v9
	s_and_saveexec_b32 s13, vcc_lo
	s_xor_b32 s75, exec_lo, s13
	s_cbranch_execz .LBB2_371
; %bb.362:                              ;   in Loop: Header=BB2_132 Depth=3
	v_mov_b32_e32 v45, 0
	s_mov_b32 s76, exec_lo
	v_cmpx_ne_u32_e32 0, v8
	s_cbranch_execz .LBB2_370
; %bb.363:                              ;   in Loop: Header=BB2_132 Depth=3
	v_bfe_u32 v17, v8, 23, 8
	v_or_b32_e32 v18, 0x800000, v2
	s_mov_b32 s77, exec_lo
	s_delay_alu instid0(VALU_DEP_2) | instskip(SKIP_1) | instid1(VALU_DEP_2)
	v_dual_mov_b32 v43, v3 :: v_dual_sub_nc_u32 v8, 0x71, v17
	v_cmp_gt_u32_e32 vcc_lo, 0x72, v17
	v_cndmask_b32_e32 v8, 0, v8, vcc_lo
	v_cmp_eq_u32_e32 vcc_lo, 0, v17
	s_delay_alu instid0(VALU_DEP_2) | instskip(NEXT) | instid1(VALU_DEP_1)
	v_cndmask_b32_e64 v45, v8, 0x70, vcc_lo
	v_dual_cndmask_b32 v42, v18, v2, vcc_lo :: v_dual_add_nc_u32 v8, 21, v45
	v_add_nc_u32_e32 v19, 20, v45
	s_delay_alu instid0(VALU_DEP_2) | instskip(NEXT) | instid1(VALU_DEP_2)
	v_lshlrev_b64_e64 v[8:9], v8, -1
	v_lshlrev_b64_e64 v[62:63], v19, 1
	s_delay_alu instid0(VALU_DEP_2) | instskip(NEXT) | instid1(VALU_DEP_3)
	v_bfi_b32 v73, v9, 0, 0
	v_bfi_b32 v72, v8, 0, v42
	v_lshrrev_b64 v[8:9], v45, v[42:43]
	s_delay_alu instid0(VALU_DEP_1) | instskip(NEXT) | instid1(VALU_DEP_3)
	v_mov_b64_e32 v[42:43], v[8:9]
	v_cmpx_eq_u64_e64 v[72:73], v[62:63]
; %bb.364:                              ;   in Loop: Header=BB2_132 Depth=3
	v_bfe_u32 v42, v8, 21, 1
	v_mov_b32_e32 v43, v3
	s_delay_alu instid0(VALU_DEP_1) | instskip(NEXT) | instid1(VALU_DEP_1)
	v_add_nc_u64_e32 v[42:43], v[8:9], v[42:43]
	v_add_nc_u64_e32 v[42:43], -1, v[42:43]
; %bb.365:                              ;   in Loop: Header=BB2_132 Depth=3
	s_or_b32 exec_lo, exec_lo, s77
	v_add_nc_u32_e32 v2, 0xffffff81, v17
	v_lshrrev_b32_e32 v9, 23, v8
	s_mov_b32 s13, exec_lo
                                        ; implicit-def: $vgpr17
	s_delay_alu instid0(VALU_DEP_2) | instskip(NEXT) | instid1(VALU_DEP_1)
	v_cndmask_b32_e64 v2, v2, 0xffffff82, vcc_lo
	v_add3_u32 v43, v45, v2, v9
	v_and_b32_e32 v2, 0x1fffff, v42
	s_delay_alu instid0(VALU_DEP_1) | instskip(NEXT) | instid1(VALU_DEP_1)
	v_dual_add_nc_u32 v42, 14, v43 :: v_dual_add_nc_u32 v2, v2, v8
                                        ; implicit-def: $vgpr8_vgpr9
	v_cmpx_ne_u32_e32 0, v42
	s_xor_b32 s13, exec_lo, s13
; %bb.366:                              ;   in Loop: Header=BB2_132 Depth=3
	s_delay_alu instid0(VALU_DEP_2) | instskip(SKIP_1) | instid1(VALU_DEP_1)
	v_cmp_lt_u64_e32 vcc_lo, 0xffffff, v[2:3]
	v_add_nc_u32_e32 v8, 15, v43
	v_cndmask_b32_e32 v17, v42, v8, vcc_lo
	v_cndmask_b32_e64 v8, 0, 1, vcc_lo
	s_delay_alu instid0(VALU_DEP_1)
	v_lshrrev_b64 v[8:9], v8, v[2:3]
; %bb.367:                              ;   in Loop: Header=BB2_132 Depth=3
	s_and_not1_saveexec_b32 s13, s13
; %bb.368:                              ;   in Loop: Header=BB2_132 Depth=3
	v_mov_b64_e32 v[8:9], v[2:3]
	v_bfe_u32 v17, v2, 23, 1
; %bb.369:                              ;   in Loop: Header=BB2_132 Depth=3
	s_or_b32 exec_lo, exec_lo, s13
	s_delay_alu instid0(VALU_DEP_2) | instskip(NEXT) | instid1(VALU_DEP_2)
	v_lshrrev_b64 v[8:9], 21, v[8:9]
	v_cmp_gt_i32_e32 vcc_lo, 32, v17
	v_min_i32_e32 v2, 31, v17
	v_cmp_eq_u32_e64 s13, 0, v17
	s_delay_alu instid0(VALU_DEP_2) | instskip(SKIP_1) | instid1(VALU_DEP_2)
	v_dual_cndmask_b32 v8, 3, v8, vcc_lo :: v_dual_lshlrev_b32 v2, 2, v2
	v_cndmask_b32_e32 v9, 0, v9, vcc_lo
	v_and_b32_e32 v2, 0xfc, v2
	s_delay_alu instid0(VALU_DEP_2) | instskip(NEXT) | instid1(VALU_DEP_2)
	v_cmp_eq_u64_e32 vcc_lo, 0, v[8:9]
	v_and_or_b32 v2, v8, 3, v2
	s_and_b32 s13, s13, vcc_lo
	s_delay_alu instid0(VALU_DEP_1) | instid1(SALU_CYCLE_1)
	v_cndmask_b32_e64 v2, v2, 0, s13
	s_delay_alu instid0(VALU_DEP_1)
	v_or_b32_e32 v45, v2, v16
.LBB2_370:                              ;   in Loop: Header=BB2_132 Depth=3
	s_or_b32 exec_lo, exec_lo, s76
                                        ; implicit-def: $vgpr16
.LBB2_371:                              ;   in Loop: Header=BB2_132 Depth=3
	s_and_not1_saveexec_b32 s13, s75
; %bb.372:                              ;   in Loop: Header=BB2_132 Depth=3
	v_or_b32_e32 v45, 0x7b, v16
; %bb.373:                              ;   in Loop: Header=BB2_132 Depth=3
	s_or_b32 exec_lo, exec_lo, s13
                                        ; implicit-def: $vgpr8
                                        ; implicit-def: $vgpr9
.LBB2_374:                              ;   in Loop: Header=BB2_132 Depth=3
	s_and_not1_saveexec_b32 s13, s74
	s_cbranch_execz .LBB2_380
; %bb.375:                              ;   in Loop: Header=BB2_132 Depth=3
	s_mov_b32 s74, exec_lo
                                        ; implicit-def: $vgpr45
	v_cmpx_ne_u64_e32 0, v[2:3]
	s_xor_b32 s74, exec_lo, s74
; %bb.376:                              ;   in Loop: Header=BB2_132 Depth=3
	v_or_b32_e32 v45, 0x7f, v9
                                        ; implicit-def: $vgpr8
; %bb.377:                              ;   in Loop: Header=BB2_132 Depth=3
	s_and_not1_saveexec_b32 s74, s74
; %bb.378:                              ;   in Loop: Header=BB2_132 Depth=3
	v_cmp_lt_i32_e32 vcc_lo, -1, v8
	v_cndmask_b32_e32 v45, 0xfc, v120, vcc_lo
; %bb.379:                              ;   in Loop: Header=BB2_132 Depth=3
	s_or_b32 exec_lo, exec_lo, s74
.LBB2_380:                              ;   in Loop: Header=BB2_132 Depth=3
	s_delay_alu instid0(SALU_CYCLE_1) | instskip(SKIP_1) | instid1(VALU_DEP_1)
	s_or_b32 exec_lo, exec_lo, s13
	v_and_b32_e32 v2, 0xff, v10
	v_cmp_ne_u16_e32 vcc_lo, 0, v2
	v_mov_b32_e32 v2, 0
	s_and_saveexec_b32 s13, vcc_lo
	s_cbranch_execz .LBB2_390
; %bb.381:                              ;   in Loop: Header=BB2_132 Depth=3
	v_bfe_i32 v9, v10, 0, 8
	v_bfrev_b32_e32 v2, 1
	s_mov_b32 s74, exec_lo
	s_delay_alu instid0(VALU_DEP_2)
	v_cmpx_ne_u16_e32 0xff80, v9
	s_cbranch_execz .LBB2_389
; %bb.382:                              ;   in Loop: Header=BB2_132 Depth=3
	v_and_b32_e32 v2, 0x7c, v10
	v_and_b32_e32 v8, 3, v10
	s_delay_alu instid0(VALU_DEP_2) | instskip(SKIP_1) | instid1(SALU_CYCLE_1)
	v_cmp_ne_u32_e32 vcc_lo, 0x7c, v2
                                        ; implicit-def: $vgpr2
	s_and_saveexec_b32 s75, vcc_lo
	s_xor_b32 s75, exec_lo, s75
	s_cbranch_execz .LBB2_386
; %bb.383:                              ;   in Loop: Header=BB2_132 Depth=3
	v_bfe_u32 v2, v10, 2, 5
	s_mov_b32 s76, exec_lo
	s_delay_alu instid0(VALU_DEP_1)
	v_cmpx_eq_u32_e32 0, v2
; %bb.384:                              ;   in Loop: Header=BB2_132 Depth=3
	v_clz_i32_u32_e32 v2, v8
	s_delay_alu instid0(VALU_DEP_1) | instskip(NEXT) | instid1(VALU_DEP_1)
	v_min_u32_e32 v2, 32, v2
	v_subrev_nc_u32_e32 v8, 29, v2
	s_delay_alu instid0(VALU_DEP_1) | instskip(NEXT) | instid1(VALU_DEP_1)
	v_lshlrev_b64_e32 v[8:9], v8, v[10:11]
	v_dual_sub_nc_u32 v2, 30, v2 :: v_dual_bitop2_b32 v8, 3, v8 bitop3:0x40
; %bb.385:                              ;   in Loop: Header=BB2_132 Depth=3
	s_or_b32 exec_lo, exec_lo, s76
	v_lshlrev_b32_e32 v9, 24, v10
	s_delay_alu instid0(VALU_DEP_1) | instskip(NEXT) | instid1(VALU_DEP_1)
	v_and_b32_e32 v9, 0x80000000, v9
	v_lshl_add_u32 v2, v2, 23, v9
                                        ; implicit-def: $vgpr9
	s_delay_alu instid0(VALU_DEP_1) | instskip(NEXT) | instid1(VALU_DEP_1)
	v_lshl_or_b32 v2, v8, 21, v2
                                        ; implicit-def: $vgpr8
	v_add_nc_u32_e32 v2, 0x38000000, v2
.LBB2_386:                              ;   in Loop: Header=BB2_132 Depth=3
	s_and_not1_saveexec_b32 s75, s75
; %bb.387:                              ;   in Loop: Header=BB2_132 Depth=3
	v_cmp_lt_i16_e32 vcc_lo, -1, v9
	v_cndmask_b32_e32 v2, 0xff800000, v111, vcc_lo
	v_cmp_eq_u32_e32 vcc_lo, 0, v8
	s_delay_alu instid0(VALU_DEP_2)
	v_cndmask_b32_e32 v2, 0x7f800001, v2, vcc_lo
; %bb.388:                              ;   in Loop: Header=BB2_132 Depth=3
	s_or_b32 exec_lo, exec_lo, s75
.LBB2_389:                              ;   in Loop: Header=BB2_132 Depth=3
	s_delay_alu instid0(SALU_CYCLE_1)
	s_or_b32 exec_lo, exec_lo, s74
.LBB2_390:                              ;   in Loop: Header=BB2_132 Depth=3
	s_delay_alu instid0(SALU_CYCLE_1) | instskip(NEXT) | instid1(VALU_DEP_1)
	s_or_b32 exec_lo, exec_lo, s13
	v_dual_mul_f32 v8, s73, v2 :: v_dual_mov_b32 v17, v3
                                        ; implicit-def: $vgpr61
	s_mov_b32 s13, exec_lo
	s_delay_alu instid0(VALU_DEP_1) | instskip(SKIP_2) | instid1(VALU_DEP_3)
	v_and_b32_e32 v16, 0x7f800000, v8
	v_and_b32_e32 v2, 0x7fffff, v8
	v_lshrrev_b32_e32 v9, 24, v8
	v_cmpx_ne_u64_e32 0x7f800000, v[16:17]
	s_xor_b32 s74, exec_lo, s13
	s_cbranch_execz .LBB2_404
; %bb.391:                              ;   in Loop: Header=BB2_132 Depth=3
	v_and_b32_e32 v16, 0x7fffffff, v8
	v_mov_b32_e32 v17, v3
                                        ; implicit-def: $vgpr61
	s_delay_alu instid0(VALU_DEP_1) | instskip(SKIP_2) | instid1(SALU_CYCLE_1)
	v_cmp_gt_u64_e32 vcc_lo, 0x47600001, v[16:17]
	v_and_b32_e32 v16, 0x80, v9
	s_and_saveexec_b32 s13, vcc_lo
	s_xor_b32 s75, exec_lo, s13
	s_cbranch_execz .LBB2_401
; %bb.392:                              ;   in Loop: Header=BB2_132 Depth=3
	v_mov_b32_e32 v61, 0
	s_mov_b32 s76, exec_lo
	v_cmpx_ne_u32_e32 0, v8
	s_cbranch_execz .LBB2_400
; %bb.393:                              ;   in Loop: Header=BB2_132 Depth=3
	v_bfe_u32 v17, v8, 23, 8
	v_or_b32_e32 v18, 0x800000, v2
	s_mov_b32 s77, exec_lo
	s_delay_alu instid0(VALU_DEP_2) | instskip(SKIP_1) | instid1(VALU_DEP_2)
	v_dual_mov_b32 v43, v3 :: v_dual_sub_nc_u32 v8, 0x71, v17
	v_cmp_gt_u32_e32 vcc_lo, 0x72, v17
	v_cndmask_b32_e32 v8, 0, v8, vcc_lo
	v_cmp_eq_u32_e32 vcc_lo, 0, v17
	s_delay_alu instid0(VALU_DEP_2) | instskip(NEXT) | instid1(VALU_DEP_1)
	v_cndmask_b32_e64 v61, v8, 0x70, vcc_lo
	v_dual_cndmask_b32 v42, v18, v2, vcc_lo :: v_dual_add_nc_u32 v8, 21, v61
	v_add_nc_u32_e32 v19, 20, v61
	s_delay_alu instid0(VALU_DEP_2) | instskip(NEXT) | instid1(VALU_DEP_2)
	v_lshlrev_b64_e64 v[8:9], v8, -1
	v_lshlrev_b64_e64 v[62:63], v19, 1
	s_delay_alu instid0(VALU_DEP_2) | instskip(NEXT) | instid1(VALU_DEP_3)
	v_bfi_b32 v73, v9, 0, 0
	v_bfi_b32 v72, v8, 0, v42
	v_lshrrev_b64 v[8:9], v61, v[42:43]
	s_delay_alu instid0(VALU_DEP_1) | instskip(NEXT) | instid1(VALU_DEP_3)
	v_mov_b64_e32 v[42:43], v[8:9]
	v_cmpx_eq_u64_e64 v[72:73], v[62:63]
; %bb.394:                              ;   in Loop: Header=BB2_132 Depth=3
	v_bfe_u32 v42, v8, 21, 1
	v_mov_b32_e32 v43, v3
	s_delay_alu instid0(VALU_DEP_1) | instskip(NEXT) | instid1(VALU_DEP_1)
	v_add_nc_u64_e32 v[42:43], v[8:9], v[42:43]
	v_add_nc_u64_e32 v[42:43], -1, v[42:43]
; %bb.395:                              ;   in Loop: Header=BB2_132 Depth=3
	s_or_b32 exec_lo, exec_lo, s77
	v_add_nc_u32_e32 v2, 0xffffff81, v17
	v_lshrrev_b32_e32 v9, 23, v8
	s_mov_b32 s13, exec_lo
                                        ; implicit-def: $vgpr17
	s_delay_alu instid0(VALU_DEP_2) | instskip(NEXT) | instid1(VALU_DEP_1)
	v_cndmask_b32_e64 v2, v2, 0xffffff82, vcc_lo
	v_add3_u32 v43, v61, v2, v9
	v_and_b32_e32 v2, 0x1fffff, v42
	s_delay_alu instid0(VALU_DEP_1) | instskip(NEXT) | instid1(VALU_DEP_1)
	v_dual_add_nc_u32 v42, 14, v43 :: v_dual_add_nc_u32 v2, v2, v8
                                        ; implicit-def: $vgpr8_vgpr9
	v_cmpx_ne_u32_e32 0, v42
	s_xor_b32 s13, exec_lo, s13
; %bb.396:                              ;   in Loop: Header=BB2_132 Depth=3
	s_delay_alu instid0(VALU_DEP_2) | instskip(SKIP_1) | instid1(VALU_DEP_1)
	v_cmp_lt_u64_e32 vcc_lo, 0xffffff, v[2:3]
	v_add_nc_u32_e32 v8, 15, v43
	v_cndmask_b32_e32 v17, v42, v8, vcc_lo
	v_cndmask_b32_e64 v8, 0, 1, vcc_lo
	s_delay_alu instid0(VALU_DEP_1)
	v_lshrrev_b64 v[8:9], v8, v[2:3]
; %bb.397:                              ;   in Loop: Header=BB2_132 Depth=3
	s_and_not1_saveexec_b32 s13, s13
; %bb.398:                              ;   in Loop: Header=BB2_132 Depth=3
	v_mov_b64_e32 v[8:9], v[2:3]
	v_bfe_u32 v17, v2, 23, 1
; %bb.399:                              ;   in Loop: Header=BB2_132 Depth=3
	s_or_b32 exec_lo, exec_lo, s13
	s_delay_alu instid0(VALU_DEP_2) | instskip(NEXT) | instid1(VALU_DEP_2)
	v_lshrrev_b64 v[8:9], 21, v[8:9]
	v_cmp_gt_i32_e32 vcc_lo, 32, v17
	v_min_i32_e32 v2, 31, v17
	v_cmp_eq_u32_e64 s13, 0, v17
	s_delay_alu instid0(VALU_DEP_2) | instskip(SKIP_1) | instid1(VALU_DEP_2)
	v_dual_cndmask_b32 v8, 3, v8, vcc_lo :: v_dual_lshlrev_b32 v2, 2, v2
	v_cndmask_b32_e32 v9, 0, v9, vcc_lo
	v_and_b32_e32 v2, 0xfc, v2
	s_delay_alu instid0(VALU_DEP_2) | instskip(NEXT) | instid1(VALU_DEP_2)
	v_cmp_eq_u64_e32 vcc_lo, 0, v[8:9]
	v_and_or_b32 v2, v8, 3, v2
	s_and_b32 s13, s13, vcc_lo
	s_delay_alu instid0(VALU_DEP_1) | instid1(SALU_CYCLE_1)
	v_cndmask_b32_e64 v2, v2, 0, s13
	s_delay_alu instid0(VALU_DEP_1)
	v_or_b32_e32 v61, v2, v16
.LBB2_400:                              ;   in Loop: Header=BB2_132 Depth=3
	s_or_b32 exec_lo, exec_lo, s76
                                        ; implicit-def: $vgpr16
.LBB2_401:                              ;   in Loop: Header=BB2_132 Depth=3
	s_and_not1_saveexec_b32 s13, s75
; %bb.402:                              ;   in Loop: Header=BB2_132 Depth=3
	v_or_b32_e32 v61, 0x7b, v16
; %bb.403:                              ;   in Loop: Header=BB2_132 Depth=3
	s_or_b32 exec_lo, exec_lo, s13
                                        ; implicit-def: $vgpr8
                                        ; implicit-def: $vgpr9
.LBB2_404:                              ;   in Loop: Header=BB2_132 Depth=3
	s_and_not1_saveexec_b32 s13, s74
	s_cbranch_execz .LBB2_410
; %bb.405:                              ;   in Loop: Header=BB2_132 Depth=3
	s_mov_b32 s74, exec_lo
                                        ; implicit-def: $vgpr61
	v_cmpx_ne_u64_e32 0, v[2:3]
	s_xor_b32 s74, exec_lo, s74
; %bb.406:                              ;   in Loop: Header=BB2_132 Depth=3
	v_or_b32_e32 v61, 0x7f, v9
                                        ; implicit-def: $vgpr8
; %bb.407:                              ;   in Loop: Header=BB2_132 Depth=3
	s_and_not1_saveexec_b32 s74, s74
; %bb.408:                              ;   in Loop: Header=BB2_132 Depth=3
	v_cmp_lt_i32_e32 vcc_lo, -1, v8
	v_cndmask_b32_e32 v61, 0xfc, v120, vcc_lo
; %bb.409:                              ;   in Loop: Header=BB2_132 Depth=3
	s_or_b32 exec_lo, exec_lo, s74
.LBB2_410:                              ;   in Loop: Header=BB2_132 Depth=3
	s_delay_alu instid0(SALU_CYCLE_1) | instskip(SKIP_3) | instid1(VALU_DEP_2)
	s_or_b32 exec_lo, exec_lo, s13
	v_lshrrev_b16 v8, 8, v10
	v_mov_b32_e32 v9, 0
	s_mov_b32 s13, exec_lo
	v_cmpx_ne_u16_e32 0, v8
	s_cbranch_execz .LBB2_420
; %bb.411:                              ;   in Loop: Header=BB2_132 Depth=3
	v_bfrev_b32_e32 v9, 1
	s_mov_b32 s74, exec_lo
	v_cmpx_ne_u16_e32 0x80, v8
	s_cbranch_execz .LBB2_419
; %bb.412:                              ;   in Loop: Header=BB2_132 Depth=3
	v_and_b32_e32 v16, 0xffff, v8
	s_delay_alu instid0(VALU_DEP_1) | instskip(SKIP_1) | instid1(VALU_DEP_2)
	v_and_b32_e32 v9, 0x7c, v16
	v_and_b32_e32 v2, 3, v16
	v_cmp_ne_u32_e32 vcc_lo, 0x7c, v9
                                        ; implicit-def: $vgpr9
	s_and_saveexec_b32 s75, vcc_lo
	s_delay_alu instid0(SALU_CYCLE_1)
	s_xor_b32 s75, exec_lo, s75
	s_cbranch_execz .LBB2_416
; %bb.413:                              ;   in Loop: Header=BB2_132 Depth=3
	v_bfe_u32 v9, v16, 2, 5
	s_mov_b32 s76, exec_lo
	s_delay_alu instid0(VALU_DEP_1)
	v_cmpx_eq_u32_e32 0, v9
; %bb.414:                              ;   in Loop: Header=BB2_132 Depth=3
	v_clz_i32_u32_e32 v2, v2
	v_mov_b32_e32 v9, v3
	s_delay_alu instid0(VALU_DEP_2) | instskip(NEXT) | instid1(VALU_DEP_1)
	v_min_u32_e32 v2, 32, v2
	v_subrev_nc_u32_e32 v16, 29, v2
	s_delay_alu instid0(VALU_DEP_1) | instskip(NEXT) | instid1(VALU_DEP_1)
	v_lshlrev_b64_e32 v[8:9], v16, v[8:9]
	v_dual_sub_nc_u32 v9, 30, v2 :: v_dual_bitop2_b32 v2, 3, v8 bitop3:0x40
; %bb.415:                              ;   in Loop: Header=BB2_132 Depth=3
	s_or_b32 exec_lo, exec_lo, s76
	v_lshlrev_b32_e32 v8, 16, v10
	s_delay_alu instid0(VALU_DEP_1) | instskip(NEXT) | instid1(VALU_DEP_1)
	v_and_b32_e32 v8, 0x80000000, v8
	v_lshl_add_u32 v8, v9, 23, v8
	s_delay_alu instid0(VALU_DEP_1) | instskip(NEXT) | instid1(VALU_DEP_1)
	v_lshl_or_b32 v2, v2, 21, v8
	v_add_nc_u32_e32 v9, 0x38000000, v2
                                        ; implicit-def: $vgpr2
.LBB2_416:                              ;   in Loop: Header=BB2_132 Depth=3
	s_and_not1_saveexec_b32 s75, s75
; %bb.417:                              ;   in Loop: Header=BB2_132 Depth=3
	v_cmp_lt_i16_e32 vcc_lo, -1, v10
	v_cndmask_b32_e32 v8, 0xff800000, v111, vcc_lo
	v_cmp_eq_u32_e32 vcc_lo, 0, v2
	s_delay_alu instid0(VALU_DEP_2)
	v_cndmask_b32_e32 v9, 0x7f800001, v8, vcc_lo
; %bb.418:                              ;   in Loop: Header=BB2_132 Depth=3
	s_or_b32 exec_lo, exec_lo, s75
.LBB2_419:                              ;   in Loop: Header=BB2_132 Depth=3
	s_delay_alu instid0(SALU_CYCLE_1)
	s_or_b32 exec_lo, exec_lo, s74
.LBB2_420:                              ;   in Loop: Header=BB2_132 Depth=3
	s_delay_alu instid0(SALU_CYCLE_1) | instskip(NEXT) | instid1(VALU_DEP_1)
	s_or_b32 exec_lo, exec_lo, s13
	v_dual_mul_f32 v8, s73, v9 :: v_dual_mov_b32 v17, v3
                                        ; implicit-def: $vgpr62
	s_mov_b32 s13, exec_lo
	s_delay_alu instid0(VALU_DEP_1) | instskip(SKIP_2) | instid1(VALU_DEP_3)
	v_and_b32_e32 v16, 0x7f800000, v8
	v_and_b32_e32 v2, 0x7fffff, v8
	v_lshrrev_b32_e32 v9, 24, v8
	v_cmpx_ne_u64_e32 0x7f800000, v[16:17]
	s_xor_b32 s74, exec_lo, s13
	s_cbranch_execz .LBB2_434
; %bb.421:                              ;   in Loop: Header=BB2_132 Depth=3
	v_and_b32_e32 v16, 0x7fffffff, v8
	v_mov_b32_e32 v17, v3
                                        ; implicit-def: $vgpr62
	s_delay_alu instid0(VALU_DEP_1) | instskip(SKIP_2) | instid1(SALU_CYCLE_1)
	v_cmp_gt_u64_e32 vcc_lo, 0x47600001, v[16:17]
	v_and_b32_e32 v16, 0x80, v9
	s_and_saveexec_b32 s13, vcc_lo
	s_xor_b32 s75, exec_lo, s13
	s_cbranch_execz .LBB2_431
; %bb.422:                              ;   in Loop: Header=BB2_132 Depth=3
	v_mov_b32_e32 v62, 0
	s_mov_b32 s76, exec_lo
	v_cmpx_ne_u32_e32 0, v8
	s_cbranch_execz .LBB2_430
; %bb.423:                              ;   in Loop: Header=BB2_132 Depth=3
	v_bfe_u32 v17, v8, 23, 8
	v_or_b32_e32 v18, 0x800000, v2
	s_mov_b32 s77, exec_lo
	s_delay_alu instid0(VALU_DEP_2) | instskip(SKIP_1) | instid1(VALU_DEP_2)
	v_dual_mov_b32 v43, v3 :: v_dual_sub_nc_u32 v8, 0x71, v17
	v_cmp_gt_u32_e32 vcc_lo, 0x72, v17
	v_cndmask_b32_e32 v8, 0, v8, vcc_lo
	v_cmp_eq_u32_e32 vcc_lo, 0, v17
	s_delay_alu instid0(VALU_DEP_2) | instskip(SKIP_1) | instid1(VALU_DEP_2)
	v_cndmask_b32_e64 v62, v8, 0x70, vcc_lo
	v_cndmask_b32_e32 v42, v18, v2, vcc_lo
	v_dual_add_nc_u32 v8, 21, v62 :: v_dual_add_nc_u32 v19, 20, v62
	s_delay_alu instid0(VALU_DEP_1) | instskip(NEXT) | instid1(VALU_DEP_2)
	v_lshlrev_b64_e64 v[8:9], v8, -1
	v_lshlrev_b64_e64 v[72:73], v19, 1
	s_delay_alu instid0(VALU_DEP_2) | instskip(NEXT) | instid1(VALU_DEP_3)
	v_bfi_b32 v75, v9, 0, 0
	v_bfi_b32 v74, v8, 0, v42
	v_lshrrev_b64 v[8:9], v62, v[42:43]
	s_delay_alu instid0(VALU_DEP_1) | instskip(NEXT) | instid1(VALU_DEP_3)
	v_mov_b64_e32 v[42:43], v[8:9]
	v_cmpx_eq_u64_e64 v[74:75], v[72:73]
; %bb.424:                              ;   in Loop: Header=BB2_132 Depth=3
	v_bfe_u32 v42, v8, 21, 1
	v_mov_b32_e32 v43, v3
	s_delay_alu instid0(VALU_DEP_1) | instskip(NEXT) | instid1(VALU_DEP_1)
	v_add_nc_u64_e32 v[42:43], v[8:9], v[42:43]
	v_add_nc_u64_e32 v[42:43], -1, v[42:43]
; %bb.425:                              ;   in Loop: Header=BB2_132 Depth=3
	s_or_b32 exec_lo, exec_lo, s77
	v_add_nc_u32_e32 v2, 0xffffff81, v17
	v_lshrrev_b32_e32 v9, 23, v8
	s_mov_b32 s13, exec_lo
                                        ; implicit-def: $vgpr17
	s_delay_alu instid0(VALU_DEP_2) | instskip(NEXT) | instid1(VALU_DEP_1)
	v_cndmask_b32_e64 v2, v2, 0xffffff82, vcc_lo
	v_add3_u32 v43, v62, v2, v9
	v_and_b32_e32 v2, 0x1fffff, v42
	s_delay_alu instid0(VALU_DEP_1) | instskip(NEXT) | instid1(VALU_DEP_1)
	v_dual_add_nc_u32 v42, 14, v43 :: v_dual_add_nc_u32 v2, v2, v8
                                        ; implicit-def: $vgpr8_vgpr9
	v_cmpx_ne_u32_e32 0, v42
	s_xor_b32 s13, exec_lo, s13
; %bb.426:                              ;   in Loop: Header=BB2_132 Depth=3
	s_delay_alu instid0(VALU_DEP_2) | instskip(SKIP_1) | instid1(VALU_DEP_1)
	v_cmp_lt_u64_e32 vcc_lo, 0xffffff, v[2:3]
	v_add_nc_u32_e32 v8, 15, v43
	v_cndmask_b32_e32 v17, v42, v8, vcc_lo
	v_cndmask_b32_e64 v8, 0, 1, vcc_lo
	s_delay_alu instid0(VALU_DEP_1)
	v_lshrrev_b64 v[8:9], v8, v[2:3]
; %bb.427:                              ;   in Loop: Header=BB2_132 Depth=3
	s_and_not1_saveexec_b32 s13, s13
; %bb.428:                              ;   in Loop: Header=BB2_132 Depth=3
	v_mov_b64_e32 v[8:9], v[2:3]
	v_bfe_u32 v17, v2, 23, 1
; %bb.429:                              ;   in Loop: Header=BB2_132 Depth=3
	s_or_b32 exec_lo, exec_lo, s13
	s_delay_alu instid0(VALU_DEP_2) | instskip(NEXT) | instid1(VALU_DEP_2)
	v_lshrrev_b64 v[8:9], 21, v[8:9]
	v_cmp_gt_i32_e32 vcc_lo, 32, v17
	v_min_i32_e32 v2, 31, v17
	v_cmp_eq_u32_e64 s13, 0, v17
	s_delay_alu instid0(VALU_DEP_2) | instskip(SKIP_1) | instid1(VALU_DEP_2)
	v_dual_cndmask_b32 v8, 3, v8, vcc_lo :: v_dual_lshlrev_b32 v2, 2, v2
	v_cndmask_b32_e32 v9, 0, v9, vcc_lo
	v_and_b32_e32 v2, 0xfc, v2
	s_delay_alu instid0(VALU_DEP_2) | instskip(NEXT) | instid1(VALU_DEP_2)
	v_cmp_eq_u64_e32 vcc_lo, 0, v[8:9]
	v_and_or_b32 v2, v8, 3, v2
	s_and_b32 s13, s13, vcc_lo
	s_delay_alu instid0(VALU_DEP_1) | instid1(SALU_CYCLE_1)
	v_cndmask_b32_e64 v2, v2, 0, s13
	s_delay_alu instid0(VALU_DEP_1)
	v_or_b32_e32 v62, v2, v16
.LBB2_430:                              ;   in Loop: Header=BB2_132 Depth=3
	s_or_b32 exec_lo, exec_lo, s76
                                        ; implicit-def: $vgpr16
.LBB2_431:                              ;   in Loop: Header=BB2_132 Depth=3
	s_and_not1_saveexec_b32 s13, s75
; %bb.432:                              ;   in Loop: Header=BB2_132 Depth=3
	v_or_b32_e32 v62, 0x7b, v16
; %bb.433:                              ;   in Loop: Header=BB2_132 Depth=3
	s_or_b32 exec_lo, exec_lo, s13
                                        ; implicit-def: $vgpr8
                                        ; implicit-def: $vgpr9
.LBB2_434:                              ;   in Loop: Header=BB2_132 Depth=3
	s_and_not1_saveexec_b32 s13, s74
	s_cbranch_execz .LBB2_440
; %bb.435:                              ;   in Loop: Header=BB2_132 Depth=3
	s_mov_b32 s74, exec_lo
                                        ; implicit-def: $vgpr62
	v_cmpx_ne_u64_e32 0, v[2:3]
	s_xor_b32 s74, exec_lo, s74
; %bb.436:                              ;   in Loop: Header=BB2_132 Depth=3
	v_or_b32_e32 v62, 0x7f, v9
                                        ; implicit-def: $vgpr8
; %bb.437:                              ;   in Loop: Header=BB2_132 Depth=3
	s_and_not1_saveexec_b32 s74, s74
; %bb.438:                              ;   in Loop: Header=BB2_132 Depth=3
	v_cmp_lt_i32_e32 vcc_lo, -1, v8
	v_cndmask_b32_e32 v62, 0xfc, v120, vcc_lo
; %bb.439:                              ;   in Loop: Header=BB2_132 Depth=3
	s_or_b32 exec_lo, exec_lo, s74
.LBB2_440:                              ;   in Loop: Header=BB2_132 Depth=3
	s_delay_alu instid0(SALU_CYCLE_1) | instskip(SKIP_2) | instid1(VALU_DEP_1)
	s_or_b32 exec_lo, exec_lo, s13
	v_dual_lshrrev_b32 v2, 16, v10 :: v_dual_mov_b32 v8, 0
	s_mov_b32 s13, exec_lo
	v_and_b32_e32 v9, 0xff, v2
	s_delay_alu instid0(VALU_DEP_1)
	v_cmpx_ne_u16_e32 0, v9
	s_cbranch_execz .LBB2_450
; %bb.441:                              ;   in Loop: Header=BB2_132 Depth=3
	v_bfrev_b32_e32 v8, 1
	s_mov_b32 s74, exec_lo
	v_cmpx_ne_u16_e32 0x80, v9
	s_cbranch_execz .LBB2_449
; %bb.442:                              ;   in Loop: Header=BB2_132 Depth=3
	v_and_b32_e32 v8, 0x7c0000, v10
	v_bfe_u32 v9, v10, 16, 2
	s_delay_alu instid0(VALU_DEP_2) | instskip(SKIP_1) | instid1(SALU_CYCLE_1)
	v_cmp_ne_u32_e32 vcc_lo, 0x7c0000, v8
                                        ; implicit-def: $vgpr8
	s_and_saveexec_b32 s75, vcc_lo
	s_xor_b32 s75, exec_lo, s75
	s_cbranch_execz .LBB2_446
; %bb.443:                              ;   in Loop: Header=BB2_132 Depth=3
	v_bfe_u32 v8, v10, 18, 5
	s_mov_b32 s76, exec_lo
	s_delay_alu instid0(VALU_DEP_1)
	v_cmpx_eq_u32_e32 0, v8
; %bb.444:                              ;   in Loop: Header=BB2_132 Depth=3
	v_clz_i32_u32_e32 v8, v9
	s_delay_alu instid0(VALU_DEP_1) | instskip(NEXT) | instid1(VALU_DEP_1)
	v_min_u32_e32 v8, 32, v8
	v_subrev_nc_u32_e32 v9, 29, v8
	v_sub_nc_u32_e32 v8, 30, v8
	s_delay_alu instid0(VALU_DEP_2) | instskip(NEXT) | instid1(VALU_DEP_1)
	v_lshlrev_b64_e32 v[16:17], v9, v[2:3]
	v_and_b32_e32 v9, 3, v16
; %bb.445:                              ;   in Loop: Header=BB2_132 Depth=3
	s_or_b32 exec_lo, exec_lo, s76
	v_lshlrev_b32_e32 v2, 24, v2
	s_delay_alu instid0(VALU_DEP_1) | instskip(NEXT) | instid1(VALU_DEP_1)
	v_and_b32_e32 v2, 0x80000000, v2
	v_lshl_add_u32 v2, v8, 23, v2
	s_delay_alu instid0(VALU_DEP_1) | instskip(NEXT) | instid1(VALU_DEP_1)
	v_lshl_or_b32 v2, v9, 21, v2
                                        ; implicit-def: $vgpr9
	v_add_nc_u32_e32 v8, 0x38000000, v2
                                        ; implicit-def: $vgpr2
.LBB2_446:                              ;   in Loop: Header=BB2_132 Depth=3
	s_and_not1_saveexec_b32 s75, s75
; %bb.447:                              ;   in Loop: Header=BB2_132 Depth=3
	v_bfe_i32 v2, v2, 0, 8
	s_delay_alu instid0(VALU_DEP_1) | instskip(SKIP_2) | instid1(VALU_DEP_2)
	v_cmp_lt_i16_e32 vcc_lo, -1, v2
	v_cndmask_b32_e32 v2, 0xff800000, v111, vcc_lo
	v_cmp_eq_u32_e32 vcc_lo, 0, v9
	v_cndmask_b32_e32 v8, 0x7f800001, v2, vcc_lo
; %bb.448:                              ;   in Loop: Header=BB2_132 Depth=3
	s_or_b32 exec_lo, exec_lo, s75
.LBB2_449:                              ;   in Loop: Header=BB2_132 Depth=3
	s_delay_alu instid0(SALU_CYCLE_1)
	s_or_b32 exec_lo, exec_lo, s74
.LBB2_450:                              ;   in Loop: Header=BB2_132 Depth=3
	s_delay_alu instid0(SALU_CYCLE_1) | instskip(NEXT) | instid1(VALU_DEP_1)
	s_or_b32 exec_lo, exec_lo, s13
	v_dual_mul_f32 v8, s73, v8 :: v_dual_mov_b32 v17, v3
                                        ; implicit-def: $vgpr63
	s_mov_b32 s13, exec_lo
	s_delay_alu instid0(VALU_DEP_1) | instskip(SKIP_2) | instid1(VALU_DEP_3)
	v_and_b32_e32 v16, 0x7f800000, v8
	v_and_b32_e32 v2, 0x7fffff, v8
	v_lshrrev_b32_e32 v9, 24, v8
	v_cmpx_ne_u64_e32 0x7f800000, v[16:17]
	s_xor_b32 s74, exec_lo, s13
	s_cbranch_execz .LBB2_464
; %bb.451:                              ;   in Loop: Header=BB2_132 Depth=3
	v_and_b32_e32 v16, 0x7fffffff, v8
	v_mov_b32_e32 v17, v3
                                        ; implicit-def: $vgpr63
	s_delay_alu instid0(VALU_DEP_1) | instskip(SKIP_2) | instid1(SALU_CYCLE_1)
	v_cmp_gt_u64_e32 vcc_lo, 0x47600001, v[16:17]
	v_and_b32_e32 v16, 0x80, v9
	s_and_saveexec_b32 s13, vcc_lo
	s_xor_b32 s75, exec_lo, s13
	s_cbranch_execz .LBB2_461
; %bb.452:                              ;   in Loop: Header=BB2_132 Depth=3
	v_mov_b32_e32 v63, 0
	s_mov_b32 s76, exec_lo
	v_cmpx_ne_u32_e32 0, v8
	s_cbranch_execz .LBB2_460
; %bb.453:                              ;   in Loop: Header=BB2_132 Depth=3
	v_bfe_u32 v17, v8, 23, 8
	v_or_b32_e32 v18, 0x800000, v2
	s_mov_b32 s77, exec_lo
	s_delay_alu instid0(VALU_DEP_2) | instskip(SKIP_1) | instid1(VALU_DEP_2)
	v_dual_mov_b32 v43, v3 :: v_dual_sub_nc_u32 v8, 0x71, v17
	v_cmp_gt_u32_e32 vcc_lo, 0x72, v17
	v_cndmask_b32_e32 v8, 0, v8, vcc_lo
	v_cmp_eq_u32_e32 vcc_lo, 0, v17
	s_delay_alu instid0(VALU_DEP_2) | instskip(NEXT) | instid1(VALU_DEP_1)
	v_cndmask_b32_e64 v63, v8, 0x70, vcc_lo
	v_dual_cndmask_b32 v42, v18, v2, vcc_lo :: v_dual_add_nc_u32 v8, 21, v63
	v_add_nc_u32_e32 v19, 20, v63
	s_delay_alu instid0(VALU_DEP_2) | instskip(NEXT) | instid1(VALU_DEP_2)
	v_lshlrev_b64_e64 v[8:9], v8, -1
	v_lshlrev_b64_e64 v[72:73], v19, 1
	s_delay_alu instid0(VALU_DEP_2) | instskip(NEXT) | instid1(VALU_DEP_3)
	v_bfi_b32 v75, v9, 0, 0
	v_bfi_b32 v74, v8, 0, v42
	v_lshrrev_b64 v[8:9], v63, v[42:43]
	s_delay_alu instid0(VALU_DEP_1) | instskip(NEXT) | instid1(VALU_DEP_3)
	v_mov_b64_e32 v[42:43], v[8:9]
	v_cmpx_eq_u64_e64 v[74:75], v[72:73]
; %bb.454:                              ;   in Loop: Header=BB2_132 Depth=3
	v_bfe_u32 v42, v8, 21, 1
	v_mov_b32_e32 v43, v3
	s_delay_alu instid0(VALU_DEP_1) | instskip(NEXT) | instid1(VALU_DEP_1)
	v_add_nc_u64_e32 v[42:43], v[8:9], v[42:43]
	v_add_nc_u64_e32 v[42:43], -1, v[42:43]
; %bb.455:                              ;   in Loop: Header=BB2_132 Depth=3
	s_or_b32 exec_lo, exec_lo, s77
	v_add_nc_u32_e32 v2, 0xffffff81, v17
	v_lshrrev_b32_e32 v9, 23, v8
	s_mov_b32 s13, exec_lo
                                        ; implicit-def: $vgpr17
	s_delay_alu instid0(VALU_DEP_2) | instskip(NEXT) | instid1(VALU_DEP_1)
	v_cndmask_b32_e64 v2, v2, 0xffffff82, vcc_lo
	v_add3_u32 v43, v63, v2, v9
	v_and_b32_e32 v2, 0x1fffff, v42
	s_delay_alu instid0(VALU_DEP_1) | instskip(NEXT) | instid1(VALU_DEP_1)
	v_dual_add_nc_u32 v42, 14, v43 :: v_dual_add_nc_u32 v2, v2, v8
                                        ; implicit-def: $vgpr8_vgpr9
	v_cmpx_ne_u32_e32 0, v42
	s_xor_b32 s13, exec_lo, s13
; %bb.456:                              ;   in Loop: Header=BB2_132 Depth=3
	s_delay_alu instid0(VALU_DEP_2) | instskip(SKIP_1) | instid1(VALU_DEP_1)
	v_cmp_lt_u64_e32 vcc_lo, 0xffffff, v[2:3]
	v_add_nc_u32_e32 v8, 15, v43
	v_cndmask_b32_e32 v17, v42, v8, vcc_lo
	v_cndmask_b32_e64 v8, 0, 1, vcc_lo
	s_delay_alu instid0(VALU_DEP_1)
	v_lshrrev_b64 v[8:9], v8, v[2:3]
; %bb.457:                              ;   in Loop: Header=BB2_132 Depth=3
	s_and_not1_saveexec_b32 s13, s13
; %bb.458:                              ;   in Loop: Header=BB2_132 Depth=3
	v_mov_b64_e32 v[8:9], v[2:3]
	v_bfe_u32 v17, v2, 23, 1
; %bb.459:                              ;   in Loop: Header=BB2_132 Depth=3
	s_or_b32 exec_lo, exec_lo, s13
	s_delay_alu instid0(VALU_DEP_2) | instskip(NEXT) | instid1(VALU_DEP_2)
	v_lshrrev_b64 v[8:9], 21, v[8:9]
	v_cmp_gt_i32_e32 vcc_lo, 32, v17
	v_min_i32_e32 v2, 31, v17
	v_cmp_eq_u32_e64 s13, 0, v17
	s_delay_alu instid0(VALU_DEP_2) | instskip(SKIP_1) | instid1(VALU_DEP_2)
	v_dual_cndmask_b32 v8, 3, v8, vcc_lo :: v_dual_lshlrev_b32 v2, 2, v2
	v_cndmask_b32_e32 v9, 0, v9, vcc_lo
	v_and_b32_e32 v2, 0xfc, v2
	s_delay_alu instid0(VALU_DEP_2) | instskip(NEXT) | instid1(VALU_DEP_2)
	v_cmp_eq_u64_e32 vcc_lo, 0, v[8:9]
	v_and_or_b32 v2, v8, 3, v2
	s_and_b32 s13, s13, vcc_lo
	s_delay_alu instid0(VALU_DEP_1) | instid1(SALU_CYCLE_1)
	v_cndmask_b32_e64 v2, v2, 0, s13
	s_delay_alu instid0(VALU_DEP_1)
	v_or_b32_e32 v63, v2, v16
.LBB2_460:                              ;   in Loop: Header=BB2_132 Depth=3
	s_or_b32 exec_lo, exec_lo, s76
                                        ; implicit-def: $vgpr16
.LBB2_461:                              ;   in Loop: Header=BB2_132 Depth=3
	s_and_not1_saveexec_b32 s13, s75
; %bb.462:                              ;   in Loop: Header=BB2_132 Depth=3
	v_or_b32_e32 v63, 0x7b, v16
; %bb.463:                              ;   in Loop: Header=BB2_132 Depth=3
	s_or_b32 exec_lo, exec_lo, s13
                                        ; implicit-def: $vgpr8
                                        ; implicit-def: $vgpr9
.LBB2_464:                              ;   in Loop: Header=BB2_132 Depth=3
	s_and_not1_saveexec_b32 s13, s74
	s_cbranch_execz .LBB2_470
; %bb.465:                              ;   in Loop: Header=BB2_132 Depth=3
	s_mov_b32 s74, exec_lo
                                        ; implicit-def: $vgpr63
	v_cmpx_ne_u64_e32 0, v[2:3]
	s_xor_b32 s74, exec_lo, s74
; %bb.466:                              ;   in Loop: Header=BB2_132 Depth=3
	v_or_b32_e32 v63, 0x7f, v9
                                        ; implicit-def: $vgpr8
; %bb.467:                              ;   in Loop: Header=BB2_132 Depth=3
	s_and_not1_saveexec_b32 s74, s74
; %bb.468:                              ;   in Loop: Header=BB2_132 Depth=3
	v_cmp_lt_i32_e32 vcc_lo, -1, v8
	v_cndmask_b32_e32 v63, 0xfc, v120, vcc_lo
; %bb.469:                              ;   in Loop: Header=BB2_132 Depth=3
	s_or_b32 exec_lo, exec_lo, s74
.LBB2_470:                              ;   in Loop: Header=BB2_132 Depth=3
	s_delay_alu instid0(SALU_CYCLE_1)
	s_or_b32 exec_lo, exec_lo, s13
	v_mov_b32_e32 v8, 0
	s_mov_b32 s13, exec_lo
	v_cmpx_lt_u32_e32 0xffffff, v10
	s_cbranch_execz .LBB2_480
; %bb.471:                              ;   in Loop: Header=BB2_132 Depth=3
	v_lshrrev_b32_e32 v2, 24, v10
	v_bfrev_b32_e32 v8, 1
	s_mov_b32 s74, exec_lo
	s_delay_alu instid0(VALU_DEP_2)
	v_cmpx_ne_u32_e32 0x80, v2
	s_cbranch_execz .LBB2_479
; %bb.472:                              ;   in Loop: Header=BB2_132 Depth=3
	v_and_b32_e32 v8, 0x7c000000, v10
	v_bfe_u32 v9, v10, 24, 2
	s_delay_alu instid0(VALU_DEP_2) | instskip(SKIP_1) | instid1(SALU_CYCLE_1)
	v_cmp_ne_u32_e32 vcc_lo, 0x7c000000, v8
                                        ; implicit-def: $vgpr8
	s_and_saveexec_b32 s75, vcc_lo
	s_xor_b32 s75, exec_lo, s75
	s_cbranch_execz .LBB2_476
; %bb.473:                              ;   in Loop: Header=BB2_132 Depth=3
	v_bfe_u32 v8, v10, 26, 5
	s_mov_b32 s76, exec_lo
	s_delay_alu instid0(VALU_DEP_1)
	v_cmpx_eq_u32_e32 0, v8
; %bb.474:                              ;   in Loop: Header=BB2_132 Depth=3
	v_clz_i32_u32_e32 v8, v9
	s_delay_alu instid0(VALU_DEP_1) | instskip(NEXT) | instid1(VALU_DEP_1)
	v_min_u32_e32 v8, 32, v8
	v_subrev_nc_u32_e32 v9, 29, v8
	v_sub_nc_u32_e32 v8, 30, v8
	s_delay_alu instid0(VALU_DEP_2) | instskip(NEXT) | instid1(VALU_DEP_1)
	v_lshlrev_b64_e32 v[16:17], v9, v[2:3]
	v_and_b32_e32 v9, 3, v16
; %bb.475:                              ;   in Loop: Header=BB2_132 Depth=3
	s_or_b32 exec_lo, exec_lo, s76
	v_and_b32_e32 v2, 0x80000000, v10
	s_delay_alu instid0(VALU_DEP_1) | instskip(NEXT) | instid1(VALU_DEP_1)
	v_lshl_add_u32 v2, v8, 23, v2
	v_lshl_or_b32 v2, v9, 21, v2
                                        ; implicit-def: $vgpr9
	s_delay_alu instid0(VALU_DEP_1)
	v_add_nc_u32_e32 v8, 0x38000000, v2
.LBB2_476:                              ;   in Loop: Header=BB2_132 Depth=3
	s_and_not1_saveexec_b32 s75, s75
; %bb.477:                              ;   in Loop: Header=BB2_132 Depth=3
	v_cmp_lt_i32_e32 vcc_lo, -1, v10
	v_cndmask_b32_e32 v2, 0xff800000, v111, vcc_lo
	v_cmp_eq_u32_e32 vcc_lo, 0, v9
	s_delay_alu instid0(VALU_DEP_2)
	v_cndmask_b32_e32 v8, 0x7f800001, v2, vcc_lo
; %bb.478:                              ;   in Loop: Header=BB2_132 Depth=3
	s_or_b32 exec_lo, exec_lo, s75
.LBB2_479:                              ;   in Loop: Header=BB2_132 Depth=3
	s_delay_alu instid0(SALU_CYCLE_1)
	s_or_b32 exec_lo, exec_lo, s74
.LBB2_480:                              ;   in Loop: Header=BB2_132 Depth=3
	s_delay_alu instid0(SALU_CYCLE_1) | instskip(NEXT) | instid1(VALU_DEP_1)
	s_or_b32 exec_lo, exec_lo, s13
	v_dual_mul_f32 v8, s73, v8 :: v_dual_mov_b32 v17, v3
                                        ; implicit-def: $vgpr72
	s_mov_b32 s13, exec_lo
	s_delay_alu instid0(VALU_DEP_1) | instskip(SKIP_2) | instid1(VALU_DEP_3)
	v_and_b32_e32 v16, 0x7f800000, v8
	v_and_b32_e32 v2, 0x7fffff, v8
	v_lshrrev_b32_e32 v9, 24, v8
	v_cmpx_ne_u64_e32 0x7f800000, v[16:17]
	s_xor_b32 s74, exec_lo, s13
	s_cbranch_execz .LBB2_494
; %bb.481:                              ;   in Loop: Header=BB2_132 Depth=3
	v_and_b32_e32 v16, 0x7fffffff, v8
	v_mov_b32_e32 v17, v3
                                        ; implicit-def: $vgpr72
	s_delay_alu instid0(VALU_DEP_1) | instskip(SKIP_2) | instid1(SALU_CYCLE_1)
	v_cmp_gt_u64_e32 vcc_lo, 0x47600001, v[16:17]
	v_and_b32_e32 v16, 0x80, v9
	s_and_saveexec_b32 s13, vcc_lo
	s_xor_b32 s75, exec_lo, s13
	s_cbranch_execz .LBB2_491
; %bb.482:                              ;   in Loop: Header=BB2_132 Depth=3
	v_mov_b32_e32 v72, 0
	s_mov_b32 s76, exec_lo
	v_cmpx_ne_u32_e32 0, v8
	s_cbranch_execz .LBB2_490
; %bb.483:                              ;   in Loop: Header=BB2_132 Depth=3
	v_bfe_u32 v17, v8, 23, 8
	v_or_b32_e32 v18, 0x800000, v2
	s_mov_b32 s77, exec_lo
	s_delay_alu instid0(VALU_DEP_2) | instskip(SKIP_1) | instid1(VALU_DEP_2)
	v_dual_mov_b32 v43, v3 :: v_dual_sub_nc_u32 v8, 0x71, v17
	v_cmp_gt_u32_e32 vcc_lo, 0x72, v17
	v_cndmask_b32_e32 v8, 0, v8, vcc_lo
	v_cmp_eq_u32_e32 vcc_lo, 0, v17
	v_cndmask_b32_e32 v42, v18, v2, vcc_lo
	s_delay_alu instid0(VALU_DEP_3) | instskip(NEXT) | instid1(VALU_DEP_1)
	v_cndmask_b32_e64 v72, v8, 0x70, vcc_lo
	v_dual_add_nc_u32 v8, 21, v72 :: v_dual_add_nc_u32 v19, 20, v72
	s_delay_alu instid0(VALU_DEP_1) | instskip(NEXT) | instid1(VALU_DEP_2)
	v_lshlrev_b64_e64 v[8:9], v8, -1
	v_lshlrev_b64_e64 v[74:75], v19, 1
	s_delay_alu instid0(VALU_DEP_2) | instskip(NEXT) | instid1(VALU_DEP_3)
	v_bfi_b32 v77, v9, 0, 0
	v_bfi_b32 v76, v8, 0, v42
	v_lshrrev_b64 v[8:9], v72, v[42:43]
	s_delay_alu instid0(VALU_DEP_1) | instskip(NEXT) | instid1(VALU_DEP_3)
	v_mov_b64_e32 v[42:43], v[8:9]
	v_cmpx_eq_u64_e64 v[76:77], v[74:75]
; %bb.484:                              ;   in Loop: Header=BB2_132 Depth=3
	v_bfe_u32 v42, v8, 21, 1
	v_mov_b32_e32 v43, v3
	s_delay_alu instid0(VALU_DEP_1) | instskip(NEXT) | instid1(VALU_DEP_1)
	v_add_nc_u64_e32 v[42:43], v[8:9], v[42:43]
	v_add_nc_u64_e32 v[42:43], -1, v[42:43]
; %bb.485:                              ;   in Loop: Header=BB2_132 Depth=3
	s_or_b32 exec_lo, exec_lo, s77
	v_add_nc_u32_e32 v2, 0xffffff81, v17
	v_lshrrev_b32_e32 v9, 23, v8
	s_mov_b32 s13, exec_lo
                                        ; implicit-def: $vgpr17
	s_delay_alu instid0(VALU_DEP_2) | instskip(NEXT) | instid1(VALU_DEP_1)
	v_cndmask_b32_e64 v2, v2, 0xffffff82, vcc_lo
	v_add3_u32 v43, v72, v2, v9
	v_and_b32_e32 v2, 0x1fffff, v42
	s_delay_alu instid0(VALU_DEP_1) | instskip(NEXT) | instid1(VALU_DEP_1)
	v_dual_add_nc_u32 v42, 14, v43 :: v_dual_add_nc_u32 v2, v2, v8
                                        ; implicit-def: $vgpr8_vgpr9
	v_cmpx_ne_u32_e32 0, v42
	s_xor_b32 s13, exec_lo, s13
; %bb.486:                              ;   in Loop: Header=BB2_132 Depth=3
	s_delay_alu instid0(VALU_DEP_2) | instskip(SKIP_1) | instid1(VALU_DEP_1)
	v_cmp_lt_u64_e32 vcc_lo, 0xffffff, v[2:3]
	v_add_nc_u32_e32 v8, 15, v43
	v_cndmask_b32_e32 v17, v42, v8, vcc_lo
	v_cndmask_b32_e64 v8, 0, 1, vcc_lo
	s_delay_alu instid0(VALU_DEP_1)
	v_lshrrev_b64 v[8:9], v8, v[2:3]
; %bb.487:                              ;   in Loop: Header=BB2_132 Depth=3
	s_and_not1_saveexec_b32 s13, s13
; %bb.488:                              ;   in Loop: Header=BB2_132 Depth=3
	v_mov_b64_e32 v[8:9], v[2:3]
	v_bfe_u32 v17, v2, 23, 1
; %bb.489:                              ;   in Loop: Header=BB2_132 Depth=3
	s_or_b32 exec_lo, exec_lo, s13
	s_delay_alu instid0(VALU_DEP_2) | instskip(NEXT) | instid1(VALU_DEP_2)
	v_lshrrev_b64 v[8:9], 21, v[8:9]
	v_cmp_gt_i32_e32 vcc_lo, 32, v17
	v_min_i32_e32 v2, 31, v17
	v_cmp_eq_u32_e64 s13, 0, v17
	s_delay_alu instid0(VALU_DEP_2) | instskip(SKIP_1) | instid1(VALU_DEP_2)
	v_dual_cndmask_b32 v8, 3, v8, vcc_lo :: v_dual_lshlrev_b32 v2, 2, v2
	v_cndmask_b32_e32 v9, 0, v9, vcc_lo
	v_and_b32_e32 v2, 0xfc, v2
	s_delay_alu instid0(VALU_DEP_2) | instskip(NEXT) | instid1(VALU_DEP_2)
	v_cmp_eq_u64_e32 vcc_lo, 0, v[8:9]
	v_and_or_b32 v2, v8, 3, v2
	s_and_b32 s13, s13, vcc_lo
	s_delay_alu instid0(VALU_DEP_1) | instid1(SALU_CYCLE_1)
	v_cndmask_b32_e64 v2, v2, 0, s13
	s_delay_alu instid0(VALU_DEP_1)
	v_or_b32_e32 v72, v2, v16
.LBB2_490:                              ;   in Loop: Header=BB2_132 Depth=3
	s_or_b32 exec_lo, exec_lo, s76
                                        ; implicit-def: $vgpr16
.LBB2_491:                              ;   in Loop: Header=BB2_132 Depth=3
	s_and_not1_saveexec_b32 s13, s75
; %bb.492:                              ;   in Loop: Header=BB2_132 Depth=3
	v_or_b32_e32 v72, 0x7b, v16
; %bb.493:                              ;   in Loop: Header=BB2_132 Depth=3
	s_or_b32 exec_lo, exec_lo, s13
                                        ; implicit-def: $vgpr8
                                        ; implicit-def: $vgpr9
.LBB2_494:                              ;   in Loop: Header=BB2_132 Depth=3
	s_and_not1_saveexec_b32 s13, s74
	s_cbranch_execz .LBB2_500
; %bb.495:                              ;   in Loop: Header=BB2_132 Depth=3
	s_mov_b32 s74, exec_lo
                                        ; implicit-def: $vgpr72
	v_cmpx_ne_u64_e32 0, v[2:3]
	s_xor_b32 s74, exec_lo, s74
; %bb.496:                              ;   in Loop: Header=BB2_132 Depth=3
	v_or_b32_e32 v72, 0x7f, v9
                                        ; implicit-def: $vgpr8
; %bb.497:                              ;   in Loop: Header=BB2_132 Depth=3
	s_and_not1_saveexec_b32 s74, s74
; %bb.498:                              ;   in Loop: Header=BB2_132 Depth=3
	v_cmp_lt_i32_e32 vcc_lo, -1, v8
	v_cndmask_b32_e32 v72, 0xfc, v120, vcc_lo
; %bb.499:                              ;   in Loop: Header=BB2_132 Depth=3
	s_or_b32 exec_lo, exec_lo, s74
.LBB2_500:                              ;   in Loop: Header=BB2_132 Depth=3
	s_delay_alu instid0(SALU_CYCLE_1) | instskip(SKIP_3) | instid1(VALU_DEP_2)
	s_or_b32 exec_lo, exec_lo, s13
	v_and_b32_e32 v9, 0xff, v11
	v_dual_mov_b32 v2, v11 :: v_dual_mov_b32 v8, 0
	s_mov_b32 s13, exec_lo
	v_cmpx_ne_u16_e32 0, v9
	s_cbranch_execz .LBB2_510
; %bb.501:                              ;   in Loop: Header=BB2_132 Depth=3
	v_bfrev_b32_e32 v8, 1
	s_mov_b32 s74, exec_lo
	v_cmpx_ne_u16_e32 0x80, v9
	s_cbranch_execz .LBB2_509
; %bb.502:                              ;   in Loop: Header=BB2_132 Depth=3
	v_and_b32_e32 v8, 0x7c, v11
	v_and_b32_e32 v9, 3, v11
	s_delay_alu instid0(VALU_DEP_2) | instskip(SKIP_1) | instid1(SALU_CYCLE_1)
	v_cmp_ne_u32_e32 vcc_lo, 0x7c, v8
                                        ; implicit-def: $vgpr8
	s_and_saveexec_b32 s75, vcc_lo
	s_xor_b32 s75, exec_lo, s75
	s_cbranch_execz .LBB2_506
; %bb.503:                              ;   in Loop: Header=BB2_132 Depth=3
	v_bfe_u32 v8, v11, 2, 5
	s_mov_b32 s76, exec_lo
	s_delay_alu instid0(VALU_DEP_1)
	v_cmpx_eq_u32_e32 0, v8
; %bb.504:                              ;   in Loop: Header=BB2_132 Depth=3
	v_clz_i32_u32_e32 v8, v9
	s_delay_alu instid0(VALU_DEP_1) | instskip(NEXT) | instid1(VALU_DEP_1)
	v_min_u32_e32 v8, 32, v8
	v_subrev_nc_u32_e32 v9, 29, v8
	v_sub_nc_u32_e32 v8, 30, v8
	s_delay_alu instid0(VALU_DEP_2) | instskip(NEXT) | instid1(VALU_DEP_1)
	v_lshlrev_b64_e32 v[16:17], v9, v[2:3]
	v_and_b32_e32 v9, 3, v16
; %bb.505:                              ;   in Loop: Header=BB2_132 Depth=3
	s_or_b32 exec_lo, exec_lo, s76
	v_lshlrev_b32_e32 v16, 24, v11
	s_delay_alu instid0(VALU_DEP_1) | instskip(NEXT) | instid1(VALU_DEP_1)
	v_and_b32_e32 v16, 0x80000000, v16
	v_lshl_add_u32 v8, v8, 23, v16
	s_delay_alu instid0(VALU_DEP_1) | instskip(NEXT) | instid1(VALU_DEP_1)
	v_lshl_or_b32 v8, v9, 21, v8
                                        ; implicit-def: $vgpr9
	v_add_nc_u32_e32 v8, 0x38000000, v8
.LBB2_506:                              ;   in Loop: Header=BB2_132 Depth=3
	s_and_not1_saveexec_b32 s75, s75
; %bb.507:                              ;   in Loop: Header=BB2_132 Depth=3
	v_bfe_i32 v8, v11, 0, 8
	s_delay_alu instid0(VALU_DEP_1) | instskip(SKIP_2) | instid1(VALU_DEP_2)
	v_cmp_lt_i16_e32 vcc_lo, -1, v8
	v_cndmask_b32_e32 v8, 0xff800000, v111, vcc_lo
	v_cmp_eq_u32_e32 vcc_lo, 0, v9
	v_cndmask_b32_e32 v8, 0x7f800001, v8, vcc_lo
; %bb.508:                              ;   in Loop: Header=BB2_132 Depth=3
	s_or_b32 exec_lo, exec_lo, s75
.LBB2_509:                              ;   in Loop: Header=BB2_132 Depth=3
	s_delay_alu instid0(SALU_CYCLE_1)
	s_or_b32 exec_lo, exec_lo, s74
.LBB2_510:                              ;   in Loop: Header=BB2_132 Depth=3
	s_delay_alu instid0(SALU_CYCLE_1) | instskip(NEXT) | instid1(VALU_DEP_1)
	s_or_b32 exec_lo, exec_lo, s13
	v_dual_mul_f32 v42, s73, v8 :: v_dual_mov_b32 v17, v3
	v_mov_b32_e32 v9, v3
	s_delay_alu instid0(VALU_DEP_2) | instskip(SKIP_1) | instid1(VALU_DEP_2)
	v_and_b32_e32 v16, 0x7f800000, v42
	v_and_b32_e32 v8, 0x7fffff, v42
	v_cmp_ne_u64_e32 vcc_lo, 0x7f800000, v[16:17]
	v_lshrrev_b32_e32 v17, 24, v42
                                        ; implicit-def: $vgpr16
	s_and_saveexec_b32 s13, vcc_lo
	s_delay_alu instid0(SALU_CYCLE_1)
	s_xor_b32 s74, exec_lo, s13
	s_cbranch_execz .LBB2_524
; %bb.511:                              ;   in Loop: Header=BB2_132 Depth=3
	v_and_b32_e32 v74, 0x7fffffff, v42
	v_mov_b32_e32 v75, v3
	v_and_b32_e32 v17, 0x80, v17
                                        ; implicit-def: $vgpr16
	s_mov_b32 s13, exec_lo
	s_delay_alu instid0(VALU_DEP_2)
	v_cmpx_gt_u64_e32 0x47600001, v[74:75]
	s_xor_b32 s75, exec_lo, s13
	s_cbranch_execz .LBB2_521
; %bb.512:                              ;   in Loop: Header=BB2_132 Depth=3
	v_mov_b32_e32 v16, 0
	s_mov_b32 s76, exec_lo
	v_cmpx_ne_u32_e32 0, v42
	s_cbranch_execz .LBB2_520
; %bb.513:                              ;   in Loop: Header=BB2_132 Depth=3
	v_bfe_u32 v16, v42, 23, 8
	v_or_b32_e32 v19, 0x800000, v8
	s_delay_alu instid0(VALU_DEP_2) | instskip(SKIP_1) | instid1(VALU_DEP_2)
	v_sub_nc_u32_e32 v18, 0x71, v16
	v_cmp_gt_u32_e32 vcc_lo, 0x72, v16
	v_cndmask_b32_e32 v18, 0, v18, vcc_lo
	v_cmp_eq_u32_e32 vcc_lo, 0, v16
	v_cndmask_b32_e32 v8, v19, v8, vcc_lo
	s_delay_alu instid0(VALU_DEP_3) | instskip(NEXT) | instid1(VALU_DEP_1)
	v_cndmask_b32_e64 v73, v18, 0x70, vcc_lo
	v_add_nc_u32_e32 v18, 21, v73
	s_delay_alu instid0(VALU_DEP_1) | instskip(SKIP_1) | instid1(VALU_DEP_1)
	v_lshlrev_b64_e64 v[42:43], v18, -1
	v_add_nc_u32_e32 v18, 20, v73
	v_lshlrev_b64_e64 v[74:75], v18, 1
	s_delay_alu instid0(VALU_DEP_3) | instskip(SKIP_2) | instid1(VALU_DEP_1)
	v_bfi_b32 v42, v42, 0, v8
	v_lshrrev_b64 v[8:9], v73, v[8:9]
	v_bfi_b32 v43, v43, 0, 0
	v_cmp_eq_u64_e64 s13, v[42:43], v[74:75]
	s_delay_alu instid0(VALU_DEP_3)
	v_mov_b64_e32 v[42:43], v[8:9]
	s_and_saveexec_b32 s77, s13
; %bb.514:                              ;   in Loop: Header=BB2_132 Depth=3
	v_bfe_u32 v42, v8, 21, 1
	v_mov_b32_e32 v43, v3
	s_delay_alu instid0(VALU_DEP_1) | instskip(NEXT) | instid1(VALU_DEP_1)
	v_add_nc_u64_e32 v[42:43], v[8:9], v[42:43]
	v_add_nc_u64_e32 v[42:43], -1, v[42:43]
; %bb.515:                              ;   in Loop: Header=BB2_132 Depth=3
	s_or_b32 exec_lo, exec_lo, s77
	v_add_nc_u32_e32 v9, 0xffffff81, v16
	v_lshrrev_b32_e32 v16, 23, v8
	s_mov_b32 s13, exec_lo
	s_delay_alu instid0(VALU_DEP_2) | instskip(NEXT) | instid1(VALU_DEP_1)
	v_cndmask_b32_e64 v9, v9, 0xffffff82, vcc_lo
	v_add3_u32 v43, v73, v9, v16
	v_and_b32_e32 v9, 0x1fffff, v42
                                        ; implicit-def: $vgpr16
	s_delay_alu instid0(VALU_DEP_1) | instskip(SKIP_1) | instid1(VALU_DEP_2)
	v_dual_add_nc_u32 v42, 14, v43 :: v_dual_add_nc_u32 v8, v9, v8
	v_mov_b32_e32 v9, v3
	v_cmpx_ne_u32_e32 0, v42
	s_xor_b32 s13, exec_lo, s13
; %bb.516:                              ;   in Loop: Header=BB2_132 Depth=3
	s_delay_alu instid0(VALU_DEP_2) | instskip(SKIP_2) | instid1(VALU_DEP_2)
	v_cmp_lt_u64_e32 vcc_lo, 0xffffff, v[8:9]
	v_add_nc_u32_e32 v16, 15, v43
	v_cndmask_b32_e64 v18, 0, 1, vcc_lo
	v_cndmask_b32_e32 v16, v42, v16, vcc_lo
	s_delay_alu instid0(VALU_DEP_2)
	v_lshrrev_b64 v[8:9], v18, v[8:9]
; %bb.517:                              ;   in Loop: Header=BB2_132 Depth=3
	s_and_not1_saveexec_b32 s13, s13
; %bb.518:                              ;   in Loop: Header=BB2_132 Depth=3
	s_delay_alu instid0(VALU_DEP_1)
	v_bfe_u32 v16, v8, 23, 1
; %bb.519:                              ;   in Loop: Header=BB2_132 Depth=3
	s_or_b32 exec_lo, exec_lo, s13
	s_delay_alu instid0(VALU_DEP_2) | instskip(NEXT) | instid1(VALU_DEP_2)
	v_lshrrev_b64 v[8:9], 21, v[8:9]
	v_cmp_gt_i32_e32 vcc_lo, 32, v16
	v_min_i32_e32 v18, 31, v16
	v_cmp_eq_u32_e64 s13, 0, v16
	s_delay_alu instid0(VALU_DEP_2) | instskip(SKIP_1) | instid1(VALU_DEP_2)
	v_dual_cndmask_b32 v9, 0, v9 :: v_dual_lshlrev_b32 v18, 2, v18
	v_cndmask_b32_e32 v8, 3, v8, vcc_lo
	v_and_b32_e32 v18, 0xfc, v18
	s_delay_alu instid0(VALU_DEP_2) | instskip(NEXT) | instid1(VALU_DEP_2)
	v_cmp_eq_u64_e32 vcc_lo, 0, v[8:9]
	v_and_or_b32 v8, v8, 3, v18
	s_and_b32 s13, s13, vcc_lo
	s_delay_alu instid0(VALU_DEP_1) | instid1(SALU_CYCLE_1)
	v_cndmask_b32_e64 v8, v8, 0, s13
	s_delay_alu instid0(VALU_DEP_1)
	v_or_b32_e32 v16, v8, v17
.LBB2_520:                              ;   in Loop: Header=BB2_132 Depth=3
	s_or_b32 exec_lo, exec_lo, s76
                                        ; implicit-def: $vgpr17
.LBB2_521:                              ;   in Loop: Header=BB2_132 Depth=3
	s_and_not1_saveexec_b32 s13, s75
; %bb.522:                              ;   in Loop: Header=BB2_132 Depth=3
	v_or_b32_e32 v16, 0x7b, v17
; %bb.523:                              ;   in Loop: Header=BB2_132 Depth=3
	s_or_b32 exec_lo, exec_lo, s13
                                        ; implicit-def: $vgpr42
                                        ; implicit-def: $vgpr8_vgpr9
                                        ; implicit-def: $vgpr17
.LBB2_524:                              ;   in Loop: Header=BB2_132 Depth=3
	s_and_not1_saveexec_b32 s13, s74
	s_cbranch_execz .LBB2_530
; %bb.525:                              ;   in Loop: Header=BB2_132 Depth=3
	s_mov_b32 s74, exec_lo
                                        ; implicit-def: $vgpr16
	v_cmpx_ne_u64_e32 0, v[8:9]
	s_xor_b32 s74, exec_lo, s74
; %bb.526:                              ;   in Loop: Header=BB2_132 Depth=3
	v_or_b32_e32 v16, 0x7f, v17
                                        ; implicit-def: $vgpr42
; %bb.527:                              ;   in Loop: Header=BB2_132 Depth=3
	s_and_not1_saveexec_b32 s74, s74
; %bb.528:                              ;   in Loop: Header=BB2_132 Depth=3
	v_cmp_lt_i32_e32 vcc_lo, -1, v42
	v_cndmask_b32_e32 v16, 0xfc, v120, vcc_lo
; %bb.529:                              ;   in Loop: Header=BB2_132 Depth=3
	s_or_b32 exec_lo, exec_lo, s74
.LBB2_530:                              ;   in Loop: Header=BB2_132 Depth=3
	s_delay_alu instid0(SALU_CYCLE_1) | instskip(SKIP_3) | instid1(VALU_DEP_2)
	s_or_b32 exec_lo, exec_lo, s13
	v_lshrrev_b16 v8, 8, v2
	v_mov_b32_e32 v17, 0
	s_mov_b32 s13, exec_lo
	v_cmpx_ne_u16_e32 0, v8
	s_cbranch_execz .LBB2_540
; %bb.531:                              ;   in Loop: Header=BB2_132 Depth=3
	v_bfrev_b32_e32 v17, 1
	s_mov_b32 s74, exec_lo
	v_cmpx_ne_u16_e32 0x80, v8
	s_cbranch_execz .LBB2_539
; %bb.532:                              ;   in Loop: Header=BB2_132 Depth=3
	v_and_b32_e32 v42, 0xffff, v8
	s_delay_alu instid0(VALU_DEP_1) | instskip(SKIP_1) | instid1(VALU_DEP_2)
	v_and_b32_e32 v17, 0x7c, v42
	v_and_b32_e32 v9, 3, v42
	v_cmp_ne_u32_e32 vcc_lo, 0x7c, v17
                                        ; implicit-def: $vgpr17
	s_and_saveexec_b32 s75, vcc_lo
	s_delay_alu instid0(SALU_CYCLE_1)
	s_xor_b32 s75, exec_lo, s75
	s_cbranch_execz .LBB2_536
; %bb.533:                              ;   in Loop: Header=BB2_132 Depth=3
	v_bfe_u32 v17, v42, 2, 5
	s_mov_b32 s76, exec_lo
	s_delay_alu instid0(VALU_DEP_1)
	v_cmpx_eq_u32_e32 0, v17
	s_cbranch_execz .LBB2_535
; %bb.534:                              ;   in Loop: Header=BB2_132 Depth=3
	v_clz_i32_u32_e32 v9, v9
	s_delay_alu instid0(VALU_DEP_1) | instskip(SKIP_1) | instid1(VALU_DEP_2)
	v_min_u32_e32 v17, 32, v9
	v_mov_b32_e32 v9, v3
	v_subrev_nc_u32_e32 v18, 29, v17
	v_sub_nc_u32_e32 v17, 30, v17
	s_delay_alu instid0(VALU_DEP_2) | instskip(NEXT) | instid1(VALU_DEP_1)
	v_lshlrev_b64_e32 v[8:9], v18, v[8:9]
	v_and_b32_e32 v9, 3, v8
.LBB2_535:                              ;   in Loop: Header=BB2_132 Depth=3
	s_or_b32 exec_lo, exec_lo, s76
	v_lshlrev_b32_e32 v2, 16, v2
	s_delay_alu instid0(VALU_DEP_1) | instskip(NEXT) | instid1(VALU_DEP_1)
	v_and_b32_e32 v2, 0x80000000, v2
	v_lshl_add_u32 v2, v17, 23, v2
	s_delay_alu instid0(VALU_DEP_1) | instskip(NEXT) | instid1(VALU_DEP_1)
	v_lshl_or_b32 v2, v9, 21, v2
                                        ; implicit-def: $vgpr9
	v_add_nc_u32_e32 v17, 0x38000000, v2
.LBB2_536:                              ;   in Loop: Header=BB2_132 Depth=3
	s_and_not1_saveexec_b32 s75, s75
; %bb.537:                              ;   in Loop: Header=BB2_132 Depth=3
	v_cmp_lt_i16_e32 vcc_lo, -1, v2
	v_cndmask_b32_e32 v2, 0xff800000, v111, vcc_lo
	v_cmp_eq_u32_e32 vcc_lo, 0, v9
	s_delay_alu instid0(VALU_DEP_2)
	v_cndmask_b32_e32 v17, 0x7f800001, v2, vcc_lo
; %bb.538:                              ;   in Loop: Header=BB2_132 Depth=3
	s_or_b32 exec_lo, exec_lo, s75
.LBB2_539:                              ;   in Loop: Header=BB2_132 Depth=3
	s_delay_alu instid0(SALU_CYCLE_1)
	s_or_b32 exec_lo, exec_lo, s74
.LBB2_540:                              ;   in Loop: Header=BB2_132 Depth=3
	s_delay_alu instid0(SALU_CYCLE_1) | instskip(NEXT) | instid1(VALU_DEP_1)
	s_or_b32 exec_lo, exec_lo, s13
	v_dual_mul_f32 v8, s73, v17 :: v_dual_mov_b32 v43, v3
                                        ; implicit-def: $vgpr17
	s_mov_b32 s13, exec_lo
	s_delay_alu instid0(VALU_DEP_1) | instskip(SKIP_2) | instid1(VALU_DEP_3)
	v_and_b32_e32 v42, 0x7f800000, v8
	v_and_b32_e32 v2, 0x7fffff, v8
	v_lshrrev_b32_e32 v9, 24, v8
	v_cmpx_ne_u64_e32 0x7f800000, v[42:43]
	s_xor_b32 s74, exec_lo, s13
	s_cbranch_execz .LBB2_554
; %bb.541:                              ;   in Loop: Header=BB2_132 Depth=3
	v_and_b32_e32 v42, 0x7fffffff, v8
	v_mov_b32_e32 v43, v3
	v_and_b32_e32 v73, 0x80, v9
                                        ; implicit-def: $vgpr17
	s_mov_b32 s13, exec_lo
	s_delay_alu instid0(VALU_DEP_2)
	v_cmpx_gt_u64_e32 0x47600001, v[42:43]
	s_xor_b32 s75, exec_lo, s13
	s_cbranch_execz .LBB2_551
; %bb.542:                              ;   in Loop: Header=BB2_132 Depth=3
	v_mov_b32_e32 v17, 0
	s_mov_b32 s76, exec_lo
	v_cmpx_ne_u32_e32 0, v8
	s_cbranch_execz .LBB2_550
; %bb.543:                              ;   in Loop: Header=BB2_132 Depth=3
	v_bfe_u32 v17, v8, 23, 8
	v_or_b32_e32 v18, 0x800000, v2
	s_mov_b32 s77, exec_lo
	s_delay_alu instid0(VALU_DEP_2) | instskip(SKIP_1) | instid1(VALU_DEP_2)
	v_dual_mov_b32 v43, v3 :: v_dual_sub_nc_u32 v8, 0x71, v17
	v_cmp_gt_u32_e32 vcc_lo, 0x72, v17
	v_cndmask_b32_e32 v8, 0, v8, vcc_lo
	v_cmp_eq_u32_e32 vcc_lo, 0, v17
	s_delay_alu instid0(VALU_DEP_2) | instskip(SKIP_1) | instid1(VALU_DEP_2)
	v_cndmask_b32_e64 v74, v8, 0x70, vcc_lo
	v_cndmask_b32_e32 v42, v18, v2, vcc_lo
	v_dual_add_nc_u32 v8, 21, v74 :: v_dual_add_nc_u32 v19, 20, v74
	s_delay_alu instid0(VALU_DEP_1) | instskip(NEXT) | instid1(VALU_DEP_2)
	v_lshlrev_b64_e64 v[8:9], v8, -1
	v_lshlrev_b64_e64 v[76:77], v19, 1
	s_delay_alu instid0(VALU_DEP_2) | instskip(NEXT) | instid1(VALU_DEP_3)
	v_bfi_b32 v79, v9, 0, 0
	v_bfi_b32 v78, v8, 0, v42
	v_lshrrev_b64 v[8:9], v74, v[42:43]
	s_delay_alu instid0(VALU_DEP_1) | instskip(NEXT) | instid1(VALU_DEP_3)
	v_mov_b64_e32 v[42:43], v[8:9]
	v_cmpx_eq_u64_e64 v[78:79], v[76:77]
; %bb.544:                              ;   in Loop: Header=BB2_132 Depth=3
	v_bfe_u32 v42, v8, 21, 1
	v_mov_b32_e32 v43, v3
	s_delay_alu instid0(VALU_DEP_1) | instskip(NEXT) | instid1(VALU_DEP_1)
	v_add_nc_u64_e32 v[42:43], v[8:9], v[42:43]
	v_add_nc_u64_e32 v[42:43], -1, v[42:43]
; %bb.545:                              ;   in Loop: Header=BB2_132 Depth=3
	s_or_b32 exec_lo, exec_lo, s77
	v_add_nc_u32_e32 v2, 0xffffff81, v17
	v_lshrrev_b32_e32 v9, 23, v8
	s_mov_b32 s13, exec_lo
                                        ; implicit-def: $vgpr17
	s_delay_alu instid0(VALU_DEP_2) | instskip(NEXT) | instid1(VALU_DEP_1)
	v_cndmask_b32_e64 v2, v2, 0xffffff82, vcc_lo
	v_add3_u32 v43, v74, v2, v9
	v_and_b32_e32 v2, 0x1fffff, v42
	s_delay_alu instid0(VALU_DEP_1) | instskip(NEXT) | instid1(VALU_DEP_1)
	v_dual_add_nc_u32 v42, 14, v43 :: v_dual_add_nc_u32 v2, v2, v8
                                        ; implicit-def: $vgpr8_vgpr9
	v_cmpx_ne_u32_e32 0, v42
	s_xor_b32 s13, exec_lo, s13
; %bb.546:                              ;   in Loop: Header=BB2_132 Depth=3
	s_delay_alu instid0(VALU_DEP_2) | instskip(SKIP_1) | instid1(VALU_DEP_1)
	v_cmp_lt_u64_e32 vcc_lo, 0xffffff, v[2:3]
	v_add_nc_u32_e32 v8, 15, v43
	v_cndmask_b32_e32 v17, v42, v8, vcc_lo
	v_cndmask_b32_e64 v8, 0, 1, vcc_lo
	s_delay_alu instid0(VALU_DEP_1)
	v_lshrrev_b64 v[8:9], v8, v[2:3]
; %bb.547:                              ;   in Loop: Header=BB2_132 Depth=3
	s_and_not1_saveexec_b32 s13, s13
; %bb.548:                              ;   in Loop: Header=BB2_132 Depth=3
	v_mov_b64_e32 v[8:9], v[2:3]
	v_bfe_u32 v17, v2, 23, 1
; %bb.549:                              ;   in Loop: Header=BB2_132 Depth=3
	s_or_b32 exec_lo, exec_lo, s13
	s_delay_alu instid0(VALU_DEP_2) | instskip(NEXT) | instid1(VALU_DEP_2)
	v_lshrrev_b64 v[8:9], 21, v[8:9]
	v_cmp_gt_i32_e32 vcc_lo, 32, v17
	v_min_i32_e32 v2, 31, v17
	v_cmp_eq_u32_e64 s13, 0, v17
	s_delay_alu instid0(VALU_DEP_2) | instskip(SKIP_1) | instid1(VALU_DEP_2)
	v_dual_cndmask_b32 v8, 3, v8, vcc_lo :: v_dual_lshlrev_b32 v2, 2, v2
	v_cndmask_b32_e32 v9, 0, v9, vcc_lo
	v_and_b32_e32 v2, 0xfc, v2
	s_delay_alu instid0(VALU_DEP_2) | instskip(NEXT) | instid1(VALU_DEP_2)
	v_cmp_eq_u64_e32 vcc_lo, 0, v[8:9]
	v_and_or_b32 v2, v8, 3, v2
	s_and_b32 s13, s13, vcc_lo
	s_delay_alu instid0(VALU_DEP_1) | instid1(SALU_CYCLE_1)
	v_cndmask_b32_e64 v2, v2, 0, s13
	s_delay_alu instid0(VALU_DEP_1)
	v_or_b32_e32 v17, v2, v73
.LBB2_550:                              ;   in Loop: Header=BB2_132 Depth=3
	s_or_b32 exec_lo, exec_lo, s76
                                        ; implicit-def: $vgpr73
.LBB2_551:                              ;   in Loop: Header=BB2_132 Depth=3
	s_and_not1_saveexec_b32 s13, s75
; %bb.552:                              ;   in Loop: Header=BB2_132 Depth=3
	v_or_b32_e32 v17, 0x7b, v73
; %bb.553:                              ;   in Loop: Header=BB2_132 Depth=3
	s_or_b32 exec_lo, exec_lo, s13
                                        ; implicit-def: $vgpr8
                                        ; implicit-def: $vgpr9
.LBB2_554:                              ;   in Loop: Header=BB2_132 Depth=3
	s_and_not1_saveexec_b32 s13, s74
	s_cbranch_execz .LBB2_560
; %bb.555:                              ;   in Loop: Header=BB2_132 Depth=3
	s_mov_b32 s74, exec_lo
                                        ; implicit-def: $vgpr17
	v_cmpx_ne_u64_e32 0, v[2:3]
	s_xor_b32 s74, exec_lo, s74
; %bb.556:                              ;   in Loop: Header=BB2_132 Depth=3
	v_or_b32_e32 v17, 0x7f, v9
                                        ; implicit-def: $vgpr8
; %bb.557:                              ;   in Loop: Header=BB2_132 Depth=3
	s_and_not1_saveexec_b32 s74, s74
; %bb.558:                              ;   in Loop: Header=BB2_132 Depth=3
	v_cmp_lt_i32_e32 vcc_lo, -1, v8
	v_cndmask_b32_e32 v17, 0xfc, v120, vcc_lo
; %bb.559:                              ;   in Loop: Header=BB2_132 Depth=3
	s_or_b32 exec_lo, exec_lo, s74
.LBB2_560:                              ;   in Loop: Header=BB2_132 Depth=3
	s_delay_alu instid0(SALU_CYCLE_1) | instskip(SKIP_2) | instid1(VALU_DEP_1)
	s_or_b32 exec_lo, exec_lo, s13
	v_dual_lshrrev_b32 v2, 16, v11 :: v_dual_mov_b32 v8, 0
	s_mov_b32 s13, exec_lo
	v_and_b32_e32 v9, 0xff, v2
	s_delay_alu instid0(VALU_DEP_1)
	v_cmpx_ne_u16_e32 0, v9
	s_cbranch_execz .LBB2_570
; %bb.561:                              ;   in Loop: Header=BB2_132 Depth=3
	v_bfrev_b32_e32 v8, 1
	s_mov_b32 s74, exec_lo
	v_cmpx_ne_u16_e32 0x80, v9
	s_cbranch_execz .LBB2_569
; %bb.562:                              ;   in Loop: Header=BB2_132 Depth=3
	v_and_b32_e32 v8, 0x7c0000, v11
	v_bfe_u32 v9, v11, 16, 2
	s_delay_alu instid0(VALU_DEP_2) | instskip(SKIP_1) | instid1(SALU_CYCLE_1)
	v_cmp_ne_u32_e32 vcc_lo, 0x7c0000, v8
                                        ; implicit-def: $vgpr8
	s_and_saveexec_b32 s75, vcc_lo
	s_xor_b32 s75, exec_lo, s75
	s_cbranch_execz .LBB2_566
; %bb.563:                              ;   in Loop: Header=BB2_132 Depth=3
	v_bfe_u32 v8, v11, 18, 5
	s_mov_b32 s76, exec_lo
	s_delay_alu instid0(VALU_DEP_1)
	v_cmpx_eq_u32_e32 0, v8
; %bb.564:                              ;   in Loop: Header=BB2_132 Depth=3
	v_clz_i32_u32_e32 v8, v9
	s_delay_alu instid0(VALU_DEP_1) | instskip(NEXT) | instid1(VALU_DEP_1)
	v_min_u32_e32 v8, 32, v8
	v_subrev_nc_u32_e32 v9, 29, v8
	s_delay_alu instid0(VALU_DEP_1) | instskip(NEXT) | instid1(VALU_DEP_1)
	v_lshlrev_b64_e32 v[42:43], v9, v[2:3]
	v_dual_sub_nc_u32 v8, 30, v8 :: v_dual_bitop2_b32 v9, 3, v42 bitop3:0x40
; %bb.565:                              ;   in Loop: Header=BB2_132 Depth=3
	s_or_b32 exec_lo, exec_lo, s76
	v_lshlrev_b32_e32 v2, 24, v2
	s_delay_alu instid0(VALU_DEP_1) | instskip(NEXT) | instid1(VALU_DEP_1)
	v_and_b32_e32 v2, 0x80000000, v2
	v_lshl_add_u32 v2, v8, 23, v2
	s_delay_alu instid0(VALU_DEP_1) | instskip(NEXT) | instid1(VALU_DEP_1)
	v_lshl_or_b32 v2, v9, 21, v2
                                        ; implicit-def: $vgpr9
	v_add_nc_u32_e32 v8, 0x38000000, v2
                                        ; implicit-def: $vgpr2
.LBB2_566:                              ;   in Loop: Header=BB2_132 Depth=3
	s_and_not1_saveexec_b32 s75, s75
; %bb.567:                              ;   in Loop: Header=BB2_132 Depth=3
	v_bfe_i32 v2, v2, 0, 8
	s_delay_alu instid0(VALU_DEP_1) | instskip(SKIP_2) | instid1(VALU_DEP_2)
	v_cmp_lt_i16_e32 vcc_lo, -1, v2
	v_cndmask_b32_e32 v2, 0xff800000, v111, vcc_lo
	v_cmp_eq_u32_e32 vcc_lo, 0, v9
	v_cndmask_b32_e32 v8, 0x7f800001, v2, vcc_lo
; %bb.568:                              ;   in Loop: Header=BB2_132 Depth=3
	s_or_b32 exec_lo, exec_lo, s75
.LBB2_569:                              ;   in Loop: Header=BB2_132 Depth=3
	s_delay_alu instid0(SALU_CYCLE_1)
	s_or_b32 exec_lo, exec_lo, s74
.LBB2_570:                              ;   in Loop: Header=BB2_132 Depth=3
	s_delay_alu instid0(SALU_CYCLE_1) | instskip(NEXT) | instid1(VALU_DEP_1)
	s_or_b32 exec_lo, exec_lo, s13
	v_dual_mul_f32 v8, s73, v8 :: v_dual_mov_b32 v43, v3
                                        ; implicit-def: $vgpr73
	s_mov_b32 s13, exec_lo
	s_delay_alu instid0(VALU_DEP_1) | instskip(SKIP_2) | instid1(VALU_DEP_3)
	v_and_b32_e32 v42, 0x7f800000, v8
	v_and_b32_e32 v2, 0x7fffff, v8
	v_lshrrev_b32_e32 v9, 24, v8
	v_cmpx_ne_u64_e32 0x7f800000, v[42:43]
	s_xor_b32 s74, exec_lo, s13
	s_cbranch_execz .LBB2_584
; %bb.571:                              ;   in Loop: Header=BB2_132 Depth=3
	v_and_b32_e32 v42, 0x7fffffff, v8
	v_mov_b32_e32 v43, v3
	v_and_b32_e32 v74, 0x80, v9
                                        ; implicit-def: $vgpr73
	s_mov_b32 s13, exec_lo
	s_delay_alu instid0(VALU_DEP_2)
	v_cmpx_gt_u64_e32 0x47600001, v[42:43]
	s_xor_b32 s75, exec_lo, s13
	s_cbranch_execz .LBB2_581
; %bb.572:                              ;   in Loop: Header=BB2_132 Depth=3
	v_mov_b32_e32 v73, 0
	s_mov_b32 s76, exec_lo
	v_cmpx_ne_u32_e32 0, v8
	s_cbranch_execz .LBB2_580
; %bb.573:                              ;   in Loop: Header=BB2_132 Depth=3
	v_bfe_u32 v73, v8, 23, 8
	v_or_b32_e32 v18, 0x800000, v2
	s_mov_b32 s77, exec_lo
	s_delay_alu instid0(VALU_DEP_2) | instskip(SKIP_1) | instid1(VALU_DEP_2)
	v_dual_mov_b32 v43, v3 :: v_dual_sub_nc_u32 v8, 0x71, v73
	v_cmp_gt_u32_e32 vcc_lo, 0x72, v73
	v_cndmask_b32_e32 v8, 0, v8, vcc_lo
	v_cmp_eq_u32_e32 vcc_lo, 0, v73
	s_delay_alu instid0(VALU_DEP_2) | instskip(NEXT) | instid1(VALU_DEP_1)
	v_cndmask_b32_e64 v75, v8, 0x70, vcc_lo
	v_dual_cndmask_b32 v42, v18, v2, vcc_lo :: v_dual_add_nc_u32 v8, 21, v75
	v_add_nc_u32_e32 v19, 20, v75
	s_delay_alu instid0(VALU_DEP_2) | instskip(NEXT) | instid1(VALU_DEP_2)
	v_lshlrev_b64_e64 v[8:9], v8, -1
	v_lshlrev_b64_e64 v[76:77], v19, 1
	s_delay_alu instid0(VALU_DEP_2) | instskip(NEXT) | instid1(VALU_DEP_3)
	v_bfi_b32 v79, v9, 0, 0
	v_bfi_b32 v78, v8, 0, v42
	v_lshrrev_b64 v[8:9], v75, v[42:43]
	s_delay_alu instid0(VALU_DEP_1) | instskip(NEXT) | instid1(VALU_DEP_3)
	v_mov_b64_e32 v[42:43], v[8:9]
	v_cmpx_eq_u64_e64 v[78:79], v[76:77]
; %bb.574:                              ;   in Loop: Header=BB2_132 Depth=3
	v_bfe_u32 v42, v8, 21, 1
	v_mov_b32_e32 v43, v3
	s_delay_alu instid0(VALU_DEP_1) | instskip(NEXT) | instid1(VALU_DEP_1)
	v_add_nc_u64_e32 v[42:43], v[8:9], v[42:43]
	v_add_nc_u64_e32 v[42:43], -1, v[42:43]
; %bb.575:                              ;   in Loop: Header=BB2_132 Depth=3
	s_or_b32 exec_lo, exec_lo, s77
	v_add_nc_u32_e32 v2, 0xffffff81, v73
	v_lshrrev_b32_e32 v9, 23, v8
	s_mov_b32 s13, exec_lo
	s_delay_alu instid0(VALU_DEP_2) | instskip(NEXT) | instid1(VALU_DEP_1)
	v_cndmask_b32_e64 v2, v2, 0xffffff82, vcc_lo
	v_add3_u32 v43, v75, v2, v9
	v_and_b32_e32 v2, 0x1fffff, v42
                                        ; implicit-def: $vgpr42
	s_delay_alu instid0(VALU_DEP_1) | instskip(NEXT) | instid1(VALU_DEP_1)
	v_dual_add_nc_u32 v73, 14, v43 :: v_dual_add_nc_u32 v2, v2, v8
                                        ; implicit-def: $vgpr8_vgpr9
	v_cmpx_ne_u32_e32 0, v73
	s_xor_b32 s13, exec_lo, s13
; %bb.576:                              ;   in Loop: Header=BB2_132 Depth=3
	s_delay_alu instid0(VALU_DEP_2) | instskip(SKIP_1) | instid1(VALU_DEP_1)
	v_cmp_lt_u64_e32 vcc_lo, 0xffffff, v[2:3]
	v_add_nc_u32_e32 v8, 15, v43
	v_cndmask_b32_e32 v42, v73, v8, vcc_lo
	v_cndmask_b32_e64 v8, 0, 1, vcc_lo
	s_delay_alu instid0(VALU_DEP_1)
	v_lshrrev_b64 v[8:9], v8, v[2:3]
; %bb.577:                              ;   in Loop: Header=BB2_132 Depth=3
	s_and_not1_saveexec_b32 s13, s13
; %bb.578:                              ;   in Loop: Header=BB2_132 Depth=3
	v_mov_b64_e32 v[8:9], v[2:3]
	v_bfe_u32 v42, v2, 23, 1
; %bb.579:                              ;   in Loop: Header=BB2_132 Depth=3
	s_or_b32 exec_lo, exec_lo, s13
	s_delay_alu instid0(VALU_DEP_2) | instskip(NEXT) | instid1(VALU_DEP_2)
	v_lshrrev_b64 v[8:9], 21, v[8:9]
	v_cmp_gt_i32_e32 vcc_lo, 32, v42
	v_min_i32_e32 v2, 31, v42
	v_cmp_eq_u32_e64 s13, 0, v42
	s_delay_alu instid0(VALU_DEP_2) | instskip(SKIP_1) | instid1(VALU_DEP_2)
	v_dual_cndmask_b32 v9, 0, v9 :: v_dual_lshlrev_b32 v2, 2, v2
	v_cndmask_b32_e32 v8, 3, v8, vcc_lo
	v_and_b32_e32 v2, 0xfc, v2
	s_delay_alu instid0(VALU_DEP_2) | instskip(NEXT) | instid1(VALU_DEP_2)
	v_cmp_eq_u64_e32 vcc_lo, 0, v[8:9]
	v_and_or_b32 v2, v8, 3, v2
	s_and_b32 s13, s13, vcc_lo
	s_delay_alu instid0(VALU_DEP_1) | instid1(SALU_CYCLE_1)
	v_cndmask_b32_e64 v2, v2, 0, s13
	s_delay_alu instid0(VALU_DEP_1)
	v_or_b32_e32 v73, v2, v74
.LBB2_580:                              ;   in Loop: Header=BB2_132 Depth=3
	s_or_b32 exec_lo, exec_lo, s76
                                        ; implicit-def: $vgpr74
.LBB2_581:                              ;   in Loop: Header=BB2_132 Depth=3
	s_and_not1_saveexec_b32 s13, s75
; %bb.582:                              ;   in Loop: Header=BB2_132 Depth=3
	v_or_b32_e32 v73, 0x7b, v74
; %bb.583:                              ;   in Loop: Header=BB2_132 Depth=3
	s_or_b32 exec_lo, exec_lo, s13
                                        ; implicit-def: $vgpr8
                                        ; implicit-def: $vgpr9
.LBB2_584:                              ;   in Loop: Header=BB2_132 Depth=3
	s_and_not1_saveexec_b32 s13, s74
	s_cbranch_execz .LBB2_590
; %bb.585:                              ;   in Loop: Header=BB2_132 Depth=3
	s_mov_b32 s74, exec_lo
                                        ; implicit-def: $vgpr73
	v_cmpx_ne_u64_e32 0, v[2:3]
	s_xor_b32 s74, exec_lo, s74
; %bb.586:                              ;   in Loop: Header=BB2_132 Depth=3
	v_or_b32_e32 v73, 0x7f, v9
                                        ; implicit-def: $vgpr8
; %bb.587:                              ;   in Loop: Header=BB2_132 Depth=3
	s_and_not1_saveexec_b32 s74, s74
; %bb.588:                              ;   in Loop: Header=BB2_132 Depth=3
	v_cmp_lt_i32_e32 vcc_lo, -1, v8
	v_cndmask_b32_e32 v73, 0xfc, v120, vcc_lo
; %bb.589:                              ;   in Loop: Header=BB2_132 Depth=3
	s_or_b32 exec_lo, exec_lo, s74
.LBB2_590:                              ;   in Loop: Header=BB2_132 Depth=3
	s_delay_alu instid0(SALU_CYCLE_1)
	s_or_b32 exec_lo, exec_lo, s13
	v_mov_b32_e32 v8, 0
	s_mov_b32 s13, exec_lo
	v_cmpx_lt_u64_e64 s[22:23], v[10:11]
	s_cbranch_execz .LBB2_600
; %bb.591:                              ;   in Loop: Header=BB2_132 Depth=3
	v_lshrrev_b32_e32 v2, 24, v11
	v_bfrev_b32_e32 v8, 1
	s_mov_b32 s74, exec_lo
	s_delay_alu instid0(VALU_DEP_2)
	v_cmpx_ne_u32_e32 0x80, v2
	s_cbranch_execz .LBB2_599
; %bb.592:                              ;   in Loop: Header=BB2_132 Depth=3
	v_and_b32_e32 v8, 0x7c000000, v11
	v_bfe_u32 v9, v11, 24, 2
	s_delay_alu instid0(VALU_DEP_2) | instskip(SKIP_1) | instid1(SALU_CYCLE_1)
	v_cmp_ne_u32_e32 vcc_lo, 0x7c000000, v8
                                        ; implicit-def: $vgpr8
	s_and_saveexec_b32 s75, vcc_lo
	s_xor_b32 s75, exec_lo, s75
	s_cbranch_execz .LBB2_596
; %bb.593:                              ;   in Loop: Header=BB2_132 Depth=3
	v_bfe_u32 v8, v11, 26, 5
	s_mov_b32 s76, exec_lo
	s_delay_alu instid0(VALU_DEP_1)
	v_cmpx_eq_u32_e32 0, v8
; %bb.594:                              ;   in Loop: Header=BB2_132 Depth=3
	v_clz_i32_u32_e32 v8, v9
	s_delay_alu instid0(VALU_DEP_1) | instskip(NEXT) | instid1(VALU_DEP_1)
	v_min_u32_e32 v8, 32, v8
	v_subrev_nc_u32_e32 v9, 29, v8
	s_delay_alu instid0(VALU_DEP_1) | instskip(NEXT) | instid1(VALU_DEP_1)
	v_lshlrev_b64_e32 v[42:43], v9, v[2:3]
	v_dual_sub_nc_u32 v8, 30, v8 :: v_dual_bitop2_b32 v9, 3, v42 bitop3:0x40
; %bb.595:                              ;   in Loop: Header=BB2_132 Depth=3
	s_or_b32 exec_lo, exec_lo, s76
	v_and_b32_e32 v2, 0x80000000, v11
                                        ; implicit-def: $vgpr10_vgpr11
	s_delay_alu instid0(VALU_DEP_1) | instskip(NEXT) | instid1(VALU_DEP_1)
	v_lshl_add_u32 v2, v8, 23, v2
	v_lshl_or_b32 v2, v9, 21, v2
                                        ; implicit-def: $vgpr9
	s_delay_alu instid0(VALU_DEP_1)
	v_add_nc_u32_e32 v8, 0x38000000, v2
.LBB2_596:                              ;   in Loop: Header=BB2_132 Depth=3
	s_and_not1_saveexec_b32 s75, s75
; %bb.597:                              ;   in Loop: Header=BB2_132 Depth=3
	v_cmp_lt_i64_e32 vcc_lo, -1, v[10:11]
	v_cndmask_b32_e32 v2, 0xff800000, v111, vcc_lo
	v_cmp_eq_u32_e32 vcc_lo, 0, v9
	s_delay_alu instid0(VALU_DEP_2)
	v_cndmask_b32_e32 v8, 0x7f800001, v2, vcc_lo
; %bb.598:                              ;   in Loop: Header=BB2_132 Depth=3
	s_or_b32 exec_lo, exec_lo, s75
.LBB2_599:                              ;   in Loop: Header=BB2_132 Depth=3
	s_delay_alu instid0(SALU_CYCLE_1)
	s_or_b32 exec_lo, exec_lo, s74
.LBB2_600:                              ;   in Loop: Header=BB2_132 Depth=3
	s_delay_alu instid0(SALU_CYCLE_1) | instskip(NEXT) | instid1(VALU_DEP_1)
	s_or_b32 exec_lo, exec_lo, s13
	v_dual_mul_f32 v8, s73, v8 :: v_dual_mov_b32 v11, v3
                                        ; implicit-def: $vgpr74
	s_mov_b32 s13, exec_lo
	s_delay_alu instid0(VALU_DEP_1) | instskip(SKIP_2) | instid1(VALU_DEP_3)
	v_and_b32_e32 v10, 0x7f800000, v8
	v_and_b32_e32 v2, 0x7fffff, v8
	v_lshrrev_b32_e32 v9, 24, v8
	v_cmpx_ne_u64_e32 0x7f800000, v[10:11]
	s_xor_b32 s74, exec_lo, s13
	s_cbranch_execz .LBB2_614
; %bb.601:                              ;   in Loop: Header=BB2_132 Depth=3
	v_and_b32_e32 v10, 0x7fffffff, v8
	v_mov_b32_e32 v11, v3
	v_and_b32_e32 v42, 0x80, v9
                                        ; implicit-def: $vgpr74
	s_mov_b32 s13, exec_lo
	s_delay_alu instid0(VALU_DEP_2)
	v_cmpx_gt_u64_e32 0x47600001, v[10:11]
	s_xor_b32 s75, exec_lo, s13
	s_cbranch_execz .LBB2_611
; %bb.602:                              ;   in Loop: Header=BB2_132 Depth=3
	v_mov_b32_e32 v74, 0
	s_mov_b32 s76, exec_lo
	v_cmpx_ne_u32_e32 0, v8
	s_cbranch_execz .LBB2_610
; %bb.603:                              ;   in Loop: Header=BB2_132 Depth=3
	v_bfe_u32 v43, v8, 23, 8
	v_or_b32_e32 v10, 0x800000, v2
	s_mov_b32 s77, exec_lo
	s_delay_alu instid0(VALU_DEP_2) | instskip(SKIP_1) | instid1(VALU_DEP_2)
	v_dual_mov_b32 v11, v3 :: v_dual_sub_nc_u32 v8, 0x71, v43
	v_cmp_gt_u32_e32 vcc_lo, 0x72, v43
	v_cndmask_b32_e32 v8, 0, v8, vcc_lo
	v_cmp_eq_u32_e32 vcc_lo, 0, v43
	s_delay_alu instid0(VALU_DEP_2) | instskip(SKIP_1) | instid1(VALU_DEP_2)
	v_cndmask_b32_e64 v74, v8, 0x70, vcc_lo
	v_cndmask_b32_e32 v10, v10, v2, vcc_lo
	v_dual_add_nc_u32 v8, 21, v74 :: v_dual_add_nc_u32 v18, 20, v74
	s_delay_alu instid0(VALU_DEP_1) | instskip(NEXT) | instid1(VALU_DEP_2)
	v_lshlrev_b64_e64 v[8:9], v8, -1
	v_lshlrev_b64_e64 v[76:77], v18, 1
	s_delay_alu instid0(VALU_DEP_2) | instskip(NEXT) | instid1(VALU_DEP_3)
	v_bfi_b32 v79, v9, 0, 0
	v_bfi_b32 v78, v8, 0, v10
	v_lshrrev_b64 v[8:9], v74, v[10:11]
	s_delay_alu instid0(VALU_DEP_1) | instskip(NEXT) | instid1(VALU_DEP_3)
	v_mov_b64_e32 v[10:11], v[8:9]
	v_cmpx_eq_u64_e64 v[78:79], v[76:77]
; %bb.604:                              ;   in Loop: Header=BB2_132 Depth=3
	v_bfe_u32 v10, v8, 21, 1
	v_mov_b32_e32 v11, v3
	s_delay_alu instid0(VALU_DEP_1) | instskip(NEXT) | instid1(VALU_DEP_1)
	v_add_nc_u64_e32 v[10:11], v[8:9], v[10:11]
	v_add_nc_u64_e32 v[10:11], -1, v[10:11]
; %bb.605:                              ;   in Loop: Header=BB2_132 Depth=3
	s_or_b32 exec_lo, exec_lo, s77
	v_add_nc_u32_e32 v2, 0xffffff81, v43
	v_lshrrev_b32_e32 v9, 23, v8
	s_mov_b32 s13, exec_lo
	s_delay_alu instid0(VALU_DEP_2) | instskip(NEXT) | instid1(VALU_DEP_1)
	v_cndmask_b32_e64 v2, v2, 0xffffff82, vcc_lo
	v_add3_u32 v11, v74, v2, v9
	v_and_b32_e32 v2, 0x1fffff, v10
                                        ; implicit-def: $vgpr10
	s_delay_alu instid0(VALU_DEP_1) | instskip(NEXT) | instid1(VALU_DEP_1)
	v_dual_add_nc_u32 v43, 14, v11 :: v_dual_add_nc_u32 v2, v2, v8
                                        ; implicit-def: $vgpr8_vgpr9
	v_cmpx_ne_u32_e32 0, v43
	s_xor_b32 s13, exec_lo, s13
; %bb.606:                              ;   in Loop: Header=BB2_132 Depth=3
	s_delay_alu instid0(VALU_DEP_2) | instskip(SKIP_1) | instid1(VALU_DEP_1)
	v_cmp_lt_u64_e32 vcc_lo, 0xffffff, v[2:3]
	v_add_nc_u32_e32 v8, 15, v11
	v_cndmask_b32_e32 v10, v43, v8, vcc_lo
	v_cndmask_b32_e64 v8, 0, 1, vcc_lo
	s_delay_alu instid0(VALU_DEP_1)
	v_lshrrev_b64 v[8:9], v8, v[2:3]
; %bb.607:                              ;   in Loop: Header=BB2_132 Depth=3
	s_and_not1_saveexec_b32 s13, s13
; %bb.608:                              ;   in Loop: Header=BB2_132 Depth=3
	v_mov_b64_e32 v[8:9], v[2:3]
	v_bfe_u32 v10, v2, 23, 1
; %bb.609:                              ;   in Loop: Header=BB2_132 Depth=3
	s_or_b32 exec_lo, exec_lo, s13
	s_delay_alu instid0(VALU_DEP_2) | instskip(NEXT) | instid1(VALU_DEP_2)
	v_lshrrev_b64 v[8:9], 21, v[8:9]
	v_cmp_gt_i32_e32 vcc_lo, 32, v10
	v_min_i32_e32 v2, 31, v10
	v_cmp_eq_u32_e64 s13, 0, v10
	s_delay_alu instid0(VALU_DEP_2) | instskip(SKIP_1) | instid1(VALU_DEP_2)
	v_dual_cndmask_b32 v9, 0, v9 :: v_dual_lshlrev_b32 v2, 2, v2
	v_cndmask_b32_e32 v8, 3, v8, vcc_lo
	v_and_b32_e32 v2, 0xfc, v2
	s_delay_alu instid0(VALU_DEP_2) | instskip(NEXT) | instid1(VALU_DEP_2)
	v_cmp_eq_u64_e32 vcc_lo, 0, v[8:9]
	v_and_or_b32 v2, v8, 3, v2
	s_and_b32 s13, s13, vcc_lo
	s_delay_alu instid0(VALU_DEP_1) | instid1(SALU_CYCLE_1)
	v_cndmask_b32_e64 v2, v2, 0, s13
	s_delay_alu instid0(VALU_DEP_1)
	v_or_b32_e32 v74, v2, v42
.LBB2_610:                              ;   in Loop: Header=BB2_132 Depth=3
	s_or_b32 exec_lo, exec_lo, s76
                                        ; implicit-def: $vgpr42
.LBB2_611:                              ;   in Loop: Header=BB2_132 Depth=3
	s_and_not1_saveexec_b32 s13, s75
; %bb.612:                              ;   in Loop: Header=BB2_132 Depth=3
	v_or_b32_e32 v74, 0x7b, v42
; %bb.613:                              ;   in Loop: Header=BB2_132 Depth=3
	s_or_b32 exec_lo, exec_lo, s13
                                        ; implicit-def: $vgpr8
                                        ; implicit-def: $vgpr9
.LBB2_614:                              ;   in Loop: Header=BB2_132 Depth=3
	s_and_not1_saveexec_b32 s13, s74
	s_cbranch_execz .LBB2_620
; %bb.615:                              ;   in Loop: Header=BB2_132 Depth=3
	s_mov_b32 s74, exec_lo
                                        ; implicit-def: $vgpr74
	v_cmpx_ne_u64_e32 0, v[2:3]
	s_xor_b32 s74, exec_lo, s74
; %bb.616:                              ;   in Loop: Header=BB2_132 Depth=3
	v_or_b32_e32 v74, 0x7f, v9
                                        ; implicit-def: $vgpr8
; %bb.617:                              ;   in Loop: Header=BB2_132 Depth=3
	s_and_not1_saveexec_b32 s74, s74
; %bb.618:                              ;   in Loop: Header=BB2_132 Depth=3
	v_cmp_lt_i32_e32 vcc_lo, -1, v8
	v_cndmask_b32_e32 v74, 0xfc, v120, vcc_lo
; %bb.619:                              ;   in Loop: Header=BB2_132 Depth=3
	s_or_b32 exec_lo, exec_lo, s74
.LBB2_620:                              ;   in Loop: Header=BB2_132 Depth=3
	s_delay_alu instid0(SALU_CYCLE_1) | instskip(SKIP_3) | instid1(VALU_DEP_1)
	s_or_b32 exec_lo, exec_lo, s13
	global_load_b128 v[8:11], v[40:41], off offset:512 th:TH_LOAD_NT
	s_wait_loadcnt 0x0
	v_and_b32_e32 v2, 0xff, v8
	v_cmp_ne_u16_e32 vcc_lo, 0, v2
	v_mov_b32_e32 v2, 0
	s_wait_xcnt 0x0
	s_and_saveexec_b32 s13, vcc_lo
	s_cbranch_execz .LBB2_630
; %bb.621:                              ;   in Loop: Header=BB2_132 Depth=3
	v_bfe_i32 v41, v8, 0, 8
	v_bfrev_b32_e32 v2, 1
	s_mov_b32 s74, exec_lo
	s_delay_alu instid0(VALU_DEP_2)
	v_cmpx_ne_u16_e32 0xff80, v41
	s_cbranch_execz .LBB2_629
; %bb.622:                              ;   in Loop: Header=BB2_132 Depth=3
	v_and_b32_e32 v2, 0x7c, v8
	v_and_b32_e32 v40, 3, v8
	s_delay_alu instid0(VALU_DEP_2) | instskip(SKIP_1) | instid1(SALU_CYCLE_1)
	v_cmp_ne_u32_e32 vcc_lo, 0x7c, v2
                                        ; implicit-def: $vgpr2
	s_and_saveexec_b32 s75, vcc_lo
	s_xor_b32 s75, exec_lo, s75
	s_cbranch_execz .LBB2_626
; %bb.623:                              ;   in Loop: Header=BB2_132 Depth=3
	v_bfe_u32 v2, v8, 2, 5
	s_mov_b32 s76, exec_lo
	s_delay_alu instid0(VALU_DEP_1)
	v_cmpx_eq_u32_e32 0, v2
; %bb.624:                              ;   in Loop: Header=BB2_132 Depth=3
	v_clz_i32_u32_e32 v2, v40
	s_delay_alu instid0(VALU_DEP_1) | instskip(NEXT) | instid1(VALU_DEP_1)
	v_min_u32_e32 v2, 32, v2
	v_subrev_nc_u32_e32 v18, 29, v2
	s_delay_alu instid0(VALU_DEP_1) | instskip(NEXT) | instid1(VALU_DEP_1)
	v_lshlrev_b64_e32 v[40:41], v18, v[8:9]
	v_dual_sub_nc_u32 v2, 30, v2 :: v_dual_bitop2_b32 v40, 3, v40 bitop3:0x40
; %bb.625:                              ;   in Loop: Header=BB2_132 Depth=3
	s_or_b32 exec_lo, exec_lo, s76
	v_lshlrev_b32_e32 v18, 24, v8
                                        ; implicit-def: $vgpr41
	s_delay_alu instid0(VALU_DEP_1) | instskip(NEXT) | instid1(VALU_DEP_1)
	v_and_b32_e32 v18, 0x80000000, v18
	v_lshl_add_u32 v2, v2, 23, v18
	s_delay_alu instid0(VALU_DEP_1) | instskip(NEXT) | instid1(VALU_DEP_1)
	v_lshl_or_b32 v2, v40, 21, v2
                                        ; implicit-def: $vgpr40
	v_add_nc_u32_e32 v2, 0x38000000, v2
.LBB2_626:                              ;   in Loop: Header=BB2_132 Depth=3
	s_and_not1_saveexec_b32 s75, s75
; %bb.627:                              ;   in Loop: Header=BB2_132 Depth=3
	v_cmp_lt_i16_e32 vcc_lo, -1, v41
	v_cndmask_b32_e32 v2, 0xff800000, v111, vcc_lo
	v_cmp_eq_u32_e32 vcc_lo, 0, v40
	s_delay_alu instid0(VALU_DEP_2)
	v_cndmask_b32_e32 v2, 0x7f800001, v2, vcc_lo
; %bb.628:                              ;   in Loop: Header=BB2_132 Depth=3
	s_or_b32 exec_lo, exec_lo, s75
.LBB2_629:                              ;   in Loop: Header=BB2_132 Depth=3
	s_delay_alu instid0(SALU_CYCLE_1)
	s_or_b32 exec_lo, exec_lo, s74
.LBB2_630:                              ;   in Loop: Header=BB2_132 Depth=3
	s_delay_alu instid0(SALU_CYCLE_1) | instskip(NEXT) | instid1(VALU_DEP_1)
	s_or_b32 exec_lo, exec_lo, s13
	v_dual_mul_f32 v40, s73, v2 :: v_dual_mov_b32 v43, v3
                                        ; implicit-def: $vgpr75
	s_mov_b32 s13, exec_lo
	s_delay_alu instid0(VALU_DEP_1) | instskip(SKIP_2) | instid1(VALU_DEP_3)
	v_and_b32_e32 v42, 0x7f800000, v40
	v_and_b32_e32 v2, 0x7fffff, v40
	v_lshrrev_b32_e32 v41, 24, v40
	v_cmpx_ne_u64_e32 0x7f800000, v[42:43]
	s_xor_b32 s74, exec_lo, s13
	s_cbranch_execz .LBB2_644
; %bb.631:                              ;   in Loop: Header=BB2_132 Depth=3
	v_and_b32_e32 v42, 0x7fffffff, v40
	v_mov_b32_e32 v43, v3
	v_and_b32_e32 v76, 0x80, v41
                                        ; implicit-def: $vgpr75
	s_mov_b32 s13, exec_lo
	s_delay_alu instid0(VALU_DEP_2)
	v_cmpx_gt_u64_e32 0x47600001, v[42:43]
	s_xor_b32 s75, exec_lo, s13
	s_cbranch_execz .LBB2_641
; %bb.632:                              ;   in Loop: Header=BB2_132 Depth=3
	v_mov_b32_e32 v75, 0
	s_mov_b32 s76, exec_lo
	v_cmpx_ne_u32_e32 0, v40
	s_cbranch_execz .LBB2_640
; %bb.633:                              ;   in Loop: Header=BB2_132 Depth=3
	v_bfe_u32 v75, v40, 23, 8
	v_or_b32_e32 v19, 0x800000, v2
	s_mov_b32 s77, exec_lo
	s_delay_alu instid0(VALU_DEP_2) | instskip(SKIP_1) | instid1(VALU_DEP_2)
	v_dual_mov_b32 v43, v3 :: v_dual_sub_nc_u32 v18, 0x71, v75
	v_cmp_gt_u32_e32 vcc_lo, 0x72, v75
	v_cndmask_b32_e32 v18, 0, v18, vcc_lo
	v_cmp_eq_u32_e32 vcc_lo, 0, v75
	s_delay_alu instid0(VALU_DEP_2) | instskip(NEXT) | instid1(VALU_DEP_1)
	v_cndmask_b32_e64 v77, v18, 0x70, vcc_lo
	v_dual_cndmask_b32 v42, v19, v2, vcc_lo :: v_dual_add_nc_u32 v18, 21, v77
	s_delay_alu instid0(VALU_DEP_1) | instskip(SKIP_1) | instid1(VALU_DEP_1)
	v_lshlrev_b64_e64 v[40:41], v18, -1
	v_add_nc_u32_e32 v18, 20, v77
	v_lshlrev_b64_e64 v[78:79], v18, 1
	s_delay_alu instid0(VALU_DEP_3) | instskip(NEXT) | instid1(VALU_DEP_4)
	v_bfi_b32 v89, v41, 0, 0
	v_bfi_b32 v88, v40, 0, v42
	v_lshrrev_b64 v[40:41], v77, v[42:43]
	s_delay_alu instid0(VALU_DEP_1) | instskip(NEXT) | instid1(VALU_DEP_3)
	v_mov_b64_e32 v[42:43], v[40:41]
	v_cmpx_eq_u64_e64 v[88:89], v[78:79]
; %bb.634:                              ;   in Loop: Header=BB2_132 Depth=3
	v_bfe_u32 v42, v40, 21, 1
	v_mov_b32_e32 v43, v3
	s_delay_alu instid0(VALU_DEP_1) | instskip(NEXT) | instid1(VALU_DEP_1)
	v_add_nc_u64_e32 v[42:43], v[40:41], v[42:43]
	v_add_nc_u64_e32 v[42:43], -1, v[42:43]
; %bb.635:                              ;   in Loop: Header=BB2_132 Depth=3
	s_or_b32 exec_lo, exec_lo, s77
	v_add_nc_u32_e32 v2, 0xffffff81, v75
	v_lshrrev_b32_e32 v18, 23, v40
	s_mov_b32 s13, exec_lo
	s_delay_alu instid0(VALU_DEP_2) | instskip(NEXT) | instid1(VALU_DEP_1)
	v_cndmask_b32_e64 v2, v2, 0xffffff82, vcc_lo
	v_add3_u32 v43, v77, v2, v18
	v_and_b32_e32 v2, 0x1fffff, v42
                                        ; implicit-def: $vgpr42
	s_delay_alu instid0(VALU_DEP_1) | instskip(NEXT) | instid1(VALU_DEP_1)
	v_dual_add_nc_u32 v75, 14, v43 :: v_dual_add_nc_u32 v2, v2, v40
                                        ; implicit-def: $vgpr40_vgpr41
	v_cmpx_ne_u32_e32 0, v75
	s_xor_b32 s13, exec_lo, s13
; %bb.636:                              ;   in Loop: Header=BB2_132 Depth=3
	s_delay_alu instid0(VALU_DEP_2) | instskip(SKIP_1) | instid1(VALU_DEP_1)
	v_cmp_lt_u64_e32 vcc_lo, 0xffffff, v[2:3]
	v_add_nc_u32_e32 v18, 15, v43
	v_cndmask_b32_e32 v42, v75, v18, vcc_lo
	v_cndmask_b32_e64 v18, 0, 1, vcc_lo
	s_delay_alu instid0(VALU_DEP_1)
	v_lshrrev_b64 v[40:41], v18, v[2:3]
; %bb.637:                              ;   in Loop: Header=BB2_132 Depth=3
	s_and_not1_saveexec_b32 s13, s13
; %bb.638:                              ;   in Loop: Header=BB2_132 Depth=3
	v_mov_b64_e32 v[40:41], v[2:3]
	v_bfe_u32 v42, v2, 23, 1
; %bb.639:                              ;   in Loop: Header=BB2_132 Depth=3
	s_or_b32 exec_lo, exec_lo, s13
	s_delay_alu instid0(VALU_DEP_2) | instskip(NEXT) | instid1(VALU_DEP_2)
	v_lshrrev_b64 v[40:41], 21, v[40:41]
	v_cmp_gt_i32_e32 vcc_lo, 32, v42
	v_min_i32_e32 v2, 31, v42
	v_cmp_eq_u32_e64 s13, 0, v42
	s_delay_alu instid0(VALU_DEP_2) | instskip(SKIP_1) | instid1(VALU_DEP_2)
	v_dual_cndmask_b32 v41, 0, v41 :: v_dual_lshlrev_b32 v2, 2, v2
	v_cndmask_b32_e32 v40, 3, v40, vcc_lo
	v_and_b32_e32 v2, 0xfc, v2
	s_delay_alu instid0(VALU_DEP_2) | instskip(NEXT) | instid1(VALU_DEP_2)
	v_cmp_eq_u64_e32 vcc_lo, 0, v[40:41]
	v_and_or_b32 v2, v40, 3, v2
	s_and_b32 s13, s13, vcc_lo
	s_delay_alu instid0(VALU_DEP_1) | instid1(SALU_CYCLE_1)
	v_cndmask_b32_e64 v2, v2, 0, s13
	s_delay_alu instid0(VALU_DEP_1)
	v_or_b32_e32 v75, v2, v76
.LBB2_640:                              ;   in Loop: Header=BB2_132 Depth=3
	s_or_b32 exec_lo, exec_lo, s76
                                        ; implicit-def: $vgpr76
.LBB2_641:                              ;   in Loop: Header=BB2_132 Depth=3
	s_and_not1_saveexec_b32 s13, s75
; %bb.642:                              ;   in Loop: Header=BB2_132 Depth=3
	v_or_b32_e32 v75, 0x7b, v76
; %bb.643:                              ;   in Loop: Header=BB2_132 Depth=3
	s_or_b32 exec_lo, exec_lo, s13
                                        ; implicit-def: $vgpr40
                                        ; implicit-def: $vgpr41
.LBB2_644:                              ;   in Loop: Header=BB2_132 Depth=3
	s_and_not1_saveexec_b32 s13, s74
	s_cbranch_execz .LBB2_650
; %bb.645:                              ;   in Loop: Header=BB2_132 Depth=3
	s_mov_b32 s74, exec_lo
                                        ; implicit-def: $vgpr75
	v_cmpx_ne_u64_e32 0, v[2:3]
	s_xor_b32 s74, exec_lo, s74
; %bb.646:                              ;   in Loop: Header=BB2_132 Depth=3
	v_or_b32_e32 v75, 0x7f, v41
                                        ; implicit-def: $vgpr40
; %bb.647:                              ;   in Loop: Header=BB2_132 Depth=3
	s_and_not1_saveexec_b32 s74, s74
; %bb.648:                              ;   in Loop: Header=BB2_132 Depth=3
	v_cmp_lt_i32_e32 vcc_lo, -1, v40
	v_cndmask_b32_e32 v75, 0xfc, v120, vcc_lo
; %bb.649:                              ;   in Loop: Header=BB2_132 Depth=3
	s_or_b32 exec_lo, exec_lo, s74
.LBB2_650:                              ;   in Loop: Header=BB2_132 Depth=3
	s_delay_alu instid0(SALU_CYCLE_1) | instskip(SKIP_3) | instid1(VALU_DEP_2)
	s_or_b32 exec_lo, exec_lo, s13
	v_lshrrev_b16 v40, 8, v8
	v_mov_b32_e32 v41, 0
	s_mov_b32 s13, exec_lo
	v_cmpx_ne_u16_e32 0, v40
	s_cbranch_execz .LBB2_660
; %bb.651:                              ;   in Loop: Header=BB2_132 Depth=3
	v_bfrev_b32_e32 v41, 1
	s_mov_b32 s74, exec_lo
	v_cmpx_ne_u16_e32 0x80, v40
	s_cbranch_execz .LBB2_659
; %bb.652:                              ;   in Loop: Header=BB2_132 Depth=3
	v_and_b32_e32 v42, 0xffff, v40
	s_mov_b32 s75, exec_lo
                                        ; implicit-def: $vgpr41
	s_delay_alu instid0(VALU_DEP_1) | instskip(SKIP_1) | instid1(VALU_DEP_2)
	v_and_b32_e32 v18, 0x7c, v42
	v_and_b32_e32 v2, 3, v42
	v_cmpx_ne_u32_e32 0x7c, v18
	s_xor_b32 s75, exec_lo, s75
	s_cbranch_execz .LBB2_656
; %bb.653:                              ;   in Loop: Header=BB2_132 Depth=3
	v_bfe_u32 v41, v42, 2, 5
	s_mov_b32 s76, exec_lo
	s_delay_alu instid0(VALU_DEP_1)
	v_cmpx_eq_u32_e32 0, v41
; %bb.654:                              ;   in Loop: Header=BB2_132 Depth=3
	v_clz_i32_u32_e32 v2, v2
	v_mov_b32_e32 v41, v3
	s_delay_alu instid0(VALU_DEP_2) | instskip(NEXT) | instid1(VALU_DEP_1)
	v_min_u32_e32 v2, 32, v2
	v_subrev_nc_u32_e32 v18, 29, v2
	s_delay_alu instid0(VALU_DEP_1) | instskip(NEXT) | instid1(VALU_DEP_1)
	v_lshlrev_b64_e32 v[40:41], v18, v[40:41]
	v_dual_sub_nc_u32 v41, 30, v2 :: v_dual_bitop2_b32 v2, 3, v40 bitop3:0x40
; %bb.655:                              ;   in Loop: Header=BB2_132 Depth=3
	s_or_b32 exec_lo, exec_lo, s76
	v_lshlrev_b32_e32 v18, 16, v8
	s_delay_alu instid0(VALU_DEP_1) | instskip(NEXT) | instid1(VALU_DEP_1)
	v_and_b32_e32 v18, 0x80000000, v18
	v_lshl_add_u32 v18, v41, 23, v18
	s_delay_alu instid0(VALU_DEP_1) | instskip(NEXT) | instid1(VALU_DEP_1)
	v_lshl_or_b32 v2, v2, 21, v18
	v_add_nc_u32_e32 v41, 0x38000000, v2
                                        ; implicit-def: $vgpr2
.LBB2_656:                              ;   in Loop: Header=BB2_132 Depth=3
	s_and_not1_saveexec_b32 s75, s75
; %bb.657:                              ;   in Loop: Header=BB2_132 Depth=3
	v_cmp_lt_i16_e32 vcc_lo, -1, v8
	v_cndmask_b32_e32 v18, 0xff800000, v111, vcc_lo
	v_cmp_eq_u32_e32 vcc_lo, 0, v2
	s_delay_alu instid0(VALU_DEP_2)
	v_cndmask_b32_e32 v41, 0x7f800001, v18, vcc_lo
; %bb.658:                              ;   in Loop: Header=BB2_132 Depth=3
	s_or_b32 exec_lo, exec_lo, s75
.LBB2_659:                              ;   in Loop: Header=BB2_132 Depth=3
	s_delay_alu instid0(SALU_CYCLE_1)
	s_or_b32 exec_lo, exec_lo, s74
.LBB2_660:                              ;   in Loop: Header=BB2_132 Depth=3
	s_delay_alu instid0(SALU_CYCLE_1) | instskip(NEXT) | instid1(VALU_DEP_1)
	s_or_b32 exec_lo, exec_lo, s13
	v_dual_mul_f32 v40, s73, v41 :: v_dual_mov_b32 v43, v3
                                        ; implicit-def: $vgpr76
	s_mov_b32 s13, exec_lo
	s_delay_alu instid0(VALU_DEP_1) | instskip(SKIP_2) | instid1(VALU_DEP_3)
	v_and_b32_e32 v42, 0x7f800000, v40
	v_and_b32_e32 v2, 0x7fffff, v40
	v_lshrrev_b32_e32 v41, 24, v40
	v_cmpx_ne_u64_e32 0x7f800000, v[42:43]
	s_xor_b32 s74, exec_lo, s13
	s_cbranch_execz .LBB2_674
; %bb.661:                              ;   in Loop: Header=BB2_132 Depth=3
	v_and_b32_e32 v42, 0x7fffffff, v40
	v_mov_b32_e32 v43, v3
	v_and_b32_e32 v77, 0x80, v41
                                        ; implicit-def: $vgpr76
	s_mov_b32 s13, exec_lo
	s_delay_alu instid0(VALU_DEP_2)
	v_cmpx_gt_u64_e32 0x47600001, v[42:43]
	s_xor_b32 s75, exec_lo, s13
	s_cbranch_execz .LBB2_671
; %bb.662:                              ;   in Loop: Header=BB2_132 Depth=3
	v_mov_b32_e32 v76, 0
	s_mov_b32 s76, exec_lo
	v_cmpx_ne_u32_e32 0, v40
	s_cbranch_execz .LBB2_670
; %bb.663:                              ;   in Loop: Header=BB2_132 Depth=3
	v_bfe_u32 v76, v40, 23, 8
	v_or_b32_e32 v19, 0x800000, v2
	s_mov_b32 s77, exec_lo
	s_delay_alu instid0(VALU_DEP_2) | instskip(SKIP_1) | instid1(VALU_DEP_2)
	v_dual_mov_b32 v43, v3 :: v_dual_sub_nc_u32 v18, 0x71, v76
	v_cmp_gt_u32_e32 vcc_lo, 0x72, v76
	v_cndmask_b32_e32 v18, 0, v18, vcc_lo
	v_cmp_eq_u32_e32 vcc_lo, 0, v76
	s_delay_alu instid0(VALU_DEP_2) | instskip(SKIP_1) | instid1(VALU_DEP_2)
	v_cndmask_b32_e64 v78, v18, 0x70, vcc_lo
	v_cndmask_b32_e32 v42, v19, v2, vcc_lo
	v_add_nc_u32_e32 v18, 21, v78
	s_delay_alu instid0(VALU_DEP_1) | instskip(SKIP_1) | instid1(VALU_DEP_1)
	v_lshlrev_b64_e64 v[40:41], v18, -1
	v_add_nc_u32_e32 v18, 20, v78
	v_lshlrev_b64_e64 v[88:89], v18, 1
	s_delay_alu instid0(VALU_DEP_3) | instskip(NEXT) | instid1(VALU_DEP_4)
	v_bfi_b32 v91, v41, 0, 0
	v_bfi_b32 v90, v40, 0, v42
	v_lshrrev_b64 v[40:41], v78, v[42:43]
	s_delay_alu instid0(VALU_DEP_1) | instskip(NEXT) | instid1(VALU_DEP_3)
	v_mov_b64_e32 v[42:43], v[40:41]
	v_cmpx_eq_u64_e64 v[90:91], v[88:89]
; %bb.664:                              ;   in Loop: Header=BB2_132 Depth=3
	v_bfe_u32 v42, v40, 21, 1
	v_mov_b32_e32 v43, v3
	s_delay_alu instid0(VALU_DEP_1) | instskip(NEXT) | instid1(VALU_DEP_1)
	v_add_nc_u64_e32 v[42:43], v[40:41], v[42:43]
	v_add_nc_u64_e32 v[42:43], -1, v[42:43]
; %bb.665:                              ;   in Loop: Header=BB2_132 Depth=3
	s_or_b32 exec_lo, exec_lo, s77
	v_add_nc_u32_e32 v2, 0xffffff81, v76
	v_lshrrev_b32_e32 v18, 23, v40
	s_mov_b32 s13, exec_lo
	s_delay_alu instid0(VALU_DEP_2) | instskip(NEXT) | instid1(VALU_DEP_1)
	v_cndmask_b32_e64 v2, v2, 0xffffff82, vcc_lo
	v_add3_u32 v43, v78, v2, v18
	v_and_b32_e32 v2, 0x1fffff, v42
                                        ; implicit-def: $vgpr42
	s_delay_alu instid0(VALU_DEP_1) | instskip(NEXT) | instid1(VALU_DEP_1)
	v_dual_add_nc_u32 v76, 14, v43 :: v_dual_add_nc_u32 v2, v2, v40
                                        ; implicit-def: $vgpr40_vgpr41
	v_cmpx_ne_u32_e32 0, v76
	s_xor_b32 s13, exec_lo, s13
; %bb.666:                              ;   in Loop: Header=BB2_132 Depth=3
	s_delay_alu instid0(VALU_DEP_2) | instskip(SKIP_1) | instid1(VALU_DEP_1)
	v_cmp_lt_u64_e32 vcc_lo, 0xffffff, v[2:3]
	v_add_nc_u32_e32 v18, 15, v43
	v_cndmask_b32_e32 v42, v76, v18, vcc_lo
	v_cndmask_b32_e64 v18, 0, 1, vcc_lo
	s_delay_alu instid0(VALU_DEP_1)
	v_lshrrev_b64 v[40:41], v18, v[2:3]
; %bb.667:                              ;   in Loop: Header=BB2_132 Depth=3
	s_and_not1_saveexec_b32 s13, s13
; %bb.668:                              ;   in Loop: Header=BB2_132 Depth=3
	v_mov_b64_e32 v[40:41], v[2:3]
	v_bfe_u32 v42, v2, 23, 1
; %bb.669:                              ;   in Loop: Header=BB2_132 Depth=3
	s_or_b32 exec_lo, exec_lo, s13
	s_delay_alu instid0(VALU_DEP_2) | instskip(NEXT) | instid1(VALU_DEP_2)
	v_lshrrev_b64 v[40:41], 21, v[40:41]
	v_cmp_gt_i32_e32 vcc_lo, 32, v42
	v_min_i32_e32 v2, 31, v42
	v_cmp_eq_u32_e64 s13, 0, v42
	s_delay_alu instid0(VALU_DEP_2) | instskip(SKIP_1) | instid1(VALU_DEP_2)
	v_dual_cndmask_b32 v41, 0, v41 :: v_dual_lshlrev_b32 v2, 2, v2
	v_cndmask_b32_e32 v40, 3, v40, vcc_lo
	v_and_b32_e32 v2, 0xfc, v2
	s_delay_alu instid0(VALU_DEP_2) | instskip(NEXT) | instid1(VALU_DEP_2)
	v_cmp_eq_u64_e32 vcc_lo, 0, v[40:41]
	v_and_or_b32 v2, v40, 3, v2
	s_and_b32 s13, s13, vcc_lo
	s_delay_alu instid0(VALU_DEP_1) | instid1(SALU_CYCLE_1)
	v_cndmask_b32_e64 v2, v2, 0, s13
	s_delay_alu instid0(VALU_DEP_1)
	v_or_b32_e32 v76, v2, v77
.LBB2_670:                              ;   in Loop: Header=BB2_132 Depth=3
	s_or_b32 exec_lo, exec_lo, s76
                                        ; implicit-def: $vgpr77
.LBB2_671:                              ;   in Loop: Header=BB2_132 Depth=3
	s_and_not1_saveexec_b32 s13, s75
; %bb.672:                              ;   in Loop: Header=BB2_132 Depth=3
	v_or_b32_e32 v76, 0x7b, v77
; %bb.673:                              ;   in Loop: Header=BB2_132 Depth=3
	s_or_b32 exec_lo, exec_lo, s13
                                        ; implicit-def: $vgpr40
                                        ; implicit-def: $vgpr41
.LBB2_674:                              ;   in Loop: Header=BB2_132 Depth=3
	s_and_not1_saveexec_b32 s13, s74
	s_cbranch_execz .LBB2_680
; %bb.675:                              ;   in Loop: Header=BB2_132 Depth=3
	s_mov_b32 s74, exec_lo
                                        ; implicit-def: $vgpr76
	v_cmpx_ne_u64_e32 0, v[2:3]
	s_xor_b32 s74, exec_lo, s74
; %bb.676:                              ;   in Loop: Header=BB2_132 Depth=3
	v_or_b32_e32 v76, 0x7f, v41
                                        ; implicit-def: $vgpr40
; %bb.677:                              ;   in Loop: Header=BB2_132 Depth=3
	s_and_not1_saveexec_b32 s74, s74
; %bb.678:                              ;   in Loop: Header=BB2_132 Depth=3
	v_cmp_lt_i32_e32 vcc_lo, -1, v40
	v_cndmask_b32_e32 v76, 0xfc, v120, vcc_lo
; %bb.679:                              ;   in Loop: Header=BB2_132 Depth=3
	s_or_b32 exec_lo, exec_lo, s74
.LBB2_680:                              ;   in Loop: Header=BB2_132 Depth=3
	s_delay_alu instid0(SALU_CYCLE_1) | instskip(SKIP_2) | instid1(VALU_DEP_1)
	s_or_b32 exec_lo, exec_lo, s13
	v_dual_mov_b32 v41, 0 :: v_dual_lshrrev_b32 v2, 16, v8
	s_mov_b32 s13, exec_lo
	v_and_b32_e32 v40, 0xff, v2
	s_delay_alu instid0(VALU_DEP_1)
	v_cmpx_ne_u16_e32 0, v40
	s_cbranch_execz .LBB2_690
; %bb.681:                              ;   in Loop: Header=BB2_132 Depth=3
	v_bfrev_b32_e32 v41, 1
	s_mov_b32 s74, exec_lo
	v_cmpx_ne_u16_e32 0x80, v40
	s_cbranch_execz .LBB2_689
; %bb.682:                              ;   in Loop: Header=BB2_132 Depth=3
	v_and_b32_e32 v18, 0x7c0000, v8
	v_bfe_u32 v40, v8, 16, 2
	s_mov_b32 s75, exec_lo
                                        ; implicit-def: $vgpr41
	s_delay_alu instid0(VALU_DEP_2)
	v_cmpx_ne_u32_e32 0x7c0000, v18
	s_xor_b32 s75, exec_lo, s75
	s_cbranch_execz .LBB2_686
; %bb.683:                              ;   in Loop: Header=BB2_132 Depth=3
	v_bfe_u32 v41, v8, 18, 5
	s_mov_b32 s76, exec_lo
	s_delay_alu instid0(VALU_DEP_1)
	v_cmpx_eq_u32_e32 0, v41
; %bb.684:                              ;   in Loop: Header=BB2_132 Depth=3
	v_clz_i32_u32_e32 v18, v40
	s_delay_alu instid0(VALU_DEP_1) | instskip(NEXT) | instid1(VALU_DEP_1)
	v_min_u32_e32 v18, 32, v18
	v_subrev_nc_u32_e32 v19, 29, v18
	s_delay_alu instid0(VALU_DEP_1) | instskip(NEXT) | instid1(VALU_DEP_1)
	v_lshlrev_b64_e32 v[40:41], v19, v[2:3]
	v_dual_sub_nc_u32 v41, 30, v18 :: v_dual_bitop2_b32 v40, 3, v40 bitop3:0x40
; %bb.685:                              ;   in Loop: Header=BB2_132 Depth=3
	s_or_b32 exec_lo, exec_lo, s76
	v_lshlrev_b32_e32 v2, 24, v2
	s_delay_alu instid0(VALU_DEP_1) | instskip(NEXT) | instid1(VALU_DEP_1)
	v_and_b32_e32 v2, 0x80000000, v2
	v_lshl_add_u32 v2, v41, 23, v2
	s_delay_alu instid0(VALU_DEP_1) | instskip(NEXT) | instid1(VALU_DEP_1)
	v_lshl_or_b32 v2, v40, 21, v2
                                        ; implicit-def: $vgpr40
	v_add_nc_u32_e32 v41, 0x38000000, v2
                                        ; implicit-def: $vgpr2
.LBB2_686:                              ;   in Loop: Header=BB2_132 Depth=3
	s_and_not1_saveexec_b32 s75, s75
; %bb.687:                              ;   in Loop: Header=BB2_132 Depth=3
	v_bfe_i32 v2, v2, 0, 8
	s_delay_alu instid0(VALU_DEP_1) | instskip(SKIP_2) | instid1(VALU_DEP_2)
	v_cmp_lt_i16_e32 vcc_lo, -1, v2
	v_cndmask_b32_e32 v2, 0xff800000, v111, vcc_lo
	v_cmp_eq_u32_e32 vcc_lo, 0, v40
	v_cndmask_b32_e32 v41, 0x7f800001, v2, vcc_lo
; %bb.688:                              ;   in Loop: Header=BB2_132 Depth=3
	s_or_b32 exec_lo, exec_lo, s75
.LBB2_689:                              ;   in Loop: Header=BB2_132 Depth=3
	s_delay_alu instid0(SALU_CYCLE_1)
	s_or_b32 exec_lo, exec_lo, s74
.LBB2_690:                              ;   in Loop: Header=BB2_132 Depth=3
	s_delay_alu instid0(SALU_CYCLE_1) | instskip(NEXT) | instid1(VALU_DEP_1)
	s_or_b32 exec_lo, exec_lo, s13
	v_dual_mul_f32 v40, s73, v41 :: v_dual_mov_b32 v43, v3
                                        ; implicit-def: $vgpr77
	s_mov_b32 s13, exec_lo
	s_delay_alu instid0(VALU_DEP_1) | instskip(SKIP_2) | instid1(VALU_DEP_3)
	v_and_b32_e32 v42, 0x7f800000, v40
	v_and_b32_e32 v2, 0x7fffff, v40
	v_lshrrev_b32_e32 v41, 24, v40
	v_cmpx_ne_u64_e32 0x7f800000, v[42:43]
	s_xor_b32 s74, exec_lo, s13
	s_cbranch_execz .LBB2_704
; %bb.691:                              ;   in Loop: Header=BB2_132 Depth=3
	v_and_b32_e32 v42, 0x7fffffff, v40
	v_mov_b32_e32 v43, v3
	v_and_b32_e32 v78, 0x80, v41
                                        ; implicit-def: $vgpr77
	s_mov_b32 s13, exec_lo
	s_delay_alu instid0(VALU_DEP_2)
	v_cmpx_gt_u64_e32 0x47600001, v[42:43]
	s_xor_b32 s75, exec_lo, s13
	s_cbranch_execz .LBB2_701
; %bb.692:                              ;   in Loop: Header=BB2_132 Depth=3
	v_mov_b32_e32 v77, 0
	s_mov_b32 s76, exec_lo
	v_cmpx_ne_u32_e32 0, v40
	s_cbranch_execz .LBB2_700
; %bb.693:                              ;   in Loop: Header=BB2_132 Depth=3
	v_bfe_u32 v77, v40, 23, 8
	v_or_b32_e32 v19, 0x800000, v2
	s_mov_b32 s77, exec_lo
	s_delay_alu instid0(VALU_DEP_2) | instskip(SKIP_1) | instid1(VALU_DEP_2)
	v_dual_mov_b32 v43, v3 :: v_dual_sub_nc_u32 v18, 0x71, v77
	v_cmp_gt_u32_e32 vcc_lo, 0x72, v77
	v_cndmask_b32_e32 v18, 0, v18, vcc_lo
	v_cmp_eq_u32_e32 vcc_lo, 0, v77
	s_delay_alu instid0(VALU_DEP_2) | instskip(NEXT) | instid1(VALU_DEP_1)
	v_cndmask_b32_e64 v79, v18, 0x70, vcc_lo
	v_dual_cndmask_b32 v42, v19, v2, vcc_lo :: v_dual_add_nc_u32 v18, 21, v79
	s_delay_alu instid0(VALU_DEP_1) | instskip(SKIP_1) | instid1(VALU_DEP_1)
	v_lshlrev_b64_e64 v[40:41], v18, -1
	v_add_nc_u32_e32 v18, 20, v79
	v_lshlrev_b64_e64 v[88:89], v18, 1
	s_delay_alu instid0(VALU_DEP_3) | instskip(NEXT) | instid1(VALU_DEP_4)
	v_bfi_b32 v91, v41, 0, 0
	v_bfi_b32 v90, v40, 0, v42
	v_lshrrev_b64 v[40:41], v79, v[42:43]
	s_delay_alu instid0(VALU_DEP_1) | instskip(NEXT) | instid1(VALU_DEP_3)
	v_mov_b64_e32 v[42:43], v[40:41]
	v_cmpx_eq_u64_e64 v[90:91], v[88:89]
; %bb.694:                              ;   in Loop: Header=BB2_132 Depth=3
	v_bfe_u32 v42, v40, 21, 1
	v_mov_b32_e32 v43, v3
	s_delay_alu instid0(VALU_DEP_1) | instskip(NEXT) | instid1(VALU_DEP_1)
	v_add_nc_u64_e32 v[42:43], v[40:41], v[42:43]
	v_add_nc_u64_e32 v[42:43], -1, v[42:43]
; %bb.695:                              ;   in Loop: Header=BB2_132 Depth=3
	s_or_b32 exec_lo, exec_lo, s77
	v_add_nc_u32_e32 v2, 0xffffff81, v77
	v_lshrrev_b32_e32 v18, 23, v40
	s_mov_b32 s13, exec_lo
	s_delay_alu instid0(VALU_DEP_2) | instskip(NEXT) | instid1(VALU_DEP_1)
	v_cndmask_b32_e64 v2, v2, 0xffffff82, vcc_lo
	v_add3_u32 v43, v79, v2, v18
	v_and_b32_e32 v2, 0x1fffff, v42
                                        ; implicit-def: $vgpr42
	s_delay_alu instid0(VALU_DEP_1) | instskip(NEXT) | instid1(VALU_DEP_1)
	v_dual_add_nc_u32 v77, 14, v43 :: v_dual_add_nc_u32 v2, v2, v40
                                        ; implicit-def: $vgpr40_vgpr41
	v_cmpx_ne_u32_e32 0, v77
	s_xor_b32 s13, exec_lo, s13
; %bb.696:                              ;   in Loop: Header=BB2_132 Depth=3
	s_delay_alu instid0(VALU_DEP_2) | instskip(SKIP_1) | instid1(VALU_DEP_1)
	v_cmp_lt_u64_e32 vcc_lo, 0xffffff, v[2:3]
	v_add_nc_u32_e32 v18, 15, v43
	v_cndmask_b32_e32 v42, v77, v18, vcc_lo
	v_cndmask_b32_e64 v18, 0, 1, vcc_lo
	s_delay_alu instid0(VALU_DEP_1)
	v_lshrrev_b64 v[40:41], v18, v[2:3]
; %bb.697:                              ;   in Loop: Header=BB2_132 Depth=3
	s_and_not1_saveexec_b32 s13, s13
; %bb.698:                              ;   in Loop: Header=BB2_132 Depth=3
	v_mov_b64_e32 v[40:41], v[2:3]
	v_bfe_u32 v42, v2, 23, 1
; %bb.699:                              ;   in Loop: Header=BB2_132 Depth=3
	s_or_b32 exec_lo, exec_lo, s13
	s_delay_alu instid0(VALU_DEP_2) | instskip(NEXT) | instid1(VALU_DEP_2)
	v_lshrrev_b64 v[40:41], 21, v[40:41]
	v_cmp_gt_i32_e32 vcc_lo, 32, v42
	v_min_i32_e32 v2, 31, v42
	v_cmp_eq_u32_e64 s13, 0, v42
	s_delay_alu instid0(VALU_DEP_2) | instskip(SKIP_1) | instid1(VALU_DEP_2)
	v_dual_cndmask_b32 v41, 0, v41 :: v_dual_lshlrev_b32 v2, 2, v2
	v_cndmask_b32_e32 v40, 3, v40, vcc_lo
	v_and_b32_e32 v2, 0xfc, v2
	s_delay_alu instid0(VALU_DEP_2) | instskip(NEXT) | instid1(VALU_DEP_2)
	v_cmp_eq_u64_e32 vcc_lo, 0, v[40:41]
	v_and_or_b32 v2, v40, 3, v2
	s_and_b32 s13, s13, vcc_lo
	s_delay_alu instid0(VALU_DEP_1) | instid1(SALU_CYCLE_1)
	v_cndmask_b32_e64 v2, v2, 0, s13
	s_delay_alu instid0(VALU_DEP_1)
	v_or_b32_e32 v77, v2, v78
.LBB2_700:                              ;   in Loop: Header=BB2_132 Depth=3
	s_or_b32 exec_lo, exec_lo, s76
                                        ; implicit-def: $vgpr78
.LBB2_701:                              ;   in Loop: Header=BB2_132 Depth=3
	s_and_not1_saveexec_b32 s13, s75
; %bb.702:                              ;   in Loop: Header=BB2_132 Depth=3
	v_or_b32_e32 v77, 0x7b, v78
; %bb.703:                              ;   in Loop: Header=BB2_132 Depth=3
	s_or_b32 exec_lo, exec_lo, s13
                                        ; implicit-def: $vgpr40
                                        ; implicit-def: $vgpr41
.LBB2_704:                              ;   in Loop: Header=BB2_132 Depth=3
	s_and_not1_saveexec_b32 s13, s74
	s_cbranch_execz .LBB2_710
; %bb.705:                              ;   in Loop: Header=BB2_132 Depth=3
	s_mov_b32 s74, exec_lo
                                        ; implicit-def: $vgpr77
	v_cmpx_ne_u64_e32 0, v[2:3]
	s_xor_b32 s74, exec_lo, s74
; %bb.706:                              ;   in Loop: Header=BB2_132 Depth=3
	v_or_b32_e32 v77, 0x7f, v41
                                        ; implicit-def: $vgpr40
; %bb.707:                              ;   in Loop: Header=BB2_132 Depth=3
	s_and_not1_saveexec_b32 s74, s74
; %bb.708:                              ;   in Loop: Header=BB2_132 Depth=3
	v_cmp_lt_i32_e32 vcc_lo, -1, v40
	v_cndmask_b32_e32 v77, 0xfc, v120, vcc_lo
; %bb.709:                              ;   in Loop: Header=BB2_132 Depth=3
	s_or_b32 exec_lo, exec_lo, s74
.LBB2_710:                              ;   in Loop: Header=BB2_132 Depth=3
	s_delay_alu instid0(SALU_CYCLE_1)
	s_or_b32 exec_lo, exec_lo, s13
	v_mov_b32_e32 v40, 0
	s_mov_b32 s13, exec_lo
	v_cmpx_lt_u32_e32 0xffffff, v8
	s_cbranch_execz .LBB2_720
; %bb.711:                              ;   in Loop: Header=BB2_132 Depth=3
	v_lshrrev_b32_e32 v2, 24, v8
	v_bfrev_b32_e32 v40, 1
	s_mov_b32 s74, exec_lo
	s_delay_alu instid0(VALU_DEP_2)
	v_cmpx_ne_u32_e32 0x80, v2
	s_cbranch_execz .LBB2_719
; %bb.712:                              ;   in Loop: Header=BB2_132 Depth=3
	v_and_b32_e32 v18, 0x7c000000, v8
	v_bfe_u32 v41, v8, 24, 2
	s_mov_b32 s75, exec_lo
                                        ; implicit-def: $vgpr40
	s_delay_alu instid0(VALU_DEP_2)
	v_cmpx_ne_u32_e32 0x7c000000, v18
	s_xor_b32 s75, exec_lo, s75
	s_cbranch_execz .LBB2_716
; %bb.713:                              ;   in Loop: Header=BB2_132 Depth=3
	v_bfe_u32 v40, v8, 26, 5
	s_mov_b32 s76, exec_lo
	s_delay_alu instid0(VALU_DEP_1)
	v_cmpx_eq_u32_e32 0, v40
; %bb.714:                              ;   in Loop: Header=BB2_132 Depth=3
	v_clz_i32_u32_e32 v18, v41
	s_delay_alu instid0(VALU_DEP_1) | instskip(NEXT) | instid1(VALU_DEP_1)
	v_min_u32_e32 v18, 32, v18
	v_subrev_nc_u32_e32 v19, 29, v18
	v_sub_nc_u32_e32 v40, 30, v18
	s_delay_alu instid0(VALU_DEP_2) | instskip(NEXT) | instid1(VALU_DEP_1)
	v_lshlrev_b64_e32 v[42:43], v19, v[2:3]
	v_and_b32_e32 v41, 3, v42
; %bb.715:                              ;   in Loop: Header=BB2_132 Depth=3
	s_or_b32 exec_lo, exec_lo, s76
	v_and_b32_e32 v2, 0x80000000, v8
	s_delay_alu instid0(VALU_DEP_1) | instskip(NEXT) | instid1(VALU_DEP_1)
	v_lshl_add_u32 v2, v40, 23, v2
	v_lshl_or_b32 v2, v41, 21, v2
                                        ; implicit-def: $vgpr41
	s_delay_alu instid0(VALU_DEP_1)
	v_add_nc_u32_e32 v40, 0x38000000, v2
.LBB2_716:                              ;   in Loop: Header=BB2_132 Depth=3
	s_and_not1_saveexec_b32 s75, s75
; %bb.717:                              ;   in Loop: Header=BB2_132 Depth=3
	v_cmp_lt_i32_e32 vcc_lo, -1, v8
	v_cndmask_b32_e32 v2, 0xff800000, v111, vcc_lo
	v_cmp_eq_u32_e32 vcc_lo, 0, v41
	s_delay_alu instid0(VALU_DEP_2)
	v_cndmask_b32_e32 v40, 0x7f800001, v2, vcc_lo
; %bb.718:                              ;   in Loop: Header=BB2_132 Depth=3
	s_or_b32 exec_lo, exec_lo, s75
.LBB2_719:                              ;   in Loop: Header=BB2_132 Depth=3
	s_delay_alu instid0(SALU_CYCLE_1)
	s_or_b32 exec_lo, exec_lo, s74
.LBB2_720:                              ;   in Loop: Header=BB2_132 Depth=3
	s_delay_alu instid0(SALU_CYCLE_1) | instskip(NEXT) | instid1(VALU_DEP_1)
	s_or_b32 exec_lo, exec_lo, s13
	v_dual_mul_f32 v40, s73, v40 :: v_dual_mov_b32 v43, v3
                                        ; implicit-def: $vgpr78
	s_mov_b32 s13, exec_lo
	s_delay_alu instid0(VALU_DEP_1) | instskip(SKIP_2) | instid1(VALU_DEP_3)
	v_and_b32_e32 v42, 0x7f800000, v40
	v_and_b32_e32 v2, 0x7fffff, v40
	v_lshrrev_b32_e32 v41, 24, v40
	v_cmpx_ne_u64_e32 0x7f800000, v[42:43]
	s_xor_b32 s74, exec_lo, s13
	s_cbranch_execz .LBB2_734
; %bb.721:                              ;   in Loop: Header=BB2_132 Depth=3
	v_and_b32_e32 v42, 0x7fffffff, v40
	v_mov_b32_e32 v43, v3
	v_and_b32_e32 v79, 0x80, v41
                                        ; implicit-def: $vgpr78
	s_mov_b32 s13, exec_lo
	s_delay_alu instid0(VALU_DEP_2)
	v_cmpx_gt_u64_e32 0x47600001, v[42:43]
	s_xor_b32 s75, exec_lo, s13
	s_cbranch_execz .LBB2_731
; %bb.722:                              ;   in Loop: Header=BB2_132 Depth=3
	v_mov_b32_e32 v78, 0
	s_mov_b32 s76, exec_lo
	v_cmpx_ne_u32_e32 0, v40
	s_cbranch_execz .LBB2_730
; %bb.723:                              ;   in Loop: Header=BB2_132 Depth=3
	v_bfe_u32 v78, v40, 23, 8
	v_or_b32_e32 v19, 0x800000, v2
	s_mov_b32 s77, exec_lo
	s_delay_alu instid0(VALU_DEP_2) | instskip(SKIP_1) | instid1(VALU_DEP_2)
	v_dual_mov_b32 v43, v3 :: v_dual_sub_nc_u32 v18, 0x71, v78
	v_cmp_gt_u32_e32 vcc_lo, 0x72, v78
	v_cndmask_b32_e32 v18, 0, v18, vcc_lo
	v_cmp_eq_u32_e32 vcc_lo, 0, v78
	s_delay_alu instid0(VALU_DEP_2) | instskip(NEXT) | instid1(VALU_DEP_1)
	v_cndmask_b32_e64 v88, v18, 0x70, vcc_lo
	v_dual_cndmask_b32 v42, v19, v2, vcc_lo :: v_dual_add_nc_u32 v18, 21, v88
	s_delay_alu instid0(VALU_DEP_1) | instskip(SKIP_1) | instid1(VALU_DEP_1)
	v_lshlrev_b64_e64 v[40:41], v18, -1
	v_add_nc_u32_e32 v18, 20, v88
	v_lshlrev_b64_e64 v[90:91], v18, 1
	s_delay_alu instid0(VALU_DEP_3) | instskip(NEXT) | instid1(VALU_DEP_4)
	v_bfi_b32 v93, v41, 0, 0
	v_bfi_b32 v92, v40, 0, v42
	v_lshrrev_b64 v[40:41], v88, v[42:43]
	s_delay_alu instid0(VALU_DEP_1) | instskip(NEXT) | instid1(VALU_DEP_3)
	v_mov_b64_e32 v[42:43], v[40:41]
	v_cmpx_eq_u64_e64 v[92:93], v[90:91]
; %bb.724:                              ;   in Loop: Header=BB2_132 Depth=3
	v_bfe_u32 v42, v40, 21, 1
	v_mov_b32_e32 v43, v3
	s_delay_alu instid0(VALU_DEP_1) | instskip(NEXT) | instid1(VALU_DEP_1)
	v_add_nc_u64_e32 v[42:43], v[40:41], v[42:43]
	v_add_nc_u64_e32 v[42:43], -1, v[42:43]
; %bb.725:                              ;   in Loop: Header=BB2_132 Depth=3
	s_or_b32 exec_lo, exec_lo, s77
	v_add_nc_u32_e32 v2, 0xffffff81, v78
	v_lshrrev_b32_e32 v18, 23, v40
	s_mov_b32 s13, exec_lo
	s_delay_alu instid0(VALU_DEP_2) | instskip(NEXT) | instid1(VALU_DEP_1)
	v_cndmask_b32_e64 v2, v2, 0xffffff82, vcc_lo
	v_add3_u32 v43, v88, v2, v18
	v_and_b32_e32 v2, 0x1fffff, v42
                                        ; implicit-def: $vgpr42
	s_delay_alu instid0(VALU_DEP_1) | instskip(NEXT) | instid1(VALU_DEP_1)
	v_dual_add_nc_u32 v78, 14, v43 :: v_dual_add_nc_u32 v2, v2, v40
                                        ; implicit-def: $vgpr40_vgpr41
	v_cmpx_ne_u32_e32 0, v78
	s_xor_b32 s13, exec_lo, s13
; %bb.726:                              ;   in Loop: Header=BB2_132 Depth=3
	s_delay_alu instid0(VALU_DEP_2) | instskip(SKIP_1) | instid1(VALU_DEP_1)
	v_cmp_lt_u64_e32 vcc_lo, 0xffffff, v[2:3]
	v_add_nc_u32_e32 v18, 15, v43
	v_cndmask_b32_e32 v42, v78, v18, vcc_lo
	v_cndmask_b32_e64 v18, 0, 1, vcc_lo
	s_delay_alu instid0(VALU_DEP_1)
	v_lshrrev_b64 v[40:41], v18, v[2:3]
; %bb.727:                              ;   in Loop: Header=BB2_132 Depth=3
	s_and_not1_saveexec_b32 s13, s13
; %bb.728:                              ;   in Loop: Header=BB2_132 Depth=3
	v_mov_b64_e32 v[40:41], v[2:3]
	v_bfe_u32 v42, v2, 23, 1
; %bb.729:                              ;   in Loop: Header=BB2_132 Depth=3
	s_or_b32 exec_lo, exec_lo, s13
	s_delay_alu instid0(VALU_DEP_2) | instskip(NEXT) | instid1(VALU_DEP_2)
	v_lshrrev_b64 v[40:41], 21, v[40:41]
	v_cmp_gt_i32_e32 vcc_lo, 32, v42
	v_min_i32_e32 v2, 31, v42
	v_cmp_eq_u32_e64 s13, 0, v42
	s_delay_alu instid0(VALU_DEP_2) | instskip(SKIP_1) | instid1(VALU_DEP_2)
	v_dual_cndmask_b32 v41, 0, v41 :: v_dual_lshlrev_b32 v2, 2, v2
	v_cndmask_b32_e32 v40, 3, v40, vcc_lo
	v_and_b32_e32 v2, 0xfc, v2
	s_delay_alu instid0(VALU_DEP_2) | instskip(NEXT) | instid1(VALU_DEP_2)
	v_cmp_eq_u64_e32 vcc_lo, 0, v[40:41]
	v_and_or_b32 v2, v40, 3, v2
	s_and_b32 s13, s13, vcc_lo
	s_delay_alu instid0(VALU_DEP_1) | instid1(SALU_CYCLE_1)
	v_cndmask_b32_e64 v2, v2, 0, s13
	s_delay_alu instid0(VALU_DEP_1)
	v_or_b32_e32 v78, v2, v79
.LBB2_730:                              ;   in Loop: Header=BB2_132 Depth=3
	s_or_b32 exec_lo, exec_lo, s76
                                        ; implicit-def: $vgpr79
.LBB2_731:                              ;   in Loop: Header=BB2_132 Depth=3
	s_and_not1_saveexec_b32 s13, s75
; %bb.732:                              ;   in Loop: Header=BB2_132 Depth=3
	v_or_b32_e32 v78, 0x7b, v79
; %bb.733:                              ;   in Loop: Header=BB2_132 Depth=3
	s_or_b32 exec_lo, exec_lo, s13
                                        ; implicit-def: $vgpr40
                                        ; implicit-def: $vgpr41
.LBB2_734:                              ;   in Loop: Header=BB2_132 Depth=3
	s_and_not1_saveexec_b32 s13, s74
	s_cbranch_execz .LBB2_740
; %bb.735:                              ;   in Loop: Header=BB2_132 Depth=3
	s_mov_b32 s74, exec_lo
                                        ; implicit-def: $vgpr78
	v_cmpx_ne_u64_e32 0, v[2:3]
	s_xor_b32 s74, exec_lo, s74
; %bb.736:                              ;   in Loop: Header=BB2_132 Depth=3
	v_or_b32_e32 v78, 0x7f, v41
                                        ; implicit-def: $vgpr40
; %bb.737:                              ;   in Loop: Header=BB2_132 Depth=3
	s_and_not1_saveexec_b32 s74, s74
; %bb.738:                              ;   in Loop: Header=BB2_132 Depth=3
	v_cmp_lt_i32_e32 vcc_lo, -1, v40
	v_cndmask_b32_e32 v78, 0xfc, v120, vcc_lo
; %bb.739:                              ;   in Loop: Header=BB2_132 Depth=3
	s_or_b32 exec_lo, exec_lo, s74
.LBB2_740:                              ;   in Loop: Header=BB2_132 Depth=3
	s_delay_alu instid0(SALU_CYCLE_1) | instskip(SKIP_3) | instid1(VALU_DEP_2)
	s_or_b32 exec_lo, exec_lo, s13
	v_and_b32_e32 v40, 0xff, v9
	v_dual_mov_b32 v2, v9 :: v_dual_mov_b32 v41, 0
	s_mov_b32 s13, exec_lo
	v_cmpx_ne_u16_e32 0, v40
	s_cbranch_execz .LBB2_750
; %bb.741:                              ;   in Loop: Header=BB2_132 Depth=3
	v_bfrev_b32_e32 v41, 1
	s_mov_b32 s74, exec_lo
	v_cmpx_ne_u16_e32 0x80, v40
	s_cbranch_execz .LBB2_749
; %bb.742:                              ;   in Loop: Header=BB2_132 Depth=3
	v_and_b32_e32 v18, 0x7c, v9
	v_and_b32_e32 v40, 3, v9
	s_mov_b32 s75, exec_lo
                                        ; implicit-def: $vgpr41
	s_delay_alu instid0(VALU_DEP_2)
	v_cmpx_ne_u32_e32 0x7c, v18
	s_xor_b32 s75, exec_lo, s75
	s_cbranch_execz .LBB2_746
; %bb.743:                              ;   in Loop: Header=BB2_132 Depth=3
	v_bfe_u32 v41, v9, 2, 5
	s_mov_b32 s76, exec_lo
	s_delay_alu instid0(VALU_DEP_1)
	v_cmpx_eq_u32_e32 0, v41
; %bb.744:                              ;   in Loop: Header=BB2_132 Depth=3
	v_clz_i32_u32_e32 v18, v40
	s_delay_alu instid0(VALU_DEP_1) | instskip(NEXT) | instid1(VALU_DEP_1)
	v_min_u32_e32 v18, 32, v18
	v_subrev_nc_u32_e32 v19, 29, v18
	s_delay_alu instid0(VALU_DEP_1) | instskip(NEXT) | instid1(VALU_DEP_1)
	v_lshlrev_b64_e32 v[40:41], v19, v[2:3]
	v_dual_sub_nc_u32 v41, 30, v18 :: v_dual_bitop2_b32 v40, 3, v40 bitop3:0x40
; %bb.745:                              ;   in Loop: Header=BB2_132 Depth=3
	s_or_b32 exec_lo, exec_lo, s76
	v_lshlrev_b32_e32 v18, 24, v9
	s_delay_alu instid0(VALU_DEP_1) | instskip(NEXT) | instid1(VALU_DEP_1)
	v_and_b32_e32 v18, 0x80000000, v18
	v_lshl_add_u32 v18, v41, 23, v18
	s_delay_alu instid0(VALU_DEP_1) | instskip(NEXT) | instid1(VALU_DEP_1)
	v_lshl_or_b32 v18, v40, 21, v18
                                        ; implicit-def: $vgpr40
	v_add_nc_u32_e32 v41, 0x38000000, v18
.LBB2_746:                              ;   in Loop: Header=BB2_132 Depth=3
	s_and_not1_saveexec_b32 s75, s75
; %bb.747:                              ;   in Loop: Header=BB2_132 Depth=3
	v_bfe_i32 v18, v9, 0, 8
	s_delay_alu instid0(VALU_DEP_1) | instskip(SKIP_2) | instid1(VALU_DEP_2)
	v_cmp_lt_i16_e32 vcc_lo, -1, v18
	v_cndmask_b32_e32 v18, 0xff800000, v111, vcc_lo
	v_cmp_eq_u32_e32 vcc_lo, 0, v40
	v_cndmask_b32_e32 v41, 0x7f800001, v18, vcc_lo
; %bb.748:                              ;   in Loop: Header=BB2_132 Depth=3
	s_or_b32 exec_lo, exec_lo, s75
.LBB2_749:                              ;   in Loop: Header=BB2_132 Depth=3
	s_delay_alu instid0(SALU_CYCLE_1)
	s_or_b32 exec_lo, exec_lo, s74
.LBB2_750:                              ;   in Loop: Header=BB2_132 Depth=3
	s_delay_alu instid0(SALU_CYCLE_1) | instskip(NEXT) | instid1(VALU_DEP_1)
	s_or_b32 exec_lo, exec_lo, s13
	v_dual_mul_f32 v42, s73, v41 :: v_dual_mov_b32 v89, v3
	v_mov_b32_e32 v41, v3
                                        ; implicit-def: $vgpr79
	s_mov_b32 s13, exec_lo
	s_delay_alu instid0(VALU_DEP_2) | instskip(SKIP_2) | instid1(VALU_DEP_3)
	v_and_b32_e32 v88, 0x7f800000, v42
	v_and_b32_e32 v40, 0x7fffff, v42
	v_lshrrev_b32_e32 v43, 24, v42
	v_cmpx_ne_u64_e32 0x7f800000, v[88:89]
	s_xor_b32 s74, exec_lo, s13
	s_cbranch_execz .LBB2_764
; %bb.751:                              ;   in Loop: Header=BB2_132 Depth=3
	v_and_b32_e32 v88, 0x7fffffff, v42
	v_mov_b32_e32 v89, v3
                                        ; implicit-def: $vgpr79
	s_delay_alu instid0(VALU_DEP_1) | instskip(SKIP_2) | instid1(SALU_CYCLE_1)
	v_cmp_gt_u64_e32 vcc_lo, 0x47600001, v[88:89]
	v_and_b32_e32 v88, 0x80, v43
	s_and_saveexec_b32 s13, vcc_lo
	s_xor_b32 s75, exec_lo, s13
	s_cbranch_execz .LBB2_761
; %bb.752:                              ;   in Loop: Header=BB2_132 Depth=3
	v_mov_b32_e32 v79, 0
	s_mov_b32 s76, exec_lo
	v_cmpx_ne_u32_e32 0, v42
	s_cbranch_execz .LBB2_760
; %bb.753:                              ;   in Loop: Header=BB2_132 Depth=3
	v_bfe_u32 v79, v42, 23, 8
	v_or_b32_e32 v19, 0x800000, v40
	s_delay_alu instid0(VALU_DEP_2) | instskip(SKIP_1) | instid1(VALU_DEP_2)
	v_sub_nc_u32_e32 v18, 0x71, v79
	v_cmp_gt_u32_e32 vcc_lo, 0x72, v79
	v_cndmask_b32_e32 v18, 0, v18, vcc_lo
	v_cmp_eq_u32_e32 vcc_lo, 0, v79
	v_cndmask_b32_e32 v40, v19, v40, vcc_lo
	s_delay_alu instid0(VALU_DEP_3) | instskip(NEXT) | instid1(VALU_DEP_1)
	v_cndmask_b32_e64 v89, v18, 0x70, vcc_lo
	v_add_nc_u32_e32 v18, 21, v89
	s_delay_alu instid0(VALU_DEP_1) | instskip(SKIP_1) | instid1(VALU_DEP_1)
	v_lshlrev_b64_e64 v[42:43], v18, -1
	v_add_nc_u32_e32 v18, 20, v89
	v_lshlrev_b64_e64 v[90:91], v18, 1
	s_delay_alu instid0(VALU_DEP_3) | instskip(SKIP_2) | instid1(VALU_DEP_1)
	v_bfi_b32 v42, v42, 0, v40
	v_lshrrev_b64 v[40:41], v89, v[40:41]
	v_bfi_b32 v43, v43, 0, 0
	v_cmp_eq_u64_e64 s13, v[42:43], v[90:91]
	s_delay_alu instid0(VALU_DEP_3)
	v_mov_b64_e32 v[42:43], v[40:41]
	s_and_saveexec_b32 s77, s13
; %bb.754:                              ;   in Loop: Header=BB2_132 Depth=3
	v_bfe_u32 v42, v40, 21, 1
	v_mov_b32_e32 v43, v3
	s_delay_alu instid0(VALU_DEP_1) | instskip(NEXT) | instid1(VALU_DEP_1)
	v_add_nc_u64_e32 v[42:43], v[40:41], v[42:43]
	v_add_nc_u64_e32 v[42:43], -1, v[42:43]
; %bb.755:                              ;   in Loop: Header=BB2_132 Depth=3
	s_or_b32 exec_lo, exec_lo, s77
	v_dual_mov_b32 v41, v3 :: v_dual_add_nc_u32 v18, 0xffffff81, v79
	v_lshrrev_b32_e32 v19, 23, v40
	s_mov_b32 s13, exec_lo
	s_delay_alu instid0(VALU_DEP_2) | instskip(NEXT) | instid1(VALU_DEP_1)
	v_cndmask_b32_e64 v18, v18, 0xffffff82, vcc_lo
	v_add3_u32 v43, v89, v18, v19
	v_and_b32_e32 v18, 0x1fffff, v42
                                        ; implicit-def: $vgpr42
	s_delay_alu instid0(VALU_DEP_1) | instskip(NEXT) | instid1(VALU_DEP_1)
	v_dual_add_nc_u32 v79, 14, v43 :: v_dual_add_nc_u32 v40, v18, v40
	v_cmpx_ne_u32_e32 0, v79
	s_xor_b32 s13, exec_lo, s13
; %bb.756:                              ;   in Loop: Header=BB2_132 Depth=3
	s_delay_alu instid0(VALU_DEP_2) | instskip(SKIP_1) | instid1(VALU_DEP_1)
	v_cmp_lt_u64_e32 vcc_lo, 0xffffff, v[40:41]
	v_add_nc_u32_e32 v18, 15, v43
	v_cndmask_b32_e32 v42, v79, v18, vcc_lo
	v_cndmask_b32_e64 v18, 0, 1, vcc_lo
	s_delay_alu instid0(VALU_DEP_1)
	v_lshrrev_b64 v[40:41], v18, v[40:41]
; %bb.757:                              ;   in Loop: Header=BB2_132 Depth=3
	s_and_not1_saveexec_b32 s13, s13
; %bb.758:                              ;   in Loop: Header=BB2_132 Depth=3
	s_delay_alu instid0(VALU_DEP_1)
	v_bfe_u32 v42, v40, 23, 1
; %bb.759:                              ;   in Loop: Header=BB2_132 Depth=3
	s_or_b32 exec_lo, exec_lo, s13
	s_delay_alu instid0(VALU_DEP_2) | instskip(NEXT) | instid1(VALU_DEP_2)
	v_lshrrev_b64 v[40:41], 21, v[40:41]
	v_cmp_gt_i32_e32 vcc_lo, 32, v42
	v_min_i32_e32 v18, 31, v42
	v_cmp_eq_u32_e64 s13, 0, v42
	s_delay_alu instid0(VALU_DEP_2) | instskip(SKIP_1) | instid1(VALU_DEP_2)
	v_dual_cndmask_b32 v41, 0, v41 :: v_dual_lshlrev_b32 v18, 2, v18
	v_cndmask_b32_e32 v40, 3, v40, vcc_lo
	v_and_b32_e32 v18, 0xfc, v18
	s_delay_alu instid0(VALU_DEP_2) | instskip(NEXT) | instid1(VALU_DEP_2)
	v_cmp_eq_u64_e32 vcc_lo, 0, v[40:41]
	v_and_or_b32 v18, v40, 3, v18
	s_and_b32 s13, s13, vcc_lo
	s_delay_alu instid0(VALU_DEP_1) | instid1(SALU_CYCLE_1)
	v_cndmask_b32_e64 v18, v18, 0, s13
	s_delay_alu instid0(VALU_DEP_1)
	v_or_b32_e32 v79, v18, v88
.LBB2_760:                              ;   in Loop: Header=BB2_132 Depth=3
	s_or_b32 exec_lo, exec_lo, s76
                                        ; implicit-def: $vgpr88
.LBB2_761:                              ;   in Loop: Header=BB2_132 Depth=3
	s_and_not1_saveexec_b32 s13, s75
; %bb.762:                              ;   in Loop: Header=BB2_132 Depth=3
	v_or_b32_e32 v79, 0x7b, v88
; %bb.763:                              ;   in Loop: Header=BB2_132 Depth=3
	s_or_b32 exec_lo, exec_lo, s13
                                        ; implicit-def: $vgpr42
                                        ; implicit-def: $vgpr40_vgpr41
                                        ; implicit-def: $vgpr43
.LBB2_764:                              ;   in Loop: Header=BB2_132 Depth=3
	s_and_not1_saveexec_b32 s13, s74
	s_cbranch_execz .LBB2_770
; %bb.765:                              ;   in Loop: Header=BB2_132 Depth=3
	s_mov_b32 s74, exec_lo
                                        ; implicit-def: $vgpr79
	v_cmpx_ne_u64_e32 0, v[40:41]
	s_xor_b32 s74, exec_lo, s74
; %bb.766:                              ;   in Loop: Header=BB2_132 Depth=3
	v_or_b32_e32 v79, 0x7f, v43
                                        ; implicit-def: $vgpr42
; %bb.767:                              ;   in Loop: Header=BB2_132 Depth=3
	s_and_not1_saveexec_b32 s74, s74
; %bb.768:                              ;   in Loop: Header=BB2_132 Depth=3
	v_cmp_lt_i32_e32 vcc_lo, -1, v42
	v_cndmask_b32_e32 v79, 0xfc, v120, vcc_lo
; %bb.769:                              ;   in Loop: Header=BB2_132 Depth=3
	s_or_b32 exec_lo, exec_lo, s74
.LBB2_770:                              ;   in Loop: Header=BB2_132 Depth=3
	s_delay_alu instid0(SALU_CYCLE_1) | instskip(SKIP_3) | instid1(VALU_DEP_2)
	s_or_b32 exec_lo, exec_lo, s13
	v_lshrrev_b16 v40, 8, v2
	v_mov_b32_e32 v42, 0
	s_mov_b32 s13, exec_lo
	v_cmpx_ne_u16_e32 0, v40
	s_cbranch_execz .LBB2_780
; %bb.771:                              ;   in Loop: Header=BB2_132 Depth=3
	v_bfrev_b32_e32 v42, 1
	s_mov_b32 s74, exec_lo
	v_cmpx_ne_u16_e32 0x80, v40
	s_cbranch_execz .LBB2_779
; %bb.772:                              ;   in Loop: Header=BB2_132 Depth=3
	v_and_b32_e32 v43, 0xffff, v40
	s_mov_b32 s75, exec_lo
                                        ; implicit-def: $vgpr42
	s_delay_alu instid0(VALU_DEP_1) | instskip(SKIP_1) | instid1(VALU_DEP_2)
	v_and_b32_e32 v18, 0x7c, v43
	v_and_b32_e32 v41, 3, v43
	v_cmpx_ne_u32_e32 0x7c, v18
	s_xor_b32 s75, exec_lo, s75
	s_cbranch_execz .LBB2_776
; %bb.773:                              ;   in Loop: Header=BB2_132 Depth=3
	v_bfe_u32 v42, v43, 2, 5
	s_mov_b32 s76, exec_lo
	s_delay_alu instid0(VALU_DEP_1)
	v_cmpx_eq_u32_e32 0, v42
; %bb.774:                              ;   in Loop: Header=BB2_132 Depth=3
	v_clz_i32_u32_e32 v18, v41
	s_delay_alu instid0(VALU_DEP_1) | instskip(NEXT) | instid1(VALU_DEP_1)
	v_min_u32_e32 v18, 32, v18
	v_dual_mov_b32 v41, v3 :: v_dual_sub_nc_u32 v42, 30, v18
	v_subrev_nc_u32_e32 v19, 29, v18
	s_delay_alu instid0(VALU_DEP_1) | instskip(NEXT) | instid1(VALU_DEP_1)
	v_lshlrev_b64_e32 v[40:41], v19, v[40:41]
	v_and_b32_e32 v41, 3, v40
; %bb.775:                              ;   in Loop: Header=BB2_132 Depth=3
	s_or_b32 exec_lo, exec_lo, s76
	v_lshlrev_b32_e32 v2, 16, v2
	s_delay_alu instid0(VALU_DEP_1) | instskip(NEXT) | instid1(VALU_DEP_1)
	v_and_b32_e32 v2, 0x80000000, v2
	v_lshl_add_u32 v2, v42, 23, v2
	s_delay_alu instid0(VALU_DEP_1) | instskip(NEXT) | instid1(VALU_DEP_1)
	v_lshl_or_b32 v2, v41, 21, v2
                                        ; implicit-def: $vgpr41
	v_add_nc_u32_e32 v42, 0x38000000, v2
.LBB2_776:                              ;   in Loop: Header=BB2_132 Depth=3
	s_and_not1_saveexec_b32 s75, s75
; %bb.777:                              ;   in Loop: Header=BB2_132 Depth=3
	v_cmp_lt_i16_e32 vcc_lo, -1, v2
	v_cndmask_b32_e32 v2, 0xff800000, v111, vcc_lo
	v_cmp_eq_u32_e32 vcc_lo, 0, v41
	s_delay_alu instid0(VALU_DEP_2)
	v_cndmask_b32_e32 v42, 0x7f800001, v2, vcc_lo
; %bb.778:                              ;   in Loop: Header=BB2_132 Depth=3
	s_or_b32 exec_lo, exec_lo, s75
.LBB2_779:                              ;   in Loop: Header=BB2_132 Depth=3
	s_delay_alu instid0(SALU_CYCLE_1)
	s_or_b32 exec_lo, exec_lo, s74
.LBB2_780:                              ;   in Loop: Header=BB2_132 Depth=3
	s_delay_alu instid0(SALU_CYCLE_1) | instskip(NEXT) | instid1(VALU_DEP_1)
	s_or_b32 exec_lo, exec_lo, s13
	v_dual_mul_f32 v40, s73, v42 :: v_dual_mov_b32 v43, v3
                                        ; implicit-def: $vgpr88
	s_mov_b32 s13, exec_lo
	s_delay_alu instid0(VALU_DEP_1) | instskip(SKIP_2) | instid1(VALU_DEP_3)
	v_and_b32_e32 v42, 0x7f800000, v40
	v_and_b32_e32 v2, 0x7fffff, v40
	v_lshrrev_b32_e32 v41, 24, v40
	v_cmpx_ne_u64_e32 0x7f800000, v[42:43]
	s_xor_b32 s74, exec_lo, s13
	s_cbranch_execz .LBB2_794
; %bb.781:                              ;   in Loop: Header=BB2_132 Depth=3
	v_and_b32_e32 v42, 0x7fffffff, v40
	v_mov_b32_e32 v43, v3
	v_and_b32_e32 v89, 0x80, v41
                                        ; implicit-def: $vgpr88
	s_mov_b32 s13, exec_lo
	s_delay_alu instid0(VALU_DEP_2)
	v_cmpx_gt_u64_e32 0x47600001, v[42:43]
	s_xor_b32 s75, exec_lo, s13
	s_cbranch_execz .LBB2_791
; %bb.782:                              ;   in Loop: Header=BB2_132 Depth=3
	v_mov_b32_e32 v88, 0
	s_mov_b32 s76, exec_lo
	v_cmpx_ne_u32_e32 0, v40
	s_cbranch_execz .LBB2_790
; %bb.783:                              ;   in Loop: Header=BB2_132 Depth=3
	v_bfe_u32 v88, v40, 23, 8
	v_or_b32_e32 v19, 0x800000, v2
	s_mov_b32 s77, exec_lo
	s_delay_alu instid0(VALU_DEP_2) | instskip(SKIP_1) | instid1(VALU_DEP_2)
	v_dual_mov_b32 v43, v3 :: v_dual_sub_nc_u32 v18, 0x71, v88
	v_cmp_gt_u32_e32 vcc_lo, 0x72, v88
	v_cndmask_b32_e32 v18, 0, v18, vcc_lo
	v_cmp_eq_u32_e32 vcc_lo, 0, v88
	s_delay_alu instid0(VALU_DEP_2) | instskip(SKIP_1) | instid1(VALU_DEP_2)
	v_cndmask_b32_e64 v90, v18, 0x70, vcc_lo
	v_cndmask_b32_e32 v42, v19, v2, vcc_lo
	v_add_nc_u32_e32 v18, 21, v90
	s_delay_alu instid0(VALU_DEP_1) | instskip(SKIP_1) | instid1(VALU_DEP_1)
	v_lshlrev_b64_e64 v[40:41], v18, -1
	v_add_nc_u32_e32 v18, 20, v90
	v_lshlrev_b64_e64 v[92:93], v18, 1
	s_delay_alu instid0(VALU_DEP_3) | instskip(NEXT) | instid1(VALU_DEP_4)
	v_bfi_b32 v95, v41, 0, 0
	v_bfi_b32 v94, v40, 0, v42
	v_lshrrev_b64 v[40:41], v90, v[42:43]
	s_delay_alu instid0(VALU_DEP_1) | instskip(NEXT) | instid1(VALU_DEP_3)
	v_mov_b64_e32 v[42:43], v[40:41]
	v_cmpx_eq_u64_e64 v[94:95], v[92:93]
; %bb.784:                              ;   in Loop: Header=BB2_132 Depth=3
	v_bfe_u32 v42, v40, 21, 1
	v_mov_b32_e32 v43, v3
	s_delay_alu instid0(VALU_DEP_1) | instskip(NEXT) | instid1(VALU_DEP_1)
	v_add_nc_u64_e32 v[42:43], v[40:41], v[42:43]
	v_add_nc_u64_e32 v[42:43], -1, v[42:43]
; %bb.785:                              ;   in Loop: Header=BB2_132 Depth=3
	s_or_b32 exec_lo, exec_lo, s77
	v_add_nc_u32_e32 v2, 0xffffff81, v88
	v_lshrrev_b32_e32 v18, 23, v40
	s_mov_b32 s13, exec_lo
	s_delay_alu instid0(VALU_DEP_2) | instskip(NEXT) | instid1(VALU_DEP_1)
	v_cndmask_b32_e64 v2, v2, 0xffffff82, vcc_lo
	v_add3_u32 v43, v90, v2, v18
	v_and_b32_e32 v2, 0x1fffff, v42
                                        ; implicit-def: $vgpr42
	s_delay_alu instid0(VALU_DEP_1) | instskip(NEXT) | instid1(VALU_DEP_1)
	v_dual_add_nc_u32 v88, 14, v43 :: v_dual_add_nc_u32 v2, v2, v40
                                        ; implicit-def: $vgpr40_vgpr41
	v_cmpx_ne_u32_e32 0, v88
	s_xor_b32 s13, exec_lo, s13
; %bb.786:                              ;   in Loop: Header=BB2_132 Depth=3
	s_delay_alu instid0(VALU_DEP_2) | instskip(SKIP_1) | instid1(VALU_DEP_1)
	v_cmp_lt_u64_e32 vcc_lo, 0xffffff, v[2:3]
	v_add_nc_u32_e32 v18, 15, v43
	v_cndmask_b32_e32 v42, v88, v18, vcc_lo
	v_cndmask_b32_e64 v18, 0, 1, vcc_lo
	s_delay_alu instid0(VALU_DEP_1)
	v_lshrrev_b64 v[40:41], v18, v[2:3]
; %bb.787:                              ;   in Loop: Header=BB2_132 Depth=3
	s_and_not1_saveexec_b32 s13, s13
; %bb.788:                              ;   in Loop: Header=BB2_132 Depth=3
	v_mov_b64_e32 v[40:41], v[2:3]
	v_bfe_u32 v42, v2, 23, 1
; %bb.789:                              ;   in Loop: Header=BB2_132 Depth=3
	s_or_b32 exec_lo, exec_lo, s13
	s_delay_alu instid0(VALU_DEP_2) | instskip(NEXT) | instid1(VALU_DEP_2)
	v_lshrrev_b64 v[40:41], 21, v[40:41]
	v_cmp_gt_i32_e32 vcc_lo, 32, v42
	v_min_i32_e32 v2, 31, v42
	v_cmp_eq_u32_e64 s13, 0, v42
	s_delay_alu instid0(VALU_DEP_2) | instskip(SKIP_1) | instid1(VALU_DEP_2)
	v_dual_cndmask_b32 v41, 0, v41 :: v_dual_lshlrev_b32 v2, 2, v2
	v_cndmask_b32_e32 v40, 3, v40, vcc_lo
	v_and_b32_e32 v2, 0xfc, v2
	s_delay_alu instid0(VALU_DEP_2) | instskip(NEXT) | instid1(VALU_DEP_2)
	v_cmp_eq_u64_e32 vcc_lo, 0, v[40:41]
	v_and_or_b32 v2, v40, 3, v2
	s_and_b32 s13, s13, vcc_lo
	s_delay_alu instid0(VALU_DEP_1) | instid1(SALU_CYCLE_1)
	v_cndmask_b32_e64 v2, v2, 0, s13
	s_delay_alu instid0(VALU_DEP_1)
	v_or_b32_e32 v88, v2, v89
.LBB2_790:                              ;   in Loop: Header=BB2_132 Depth=3
	s_or_b32 exec_lo, exec_lo, s76
                                        ; implicit-def: $vgpr89
.LBB2_791:                              ;   in Loop: Header=BB2_132 Depth=3
	s_and_not1_saveexec_b32 s13, s75
; %bb.792:                              ;   in Loop: Header=BB2_132 Depth=3
	v_or_b32_e32 v88, 0x7b, v89
; %bb.793:                              ;   in Loop: Header=BB2_132 Depth=3
	s_or_b32 exec_lo, exec_lo, s13
                                        ; implicit-def: $vgpr40
                                        ; implicit-def: $vgpr41
.LBB2_794:                              ;   in Loop: Header=BB2_132 Depth=3
	s_and_not1_saveexec_b32 s13, s74
	s_cbranch_execz .LBB2_800
; %bb.795:                              ;   in Loop: Header=BB2_132 Depth=3
	s_mov_b32 s74, exec_lo
                                        ; implicit-def: $vgpr88
	v_cmpx_ne_u64_e32 0, v[2:3]
	s_xor_b32 s74, exec_lo, s74
; %bb.796:                              ;   in Loop: Header=BB2_132 Depth=3
	v_or_b32_e32 v88, 0x7f, v41
                                        ; implicit-def: $vgpr40
; %bb.797:                              ;   in Loop: Header=BB2_132 Depth=3
	s_and_not1_saveexec_b32 s74, s74
; %bb.798:                              ;   in Loop: Header=BB2_132 Depth=3
	v_cmp_lt_i32_e32 vcc_lo, -1, v40
	v_cndmask_b32_e32 v88, 0xfc, v120, vcc_lo
; %bb.799:                              ;   in Loop: Header=BB2_132 Depth=3
	s_or_b32 exec_lo, exec_lo, s74
.LBB2_800:                              ;   in Loop: Header=BB2_132 Depth=3
	s_delay_alu instid0(SALU_CYCLE_1) | instskip(SKIP_2) | instid1(VALU_DEP_1)
	s_or_b32 exec_lo, exec_lo, s13
	v_dual_mov_b32 v41, 0 :: v_dual_lshrrev_b32 v2, 16, v9
	s_mov_b32 s13, exec_lo
	v_and_b32_e32 v40, 0xff, v2
	s_delay_alu instid0(VALU_DEP_1)
	v_cmpx_ne_u16_e32 0, v40
	s_cbranch_execz .LBB2_810
; %bb.801:                              ;   in Loop: Header=BB2_132 Depth=3
	v_bfrev_b32_e32 v41, 1
	s_mov_b32 s74, exec_lo
	v_cmpx_ne_u16_e32 0x80, v40
	s_cbranch_execz .LBB2_809
; %bb.802:                              ;   in Loop: Header=BB2_132 Depth=3
	v_and_b32_e32 v18, 0x7c0000, v9
	v_bfe_u32 v40, v9, 16, 2
	s_mov_b32 s75, exec_lo
                                        ; implicit-def: $vgpr41
	s_delay_alu instid0(VALU_DEP_2)
	v_cmpx_ne_u32_e32 0x7c0000, v18
	s_xor_b32 s75, exec_lo, s75
	s_cbranch_execz .LBB2_806
; %bb.803:                              ;   in Loop: Header=BB2_132 Depth=3
	v_bfe_u32 v41, v9, 18, 5
	s_mov_b32 s76, exec_lo
	s_delay_alu instid0(VALU_DEP_1)
	v_cmpx_eq_u32_e32 0, v41
; %bb.804:                              ;   in Loop: Header=BB2_132 Depth=3
	v_clz_i32_u32_e32 v18, v40
	s_delay_alu instid0(VALU_DEP_1) | instskip(NEXT) | instid1(VALU_DEP_1)
	v_min_u32_e32 v18, 32, v18
	v_subrev_nc_u32_e32 v19, 29, v18
	s_delay_alu instid0(VALU_DEP_1) | instskip(NEXT) | instid1(VALU_DEP_1)
	v_lshlrev_b64_e32 v[40:41], v19, v[2:3]
	v_dual_sub_nc_u32 v41, 30, v18 :: v_dual_bitop2_b32 v40, 3, v40 bitop3:0x40
; %bb.805:                              ;   in Loop: Header=BB2_132 Depth=3
	s_or_b32 exec_lo, exec_lo, s76
	v_lshlrev_b32_e32 v2, 24, v2
	s_delay_alu instid0(VALU_DEP_1) | instskip(NEXT) | instid1(VALU_DEP_1)
	v_and_b32_e32 v2, 0x80000000, v2
	v_lshl_add_u32 v2, v41, 23, v2
	s_delay_alu instid0(VALU_DEP_1) | instskip(NEXT) | instid1(VALU_DEP_1)
	v_lshl_or_b32 v2, v40, 21, v2
                                        ; implicit-def: $vgpr40
	v_add_nc_u32_e32 v41, 0x38000000, v2
                                        ; implicit-def: $vgpr2
.LBB2_806:                              ;   in Loop: Header=BB2_132 Depth=3
	s_and_not1_saveexec_b32 s75, s75
; %bb.807:                              ;   in Loop: Header=BB2_132 Depth=3
	v_bfe_i32 v2, v2, 0, 8
	s_delay_alu instid0(VALU_DEP_1) | instskip(SKIP_2) | instid1(VALU_DEP_2)
	v_cmp_lt_i16_e32 vcc_lo, -1, v2
	v_cndmask_b32_e32 v2, 0xff800000, v111, vcc_lo
	v_cmp_eq_u32_e32 vcc_lo, 0, v40
	v_cndmask_b32_e32 v41, 0x7f800001, v2, vcc_lo
; %bb.808:                              ;   in Loop: Header=BB2_132 Depth=3
	s_or_b32 exec_lo, exec_lo, s75
.LBB2_809:                              ;   in Loop: Header=BB2_132 Depth=3
	s_delay_alu instid0(SALU_CYCLE_1)
	s_or_b32 exec_lo, exec_lo, s74
.LBB2_810:                              ;   in Loop: Header=BB2_132 Depth=3
	s_delay_alu instid0(SALU_CYCLE_1) | instskip(NEXT) | instid1(VALU_DEP_1)
	s_or_b32 exec_lo, exec_lo, s13
	v_dual_mul_f32 v40, s73, v41 :: v_dual_mov_b32 v43, v3
	s_delay_alu instid0(VALU_DEP_1) | instskip(SKIP_2) | instid1(VALU_DEP_3)
	v_and_b32_e32 v42, 0x7f800000, v40
	v_and_b32_e32 v2, 0x7fffff, v40
	v_lshrrev_b32_e32 v41, 24, v40
	v_cmp_ne_u64_e32 vcc_lo, 0x7f800000, v[42:43]
                                        ; implicit-def: $vgpr42
	s_and_saveexec_b32 s13, vcc_lo
	s_delay_alu instid0(SALU_CYCLE_1)
	s_xor_b32 s74, exec_lo, s13
	s_cbranch_execz .LBB2_824
; %bb.811:                              ;   in Loop: Header=BB2_132 Depth=3
	v_and_b32_e32 v42, 0x7fffffff, v40
	v_mov_b32_e32 v43, v3
	v_and_b32_e32 v89, 0x80, v41
	s_delay_alu instid0(VALU_DEP_2) | instskip(SKIP_1) | instid1(SALU_CYCLE_1)
	v_cmp_gt_u64_e32 vcc_lo, 0x47600001, v[42:43]
                                        ; implicit-def: $vgpr42
	s_and_saveexec_b32 s13, vcc_lo
	s_xor_b32 s75, exec_lo, s13
	s_cbranch_execz .LBB2_821
; %bb.812:                              ;   in Loop: Header=BB2_132 Depth=3
	v_mov_b32_e32 v42, 0
	s_mov_b32 s76, exec_lo
	v_cmpx_ne_u32_e32 0, v40
	s_cbranch_execz .LBB2_820
; %bb.813:                              ;   in Loop: Header=BB2_132 Depth=3
	v_bfe_u32 v90, v40, 23, 8
	v_or_b32_e32 v19, 0x800000, v2
	s_mov_b32 s77, exec_lo
	s_delay_alu instid0(VALU_DEP_2) | instskip(SKIP_1) | instid1(VALU_DEP_2)
	v_dual_mov_b32 v43, v3 :: v_dual_sub_nc_u32 v18, 0x71, v90
	v_cmp_gt_u32_e32 vcc_lo, 0x72, v90
	v_cndmask_b32_e32 v18, 0, v18, vcc_lo
	v_cmp_eq_u32_e32 vcc_lo, 0, v90
	s_delay_alu instid0(VALU_DEP_2) | instskip(NEXT) | instid1(VALU_DEP_1)
	v_cndmask_b32_e64 v91, v18, 0x70, vcc_lo
	v_dual_cndmask_b32 v42, v19, v2, vcc_lo :: v_dual_add_nc_u32 v18, 21, v91
	s_delay_alu instid0(VALU_DEP_1) | instskip(SKIP_1) | instid1(VALU_DEP_1)
	v_lshlrev_b64_e64 v[40:41], v18, -1
	v_add_nc_u32_e32 v18, 20, v91
	v_lshlrev_b64_e64 v[92:93], v18, 1
	s_delay_alu instid0(VALU_DEP_3) | instskip(NEXT) | instid1(VALU_DEP_4)
	v_bfi_b32 v95, v41, 0, 0
	v_bfi_b32 v94, v40, 0, v42
	v_lshrrev_b64 v[40:41], v91, v[42:43]
	s_delay_alu instid0(VALU_DEP_1) | instskip(NEXT) | instid1(VALU_DEP_3)
	v_mov_b64_e32 v[42:43], v[40:41]
	v_cmpx_eq_u64_e64 v[94:95], v[92:93]
; %bb.814:                              ;   in Loop: Header=BB2_132 Depth=3
	v_bfe_u32 v42, v40, 21, 1
	v_mov_b32_e32 v43, v3
	s_delay_alu instid0(VALU_DEP_1) | instskip(NEXT) | instid1(VALU_DEP_1)
	v_add_nc_u64_e32 v[42:43], v[40:41], v[42:43]
	v_add_nc_u64_e32 v[42:43], -1, v[42:43]
; %bb.815:                              ;   in Loop: Header=BB2_132 Depth=3
	s_or_b32 exec_lo, exec_lo, s77
	v_add_nc_u32_e32 v2, 0xffffff81, v90
	v_lshrrev_b32_e32 v18, 23, v40
	s_mov_b32 s13, exec_lo
	s_delay_alu instid0(VALU_DEP_2) | instskip(NEXT) | instid1(VALU_DEP_1)
	v_cndmask_b32_e64 v2, v2, 0xffffff82, vcc_lo
	v_add3_u32 v43, v91, v2, v18
	v_and_b32_e32 v2, 0x1fffff, v42
                                        ; implicit-def: $vgpr42
	s_delay_alu instid0(VALU_DEP_1) | instskip(NEXT) | instid1(VALU_DEP_1)
	v_dual_add_nc_u32 v90, 14, v43 :: v_dual_add_nc_u32 v2, v2, v40
                                        ; implicit-def: $vgpr40_vgpr41
	v_cmpx_ne_u32_e32 0, v90
	s_xor_b32 s13, exec_lo, s13
; %bb.816:                              ;   in Loop: Header=BB2_132 Depth=3
	s_delay_alu instid0(VALU_DEP_2) | instskip(SKIP_1) | instid1(VALU_DEP_1)
	v_cmp_lt_u64_e32 vcc_lo, 0xffffff, v[2:3]
	v_add_nc_u32_e32 v18, 15, v43
	v_cndmask_b32_e32 v42, v90, v18, vcc_lo
	v_cndmask_b32_e64 v18, 0, 1, vcc_lo
	s_delay_alu instid0(VALU_DEP_1)
	v_lshrrev_b64 v[40:41], v18, v[2:3]
; %bb.817:                              ;   in Loop: Header=BB2_132 Depth=3
	s_and_not1_saveexec_b32 s13, s13
; %bb.818:                              ;   in Loop: Header=BB2_132 Depth=3
	v_mov_b64_e32 v[40:41], v[2:3]
	v_bfe_u32 v42, v2, 23, 1
; %bb.819:                              ;   in Loop: Header=BB2_132 Depth=3
	s_or_b32 exec_lo, exec_lo, s13
	s_delay_alu instid0(VALU_DEP_2) | instskip(NEXT) | instid1(VALU_DEP_2)
	v_lshrrev_b64 v[40:41], 21, v[40:41]
	v_cmp_gt_i32_e32 vcc_lo, 32, v42
	v_min_i32_e32 v2, 31, v42
	v_cmp_eq_u32_e64 s13, 0, v42
	s_delay_alu instid0(VALU_DEP_2) | instskip(SKIP_1) | instid1(VALU_DEP_2)
	v_dual_cndmask_b32 v41, 0, v41 :: v_dual_lshlrev_b32 v2, 2, v2
	v_cndmask_b32_e32 v40, 3, v40, vcc_lo
	v_and_b32_e32 v2, 0xfc, v2
	s_delay_alu instid0(VALU_DEP_2) | instskip(NEXT) | instid1(VALU_DEP_2)
	v_cmp_eq_u64_e32 vcc_lo, 0, v[40:41]
	v_and_or_b32 v2, v40, 3, v2
	s_and_b32 s13, s13, vcc_lo
	s_delay_alu instid0(VALU_DEP_1) | instid1(SALU_CYCLE_1)
	v_cndmask_b32_e64 v2, v2, 0, s13
	s_delay_alu instid0(VALU_DEP_1)
	v_or_b32_e32 v42, v2, v89
.LBB2_820:                              ;   in Loop: Header=BB2_132 Depth=3
	s_or_b32 exec_lo, exec_lo, s76
                                        ; implicit-def: $vgpr89
.LBB2_821:                              ;   in Loop: Header=BB2_132 Depth=3
	s_and_not1_saveexec_b32 s13, s75
; %bb.822:                              ;   in Loop: Header=BB2_132 Depth=3
	v_or_b32_e32 v42, 0x7b, v89
; %bb.823:                              ;   in Loop: Header=BB2_132 Depth=3
	s_or_b32 exec_lo, exec_lo, s13
                                        ; implicit-def: $vgpr40
                                        ; implicit-def: $vgpr41
.LBB2_824:                              ;   in Loop: Header=BB2_132 Depth=3
	s_and_not1_saveexec_b32 s13, s74
	s_cbranch_execz .LBB2_830
; %bb.825:                              ;   in Loop: Header=BB2_132 Depth=3
	s_mov_b32 s74, exec_lo
                                        ; implicit-def: $vgpr42
	v_cmpx_ne_u64_e32 0, v[2:3]
	s_xor_b32 s74, exec_lo, s74
; %bb.826:                              ;   in Loop: Header=BB2_132 Depth=3
	v_or_b32_e32 v42, 0x7f, v41
                                        ; implicit-def: $vgpr40
; %bb.827:                              ;   in Loop: Header=BB2_132 Depth=3
	s_and_not1_saveexec_b32 s74, s74
; %bb.828:                              ;   in Loop: Header=BB2_132 Depth=3
	v_cmp_lt_i32_e32 vcc_lo, -1, v40
	v_cndmask_b32_e32 v42, 0xfc, v120, vcc_lo
; %bb.829:                              ;   in Loop: Header=BB2_132 Depth=3
	s_or_b32 exec_lo, exec_lo, s74
.LBB2_830:                              ;   in Loop: Header=BB2_132 Depth=3
	s_delay_alu instid0(SALU_CYCLE_1)
	s_or_b32 exec_lo, exec_lo, s13
	v_mov_b32_e32 v40, 0
	s_mov_b32 s13, exec_lo
	v_cmpx_lt_u64_e64 s[22:23], v[8:9]
	s_cbranch_execz .LBB2_840
; %bb.831:                              ;   in Loop: Header=BB2_132 Depth=3
	v_lshrrev_b32_e32 v2, 24, v9
	v_bfrev_b32_e32 v40, 1
	s_mov_b32 s74, exec_lo
	s_delay_alu instid0(VALU_DEP_2)
	v_cmpx_ne_u32_e32 0x80, v2
	s_cbranch_execz .LBB2_839
; %bb.832:                              ;   in Loop: Header=BB2_132 Depth=3
	v_and_b32_e32 v18, 0x7c000000, v9
	v_bfe_u32 v41, v9, 24, 2
	s_mov_b32 s75, exec_lo
                                        ; implicit-def: $vgpr40
	s_delay_alu instid0(VALU_DEP_2)
	v_cmpx_ne_u32_e32 0x7c000000, v18
	s_xor_b32 s75, exec_lo, s75
	s_cbranch_execz .LBB2_836
; %bb.833:                              ;   in Loop: Header=BB2_132 Depth=3
	v_bfe_u32 v40, v9, 26, 5
	s_mov_b32 s76, exec_lo
	s_delay_alu instid0(VALU_DEP_1)
	v_cmpx_eq_u32_e32 0, v40
; %bb.834:                              ;   in Loop: Header=BB2_132 Depth=3
	v_clz_i32_u32_e32 v18, v41
	s_delay_alu instid0(VALU_DEP_1) | instskip(NEXT) | instid1(VALU_DEP_1)
	v_min_u32_e32 v18, 32, v18
	v_subrev_nc_u32_e32 v19, 29, v18
	v_sub_nc_u32_e32 v40, 30, v18
	s_delay_alu instid0(VALU_DEP_2) | instskip(NEXT) | instid1(VALU_DEP_1)
	v_lshlrev_b64_e32 v[90:91], v19, v[2:3]
	v_and_b32_e32 v41, 3, v90
; %bb.835:                              ;   in Loop: Header=BB2_132 Depth=3
	s_or_b32 exec_lo, exec_lo, s76
	v_and_b32_e32 v2, 0x80000000, v9
	s_delay_alu instid0(VALU_DEP_1) | instskip(NEXT) | instid1(VALU_DEP_1)
	v_lshl_add_u32 v2, v40, 23, v2
	v_lshl_or_b32 v2, v41, 21, v2
                                        ; implicit-def: $vgpr41
	s_delay_alu instid0(VALU_DEP_1)
	v_add_nc_u32_e32 v40, 0x38000000, v2
.LBB2_836:                              ;   in Loop: Header=BB2_132 Depth=3
	s_and_not1_saveexec_b32 s75, s75
; %bb.837:                              ;   in Loop: Header=BB2_132 Depth=3
	v_cmp_lt_i64_e32 vcc_lo, -1, v[8:9]
	v_cndmask_b32_e32 v2, 0xff800000, v111, vcc_lo
	v_cmp_eq_u32_e32 vcc_lo, 0, v41
	s_delay_alu instid0(VALU_DEP_2)
	v_cndmask_b32_e32 v40, 0x7f800001, v2, vcc_lo
; %bb.838:                              ;   in Loop: Header=BB2_132 Depth=3
	s_or_b32 exec_lo, exec_lo, s75
.LBB2_839:                              ;   in Loop: Header=BB2_132 Depth=3
	s_delay_alu instid0(SALU_CYCLE_1)
	s_or_b32 exec_lo, exec_lo, s74
.LBB2_840:                              ;   in Loop: Header=BB2_132 Depth=3
	s_delay_alu instid0(SALU_CYCLE_1) | instskip(NEXT) | instid1(VALU_DEP_1)
	s_or_b32 exec_lo, exec_lo, s13
	v_dual_mul_f32 v8, s73, v40 :: v_dual_mov_b32 v41, v3
                                        ; implicit-def: $vgpr43
	s_mov_b32 s13, exec_lo
	s_delay_alu instid0(VALU_DEP_1) | instskip(SKIP_2) | instid1(VALU_DEP_3)
	v_and_b32_e32 v40, 0x7f800000, v8
	v_and_b32_e32 v2, 0x7fffff, v8
	v_lshrrev_b32_e32 v9, 24, v8
	v_cmpx_ne_u64_e32 0x7f800000, v[40:41]
	s_xor_b32 s74, exec_lo, s13
	s_cbranch_execz .LBB2_854
; %bb.841:                              ;   in Loop: Header=BB2_132 Depth=3
	v_and_b32_e32 v40, 0x7fffffff, v8
	v_mov_b32_e32 v41, v3
	v_and_b32_e32 v89, 0x80, v9
                                        ; implicit-def: $vgpr43
	s_mov_b32 s13, exec_lo
	s_delay_alu instid0(VALU_DEP_2)
	v_cmpx_gt_u64_e32 0x47600001, v[40:41]
	s_xor_b32 s75, exec_lo, s13
	s_cbranch_execz .LBB2_851
; %bb.842:                              ;   in Loop: Header=BB2_132 Depth=3
	v_mov_b32_e32 v43, 0
	s_mov_b32 s76, exec_lo
	v_cmpx_ne_u32_e32 0, v8
	s_cbranch_execz .LBB2_850
; %bb.843:                              ;   in Loop: Header=BB2_132 Depth=3
	v_bfe_u32 v43, v8, 23, 8
	v_or_b32_e32 v18, 0x800000, v2
	s_mov_b32 s77, exec_lo
	s_delay_alu instid0(VALU_DEP_2) | instskip(SKIP_1) | instid1(VALU_DEP_2)
	v_dual_mov_b32 v41, v3 :: v_dual_sub_nc_u32 v8, 0x71, v43
	v_cmp_gt_u32_e32 vcc_lo, 0x72, v43
	v_cndmask_b32_e32 v8, 0, v8, vcc_lo
	v_cmp_eq_u32_e32 vcc_lo, 0, v43
	s_delay_alu instid0(VALU_DEP_2) | instskip(SKIP_1) | instid1(VALU_DEP_2)
	v_cndmask_b32_e64 v90, v8, 0x70, vcc_lo
	v_cndmask_b32_e32 v40, v18, v2, vcc_lo
	v_dual_add_nc_u32 v8, 21, v90 :: v_dual_add_nc_u32 v19, 20, v90
	s_delay_alu instid0(VALU_DEP_1) | instskip(NEXT) | instid1(VALU_DEP_2)
	v_lshlrev_b64_e64 v[8:9], v8, -1
	v_lshlrev_b64_e64 v[92:93], v19, 1
	s_delay_alu instid0(VALU_DEP_2) | instskip(NEXT) | instid1(VALU_DEP_3)
	v_bfi_b32 v95, v9, 0, 0
	v_bfi_b32 v94, v8, 0, v40
	v_lshrrev_b64 v[8:9], v90, v[40:41]
	s_delay_alu instid0(VALU_DEP_1) | instskip(NEXT) | instid1(VALU_DEP_3)
	v_mov_b64_e32 v[40:41], v[8:9]
	v_cmpx_eq_u64_e64 v[94:95], v[92:93]
; %bb.844:                              ;   in Loop: Header=BB2_132 Depth=3
	v_bfe_u32 v40, v8, 21, 1
	v_mov_b32_e32 v41, v3
	s_delay_alu instid0(VALU_DEP_1) | instskip(NEXT) | instid1(VALU_DEP_1)
	v_add_nc_u64_e32 v[40:41], v[8:9], v[40:41]
	v_add_nc_u64_e32 v[40:41], -1, v[40:41]
; %bb.845:                              ;   in Loop: Header=BB2_132 Depth=3
	s_or_b32 exec_lo, exec_lo, s77
	v_add_nc_u32_e32 v2, 0xffffff81, v43
	v_lshrrev_b32_e32 v9, 23, v8
	s_mov_b32 s13, exec_lo
	s_delay_alu instid0(VALU_DEP_2) | instskip(NEXT) | instid1(VALU_DEP_1)
	v_cndmask_b32_e64 v2, v2, 0xffffff82, vcc_lo
	v_add3_u32 v41, v90, v2, v9
	v_and_b32_e32 v2, 0x1fffff, v40
                                        ; implicit-def: $vgpr40
	s_delay_alu instid0(VALU_DEP_1) | instskip(NEXT) | instid1(VALU_DEP_1)
	v_dual_add_nc_u32 v43, 14, v41 :: v_dual_add_nc_u32 v2, v2, v8
                                        ; implicit-def: $vgpr8_vgpr9
	v_cmpx_ne_u32_e32 0, v43
	s_xor_b32 s13, exec_lo, s13
; %bb.846:                              ;   in Loop: Header=BB2_132 Depth=3
	s_delay_alu instid0(VALU_DEP_2) | instskip(SKIP_1) | instid1(VALU_DEP_1)
	v_cmp_lt_u64_e32 vcc_lo, 0xffffff, v[2:3]
	v_add_nc_u32_e32 v8, 15, v41
	v_cndmask_b32_e32 v40, v43, v8, vcc_lo
	v_cndmask_b32_e64 v8, 0, 1, vcc_lo
	s_delay_alu instid0(VALU_DEP_1)
	v_lshrrev_b64 v[8:9], v8, v[2:3]
; %bb.847:                              ;   in Loop: Header=BB2_132 Depth=3
	s_and_not1_saveexec_b32 s13, s13
; %bb.848:                              ;   in Loop: Header=BB2_132 Depth=3
	v_mov_b64_e32 v[8:9], v[2:3]
	v_bfe_u32 v40, v2, 23, 1
; %bb.849:                              ;   in Loop: Header=BB2_132 Depth=3
	s_or_b32 exec_lo, exec_lo, s13
	s_delay_alu instid0(VALU_DEP_2) | instskip(NEXT) | instid1(VALU_DEP_2)
	v_lshrrev_b64 v[8:9], 21, v[8:9]
	v_cmp_gt_i32_e32 vcc_lo, 32, v40
	v_min_i32_e32 v2, 31, v40
	v_cmp_eq_u32_e64 s13, 0, v40
	s_delay_alu instid0(VALU_DEP_2) | instskip(SKIP_1) | instid1(VALU_DEP_2)
	v_dual_cndmask_b32 v9, 0, v9 :: v_dual_lshlrev_b32 v2, 2, v2
	v_cndmask_b32_e32 v8, 3, v8, vcc_lo
	v_and_b32_e32 v2, 0xfc, v2
	s_delay_alu instid0(VALU_DEP_2) | instskip(NEXT) | instid1(VALU_DEP_2)
	v_cmp_eq_u64_e32 vcc_lo, 0, v[8:9]
	v_and_or_b32 v2, v8, 3, v2
	s_and_b32 s13, s13, vcc_lo
	s_delay_alu instid0(VALU_DEP_1) | instid1(SALU_CYCLE_1)
	v_cndmask_b32_e64 v2, v2, 0, s13
	s_delay_alu instid0(VALU_DEP_1)
	v_or_b32_e32 v43, v2, v89
.LBB2_850:                              ;   in Loop: Header=BB2_132 Depth=3
	s_or_b32 exec_lo, exec_lo, s76
                                        ; implicit-def: $vgpr89
.LBB2_851:                              ;   in Loop: Header=BB2_132 Depth=3
	s_and_not1_saveexec_b32 s13, s75
; %bb.852:                              ;   in Loop: Header=BB2_132 Depth=3
	v_or_b32_e32 v43, 0x7b, v89
; %bb.853:                              ;   in Loop: Header=BB2_132 Depth=3
	s_or_b32 exec_lo, exec_lo, s13
                                        ; implicit-def: $vgpr8
                                        ; implicit-def: $vgpr9
.LBB2_854:                              ;   in Loop: Header=BB2_132 Depth=3
	s_and_not1_saveexec_b32 s13, s74
	s_cbranch_execz .LBB2_860
; %bb.855:                              ;   in Loop: Header=BB2_132 Depth=3
	s_mov_b32 s74, exec_lo
                                        ; implicit-def: $vgpr43
	v_cmpx_ne_u64_e32 0, v[2:3]
	s_xor_b32 s74, exec_lo, s74
; %bb.856:                              ;   in Loop: Header=BB2_132 Depth=3
	v_or_b32_e32 v43, 0x7f, v9
                                        ; implicit-def: $vgpr8
; %bb.857:                              ;   in Loop: Header=BB2_132 Depth=3
	s_and_not1_saveexec_b32 s74, s74
; %bb.858:                              ;   in Loop: Header=BB2_132 Depth=3
	v_cmp_lt_i32_e32 vcc_lo, -1, v8
	v_cndmask_b32_e32 v43, 0xfc, v120, vcc_lo
; %bb.859:                              ;   in Loop: Header=BB2_132 Depth=3
	s_or_b32 exec_lo, exec_lo, s74
.LBB2_860:                              ;   in Loop: Header=BB2_132 Depth=3
	s_delay_alu instid0(SALU_CYCLE_1) | instskip(SKIP_1) | instid1(VALU_DEP_1)
	s_or_b32 exec_lo, exec_lo, s13
	v_and_b32_e32 v2, 0xff, v10
	v_cmp_ne_u16_e32 vcc_lo, 0, v2
	v_mov_b32_e32 v2, 0
	s_and_saveexec_b32 s13, vcc_lo
	s_cbranch_execz .LBB2_870
; %bb.861:                              ;   in Loop: Header=BB2_132 Depth=3
	v_bfe_i32 v9, v10, 0, 8
	v_bfrev_b32_e32 v2, 1
	s_mov_b32 s74, exec_lo
	s_delay_alu instid0(VALU_DEP_2)
	v_cmpx_ne_u16_e32 0xff80, v9
	s_cbranch_execz .LBB2_869
; %bb.862:                              ;   in Loop: Header=BB2_132 Depth=3
	v_and_b32_e32 v2, 0x7c, v10
	v_and_b32_e32 v8, 3, v10
	s_delay_alu instid0(VALU_DEP_2) | instskip(SKIP_1) | instid1(SALU_CYCLE_1)
	v_cmp_ne_u32_e32 vcc_lo, 0x7c, v2
                                        ; implicit-def: $vgpr2
	s_and_saveexec_b32 s75, vcc_lo
	s_xor_b32 s75, exec_lo, s75
	s_cbranch_execz .LBB2_866
; %bb.863:                              ;   in Loop: Header=BB2_132 Depth=3
	v_bfe_u32 v2, v10, 2, 5
	s_mov_b32 s76, exec_lo
	s_delay_alu instid0(VALU_DEP_1)
	v_cmpx_eq_u32_e32 0, v2
; %bb.864:                              ;   in Loop: Header=BB2_132 Depth=3
	v_clz_i32_u32_e32 v2, v8
	s_delay_alu instid0(VALU_DEP_1) | instskip(NEXT) | instid1(VALU_DEP_1)
	v_min_u32_e32 v2, 32, v2
	v_subrev_nc_u32_e32 v8, 29, v2
	s_delay_alu instid0(VALU_DEP_1) | instskip(NEXT) | instid1(VALU_DEP_1)
	v_lshlrev_b64_e32 v[8:9], v8, v[10:11]
	v_dual_sub_nc_u32 v2, 30, v2 :: v_dual_bitop2_b32 v8, 3, v8 bitop3:0x40
; %bb.865:                              ;   in Loop: Header=BB2_132 Depth=3
	s_or_b32 exec_lo, exec_lo, s76
	v_lshlrev_b32_e32 v9, 24, v10
	s_delay_alu instid0(VALU_DEP_1) | instskip(NEXT) | instid1(VALU_DEP_1)
	v_and_b32_e32 v9, 0x80000000, v9
	v_lshl_add_u32 v2, v2, 23, v9
                                        ; implicit-def: $vgpr9
	s_delay_alu instid0(VALU_DEP_1) | instskip(NEXT) | instid1(VALU_DEP_1)
	v_lshl_or_b32 v2, v8, 21, v2
                                        ; implicit-def: $vgpr8
	v_add_nc_u32_e32 v2, 0x38000000, v2
.LBB2_866:                              ;   in Loop: Header=BB2_132 Depth=3
	s_and_not1_saveexec_b32 s75, s75
; %bb.867:                              ;   in Loop: Header=BB2_132 Depth=3
	v_cmp_lt_i16_e32 vcc_lo, -1, v9
	v_cndmask_b32_e32 v2, 0xff800000, v111, vcc_lo
	v_cmp_eq_u32_e32 vcc_lo, 0, v8
	s_delay_alu instid0(VALU_DEP_2)
	v_cndmask_b32_e32 v2, 0x7f800001, v2, vcc_lo
; %bb.868:                              ;   in Loop: Header=BB2_132 Depth=3
	s_or_b32 exec_lo, exec_lo, s75
.LBB2_869:                              ;   in Loop: Header=BB2_132 Depth=3
	s_delay_alu instid0(SALU_CYCLE_1)
	s_or_b32 exec_lo, exec_lo, s74
.LBB2_870:                              ;   in Loop: Header=BB2_132 Depth=3
	s_delay_alu instid0(SALU_CYCLE_1) | instskip(NEXT) | instid1(VALU_DEP_1)
	s_or_b32 exec_lo, exec_lo, s13
	v_dual_mul_f32 v8, s73, v2 :: v_dual_mov_b32 v41, v3
                                        ; implicit-def: $vgpr89
	s_mov_b32 s13, exec_lo
	s_delay_alu instid0(VALU_DEP_1) | instskip(SKIP_2) | instid1(VALU_DEP_3)
	v_and_b32_e32 v40, 0x7f800000, v8
	v_and_b32_e32 v2, 0x7fffff, v8
	v_lshrrev_b32_e32 v9, 24, v8
	v_cmpx_ne_u64_e32 0x7f800000, v[40:41]
	s_xor_b32 s74, exec_lo, s13
	s_cbranch_execz .LBB2_884
; %bb.871:                              ;   in Loop: Header=BB2_132 Depth=3
	v_and_b32_e32 v40, 0x7fffffff, v8
	v_mov_b32_e32 v41, v3
	v_and_b32_e32 v90, 0x80, v9
                                        ; implicit-def: $vgpr89
	s_mov_b32 s13, exec_lo
	s_delay_alu instid0(VALU_DEP_2)
	v_cmpx_gt_u64_e32 0x47600001, v[40:41]
	s_xor_b32 s75, exec_lo, s13
	s_cbranch_execz .LBB2_881
; %bb.872:                              ;   in Loop: Header=BB2_132 Depth=3
	v_mov_b32_e32 v89, 0
	s_mov_b32 s76, exec_lo
	v_cmpx_ne_u32_e32 0, v8
	s_cbranch_execz .LBB2_880
; %bb.873:                              ;   in Loop: Header=BB2_132 Depth=3
	v_bfe_u32 v89, v8, 23, 8
	v_or_b32_e32 v18, 0x800000, v2
	s_mov_b32 s77, exec_lo
	s_delay_alu instid0(VALU_DEP_2) | instskip(SKIP_1) | instid1(VALU_DEP_2)
	v_dual_mov_b32 v41, v3 :: v_dual_sub_nc_u32 v8, 0x71, v89
	v_cmp_gt_u32_e32 vcc_lo, 0x72, v89
	v_cndmask_b32_e32 v8, 0, v8, vcc_lo
	v_cmp_eq_u32_e32 vcc_lo, 0, v89
	s_delay_alu instid0(VALU_DEP_2) | instskip(NEXT) | instid1(VALU_DEP_1)
	v_cndmask_b32_e64 v91, v8, 0x70, vcc_lo
	v_dual_cndmask_b32 v40, v18, v2, vcc_lo :: v_dual_add_nc_u32 v8, 21, v91
	v_add_nc_u32_e32 v19, 20, v91
	s_delay_alu instid0(VALU_DEP_2) | instskip(NEXT) | instid1(VALU_DEP_2)
	v_lshlrev_b64_e64 v[8:9], v8, -1
	v_lshlrev_b64_e64 v[92:93], v19, 1
	s_delay_alu instid0(VALU_DEP_2) | instskip(NEXT) | instid1(VALU_DEP_3)
	v_bfi_b32 v95, v9, 0, 0
	v_bfi_b32 v94, v8, 0, v40
	v_lshrrev_b64 v[8:9], v91, v[40:41]
	s_delay_alu instid0(VALU_DEP_1) | instskip(NEXT) | instid1(VALU_DEP_3)
	v_mov_b64_e32 v[40:41], v[8:9]
	v_cmpx_eq_u64_e64 v[94:95], v[92:93]
; %bb.874:                              ;   in Loop: Header=BB2_132 Depth=3
	v_bfe_u32 v40, v8, 21, 1
	v_mov_b32_e32 v41, v3
	s_delay_alu instid0(VALU_DEP_1) | instskip(NEXT) | instid1(VALU_DEP_1)
	v_add_nc_u64_e32 v[40:41], v[8:9], v[40:41]
	v_add_nc_u64_e32 v[40:41], -1, v[40:41]
; %bb.875:                              ;   in Loop: Header=BB2_132 Depth=3
	s_or_b32 exec_lo, exec_lo, s77
	v_add_nc_u32_e32 v2, 0xffffff81, v89
	v_lshrrev_b32_e32 v9, 23, v8
	s_mov_b32 s13, exec_lo
	s_delay_alu instid0(VALU_DEP_2) | instskip(NEXT) | instid1(VALU_DEP_1)
	v_cndmask_b32_e64 v2, v2, 0xffffff82, vcc_lo
	v_add3_u32 v41, v91, v2, v9
	v_and_b32_e32 v2, 0x1fffff, v40
                                        ; implicit-def: $vgpr40
	s_delay_alu instid0(VALU_DEP_1) | instskip(NEXT) | instid1(VALU_DEP_1)
	v_dual_add_nc_u32 v89, 14, v41 :: v_dual_add_nc_u32 v2, v2, v8
                                        ; implicit-def: $vgpr8_vgpr9
	v_cmpx_ne_u32_e32 0, v89
	s_xor_b32 s13, exec_lo, s13
; %bb.876:                              ;   in Loop: Header=BB2_132 Depth=3
	s_delay_alu instid0(VALU_DEP_2) | instskip(SKIP_1) | instid1(VALU_DEP_1)
	v_cmp_lt_u64_e32 vcc_lo, 0xffffff, v[2:3]
	v_add_nc_u32_e32 v8, 15, v41
	v_cndmask_b32_e32 v40, v89, v8, vcc_lo
	v_cndmask_b32_e64 v8, 0, 1, vcc_lo
	s_delay_alu instid0(VALU_DEP_1)
	v_lshrrev_b64 v[8:9], v8, v[2:3]
; %bb.877:                              ;   in Loop: Header=BB2_132 Depth=3
	s_and_not1_saveexec_b32 s13, s13
; %bb.878:                              ;   in Loop: Header=BB2_132 Depth=3
	v_mov_b64_e32 v[8:9], v[2:3]
	v_bfe_u32 v40, v2, 23, 1
; %bb.879:                              ;   in Loop: Header=BB2_132 Depth=3
	s_or_b32 exec_lo, exec_lo, s13
	s_delay_alu instid0(VALU_DEP_2) | instskip(NEXT) | instid1(VALU_DEP_2)
	v_lshrrev_b64 v[8:9], 21, v[8:9]
	v_cmp_gt_i32_e32 vcc_lo, 32, v40
	v_min_i32_e32 v2, 31, v40
	v_cmp_eq_u32_e64 s13, 0, v40
	s_delay_alu instid0(VALU_DEP_2) | instskip(SKIP_1) | instid1(VALU_DEP_2)
	v_dual_cndmask_b32 v9, 0, v9 :: v_dual_lshlrev_b32 v2, 2, v2
	v_cndmask_b32_e32 v8, 3, v8, vcc_lo
	v_and_b32_e32 v2, 0xfc, v2
	s_delay_alu instid0(VALU_DEP_2) | instskip(NEXT) | instid1(VALU_DEP_2)
	v_cmp_eq_u64_e32 vcc_lo, 0, v[8:9]
	v_and_or_b32 v2, v8, 3, v2
	s_and_b32 s13, s13, vcc_lo
	s_delay_alu instid0(VALU_DEP_1) | instid1(SALU_CYCLE_1)
	v_cndmask_b32_e64 v2, v2, 0, s13
	s_delay_alu instid0(VALU_DEP_1)
	v_or_b32_e32 v89, v2, v90
.LBB2_880:                              ;   in Loop: Header=BB2_132 Depth=3
	s_or_b32 exec_lo, exec_lo, s76
                                        ; implicit-def: $vgpr90
.LBB2_881:                              ;   in Loop: Header=BB2_132 Depth=3
	s_and_not1_saveexec_b32 s13, s75
; %bb.882:                              ;   in Loop: Header=BB2_132 Depth=3
	v_or_b32_e32 v89, 0x7b, v90
; %bb.883:                              ;   in Loop: Header=BB2_132 Depth=3
	s_or_b32 exec_lo, exec_lo, s13
                                        ; implicit-def: $vgpr8
                                        ; implicit-def: $vgpr9
.LBB2_884:                              ;   in Loop: Header=BB2_132 Depth=3
	s_and_not1_saveexec_b32 s13, s74
	s_cbranch_execz .LBB2_890
; %bb.885:                              ;   in Loop: Header=BB2_132 Depth=3
	s_mov_b32 s74, exec_lo
                                        ; implicit-def: $vgpr89
	v_cmpx_ne_u64_e32 0, v[2:3]
	s_xor_b32 s74, exec_lo, s74
; %bb.886:                              ;   in Loop: Header=BB2_132 Depth=3
	v_or_b32_e32 v89, 0x7f, v9
                                        ; implicit-def: $vgpr8
; %bb.887:                              ;   in Loop: Header=BB2_132 Depth=3
	s_and_not1_saveexec_b32 s74, s74
; %bb.888:                              ;   in Loop: Header=BB2_132 Depth=3
	v_cmp_lt_i32_e32 vcc_lo, -1, v8
	v_cndmask_b32_e32 v89, 0xfc, v120, vcc_lo
; %bb.889:                              ;   in Loop: Header=BB2_132 Depth=3
	s_or_b32 exec_lo, exec_lo, s74
.LBB2_890:                              ;   in Loop: Header=BB2_132 Depth=3
	s_delay_alu instid0(SALU_CYCLE_1) | instskip(SKIP_3) | instid1(VALU_DEP_2)
	s_or_b32 exec_lo, exec_lo, s13
	v_lshrrev_b16 v8, 8, v10
	v_mov_b32_e32 v9, 0
	s_mov_b32 s13, exec_lo
	v_cmpx_ne_u16_e32 0, v8
	s_cbranch_execz .LBB2_900
; %bb.891:                              ;   in Loop: Header=BB2_132 Depth=3
	v_bfrev_b32_e32 v9, 1
	s_mov_b32 s74, exec_lo
	v_cmpx_ne_u16_e32 0x80, v8
	s_cbranch_execz .LBB2_899
; %bb.892:                              ;   in Loop: Header=BB2_132 Depth=3
	v_and_b32_e32 v40, 0xffff, v8
	s_delay_alu instid0(VALU_DEP_1) | instskip(SKIP_1) | instid1(VALU_DEP_2)
	v_and_b32_e32 v9, 0x7c, v40
	v_and_b32_e32 v2, 3, v40
	v_cmp_ne_u32_e32 vcc_lo, 0x7c, v9
                                        ; implicit-def: $vgpr9
	s_and_saveexec_b32 s75, vcc_lo
	s_delay_alu instid0(SALU_CYCLE_1)
	s_xor_b32 s75, exec_lo, s75
	s_cbranch_execz .LBB2_896
; %bb.893:                              ;   in Loop: Header=BB2_132 Depth=3
	v_bfe_u32 v9, v40, 2, 5
	s_mov_b32 s76, exec_lo
	s_delay_alu instid0(VALU_DEP_1)
	v_cmpx_eq_u32_e32 0, v9
; %bb.894:                              ;   in Loop: Header=BB2_132 Depth=3
	v_clz_i32_u32_e32 v2, v2
	v_mov_b32_e32 v9, v3
	s_delay_alu instid0(VALU_DEP_2) | instskip(NEXT) | instid1(VALU_DEP_1)
	v_min_u32_e32 v2, 32, v2
	v_subrev_nc_u32_e32 v18, 29, v2
	s_delay_alu instid0(VALU_DEP_1) | instskip(NEXT) | instid1(VALU_DEP_1)
	v_lshlrev_b64_e32 v[8:9], v18, v[8:9]
	v_dual_sub_nc_u32 v9, 30, v2 :: v_dual_bitop2_b32 v2, 3, v8 bitop3:0x40
; %bb.895:                              ;   in Loop: Header=BB2_132 Depth=3
	s_or_b32 exec_lo, exec_lo, s76
	v_lshlrev_b32_e32 v8, 16, v10
	s_delay_alu instid0(VALU_DEP_1) | instskip(NEXT) | instid1(VALU_DEP_1)
	v_and_b32_e32 v8, 0x80000000, v8
	v_lshl_add_u32 v8, v9, 23, v8
	s_delay_alu instid0(VALU_DEP_1) | instskip(NEXT) | instid1(VALU_DEP_1)
	v_lshl_or_b32 v2, v2, 21, v8
	v_add_nc_u32_e32 v9, 0x38000000, v2
                                        ; implicit-def: $vgpr2
.LBB2_896:                              ;   in Loop: Header=BB2_132 Depth=3
	s_and_not1_saveexec_b32 s75, s75
; %bb.897:                              ;   in Loop: Header=BB2_132 Depth=3
	v_cmp_lt_i16_e32 vcc_lo, -1, v10
	v_cndmask_b32_e32 v8, 0xff800000, v111, vcc_lo
	v_cmp_eq_u32_e32 vcc_lo, 0, v2
	s_delay_alu instid0(VALU_DEP_2)
	v_cndmask_b32_e32 v9, 0x7f800001, v8, vcc_lo
; %bb.898:                              ;   in Loop: Header=BB2_132 Depth=3
	s_or_b32 exec_lo, exec_lo, s75
.LBB2_899:                              ;   in Loop: Header=BB2_132 Depth=3
	s_delay_alu instid0(SALU_CYCLE_1)
	s_or_b32 exec_lo, exec_lo, s74
.LBB2_900:                              ;   in Loop: Header=BB2_132 Depth=3
	s_delay_alu instid0(SALU_CYCLE_1) | instskip(NEXT) | instid1(VALU_DEP_1)
	s_or_b32 exec_lo, exec_lo, s13
	v_dual_mul_f32 v8, s73, v9 :: v_dual_mov_b32 v41, v3
                                        ; implicit-def: $vgpr90
	s_mov_b32 s13, exec_lo
	s_delay_alu instid0(VALU_DEP_1) | instskip(SKIP_2) | instid1(VALU_DEP_3)
	v_and_b32_e32 v40, 0x7f800000, v8
	v_and_b32_e32 v2, 0x7fffff, v8
	v_lshrrev_b32_e32 v9, 24, v8
	v_cmpx_ne_u64_e32 0x7f800000, v[40:41]
	s_xor_b32 s74, exec_lo, s13
	s_cbranch_execz .LBB2_914
; %bb.901:                              ;   in Loop: Header=BB2_132 Depth=3
	v_and_b32_e32 v40, 0x7fffffff, v8
	v_mov_b32_e32 v41, v3
	v_and_b32_e32 v91, 0x80, v9
                                        ; implicit-def: $vgpr90
	s_mov_b32 s13, exec_lo
	s_delay_alu instid0(VALU_DEP_2)
	v_cmpx_gt_u64_e32 0x47600001, v[40:41]
	s_xor_b32 s75, exec_lo, s13
	s_cbranch_execz .LBB2_911
; %bb.902:                              ;   in Loop: Header=BB2_132 Depth=3
	v_mov_b32_e32 v90, 0
	s_mov_b32 s76, exec_lo
	v_cmpx_ne_u32_e32 0, v8
	s_cbranch_execz .LBB2_910
; %bb.903:                              ;   in Loop: Header=BB2_132 Depth=3
	v_bfe_u32 v90, v8, 23, 8
	v_or_b32_e32 v18, 0x800000, v2
	s_mov_b32 s77, exec_lo
	s_delay_alu instid0(VALU_DEP_2) | instskip(SKIP_1) | instid1(VALU_DEP_2)
	v_dual_mov_b32 v41, v3 :: v_dual_sub_nc_u32 v8, 0x71, v90
	v_cmp_gt_u32_e32 vcc_lo, 0x72, v90
	v_cndmask_b32_e32 v8, 0, v8, vcc_lo
	v_cmp_eq_u32_e32 vcc_lo, 0, v90
	v_cndmask_b32_e32 v40, v18, v2, vcc_lo
	s_delay_alu instid0(VALU_DEP_3) | instskip(NEXT) | instid1(VALU_DEP_1)
	v_cndmask_b32_e64 v92, v8, 0x70, vcc_lo
	v_dual_add_nc_u32 v8, 21, v92 :: v_dual_add_nc_u32 v19, 20, v92
	s_delay_alu instid0(VALU_DEP_1) | instskip(NEXT) | instid1(VALU_DEP_2)
	v_lshlrev_b64_e64 v[8:9], v8, -1
	v_lshlrev_b64_e64 v[94:95], v19, 1
	s_delay_alu instid0(VALU_DEP_2) | instskip(NEXT) | instid1(VALU_DEP_3)
	v_bfi_b32 v105, v9, 0, 0
	v_bfi_b32 v104, v8, 0, v40
	v_lshrrev_b64 v[8:9], v92, v[40:41]
	s_delay_alu instid0(VALU_DEP_1) | instskip(NEXT) | instid1(VALU_DEP_3)
	v_mov_b64_e32 v[40:41], v[8:9]
	v_cmpx_eq_u64_e64 v[104:105], v[94:95]
; %bb.904:                              ;   in Loop: Header=BB2_132 Depth=3
	v_bfe_u32 v40, v8, 21, 1
	v_mov_b32_e32 v41, v3
	s_delay_alu instid0(VALU_DEP_1) | instskip(NEXT) | instid1(VALU_DEP_1)
	v_add_nc_u64_e32 v[40:41], v[8:9], v[40:41]
	v_add_nc_u64_e32 v[40:41], -1, v[40:41]
; %bb.905:                              ;   in Loop: Header=BB2_132 Depth=3
	s_or_b32 exec_lo, exec_lo, s77
	v_add_nc_u32_e32 v2, 0xffffff81, v90
	v_lshrrev_b32_e32 v9, 23, v8
	s_mov_b32 s13, exec_lo
	s_delay_alu instid0(VALU_DEP_2) | instskip(NEXT) | instid1(VALU_DEP_1)
	v_cndmask_b32_e64 v2, v2, 0xffffff82, vcc_lo
	v_add3_u32 v41, v92, v2, v9
	v_and_b32_e32 v2, 0x1fffff, v40
                                        ; implicit-def: $vgpr40
	s_delay_alu instid0(VALU_DEP_1) | instskip(NEXT) | instid1(VALU_DEP_1)
	v_dual_add_nc_u32 v90, 14, v41 :: v_dual_add_nc_u32 v2, v2, v8
                                        ; implicit-def: $vgpr8_vgpr9
	v_cmpx_ne_u32_e32 0, v90
	s_xor_b32 s13, exec_lo, s13
; %bb.906:                              ;   in Loop: Header=BB2_132 Depth=3
	s_delay_alu instid0(VALU_DEP_2) | instskip(SKIP_1) | instid1(VALU_DEP_1)
	v_cmp_lt_u64_e32 vcc_lo, 0xffffff, v[2:3]
	v_add_nc_u32_e32 v8, 15, v41
	v_cndmask_b32_e32 v40, v90, v8, vcc_lo
	v_cndmask_b32_e64 v8, 0, 1, vcc_lo
	s_delay_alu instid0(VALU_DEP_1)
	v_lshrrev_b64 v[8:9], v8, v[2:3]
; %bb.907:                              ;   in Loop: Header=BB2_132 Depth=3
	s_and_not1_saveexec_b32 s13, s13
; %bb.908:                              ;   in Loop: Header=BB2_132 Depth=3
	v_mov_b64_e32 v[8:9], v[2:3]
	v_bfe_u32 v40, v2, 23, 1
; %bb.909:                              ;   in Loop: Header=BB2_132 Depth=3
	s_or_b32 exec_lo, exec_lo, s13
	s_delay_alu instid0(VALU_DEP_2) | instskip(NEXT) | instid1(VALU_DEP_2)
	v_lshrrev_b64 v[8:9], 21, v[8:9]
	v_cmp_gt_i32_e32 vcc_lo, 32, v40
	v_min_i32_e32 v2, 31, v40
	v_cmp_eq_u32_e64 s13, 0, v40
	s_delay_alu instid0(VALU_DEP_2) | instskip(SKIP_1) | instid1(VALU_DEP_2)
	v_dual_cndmask_b32 v9, 0, v9 :: v_dual_lshlrev_b32 v2, 2, v2
	v_cndmask_b32_e32 v8, 3, v8, vcc_lo
	v_and_b32_e32 v2, 0xfc, v2
	s_delay_alu instid0(VALU_DEP_2) | instskip(NEXT) | instid1(VALU_DEP_2)
	v_cmp_eq_u64_e32 vcc_lo, 0, v[8:9]
	v_and_or_b32 v2, v8, 3, v2
	s_and_b32 s13, s13, vcc_lo
	s_delay_alu instid0(VALU_DEP_1) | instid1(SALU_CYCLE_1)
	v_cndmask_b32_e64 v2, v2, 0, s13
	s_delay_alu instid0(VALU_DEP_1)
	v_or_b32_e32 v90, v2, v91
.LBB2_910:                              ;   in Loop: Header=BB2_132 Depth=3
	s_or_b32 exec_lo, exec_lo, s76
                                        ; implicit-def: $vgpr91
.LBB2_911:                              ;   in Loop: Header=BB2_132 Depth=3
	s_and_not1_saveexec_b32 s13, s75
; %bb.912:                              ;   in Loop: Header=BB2_132 Depth=3
	v_or_b32_e32 v90, 0x7b, v91
; %bb.913:                              ;   in Loop: Header=BB2_132 Depth=3
	s_or_b32 exec_lo, exec_lo, s13
                                        ; implicit-def: $vgpr8
                                        ; implicit-def: $vgpr9
.LBB2_914:                              ;   in Loop: Header=BB2_132 Depth=3
	s_and_not1_saveexec_b32 s13, s74
	s_cbranch_execz .LBB2_920
; %bb.915:                              ;   in Loop: Header=BB2_132 Depth=3
	s_mov_b32 s74, exec_lo
                                        ; implicit-def: $vgpr90
	v_cmpx_ne_u64_e32 0, v[2:3]
	s_xor_b32 s74, exec_lo, s74
; %bb.916:                              ;   in Loop: Header=BB2_132 Depth=3
	v_or_b32_e32 v90, 0x7f, v9
                                        ; implicit-def: $vgpr8
; %bb.917:                              ;   in Loop: Header=BB2_132 Depth=3
	s_and_not1_saveexec_b32 s74, s74
; %bb.918:                              ;   in Loop: Header=BB2_132 Depth=3
	v_cmp_lt_i32_e32 vcc_lo, -1, v8
	v_cndmask_b32_e32 v90, 0xfc, v120, vcc_lo
; %bb.919:                              ;   in Loop: Header=BB2_132 Depth=3
	s_or_b32 exec_lo, exec_lo, s74
.LBB2_920:                              ;   in Loop: Header=BB2_132 Depth=3
	s_delay_alu instid0(SALU_CYCLE_1) | instskip(SKIP_2) | instid1(VALU_DEP_1)
	s_or_b32 exec_lo, exec_lo, s13
	v_dual_mov_b32 v9, 0 :: v_dual_lshrrev_b32 v2, 16, v10
	s_mov_b32 s13, exec_lo
	v_and_b32_e32 v8, 0xff, v2
	s_delay_alu instid0(VALU_DEP_1)
	v_cmpx_ne_u16_e32 0, v8
	s_cbranch_execz .LBB2_930
; %bb.921:                              ;   in Loop: Header=BB2_132 Depth=3
	v_bfrev_b32_e32 v9, 1
	s_mov_b32 s74, exec_lo
	v_cmpx_ne_u16_e32 0x80, v8
	s_cbranch_execz .LBB2_929
; %bb.922:                              ;   in Loop: Header=BB2_132 Depth=3
	v_and_b32_e32 v9, 0x7c0000, v10
	v_bfe_u32 v8, v10, 16, 2
	s_delay_alu instid0(VALU_DEP_2) | instskip(SKIP_1) | instid1(SALU_CYCLE_1)
	v_cmp_ne_u32_e32 vcc_lo, 0x7c0000, v9
                                        ; implicit-def: $vgpr9
	s_and_saveexec_b32 s75, vcc_lo
	s_xor_b32 s75, exec_lo, s75
	s_cbranch_execz .LBB2_926
; %bb.923:                              ;   in Loop: Header=BB2_132 Depth=3
	v_bfe_u32 v9, v10, 18, 5
	s_mov_b32 s76, exec_lo
	s_delay_alu instid0(VALU_DEP_1)
	v_cmpx_eq_u32_e32 0, v9
; %bb.924:                              ;   in Loop: Header=BB2_132 Depth=3
	v_clz_i32_u32_e32 v8, v8
	s_delay_alu instid0(VALU_DEP_1) | instskip(NEXT) | instid1(VALU_DEP_1)
	v_min_u32_e32 v18, 32, v8
	v_subrev_nc_u32_e32 v8, 29, v18
	s_delay_alu instid0(VALU_DEP_1) | instskip(NEXT) | instid1(VALU_DEP_1)
	v_lshlrev_b64_e32 v[8:9], v8, v[2:3]
	v_dual_sub_nc_u32 v9, 30, v18 :: v_dual_bitop2_b32 v8, 3, v8 bitop3:0x40
; %bb.925:                              ;   in Loop: Header=BB2_132 Depth=3
	s_or_b32 exec_lo, exec_lo, s76
	v_lshlrev_b32_e32 v2, 24, v2
	s_delay_alu instid0(VALU_DEP_1) | instskip(NEXT) | instid1(VALU_DEP_1)
	v_and_b32_e32 v2, 0x80000000, v2
	v_lshl_add_u32 v2, v9, 23, v2
	s_delay_alu instid0(VALU_DEP_1) | instskip(NEXT) | instid1(VALU_DEP_1)
	v_lshl_or_b32 v2, v8, 21, v2
                                        ; implicit-def: $vgpr8
	v_add_nc_u32_e32 v9, 0x38000000, v2
                                        ; implicit-def: $vgpr2
.LBB2_926:                              ;   in Loop: Header=BB2_132 Depth=3
	s_and_not1_saveexec_b32 s75, s75
; %bb.927:                              ;   in Loop: Header=BB2_132 Depth=3
	v_bfe_i32 v2, v2, 0, 8
	s_delay_alu instid0(VALU_DEP_1) | instskip(SKIP_2) | instid1(VALU_DEP_2)
	v_cmp_lt_i16_e32 vcc_lo, -1, v2
	v_cndmask_b32_e32 v2, 0xff800000, v111, vcc_lo
	v_cmp_eq_u32_e32 vcc_lo, 0, v8
	v_cndmask_b32_e32 v9, 0x7f800001, v2, vcc_lo
; %bb.928:                              ;   in Loop: Header=BB2_132 Depth=3
	s_or_b32 exec_lo, exec_lo, s75
.LBB2_929:                              ;   in Loop: Header=BB2_132 Depth=3
	s_delay_alu instid0(SALU_CYCLE_1)
	s_or_b32 exec_lo, exec_lo, s74
.LBB2_930:                              ;   in Loop: Header=BB2_132 Depth=3
	s_delay_alu instid0(SALU_CYCLE_1) | instskip(NEXT) | instid1(VALU_DEP_1)
	s_or_b32 exec_lo, exec_lo, s13
	v_dual_mul_f32 v8, s73, v9 :: v_dual_mov_b32 v41, v3
                                        ; implicit-def: $vgpr91
	s_mov_b32 s13, exec_lo
	s_delay_alu instid0(VALU_DEP_1) | instskip(SKIP_2) | instid1(VALU_DEP_3)
	v_and_b32_e32 v40, 0x7f800000, v8
	v_and_b32_e32 v2, 0x7fffff, v8
	v_lshrrev_b32_e32 v9, 24, v8
	v_cmpx_ne_u64_e32 0x7f800000, v[40:41]
	s_xor_b32 s74, exec_lo, s13
	s_cbranch_execz .LBB2_944
; %bb.931:                              ;   in Loop: Header=BB2_132 Depth=3
	v_and_b32_e32 v40, 0x7fffffff, v8
	v_mov_b32_e32 v41, v3
	v_and_b32_e32 v92, 0x80, v9
                                        ; implicit-def: $vgpr91
	s_mov_b32 s13, exec_lo
	s_delay_alu instid0(VALU_DEP_2)
	v_cmpx_gt_u64_e32 0x47600001, v[40:41]
	s_xor_b32 s75, exec_lo, s13
	s_cbranch_execz .LBB2_941
; %bb.932:                              ;   in Loop: Header=BB2_132 Depth=3
	v_mov_b32_e32 v91, 0
	s_mov_b32 s76, exec_lo
	v_cmpx_ne_u32_e32 0, v8
	s_cbranch_execz .LBB2_940
; %bb.933:                              ;   in Loop: Header=BB2_132 Depth=3
	v_bfe_u32 v91, v8, 23, 8
	v_or_b32_e32 v18, 0x800000, v2
	s_mov_b32 s77, exec_lo
	s_delay_alu instid0(VALU_DEP_2) | instskip(SKIP_1) | instid1(VALU_DEP_2)
	v_dual_mov_b32 v41, v3 :: v_dual_sub_nc_u32 v8, 0x71, v91
	v_cmp_gt_u32_e32 vcc_lo, 0x72, v91
	v_cndmask_b32_e32 v8, 0, v8, vcc_lo
	v_cmp_eq_u32_e32 vcc_lo, 0, v91
	s_delay_alu instid0(VALU_DEP_2) | instskip(NEXT) | instid1(VALU_DEP_1)
	v_cndmask_b32_e64 v93, v8, 0x70, vcc_lo
	v_dual_cndmask_b32 v40, v18, v2, vcc_lo :: v_dual_add_nc_u32 v8, 21, v93
	v_add_nc_u32_e32 v19, 20, v93
	s_delay_alu instid0(VALU_DEP_2) | instskip(NEXT) | instid1(VALU_DEP_2)
	v_lshlrev_b64_e64 v[8:9], v8, -1
	v_lshlrev_b64_e64 v[94:95], v19, 1
	s_delay_alu instid0(VALU_DEP_2) | instskip(NEXT) | instid1(VALU_DEP_3)
	v_bfi_b32 v105, v9, 0, 0
	v_bfi_b32 v104, v8, 0, v40
	v_lshrrev_b64 v[8:9], v93, v[40:41]
	s_delay_alu instid0(VALU_DEP_1) | instskip(NEXT) | instid1(VALU_DEP_3)
	v_mov_b64_e32 v[40:41], v[8:9]
	v_cmpx_eq_u64_e64 v[104:105], v[94:95]
; %bb.934:                              ;   in Loop: Header=BB2_132 Depth=3
	v_bfe_u32 v40, v8, 21, 1
	v_mov_b32_e32 v41, v3
	s_delay_alu instid0(VALU_DEP_1) | instskip(NEXT) | instid1(VALU_DEP_1)
	v_add_nc_u64_e32 v[40:41], v[8:9], v[40:41]
	v_add_nc_u64_e32 v[40:41], -1, v[40:41]
; %bb.935:                              ;   in Loop: Header=BB2_132 Depth=3
	s_or_b32 exec_lo, exec_lo, s77
	v_add_nc_u32_e32 v2, 0xffffff81, v91
	v_lshrrev_b32_e32 v9, 23, v8
	s_mov_b32 s13, exec_lo
	s_delay_alu instid0(VALU_DEP_2) | instskip(NEXT) | instid1(VALU_DEP_1)
	v_cndmask_b32_e64 v2, v2, 0xffffff82, vcc_lo
	v_add3_u32 v41, v93, v2, v9
	v_and_b32_e32 v2, 0x1fffff, v40
                                        ; implicit-def: $vgpr40
	s_delay_alu instid0(VALU_DEP_1) | instskip(NEXT) | instid1(VALU_DEP_1)
	v_dual_add_nc_u32 v91, 14, v41 :: v_dual_add_nc_u32 v2, v2, v8
                                        ; implicit-def: $vgpr8_vgpr9
	v_cmpx_ne_u32_e32 0, v91
	s_xor_b32 s13, exec_lo, s13
; %bb.936:                              ;   in Loop: Header=BB2_132 Depth=3
	s_delay_alu instid0(VALU_DEP_2) | instskip(SKIP_1) | instid1(VALU_DEP_1)
	v_cmp_lt_u64_e32 vcc_lo, 0xffffff, v[2:3]
	v_add_nc_u32_e32 v8, 15, v41
	v_cndmask_b32_e32 v40, v91, v8, vcc_lo
	v_cndmask_b32_e64 v8, 0, 1, vcc_lo
	s_delay_alu instid0(VALU_DEP_1)
	v_lshrrev_b64 v[8:9], v8, v[2:3]
; %bb.937:                              ;   in Loop: Header=BB2_132 Depth=3
	s_and_not1_saveexec_b32 s13, s13
; %bb.938:                              ;   in Loop: Header=BB2_132 Depth=3
	v_mov_b64_e32 v[8:9], v[2:3]
	v_bfe_u32 v40, v2, 23, 1
; %bb.939:                              ;   in Loop: Header=BB2_132 Depth=3
	s_or_b32 exec_lo, exec_lo, s13
	s_delay_alu instid0(VALU_DEP_2) | instskip(NEXT) | instid1(VALU_DEP_2)
	v_lshrrev_b64 v[8:9], 21, v[8:9]
	v_cmp_gt_i32_e32 vcc_lo, 32, v40
	v_min_i32_e32 v2, 31, v40
	v_cmp_eq_u32_e64 s13, 0, v40
	s_delay_alu instid0(VALU_DEP_2) | instskip(SKIP_1) | instid1(VALU_DEP_2)
	v_dual_cndmask_b32 v9, 0, v9 :: v_dual_lshlrev_b32 v2, 2, v2
	v_cndmask_b32_e32 v8, 3, v8, vcc_lo
	v_and_b32_e32 v2, 0xfc, v2
	s_delay_alu instid0(VALU_DEP_2) | instskip(NEXT) | instid1(VALU_DEP_2)
	v_cmp_eq_u64_e32 vcc_lo, 0, v[8:9]
	v_and_or_b32 v2, v8, 3, v2
	s_and_b32 s13, s13, vcc_lo
	s_delay_alu instid0(VALU_DEP_1) | instid1(SALU_CYCLE_1)
	v_cndmask_b32_e64 v2, v2, 0, s13
	s_delay_alu instid0(VALU_DEP_1)
	v_or_b32_e32 v91, v2, v92
.LBB2_940:                              ;   in Loop: Header=BB2_132 Depth=3
	s_or_b32 exec_lo, exec_lo, s76
                                        ; implicit-def: $vgpr92
.LBB2_941:                              ;   in Loop: Header=BB2_132 Depth=3
	s_and_not1_saveexec_b32 s13, s75
; %bb.942:                              ;   in Loop: Header=BB2_132 Depth=3
	v_or_b32_e32 v91, 0x7b, v92
; %bb.943:                              ;   in Loop: Header=BB2_132 Depth=3
	s_or_b32 exec_lo, exec_lo, s13
                                        ; implicit-def: $vgpr8
                                        ; implicit-def: $vgpr9
.LBB2_944:                              ;   in Loop: Header=BB2_132 Depth=3
	s_and_not1_saveexec_b32 s13, s74
	s_cbranch_execz .LBB2_950
; %bb.945:                              ;   in Loop: Header=BB2_132 Depth=3
	s_mov_b32 s74, exec_lo
                                        ; implicit-def: $vgpr91
	v_cmpx_ne_u64_e32 0, v[2:3]
	s_xor_b32 s74, exec_lo, s74
; %bb.946:                              ;   in Loop: Header=BB2_132 Depth=3
	v_or_b32_e32 v91, 0x7f, v9
                                        ; implicit-def: $vgpr8
; %bb.947:                              ;   in Loop: Header=BB2_132 Depth=3
	s_and_not1_saveexec_b32 s74, s74
; %bb.948:                              ;   in Loop: Header=BB2_132 Depth=3
	v_cmp_lt_i32_e32 vcc_lo, -1, v8
	v_cndmask_b32_e32 v91, 0xfc, v120, vcc_lo
; %bb.949:                              ;   in Loop: Header=BB2_132 Depth=3
	s_or_b32 exec_lo, exec_lo, s74
.LBB2_950:                              ;   in Loop: Header=BB2_132 Depth=3
	s_delay_alu instid0(SALU_CYCLE_1)
	s_or_b32 exec_lo, exec_lo, s13
	v_mov_b32_e32 v8, 0
	s_mov_b32 s13, exec_lo
	v_cmpx_lt_u32_e32 0xffffff, v10
	s_cbranch_execz .LBB2_960
; %bb.951:                              ;   in Loop: Header=BB2_132 Depth=3
	v_lshrrev_b32_e32 v2, 24, v10
	v_bfrev_b32_e32 v8, 1
	s_mov_b32 s74, exec_lo
	s_delay_alu instid0(VALU_DEP_2)
	v_cmpx_ne_u32_e32 0x80, v2
	s_cbranch_execz .LBB2_959
; %bb.952:                              ;   in Loop: Header=BB2_132 Depth=3
	v_and_b32_e32 v8, 0x7c000000, v10
	v_bfe_u32 v9, v10, 24, 2
	s_delay_alu instid0(VALU_DEP_2) | instskip(SKIP_1) | instid1(SALU_CYCLE_1)
	v_cmp_ne_u32_e32 vcc_lo, 0x7c000000, v8
                                        ; implicit-def: $vgpr8
	s_and_saveexec_b32 s75, vcc_lo
	s_xor_b32 s75, exec_lo, s75
	s_cbranch_execz .LBB2_956
; %bb.953:                              ;   in Loop: Header=BB2_132 Depth=3
	v_bfe_u32 v8, v10, 26, 5
	s_mov_b32 s76, exec_lo
	s_delay_alu instid0(VALU_DEP_1)
	v_cmpx_eq_u32_e32 0, v8
; %bb.954:                              ;   in Loop: Header=BB2_132 Depth=3
	v_clz_i32_u32_e32 v8, v9
	s_delay_alu instid0(VALU_DEP_1) | instskip(NEXT) | instid1(VALU_DEP_1)
	v_min_u32_e32 v8, 32, v8
	v_subrev_nc_u32_e32 v9, 29, v8
	v_sub_nc_u32_e32 v8, 30, v8
	s_delay_alu instid0(VALU_DEP_2) | instskip(NEXT) | instid1(VALU_DEP_1)
	v_lshlrev_b64_e32 v[40:41], v9, v[2:3]
	v_and_b32_e32 v9, 3, v40
; %bb.955:                              ;   in Loop: Header=BB2_132 Depth=3
	s_or_b32 exec_lo, exec_lo, s76
	v_and_b32_e32 v2, 0x80000000, v10
	s_delay_alu instid0(VALU_DEP_1) | instskip(NEXT) | instid1(VALU_DEP_1)
	v_lshl_add_u32 v2, v8, 23, v2
	v_lshl_or_b32 v2, v9, 21, v2
                                        ; implicit-def: $vgpr9
	s_delay_alu instid0(VALU_DEP_1)
	v_add_nc_u32_e32 v8, 0x38000000, v2
.LBB2_956:                              ;   in Loop: Header=BB2_132 Depth=3
	s_and_not1_saveexec_b32 s75, s75
; %bb.957:                              ;   in Loop: Header=BB2_132 Depth=3
	v_cmp_lt_i32_e32 vcc_lo, -1, v10
	v_cndmask_b32_e32 v2, 0xff800000, v111, vcc_lo
	v_cmp_eq_u32_e32 vcc_lo, 0, v9
	s_delay_alu instid0(VALU_DEP_2)
	v_cndmask_b32_e32 v8, 0x7f800001, v2, vcc_lo
; %bb.958:                              ;   in Loop: Header=BB2_132 Depth=3
	s_or_b32 exec_lo, exec_lo, s75
.LBB2_959:                              ;   in Loop: Header=BB2_132 Depth=3
	s_delay_alu instid0(SALU_CYCLE_1)
	s_or_b32 exec_lo, exec_lo, s74
.LBB2_960:                              ;   in Loop: Header=BB2_132 Depth=3
	s_delay_alu instid0(SALU_CYCLE_1) | instskip(NEXT) | instid1(VALU_DEP_1)
	s_or_b32 exec_lo, exec_lo, s13
	v_dual_mul_f32 v8, s73, v8 :: v_dual_mov_b32 v41, v3
                                        ; implicit-def: $vgpr92
	s_mov_b32 s13, exec_lo
	s_delay_alu instid0(VALU_DEP_1) | instskip(SKIP_2) | instid1(VALU_DEP_3)
	v_and_b32_e32 v40, 0x7f800000, v8
	v_and_b32_e32 v2, 0x7fffff, v8
	v_lshrrev_b32_e32 v9, 24, v8
	v_cmpx_ne_u64_e32 0x7f800000, v[40:41]
	s_xor_b32 s74, exec_lo, s13
	s_cbranch_execz .LBB2_974
; %bb.961:                              ;   in Loop: Header=BB2_132 Depth=3
	v_and_b32_e32 v40, 0x7fffffff, v8
	v_mov_b32_e32 v41, v3
	v_and_b32_e32 v93, 0x80, v9
                                        ; implicit-def: $vgpr92
	s_mov_b32 s13, exec_lo
	s_delay_alu instid0(VALU_DEP_2)
	v_cmpx_gt_u64_e32 0x47600001, v[40:41]
	s_xor_b32 s75, exec_lo, s13
	s_cbranch_execz .LBB2_971
; %bb.962:                              ;   in Loop: Header=BB2_132 Depth=3
	v_mov_b32_e32 v92, 0
	s_mov_b32 s76, exec_lo
	v_cmpx_ne_u32_e32 0, v8
	s_cbranch_execz .LBB2_970
; %bb.963:                              ;   in Loop: Header=BB2_132 Depth=3
	v_bfe_u32 v92, v8, 23, 8
	v_or_b32_e32 v18, 0x800000, v2
	s_mov_b32 s77, exec_lo
	s_delay_alu instid0(VALU_DEP_2) | instskip(SKIP_1) | instid1(VALU_DEP_2)
	v_dual_mov_b32 v41, v3 :: v_dual_sub_nc_u32 v8, 0x71, v92
	v_cmp_gt_u32_e32 vcc_lo, 0x72, v92
	v_cndmask_b32_e32 v8, 0, v8, vcc_lo
	v_cmp_eq_u32_e32 vcc_lo, 0, v92
	s_delay_alu instid0(VALU_DEP_2) | instskip(SKIP_1) | instid1(VALU_DEP_2)
	v_cndmask_b32_e64 v94, v8, 0x70, vcc_lo
	v_cndmask_b32_e32 v40, v18, v2, vcc_lo
	v_dual_add_nc_u32 v8, 21, v94 :: v_dual_add_nc_u32 v19, 20, v94
	s_delay_alu instid0(VALU_DEP_1) | instskip(NEXT) | instid1(VALU_DEP_2)
	v_lshlrev_b64_e64 v[8:9], v8, -1
	v_lshlrev_b64_e64 v[104:105], v19, 1
	s_delay_alu instid0(VALU_DEP_2) | instskip(NEXT) | instid1(VALU_DEP_3)
	v_bfi_b32 v125, v9, 0, 0
	v_bfi_b32 v124, v8, 0, v40
	v_lshrrev_b64 v[8:9], v94, v[40:41]
	s_delay_alu instid0(VALU_DEP_1) | instskip(NEXT) | instid1(VALU_DEP_3)
	v_mov_b64_e32 v[40:41], v[8:9]
	v_cmpx_eq_u64_e64 v[124:125], v[104:105]
; %bb.964:                              ;   in Loop: Header=BB2_132 Depth=3
	v_bfe_u32 v40, v8, 21, 1
	v_mov_b32_e32 v41, v3
	s_delay_alu instid0(VALU_DEP_1) | instskip(NEXT) | instid1(VALU_DEP_1)
	v_add_nc_u64_e32 v[40:41], v[8:9], v[40:41]
	v_add_nc_u64_e32 v[40:41], -1, v[40:41]
; %bb.965:                              ;   in Loop: Header=BB2_132 Depth=3
	s_or_b32 exec_lo, exec_lo, s77
	v_add_nc_u32_e32 v2, 0xffffff81, v92
	v_lshrrev_b32_e32 v9, 23, v8
	s_mov_b32 s13, exec_lo
	s_delay_alu instid0(VALU_DEP_2) | instskip(NEXT) | instid1(VALU_DEP_1)
	v_cndmask_b32_e64 v2, v2, 0xffffff82, vcc_lo
	v_add3_u32 v41, v94, v2, v9
	v_and_b32_e32 v2, 0x1fffff, v40
                                        ; implicit-def: $vgpr40
	s_delay_alu instid0(VALU_DEP_1) | instskip(NEXT) | instid1(VALU_DEP_1)
	v_dual_add_nc_u32 v92, 14, v41 :: v_dual_add_nc_u32 v2, v2, v8
                                        ; implicit-def: $vgpr8_vgpr9
	v_cmpx_ne_u32_e32 0, v92
	s_xor_b32 s13, exec_lo, s13
; %bb.966:                              ;   in Loop: Header=BB2_132 Depth=3
	s_delay_alu instid0(VALU_DEP_2) | instskip(SKIP_1) | instid1(VALU_DEP_1)
	v_cmp_lt_u64_e32 vcc_lo, 0xffffff, v[2:3]
	v_add_nc_u32_e32 v8, 15, v41
	v_cndmask_b32_e32 v40, v92, v8, vcc_lo
	v_cndmask_b32_e64 v8, 0, 1, vcc_lo
	s_delay_alu instid0(VALU_DEP_1)
	v_lshrrev_b64 v[8:9], v8, v[2:3]
; %bb.967:                              ;   in Loop: Header=BB2_132 Depth=3
	s_and_not1_saveexec_b32 s13, s13
; %bb.968:                              ;   in Loop: Header=BB2_132 Depth=3
	v_mov_b64_e32 v[8:9], v[2:3]
	v_bfe_u32 v40, v2, 23, 1
; %bb.969:                              ;   in Loop: Header=BB2_132 Depth=3
	s_or_b32 exec_lo, exec_lo, s13
	s_delay_alu instid0(VALU_DEP_2) | instskip(NEXT) | instid1(VALU_DEP_2)
	v_lshrrev_b64 v[8:9], 21, v[8:9]
	v_cmp_gt_i32_e32 vcc_lo, 32, v40
	v_min_i32_e32 v2, 31, v40
	v_cmp_eq_u32_e64 s13, 0, v40
	s_delay_alu instid0(VALU_DEP_2) | instskip(SKIP_1) | instid1(VALU_DEP_2)
	v_dual_cndmask_b32 v9, 0, v9 :: v_dual_lshlrev_b32 v2, 2, v2
	v_cndmask_b32_e32 v8, 3, v8, vcc_lo
	v_and_b32_e32 v2, 0xfc, v2
	s_delay_alu instid0(VALU_DEP_2) | instskip(NEXT) | instid1(VALU_DEP_2)
	v_cmp_eq_u64_e32 vcc_lo, 0, v[8:9]
	v_and_or_b32 v2, v8, 3, v2
	s_and_b32 s13, s13, vcc_lo
	s_delay_alu instid0(VALU_DEP_1) | instid1(SALU_CYCLE_1)
	v_cndmask_b32_e64 v2, v2, 0, s13
	s_delay_alu instid0(VALU_DEP_1)
	v_or_b32_e32 v92, v2, v93
.LBB2_970:                              ;   in Loop: Header=BB2_132 Depth=3
	s_or_b32 exec_lo, exec_lo, s76
                                        ; implicit-def: $vgpr93
.LBB2_971:                              ;   in Loop: Header=BB2_132 Depth=3
	s_and_not1_saveexec_b32 s13, s75
; %bb.972:                              ;   in Loop: Header=BB2_132 Depth=3
	v_or_b32_e32 v92, 0x7b, v93
; %bb.973:                              ;   in Loop: Header=BB2_132 Depth=3
	s_or_b32 exec_lo, exec_lo, s13
                                        ; implicit-def: $vgpr8
                                        ; implicit-def: $vgpr9
.LBB2_974:                              ;   in Loop: Header=BB2_132 Depth=3
	s_and_not1_saveexec_b32 s13, s74
	s_cbranch_execz .LBB2_980
; %bb.975:                              ;   in Loop: Header=BB2_132 Depth=3
	s_mov_b32 s74, exec_lo
                                        ; implicit-def: $vgpr92
	v_cmpx_ne_u64_e32 0, v[2:3]
	s_xor_b32 s74, exec_lo, s74
; %bb.976:                              ;   in Loop: Header=BB2_132 Depth=3
	v_or_b32_e32 v92, 0x7f, v9
                                        ; implicit-def: $vgpr8
; %bb.977:                              ;   in Loop: Header=BB2_132 Depth=3
	s_and_not1_saveexec_b32 s74, s74
; %bb.978:                              ;   in Loop: Header=BB2_132 Depth=3
	v_cmp_lt_i32_e32 vcc_lo, -1, v8
	v_cndmask_b32_e32 v92, 0xfc, v120, vcc_lo
; %bb.979:                              ;   in Loop: Header=BB2_132 Depth=3
	s_or_b32 exec_lo, exec_lo, s74
.LBB2_980:                              ;   in Loop: Header=BB2_132 Depth=3
	s_delay_alu instid0(SALU_CYCLE_1) | instskip(SKIP_3) | instid1(VALU_DEP_2)
	s_or_b32 exec_lo, exec_lo, s13
	v_and_b32_e32 v8, 0xff, v11
	v_dual_mov_b32 v2, v11 :: v_dual_mov_b32 v9, 0
	s_mov_b32 s13, exec_lo
	v_cmpx_ne_u16_e32 0, v8
	s_cbranch_execz .LBB2_990
; %bb.981:                              ;   in Loop: Header=BB2_132 Depth=3
	v_bfrev_b32_e32 v9, 1
	s_mov_b32 s74, exec_lo
	v_cmpx_ne_u16_e32 0x80, v8
	s_cbranch_execz .LBB2_989
; %bb.982:                              ;   in Loop: Header=BB2_132 Depth=3
	v_and_b32_e32 v9, 0x7c, v11
	v_and_b32_e32 v8, 3, v11
	s_delay_alu instid0(VALU_DEP_2) | instskip(SKIP_1) | instid1(SALU_CYCLE_1)
	v_cmp_ne_u32_e32 vcc_lo, 0x7c, v9
                                        ; implicit-def: $vgpr9
	s_and_saveexec_b32 s75, vcc_lo
	s_xor_b32 s75, exec_lo, s75
	s_cbranch_execz .LBB2_986
; %bb.983:                              ;   in Loop: Header=BB2_132 Depth=3
	v_bfe_u32 v9, v11, 2, 5
	s_mov_b32 s76, exec_lo
	s_delay_alu instid0(VALU_DEP_1)
	v_cmpx_eq_u32_e32 0, v9
; %bb.984:                              ;   in Loop: Header=BB2_132 Depth=3
	v_clz_i32_u32_e32 v8, v8
	s_delay_alu instid0(VALU_DEP_1) | instskip(NEXT) | instid1(VALU_DEP_1)
	v_min_u32_e32 v18, 32, v8
	v_subrev_nc_u32_e32 v8, 29, v18
	s_delay_alu instid0(VALU_DEP_1) | instskip(NEXT) | instid1(VALU_DEP_1)
	v_lshlrev_b64_e32 v[8:9], v8, v[2:3]
	v_dual_sub_nc_u32 v9, 30, v18 :: v_dual_bitop2_b32 v8, 3, v8 bitop3:0x40
; %bb.985:                              ;   in Loop: Header=BB2_132 Depth=3
	s_or_b32 exec_lo, exec_lo, s76
	v_lshlrev_b32_e32 v18, 24, v11
	s_delay_alu instid0(VALU_DEP_1) | instskip(NEXT) | instid1(VALU_DEP_1)
	v_and_b32_e32 v18, 0x80000000, v18
	v_lshl_add_u32 v9, v9, 23, v18
	s_delay_alu instid0(VALU_DEP_1) | instskip(NEXT) | instid1(VALU_DEP_1)
	v_lshl_or_b32 v8, v8, 21, v9
	v_add_nc_u32_e32 v9, 0x38000000, v8
                                        ; implicit-def: $vgpr8
.LBB2_986:                              ;   in Loop: Header=BB2_132 Depth=3
	s_and_not1_saveexec_b32 s75, s75
; %bb.987:                              ;   in Loop: Header=BB2_132 Depth=3
	v_bfe_i32 v9, v11, 0, 8
	s_delay_alu instid0(VALU_DEP_1) | instskip(SKIP_2) | instid1(VALU_DEP_2)
	v_cmp_lt_i16_e32 vcc_lo, -1, v9
	v_cndmask_b32_e32 v9, 0xff800000, v111, vcc_lo
	v_cmp_eq_u32_e32 vcc_lo, 0, v8
	v_cndmask_b32_e32 v9, 0x7f800001, v9, vcc_lo
; %bb.988:                              ;   in Loop: Header=BB2_132 Depth=3
	s_or_b32 exec_lo, exec_lo, s75
.LBB2_989:                              ;   in Loop: Header=BB2_132 Depth=3
	s_delay_alu instid0(SALU_CYCLE_1)
	s_or_b32 exec_lo, exec_lo, s74
.LBB2_990:                              ;   in Loop: Header=BB2_132 Depth=3
	s_delay_alu instid0(SALU_CYCLE_1) | instskip(NEXT) | instid1(VALU_DEP_1)
	s_or_b32 exec_lo, exec_lo, s13
	v_dual_mul_f32 v40, s73, v9 :: v_dual_mov_b32 v95, v3
	v_mov_b32_e32 v9, v3
                                        ; implicit-def: $vgpr93
	s_mov_b32 s13, exec_lo
	s_delay_alu instid0(VALU_DEP_2) | instskip(SKIP_2) | instid1(VALU_DEP_3)
	v_and_b32_e32 v94, 0x7f800000, v40
	v_and_b32_e32 v8, 0x7fffff, v40
	v_lshrrev_b32_e32 v41, 24, v40
	v_cmpx_ne_u64_e32 0x7f800000, v[94:95]
	s_xor_b32 s74, exec_lo, s13
	s_cbranch_execz .LBB2_1004
; %bb.991:                              ;   in Loop: Header=BB2_132 Depth=3
	v_and_b32_e32 v94, 0x7fffffff, v40
	v_mov_b32_e32 v95, v3
                                        ; implicit-def: $vgpr93
	s_delay_alu instid0(VALU_DEP_1) | instskip(SKIP_2) | instid1(SALU_CYCLE_1)
	v_cmp_gt_u64_e32 vcc_lo, 0x47600001, v[94:95]
	v_and_b32_e32 v94, 0x80, v41
	s_and_saveexec_b32 s13, vcc_lo
	s_xor_b32 s75, exec_lo, s13
	s_cbranch_execz .LBB2_1001
; %bb.992:                              ;   in Loop: Header=BB2_132 Depth=3
	v_mov_b32_e32 v93, 0
	s_mov_b32 s76, exec_lo
	v_cmpx_ne_u32_e32 0, v40
	s_cbranch_execz .LBB2_1000
; %bb.993:                              ;   in Loop: Header=BB2_132 Depth=3
	v_bfe_u32 v93, v40, 23, 8
	v_or_b32_e32 v19, 0x800000, v8
	s_delay_alu instid0(VALU_DEP_2) | instskip(SKIP_1) | instid1(VALU_DEP_2)
	v_sub_nc_u32_e32 v18, 0x71, v93
	v_cmp_gt_u32_e32 vcc_lo, 0x72, v93
	v_cndmask_b32_e32 v18, 0, v18, vcc_lo
	v_cmp_eq_u32_e32 vcc_lo, 0, v93
	v_cndmask_b32_e32 v8, v19, v8, vcc_lo
	s_delay_alu instid0(VALU_DEP_3) | instskip(NEXT) | instid1(VALU_DEP_1)
	v_cndmask_b32_e64 v95, v18, 0x70, vcc_lo
	v_add_nc_u32_e32 v18, 21, v95
	s_delay_alu instid0(VALU_DEP_1) | instskip(SKIP_1) | instid1(VALU_DEP_1)
	v_lshlrev_b64_e64 v[40:41], v18, -1
	v_add_nc_u32_e32 v18, 20, v95
	v_lshlrev_b64_e64 v[104:105], v18, 1
	s_delay_alu instid0(VALU_DEP_3) | instskip(SKIP_2) | instid1(VALU_DEP_1)
	v_bfi_b32 v40, v40, 0, v8
	v_lshrrev_b64 v[8:9], v95, v[8:9]
	v_bfi_b32 v41, v41, 0, 0
	v_cmp_eq_u64_e64 s13, v[40:41], v[104:105]
	s_delay_alu instid0(VALU_DEP_3)
	v_mov_b64_e32 v[40:41], v[8:9]
	s_and_saveexec_b32 s77, s13
; %bb.994:                              ;   in Loop: Header=BB2_132 Depth=3
	v_bfe_u32 v40, v8, 21, 1
	v_mov_b32_e32 v41, v3
	s_delay_alu instid0(VALU_DEP_1) | instskip(NEXT) | instid1(VALU_DEP_1)
	v_add_nc_u64_e32 v[40:41], v[8:9], v[40:41]
	v_add_nc_u64_e32 v[40:41], -1, v[40:41]
; %bb.995:                              ;   in Loop: Header=BB2_132 Depth=3
	s_or_b32 exec_lo, exec_lo, s77
	v_add_nc_u32_e32 v9, 0xffffff81, v93
	v_lshrrev_b32_e32 v18, 23, v8
	s_mov_b32 s13, exec_lo
	s_delay_alu instid0(VALU_DEP_2) | instskip(NEXT) | instid1(VALU_DEP_1)
	v_cndmask_b32_e64 v9, v9, 0xffffff82, vcc_lo
	v_add3_u32 v41, v95, v9, v18
	v_and_b32_e32 v9, 0x1fffff, v40
                                        ; implicit-def: $vgpr40
	s_delay_alu instid0(VALU_DEP_1) | instskip(SKIP_1) | instid1(VALU_DEP_2)
	v_dual_add_nc_u32 v93, 14, v41 :: v_dual_add_nc_u32 v8, v9, v8
	v_mov_b32_e32 v9, v3
	v_cmpx_ne_u32_e32 0, v93
	s_xor_b32 s13, exec_lo, s13
; %bb.996:                              ;   in Loop: Header=BB2_132 Depth=3
	s_delay_alu instid0(VALU_DEP_2) | instskip(SKIP_1) | instid1(VALU_DEP_1)
	v_cmp_lt_u64_e32 vcc_lo, 0xffffff, v[8:9]
	v_add_nc_u32_e32 v18, 15, v41
	v_cndmask_b32_e32 v40, v93, v18, vcc_lo
	v_cndmask_b32_e64 v18, 0, 1, vcc_lo
	s_delay_alu instid0(VALU_DEP_1)
	v_lshrrev_b64 v[8:9], v18, v[8:9]
; %bb.997:                              ;   in Loop: Header=BB2_132 Depth=3
	s_and_not1_saveexec_b32 s13, s13
; %bb.998:                              ;   in Loop: Header=BB2_132 Depth=3
	s_delay_alu instid0(VALU_DEP_1)
	v_bfe_u32 v40, v8, 23, 1
; %bb.999:                              ;   in Loop: Header=BB2_132 Depth=3
	s_or_b32 exec_lo, exec_lo, s13
	s_delay_alu instid0(VALU_DEP_2) | instskip(NEXT) | instid1(VALU_DEP_2)
	v_lshrrev_b64 v[8:9], 21, v[8:9]
	v_cmp_gt_i32_e32 vcc_lo, 32, v40
	v_min_i32_e32 v18, 31, v40
	v_cmp_eq_u32_e64 s13, 0, v40
	s_delay_alu instid0(VALU_DEP_2) | instskip(SKIP_1) | instid1(VALU_DEP_2)
	v_dual_cndmask_b32 v9, 0, v9 :: v_dual_lshlrev_b32 v18, 2, v18
	v_cndmask_b32_e32 v8, 3, v8, vcc_lo
	v_and_b32_e32 v18, 0xfc, v18
	s_delay_alu instid0(VALU_DEP_2) | instskip(NEXT) | instid1(VALU_DEP_2)
	v_cmp_eq_u64_e32 vcc_lo, 0, v[8:9]
	v_and_or_b32 v8, v8, 3, v18
	s_and_b32 s13, s13, vcc_lo
	s_delay_alu instid0(VALU_DEP_1) | instid1(SALU_CYCLE_1)
	v_cndmask_b32_e64 v8, v8, 0, s13
	s_delay_alu instid0(VALU_DEP_1)
	v_or_b32_e32 v93, v8, v94
.LBB2_1000:                             ;   in Loop: Header=BB2_132 Depth=3
	s_or_b32 exec_lo, exec_lo, s76
                                        ; implicit-def: $vgpr94
.LBB2_1001:                             ;   in Loop: Header=BB2_132 Depth=3
	s_and_not1_saveexec_b32 s13, s75
; %bb.1002:                             ;   in Loop: Header=BB2_132 Depth=3
	v_or_b32_e32 v93, 0x7b, v94
; %bb.1003:                             ;   in Loop: Header=BB2_132 Depth=3
	s_or_b32 exec_lo, exec_lo, s13
                                        ; implicit-def: $vgpr40
                                        ; implicit-def: $vgpr8_vgpr9
                                        ; implicit-def: $vgpr41
.LBB2_1004:                             ;   in Loop: Header=BB2_132 Depth=3
	s_and_not1_saveexec_b32 s13, s74
	s_cbranch_execz .LBB2_1010
; %bb.1005:                             ;   in Loop: Header=BB2_132 Depth=3
	s_mov_b32 s74, exec_lo
                                        ; implicit-def: $vgpr93
	v_cmpx_ne_u64_e32 0, v[8:9]
	s_xor_b32 s74, exec_lo, s74
; %bb.1006:                             ;   in Loop: Header=BB2_132 Depth=3
	v_or_b32_e32 v93, 0x7f, v41
                                        ; implicit-def: $vgpr40
; %bb.1007:                             ;   in Loop: Header=BB2_132 Depth=3
	s_and_not1_saveexec_b32 s74, s74
; %bb.1008:                             ;   in Loop: Header=BB2_132 Depth=3
	v_cmp_lt_i32_e32 vcc_lo, -1, v40
	v_cndmask_b32_e32 v93, 0xfc, v120, vcc_lo
; %bb.1009:                             ;   in Loop: Header=BB2_132 Depth=3
	s_or_b32 exec_lo, exec_lo, s74
.LBB2_1010:                             ;   in Loop: Header=BB2_132 Depth=3
	s_delay_alu instid0(SALU_CYCLE_1) | instskip(SKIP_3) | instid1(VALU_DEP_2)
	s_or_b32 exec_lo, exec_lo, s13
	v_lshrrev_b16 v8, 8, v2
	v_mov_b32_e32 v40, 0
	s_mov_b32 s13, exec_lo
	v_cmpx_ne_u16_e32 0, v8
	s_cbranch_execz .LBB2_1020
; %bb.1011:                             ;   in Loop: Header=BB2_132 Depth=3
	v_bfrev_b32_e32 v40, 1
	s_mov_b32 s74, exec_lo
	v_cmpx_ne_u16_e32 0x80, v8
	s_cbranch_execz .LBB2_1019
; %bb.1012:                             ;   in Loop: Header=BB2_132 Depth=3
	v_and_b32_e32 v41, 0xffff, v8
	s_mov_b32 s75, exec_lo
                                        ; implicit-def: $vgpr40
	s_delay_alu instid0(VALU_DEP_1) | instskip(SKIP_1) | instid1(VALU_DEP_2)
	v_and_b32_e32 v18, 0x7c, v41
	v_and_b32_e32 v9, 3, v41
	v_cmpx_ne_u32_e32 0x7c, v18
	s_xor_b32 s75, exec_lo, s75
	s_cbranch_execz .LBB2_1016
; %bb.1013:                             ;   in Loop: Header=BB2_132 Depth=3
	v_bfe_u32 v40, v41, 2, 5
	s_mov_b32 s76, exec_lo
	s_delay_alu instid0(VALU_DEP_1)
	v_cmpx_eq_u32_e32 0, v40
; %bb.1014:                             ;   in Loop: Header=BB2_132 Depth=3
	v_clz_i32_u32_e32 v9, v9
	s_delay_alu instid0(VALU_DEP_1) | instskip(NEXT) | instid1(VALU_DEP_1)
	v_min_u32_e32 v18, 32, v9
	v_dual_mov_b32 v9, v3 :: v_dual_sub_nc_u32 v40, 30, v18
	v_subrev_nc_u32_e32 v19, 29, v18
	s_delay_alu instid0(VALU_DEP_1) | instskip(NEXT) | instid1(VALU_DEP_1)
	v_lshlrev_b64_e32 v[8:9], v19, v[8:9]
	v_and_b32_e32 v9, 3, v8
; %bb.1015:                             ;   in Loop: Header=BB2_132 Depth=3
	s_or_b32 exec_lo, exec_lo, s76
	v_lshlrev_b32_e32 v2, 16, v2
	s_delay_alu instid0(VALU_DEP_1) | instskip(NEXT) | instid1(VALU_DEP_1)
	v_and_b32_e32 v2, 0x80000000, v2
	v_lshl_add_u32 v2, v40, 23, v2
	s_delay_alu instid0(VALU_DEP_1) | instskip(NEXT) | instid1(VALU_DEP_1)
	v_lshl_or_b32 v2, v9, 21, v2
                                        ; implicit-def: $vgpr9
	v_add_nc_u32_e32 v40, 0x38000000, v2
.LBB2_1016:                             ;   in Loop: Header=BB2_132 Depth=3
	s_and_not1_saveexec_b32 s75, s75
; %bb.1017:                             ;   in Loop: Header=BB2_132 Depth=3
	v_cmp_lt_i16_e32 vcc_lo, -1, v2
	v_cndmask_b32_e32 v2, 0xff800000, v111, vcc_lo
	v_cmp_eq_u32_e32 vcc_lo, 0, v9
	s_delay_alu instid0(VALU_DEP_2)
	v_cndmask_b32_e32 v40, 0x7f800001, v2, vcc_lo
; %bb.1018:                             ;   in Loop: Header=BB2_132 Depth=3
	s_or_b32 exec_lo, exec_lo, s75
.LBB2_1019:                             ;   in Loop: Header=BB2_132 Depth=3
	s_delay_alu instid0(SALU_CYCLE_1)
	s_or_b32 exec_lo, exec_lo, s74
.LBB2_1020:                             ;   in Loop: Header=BB2_132 Depth=3
	s_delay_alu instid0(SALU_CYCLE_1) | instskip(NEXT) | instid1(VALU_DEP_1)
	s_or_b32 exec_lo, exec_lo, s13
	v_dual_mul_f32 v8, s73, v40 :: v_dual_mov_b32 v41, v3
                                        ; implicit-def: $vgpr94
	s_mov_b32 s13, exec_lo
	s_delay_alu instid0(VALU_DEP_1) | instskip(SKIP_2) | instid1(VALU_DEP_3)
	v_and_b32_e32 v40, 0x7f800000, v8
	v_and_b32_e32 v2, 0x7fffff, v8
	v_lshrrev_b32_e32 v9, 24, v8
	v_cmpx_ne_u64_e32 0x7f800000, v[40:41]
	s_xor_b32 s74, exec_lo, s13
	s_cbranch_execz .LBB2_1034
; %bb.1021:                             ;   in Loop: Header=BB2_132 Depth=3
	v_and_b32_e32 v40, 0x7fffffff, v8
	v_mov_b32_e32 v41, v3
	v_and_b32_e32 v95, 0x80, v9
                                        ; implicit-def: $vgpr94
	s_mov_b32 s13, exec_lo
	s_delay_alu instid0(VALU_DEP_2)
	v_cmpx_gt_u64_e32 0x47600001, v[40:41]
	s_xor_b32 s75, exec_lo, s13
	s_cbranch_execz .LBB2_1031
; %bb.1022:                             ;   in Loop: Header=BB2_132 Depth=3
	v_mov_b32_e32 v94, 0
	s_mov_b32 s76, exec_lo
	v_cmpx_ne_u32_e32 0, v8
	s_cbranch_execz .LBB2_1030
; %bb.1023:                             ;   in Loop: Header=BB2_132 Depth=3
	v_bfe_u32 v94, v8, 23, 8
	v_or_b32_e32 v18, 0x800000, v2
	s_mov_b32 s77, exec_lo
	s_delay_alu instid0(VALU_DEP_2) | instskip(SKIP_1) | instid1(VALU_DEP_2)
	v_dual_mov_b32 v41, v3 :: v_dual_sub_nc_u32 v8, 0x71, v94
	v_cmp_gt_u32_e32 vcc_lo, 0x72, v94
	v_cndmask_b32_e32 v8, 0, v8, vcc_lo
	v_cmp_eq_u32_e32 vcc_lo, 0, v94
	v_cndmask_b32_e32 v40, v18, v2, vcc_lo
	s_delay_alu instid0(VALU_DEP_3) | instskip(NEXT) | instid1(VALU_DEP_1)
	v_cndmask_b32_e64 v104, v8, 0x70, vcc_lo
	v_dual_add_nc_u32 v8, 21, v104 :: v_dual_add_nc_u32 v19, 20, v104
	s_delay_alu instid0(VALU_DEP_1) | instskip(NEXT) | instid1(VALU_DEP_2)
	v_lshlrev_b64_e64 v[8:9], v8, -1
	v_lshlrev_b64_e64 v[124:125], v19, 1
	s_delay_alu instid0(VALU_DEP_2) | instskip(NEXT) | instid1(VALU_DEP_3)
	v_bfi_b32 v19, v9, 0, 0
	v_bfi_b32 v18, v8, 0, v40
	v_lshrrev_b64 v[8:9], v104, v[40:41]
	s_delay_alu instid0(VALU_DEP_1) | instskip(NEXT) | instid1(VALU_DEP_3)
	v_mov_b64_e32 v[40:41], v[8:9]
	v_cmpx_eq_u64_e64 v[18:19], v[124:125]
; %bb.1024:                             ;   in Loop: Header=BB2_132 Depth=3
	v_bfe_u32 v18, v8, 21, 1
	v_mov_b32_e32 v19, v3
	s_delay_alu instid0(VALU_DEP_1) | instskip(NEXT) | instid1(VALU_DEP_1)
	v_add_nc_u64_e32 v[18:19], v[8:9], v[18:19]
	v_add_nc_u64_e32 v[40:41], -1, v[18:19]
; %bb.1025:                             ;   in Loop: Header=BB2_132 Depth=3
	s_or_b32 exec_lo, exec_lo, s77
	v_add_nc_u32_e32 v2, 0xffffff81, v94
	v_lshrrev_b32_e32 v9, 23, v8
	s_mov_b32 s13, exec_lo
	s_delay_alu instid0(VALU_DEP_2) | instskip(NEXT) | instid1(VALU_DEP_1)
	v_cndmask_b32_e64 v2, v2, 0xffffff82, vcc_lo
	v_add3_u32 v41, v104, v2, v9
	v_and_b32_e32 v2, 0x1fffff, v40
                                        ; implicit-def: $vgpr40
	s_delay_alu instid0(VALU_DEP_1) | instskip(NEXT) | instid1(VALU_DEP_1)
	v_dual_add_nc_u32 v94, 14, v41 :: v_dual_add_nc_u32 v2, v2, v8
                                        ; implicit-def: $vgpr8_vgpr9
	v_cmpx_ne_u32_e32 0, v94
	s_xor_b32 s13, exec_lo, s13
; %bb.1026:                             ;   in Loop: Header=BB2_132 Depth=3
	s_delay_alu instid0(VALU_DEP_2) | instskip(SKIP_1) | instid1(VALU_DEP_1)
	v_cmp_lt_u64_e32 vcc_lo, 0xffffff, v[2:3]
	v_add_nc_u32_e32 v8, 15, v41
	v_cndmask_b32_e32 v40, v94, v8, vcc_lo
	v_cndmask_b32_e64 v8, 0, 1, vcc_lo
	s_delay_alu instid0(VALU_DEP_1)
	v_lshrrev_b64 v[8:9], v8, v[2:3]
; %bb.1027:                             ;   in Loop: Header=BB2_132 Depth=3
	s_and_not1_saveexec_b32 s13, s13
; %bb.1028:                             ;   in Loop: Header=BB2_132 Depth=3
	v_mov_b64_e32 v[8:9], v[2:3]
	v_bfe_u32 v40, v2, 23, 1
; %bb.1029:                             ;   in Loop: Header=BB2_132 Depth=3
	s_or_b32 exec_lo, exec_lo, s13
	s_delay_alu instid0(VALU_DEP_2) | instskip(NEXT) | instid1(VALU_DEP_2)
	v_lshrrev_b64 v[8:9], 21, v[8:9]
	v_cmp_gt_i32_e32 vcc_lo, 32, v40
	v_min_i32_e32 v2, 31, v40
	v_cmp_eq_u32_e64 s13, 0, v40
	s_delay_alu instid0(VALU_DEP_2) | instskip(SKIP_1) | instid1(VALU_DEP_2)
	v_dual_cndmask_b32 v9, 0, v9 :: v_dual_lshlrev_b32 v2, 2, v2
	v_cndmask_b32_e32 v8, 3, v8, vcc_lo
	v_and_b32_e32 v2, 0xfc, v2
	s_delay_alu instid0(VALU_DEP_2) | instskip(NEXT) | instid1(VALU_DEP_2)
	v_cmp_eq_u64_e32 vcc_lo, 0, v[8:9]
	v_and_or_b32 v2, v8, 3, v2
	s_and_b32 s13, s13, vcc_lo
	s_delay_alu instid0(VALU_DEP_1) | instid1(SALU_CYCLE_1)
	v_cndmask_b32_e64 v2, v2, 0, s13
	s_delay_alu instid0(VALU_DEP_1)
	v_or_b32_e32 v94, v2, v95
.LBB2_1030:                             ;   in Loop: Header=BB2_132 Depth=3
	s_or_b32 exec_lo, exec_lo, s76
                                        ; implicit-def: $vgpr95
.LBB2_1031:                             ;   in Loop: Header=BB2_132 Depth=3
	s_and_not1_saveexec_b32 s13, s75
; %bb.1032:                             ;   in Loop: Header=BB2_132 Depth=3
	v_or_b32_e32 v94, 0x7b, v95
; %bb.1033:                             ;   in Loop: Header=BB2_132 Depth=3
	s_or_b32 exec_lo, exec_lo, s13
                                        ; implicit-def: $vgpr8
                                        ; implicit-def: $vgpr9
.LBB2_1034:                             ;   in Loop: Header=BB2_132 Depth=3
	s_and_not1_saveexec_b32 s13, s74
	s_cbranch_execz .LBB2_1040
; %bb.1035:                             ;   in Loop: Header=BB2_132 Depth=3
	s_mov_b32 s74, exec_lo
                                        ; implicit-def: $vgpr94
	v_cmpx_ne_u64_e32 0, v[2:3]
	s_xor_b32 s74, exec_lo, s74
; %bb.1036:                             ;   in Loop: Header=BB2_132 Depth=3
	v_or_b32_e32 v94, 0x7f, v9
                                        ; implicit-def: $vgpr8
; %bb.1037:                             ;   in Loop: Header=BB2_132 Depth=3
	s_and_not1_saveexec_b32 s74, s74
; %bb.1038:                             ;   in Loop: Header=BB2_132 Depth=3
	v_cmp_lt_i32_e32 vcc_lo, -1, v8
	v_cndmask_b32_e32 v94, 0xfc, v120, vcc_lo
; %bb.1039:                             ;   in Loop: Header=BB2_132 Depth=3
	s_or_b32 exec_lo, exec_lo, s74
.LBB2_1040:                             ;   in Loop: Header=BB2_132 Depth=3
	s_delay_alu instid0(SALU_CYCLE_1) | instskip(SKIP_2) | instid1(VALU_DEP_1)
	s_or_b32 exec_lo, exec_lo, s13
	v_dual_mov_b32 v9, 0 :: v_dual_lshrrev_b32 v2, 16, v11
	s_mov_b32 s13, exec_lo
	v_and_b32_e32 v8, 0xff, v2
	s_delay_alu instid0(VALU_DEP_1)
	v_cmpx_ne_u16_e32 0, v8
	s_cbranch_execz .LBB2_1050
; %bb.1041:                             ;   in Loop: Header=BB2_132 Depth=3
	v_bfrev_b32_e32 v9, 1
	s_mov_b32 s74, exec_lo
	v_cmpx_ne_u16_e32 0x80, v8
	s_cbranch_execz .LBB2_1049
; %bb.1042:                             ;   in Loop: Header=BB2_132 Depth=3
	v_and_b32_e32 v9, 0x7c0000, v11
	v_bfe_u32 v8, v11, 16, 2
	s_delay_alu instid0(VALU_DEP_2) | instskip(SKIP_1) | instid1(SALU_CYCLE_1)
	v_cmp_ne_u32_e32 vcc_lo, 0x7c0000, v9
                                        ; implicit-def: $vgpr9
	s_and_saveexec_b32 s75, vcc_lo
	s_xor_b32 s75, exec_lo, s75
	s_cbranch_execz .LBB2_1046
; %bb.1043:                             ;   in Loop: Header=BB2_132 Depth=3
	v_bfe_u32 v9, v11, 18, 5
	s_mov_b32 s76, exec_lo
	s_delay_alu instid0(VALU_DEP_1)
	v_cmpx_eq_u32_e32 0, v9
; %bb.1044:                             ;   in Loop: Header=BB2_132 Depth=3
	v_clz_i32_u32_e32 v8, v8
	s_delay_alu instid0(VALU_DEP_1) | instskip(NEXT) | instid1(VALU_DEP_1)
	v_min_u32_e32 v18, 32, v8
	v_subrev_nc_u32_e32 v8, 29, v18
	s_delay_alu instid0(VALU_DEP_1) | instskip(NEXT) | instid1(VALU_DEP_1)
	v_lshlrev_b64_e32 v[8:9], v8, v[2:3]
	v_dual_sub_nc_u32 v9, 30, v18 :: v_dual_bitop2_b32 v8, 3, v8 bitop3:0x40
; %bb.1045:                             ;   in Loop: Header=BB2_132 Depth=3
	s_or_b32 exec_lo, exec_lo, s76
	v_lshlrev_b32_e32 v2, 24, v2
	s_delay_alu instid0(VALU_DEP_1) | instskip(NEXT) | instid1(VALU_DEP_1)
	v_and_b32_e32 v2, 0x80000000, v2
	v_lshl_add_u32 v2, v9, 23, v2
	s_delay_alu instid0(VALU_DEP_1) | instskip(NEXT) | instid1(VALU_DEP_1)
	v_lshl_or_b32 v2, v8, 21, v2
                                        ; implicit-def: $vgpr8
	v_add_nc_u32_e32 v9, 0x38000000, v2
                                        ; implicit-def: $vgpr2
.LBB2_1046:                             ;   in Loop: Header=BB2_132 Depth=3
	s_and_not1_saveexec_b32 s75, s75
; %bb.1047:                             ;   in Loop: Header=BB2_132 Depth=3
	v_bfe_i32 v2, v2, 0, 8
	s_delay_alu instid0(VALU_DEP_1) | instskip(SKIP_2) | instid1(VALU_DEP_2)
	v_cmp_lt_i16_e32 vcc_lo, -1, v2
	v_cndmask_b32_e32 v2, 0xff800000, v111, vcc_lo
	v_cmp_eq_u32_e32 vcc_lo, 0, v8
	v_cndmask_b32_e32 v9, 0x7f800001, v2, vcc_lo
; %bb.1048:                             ;   in Loop: Header=BB2_132 Depth=3
	s_or_b32 exec_lo, exec_lo, s75
.LBB2_1049:                             ;   in Loop: Header=BB2_132 Depth=3
	s_delay_alu instid0(SALU_CYCLE_1)
	s_or_b32 exec_lo, exec_lo, s74
.LBB2_1050:                             ;   in Loop: Header=BB2_132 Depth=3
	s_delay_alu instid0(SALU_CYCLE_1) | instskip(NEXT) | instid1(VALU_DEP_1)
	s_or_b32 exec_lo, exec_lo, s13
	v_dual_mul_f32 v8, s73, v9 :: v_dual_mov_b32 v19, v3
                                        ; implicit-def: $vgpr40
	s_mov_b32 s13, exec_lo
	s_delay_alu instid0(VALU_DEP_1) | instskip(SKIP_2) | instid1(VALU_DEP_3)
	v_and_b32_e32 v18, 0x7f800000, v8
	v_and_b32_e32 v2, 0x7fffff, v8
	v_lshrrev_b32_e32 v9, 24, v8
	v_cmpx_ne_u64_e32 0x7f800000, v[18:19]
	s_xor_b32 s74, exec_lo, s13
	s_cbranch_execz .LBB2_1064
; %bb.1051:                             ;   in Loop: Header=BB2_132 Depth=3
	v_and_b32_e32 v18, 0x7fffffff, v8
	v_mov_b32_e32 v19, v3
	v_and_b32_e32 v95, 0x80, v9
                                        ; implicit-def: $vgpr40
	s_mov_b32 s13, exec_lo
	s_delay_alu instid0(VALU_DEP_2)
	v_cmpx_gt_u64_e32 0x47600001, v[18:19]
	s_xor_b32 s75, exec_lo, s13
	s_cbranch_execz .LBB2_1061
; %bb.1052:                             ;   in Loop: Header=BB2_132 Depth=3
	v_mov_b32_e32 v40, 0
	s_mov_b32 s76, exec_lo
	v_cmpx_ne_u32_e32 0, v8
	s_cbranch_execz .LBB2_1060
; %bb.1053:                             ;   in Loop: Header=BB2_132 Depth=3
	v_bfe_u32 v104, v8, 23, 8
	v_or_b32_e32 v18, 0x800000, v2
	s_delay_alu instid0(VALU_DEP_2) | instskip(SKIP_1) | instid1(VALU_DEP_2)
	v_dual_mov_b32 v19, v3 :: v_dual_sub_nc_u32 v8, 0x71, v104
	v_cmp_gt_u32_e32 vcc_lo, 0x72, v104
	v_cndmask_b32_e32 v8, 0, v8, vcc_lo
	v_cmp_eq_u32_e32 vcc_lo, 0, v104
	s_delay_alu instid0(VALU_DEP_2) | instskip(NEXT) | instid1(VALU_DEP_1)
	v_cndmask_b32_e64 v105, v8, 0x70, vcc_lo
	v_dual_cndmask_b32 v18, v18, v2, vcc_lo :: v_dual_add_nc_u32 v8, 21, v105
	v_add_nc_u32_e32 v40, 20, v105
	s_delay_alu instid0(VALU_DEP_2) | instskip(NEXT) | instid1(VALU_DEP_2)
	v_lshlrev_b64_e64 v[8:9], v8, -1
	v_lshlrev_b64_e64 v[40:41], v40, 1
	s_delay_alu instid0(VALU_DEP_2) | instskip(NEXT) | instid1(VALU_DEP_3)
	v_bfi_b32 v125, v9, 0, 0
	v_bfi_b32 v124, v8, 0, v18
	v_lshrrev_b64 v[8:9], v105, v[18:19]
	s_delay_alu instid0(VALU_DEP_2) | instskip(NEXT) | instid1(VALU_DEP_2)
	v_cmp_eq_u64_e64 s13, v[124:125], v[40:41]
	v_mov_b64_e32 v[40:41], v[8:9]
	s_and_saveexec_b32 s77, s13
; %bb.1054:                             ;   in Loop: Header=BB2_132 Depth=3
	v_bfe_u32 v18, v8, 21, 1
	v_mov_b32_e32 v19, v3
	s_delay_alu instid0(VALU_DEP_1) | instskip(NEXT) | instid1(VALU_DEP_1)
	v_add_nc_u64_e32 v[18:19], v[8:9], v[18:19]
	v_add_nc_u64_e32 v[40:41], -1, v[18:19]
; %bb.1055:                             ;   in Loop: Header=BB2_132 Depth=3
	s_or_b32 exec_lo, exec_lo, s77
	v_add_nc_u32_e32 v2, 0xffffff81, v104
	v_lshrrev_b32_e32 v9, 23, v8
	s_mov_b32 s13, exec_lo
	s_delay_alu instid0(VALU_DEP_2) | instskip(NEXT) | instid1(VALU_DEP_1)
	v_cndmask_b32_e64 v2, v2, 0xffffff82, vcc_lo
	v_add3_u32 v41, v105, v2, v9
	v_and_b32_e32 v2, 0x1fffff, v40
                                        ; implicit-def: $vgpr40
	s_delay_alu instid0(VALU_DEP_1) | instskip(NEXT) | instid1(VALU_DEP_1)
	v_dual_add_nc_u32 v104, 14, v41 :: v_dual_add_nc_u32 v2, v2, v8
                                        ; implicit-def: $vgpr8_vgpr9
	v_cmpx_ne_u32_e32 0, v104
	s_xor_b32 s13, exec_lo, s13
; %bb.1056:                             ;   in Loop: Header=BB2_132 Depth=3
	s_delay_alu instid0(VALU_DEP_2) | instskip(SKIP_1) | instid1(VALU_DEP_1)
	v_cmp_lt_u64_e32 vcc_lo, 0xffffff, v[2:3]
	v_add_nc_u32_e32 v8, 15, v41
	v_cndmask_b32_e32 v40, v104, v8, vcc_lo
	v_cndmask_b32_e64 v8, 0, 1, vcc_lo
	s_delay_alu instid0(VALU_DEP_1)
	v_lshrrev_b64 v[8:9], v8, v[2:3]
; %bb.1057:                             ;   in Loop: Header=BB2_132 Depth=3
	s_and_not1_saveexec_b32 s13, s13
; %bb.1058:                             ;   in Loop: Header=BB2_132 Depth=3
	v_mov_b64_e32 v[8:9], v[2:3]
	v_bfe_u32 v40, v2, 23, 1
; %bb.1059:                             ;   in Loop: Header=BB2_132 Depth=3
	s_or_b32 exec_lo, exec_lo, s13
	s_delay_alu instid0(VALU_DEP_2) | instskip(NEXT) | instid1(VALU_DEP_2)
	v_lshrrev_b64 v[8:9], 21, v[8:9]
	v_cmp_gt_i32_e32 vcc_lo, 32, v40
	v_min_i32_e32 v2, 31, v40
	v_cmp_eq_u32_e64 s13, 0, v40
	s_delay_alu instid0(VALU_DEP_2) | instskip(SKIP_1) | instid1(VALU_DEP_2)
	v_dual_cndmask_b32 v9, 0, v9 :: v_dual_lshlrev_b32 v2, 2, v2
	v_cndmask_b32_e32 v8, 3, v8, vcc_lo
	v_and_b32_e32 v2, 0xfc, v2
	s_delay_alu instid0(VALU_DEP_2) | instskip(NEXT) | instid1(VALU_DEP_2)
	v_cmp_eq_u64_e32 vcc_lo, 0, v[8:9]
	v_and_or_b32 v2, v8, 3, v2
	s_and_b32 s13, s13, vcc_lo
	s_delay_alu instid0(VALU_DEP_1) | instid1(SALU_CYCLE_1)
	v_cndmask_b32_e64 v2, v2, 0, s13
	s_delay_alu instid0(VALU_DEP_1)
	v_or_b32_e32 v40, v2, v95
.LBB2_1060:                             ;   in Loop: Header=BB2_132 Depth=3
	s_or_b32 exec_lo, exec_lo, s76
                                        ; implicit-def: $vgpr95
.LBB2_1061:                             ;   in Loop: Header=BB2_132 Depth=3
	s_and_not1_saveexec_b32 s13, s75
; %bb.1062:                             ;   in Loop: Header=BB2_132 Depth=3
	v_or_b32_e32 v40, 0x7b, v95
; %bb.1063:                             ;   in Loop: Header=BB2_132 Depth=3
	s_or_b32 exec_lo, exec_lo, s13
                                        ; implicit-def: $vgpr8
                                        ; implicit-def: $vgpr9
.LBB2_1064:                             ;   in Loop: Header=BB2_132 Depth=3
	s_and_not1_saveexec_b32 s13, s74
	s_cbranch_execz .LBB2_1070
; %bb.1065:                             ;   in Loop: Header=BB2_132 Depth=3
	s_mov_b32 s74, exec_lo
                                        ; implicit-def: $vgpr40
	v_cmpx_ne_u64_e32 0, v[2:3]
	s_xor_b32 s74, exec_lo, s74
; %bb.1066:                             ;   in Loop: Header=BB2_132 Depth=3
	v_or_b32_e32 v40, 0x7f, v9
                                        ; implicit-def: $vgpr8
; %bb.1067:                             ;   in Loop: Header=BB2_132 Depth=3
	s_and_not1_saveexec_b32 s74, s74
; %bb.1068:                             ;   in Loop: Header=BB2_132 Depth=3
	v_cmp_lt_i32_e32 vcc_lo, -1, v8
	v_cndmask_b32_e32 v40, 0xfc, v120, vcc_lo
; %bb.1069:                             ;   in Loop: Header=BB2_132 Depth=3
	s_or_b32 exec_lo, exec_lo, s74
.LBB2_1070:                             ;   in Loop: Header=BB2_132 Depth=3
	s_delay_alu instid0(SALU_CYCLE_1)
	s_or_b32 exec_lo, exec_lo, s13
	v_mov_b32_e32 v8, 0
	s_mov_b32 s13, exec_lo
	v_cmpx_lt_u64_e64 s[22:23], v[10:11]
	s_cbranch_execz .LBB2_1080
; %bb.1071:                             ;   in Loop: Header=BB2_132 Depth=3
	v_lshrrev_b32_e32 v2, 24, v11
	v_bfrev_b32_e32 v8, 1
	s_mov_b32 s74, exec_lo
	s_delay_alu instid0(VALU_DEP_2)
	v_cmpx_ne_u32_e32 0x80, v2
	s_cbranch_execz .LBB2_1079
; %bb.1072:                             ;   in Loop: Header=BB2_132 Depth=3
	v_and_b32_e32 v8, 0x7c000000, v11
	v_bfe_u32 v9, v11, 24, 2
	s_delay_alu instid0(VALU_DEP_2) | instskip(SKIP_1) | instid1(SALU_CYCLE_1)
	v_cmp_ne_u32_e32 vcc_lo, 0x7c000000, v8
                                        ; implicit-def: $vgpr8
	s_and_saveexec_b32 s75, vcc_lo
	s_xor_b32 s75, exec_lo, s75
	s_cbranch_execz .LBB2_1076
; %bb.1073:                             ;   in Loop: Header=BB2_132 Depth=3
	v_bfe_u32 v8, v11, 26, 5
	s_mov_b32 s76, exec_lo
	s_delay_alu instid0(VALU_DEP_1)
	v_cmpx_eq_u32_e32 0, v8
; %bb.1074:                             ;   in Loop: Header=BB2_132 Depth=3
	v_clz_i32_u32_e32 v8, v9
	s_delay_alu instid0(VALU_DEP_1) | instskip(NEXT) | instid1(VALU_DEP_1)
	v_min_u32_e32 v8, 32, v8
	v_subrev_nc_u32_e32 v9, 29, v8
	s_delay_alu instid0(VALU_DEP_1) | instskip(NEXT) | instid1(VALU_DEP_1)
	v_lshlrev_b64_e32 v[18:19], v9, v[2:3]
	v_dual_sub_nc_u32 v8, 30, v8 :: v_dual_bitop2_b32 v9, 3, v18 bitop3:0x40
; %bb.1075:                             ;   in Loop: Header=BB2_132 Depth=3
	s_or_b32 exec_lo, exec_lo, s76
	v_and_b32_e32 v2, 0x80000000, v11
                                        ; implicit-def: $vgpr10_vgpr11
	s_delay_alu instid0(VALU_DEP_1) | instskip(NEXT) | instid1(VALU_DEP_1)
	v_lshl_add_u32 v2, v8, 23, v2
	v_lshl_or_b32 v2, v9, 21, v2
                                        ; implicit-def: $vgpr9
	s_delay_alu instid0(VALU_DEP_1)
	v_add_nc_u32_e32 v8, 0x38000000, v2
.LBB2_1076:                             ;   in Loop: Header=BB2_132 Depth=3
	s_and_not1_saveexec_b32 s75, s75
; %bb.1077:                             ;   in Loop: Header=BB2_132 Depth=3
	v_cmp_lt_i64_e32 vcc_lo, -1, v[10:11]
	v_cndmask_b32_e32 v2, 0xff800000, v111, vcc_lo
	v_cmp_eq_u32_e32 vcc_lo, 0, v9
	s_delay_alu instid0(VALU_DEP_2)
	v_cndmask_b32_e32 v8, 0x7f800001, v2, vcc_lo
; %bb.1078:                             ;   in Loop: Header=BB2_132 Depth=3
	s_or_b32 exec_lo, exec_lo, s75
.LBB2_1079:                             ;   in Loop: Header=BB2_132 Depth=3
	s_delay_alu instid0(SALU_CYCLE_1)
	s_or_b32 exec_lo, exec_lo, s74
.LBB2_1080:                             ;   in Loop: Header=BB2_132 Depth=3
	s_delay_alu instid0(SALU_CYCLE_1) | instskip(NEXT) | instid1(VALU_DEP_1)
	s_or_b32 exec_lo, exec_lo, s13
	v_dual_mul_f32 v9, s73, v8 :: v_dual_mov_b32 v11, v3
                                        ; implicit-def: $vgpr8
	s_delay_alu instid0(VALU_DEP_1) | instskip(SKIP_1) | instid1(VALU_DEP_2)
	v_and_b32_e32 v10, 0x7f800000, v9
	v_and_b32_e32 v2, 0x7fffff, v9
	v_cmp_ne_u64_e32 vcc_lo, 0x7f800000, v[10:11]
	v_lshrrev_b32_e32 v10, 24, v9
	s_and_saveexec_b32 s13, vcc_lo
	s_delay_alu instid0(SALU_CYCLE_1)
	s_xor_b32 s73, exec_lo, s13
	s_cbranch_execz .LBB2_1094
; %bb.1081:                             ;   in Loop: Header=BB2_132 Depth=3
	v_and_b32_e32 v18, 0x7fffffff, v9
	v_mov_b32_e32 v19, v3
	v_and_b32_e32 v41, 0x80, v10
                                        ; implicit-def: $vgpr8
	s_mov_b32 s13, exec_lo
	s_delay_alu instid0(VALU_DEP_2)
	v_cmpx_gt_u64_e32 0x47600001, v[18:19]
	s_xor_b32 s74, exec_lo, s13
	s_cbranch_execz .LBB2_1091
; %bb.1082:                             ;   in Loop: Header=BB2_132 Depth=3
	v_mov_b32_e32 v8, 0
	s_mov_b32 s75, exec_lo
	v_cmpx_ne_u32_e32 0, v9
	s_cbranch_execz .LBB2_1090
; %bb.1083:                             ;   in Loop: Header=BB2_132 Depth=3
	v_bfe_u32 v95, v9, 23, 8
	v_or_b32_e32 v10, 0x800000, v2
	s_mov_b32 s76, exec_lo
	s_delay_alu instid0(VALU_DEP_2) | instskip(SKIP_1) | instid1(VALU_DEP_2)
	v_dual_mov_b32 v11, v3 :: v_dual_sub_nc_u32 v8, 0x71, v95
	v_cmp_gt_u32_e32 vcc_lo, 0x72, v95
	v_cndmask_b32_e32 v8, 0, v8, vcc_lo
	v_cmp_eq_u32_e32 vcc_lo, 0, v95
	v_cndmask_b32_e32 v10, v10, v2, vcc_lo
	s_delay_alu instid0(VALU_DEP_3) | instskip(NEXT) | instid1(VALU_DEP_1)
	v_cndmask_b32_e64 v104, v8, 0x70, vcc_lo
	v_dual_add_nc_u32 v8, 21, v104 :: v_dual_add_nc_u32 v18, 20, v104
	s_delay_alu instid0(VALU_DEP_1) | instskip(NEXT) | instid1(VALU_DEP_2)
	v_lshlrev_b64_e64 v[8:9], v8, -1
	v_lshlrev_b64_e64 v[18:19], v18, 1
	s_delay_alu instid0(VALU_DEP_2) | instskip(NEXT) | instid1(VALU_DEP_3)
	v_bfi_b32 v125, v9, 0, 0
	v_bfi_b32 v124, v8, 0, v10
	v_lshrrev_b64 v[8:9], v104, v[10:11]
	s_delay_alu instid0(VALU_DEP_1) | instskip(NEXT) | instid1(VALU_DEP_3)
	v_mov_b64_e32 v[10:11], v[8:9]
	v_cmpx_eq_u64_e64 v[124:125], v[18:19]
; %bb.1084:                             ;   in Loop: Header=BB2_132 Depth=3
	v_bfe_u32 v10, v8, 21, 1
	v_mov_b32_e32 v11, v3
	s_delay_alu instid0(VALU_DEP_1) | instskip(NEXT) | instid1(VALU_DEP_1)
	v_add_nc_u64_e32 v[10:11], v[8:9], v[10:11]
	v_add_nc_u64_e32 v[10:11], -1, v[10:11]
; %bb.1085:                             ;   in Loop: Header=BB2_132 Depth=3
	s_or_b32 exec_lo, exec_lo, s76
	v_add_nc_u32_e32 v2, 0xffffff81, v95
	v_lshrrev_b32_e32 v9, 23, v8
	s_mov_b32 s13, exec_lo
	s_delay_alu instid0(VALU_DEP_2) | instskip(NEXT) | instid1(VALU_DEP_1)
	v_cndmask_b32_e64 v2, v2, 0xffffff82, vcc_lo
	v_add3_u32 v11, v104, v2, v9
	v_and_b32_e32 v2, 0x1fffff, v10
                                        ; implicit-def: $vgpr10
	s_delay_alu instid0(VALU_DEP_1) | instskip(NEXT) | instid1(VALU_DEP_1)
	v_dual_add_nc_u32 v95, 14, v11 :: v_dual_add_nc_u32 v2, v2, v8
                                        ; implicit-def: $vgpr8_vgpr9
	v_cmpx_ne_u32_e32 0, v95
	s_xor_b32 s13, exec_lo, s13
; %bb.1086:                             ;   in Loop: Header=BB2_132 Depth=3
	s_delay_alu instid0(VALU_DEP_2) | instskip(SKIP_1) | instid1(VALU_DEP_1)
	v_cmp_lt_u64_e32 vcc_lo, 0xffffff, v[2:3]
	v_add_nc_u32_e32 v8, 15, v11
	v_cndmask_b32_e32 v10, v95, v8, vcc_lo
	v_cndmask_b32_e64 v8, 0, 1, vcc_lo
	s_delay_alu instid0(VALU_DEP_1)
	v_lshrrev_b64 v[8:9], v8, v[2:3]
; %bb.1087:                             ;   in Loop: Header=BB2_132 Depth=3
	s_and_not1_saveexec_b32 s13, s13
; %bb.1088:                             ;   in Loop: Header=BB2_132 Depth=3
	v_mov_b64_e32 v[8:9], v[2:3]
	v_bfe_u32 v10, v2, 23, 1
; %bb.1089:                             ;   in Loop: Header=BB2_132 Depth=3
	s_or_b32 exec_lo, exec_lo, s13
	s_delay_alu instid0(VALU_DEP_2) | instskip(NEXT) | instid1(VALU_DEP_2)
	v_lshrrev_b64 v[8:9], 21, v[8:9]
	v_cmp_gt_i32_e32 vcc_lo, 32, v10
	v_min_i32_e32 v2, 31, v10
	v_cmp_eq_u32_e64 s13, 0, v10
	s_delay_alu instid0(VALU_DEP_2) | instskip(SKIP_1) | instid1(VALU_DEP_2)
	v_dual_cndmask_b32 v9, 0, v9 :: v_dual_lshlrev_b32 v2, 2, v2
	v_cndmask_b32_e32 v8, 3, v8, vcc_lo
	v_and_b32_e32 v2, 0xfc, v2
	s_delay_alu instid0(VALU_DEP_2) | instskip(NEXT) | instid1(VALU_DEP_2)
	v_cmp_eq_u64_e32 vcc_lo, 0, v[8:9]
	v_and_or_b32 v2, v8, 3, v2
	s_and_b32 s13, s13, vcc_lo
	s_delay_alu instid0(VALU_DEP_1) | instid1(SALU_CYCLE_1)
	v_cndmask_b32_e64 v2, v2, 0, s13
	s_delay_alu instid0(VALU_DEP_1)
	v_or_b32_e32 v8, v2, v41
.LBB2_1090:                             ;   in Loop: Header=BB2_132 Depth=3
	s_or_b32 exec_lo, exec_lo, s75
                                        ; implicit-def: $vgpr41
.LBB2_1091:                             ;   in Loop: Header=BB2_132 Depth=3
	s_and_not1_saveexec_b32 s13, s74
; %bb.1092:                             ;   in Loop: Header=BB2_132 Depth=3
	v_or_b32_e32 v8, 0x7b, v41
; %bb.1093:                             ;   in Loop: Header=BB2_132 Depth=3
	s_or_b32 exec_lo, exec_lo, s13
                                        ; implicit-def: $vgpr9
                                        ; implicit-def: $vgpr10
.LBB2_1094:                             ;   in Loop: Header=BB2_132 Depth=3
	s_and_not1_saveexec_b32 s13, s73
	s_cbranch_execz .LBB2_131
; %bb.1095:                             ;   in Loop: Header=BB2_132 Depth=3
	s_mov_b32 s73, exec_lo
                                        ; implicit-def: $vgpr8
	v_cmpx_ne_u64_e32 0, v[2:3]
	s_xor_b32 s73, exec_lo, s73
; %bb.1096:                             ;   in Loop: Header=BB2_132 Depth=3
	v_or_b32_e32 v8, 0x7f, v10
                                        ; implicit-def: $vgpr9
; %bb.1097:                             ;   in Loop: Header=BB2_132 Depth=3
	s_and_not1_saveexec_b32 s73, s73
	s_cbranch_execz .LBB2_130
; %bb.1098:                             ;   in Loop: Header=BB2_132 Depth=3
	v_cmp_lt_i32_e32 vcc_lo, -1, v9
	v_cndmask_b32_e32 v8, 0xfc, v120, vcc_lo
	s_branch .LBB2_130
.LBB2_1099:                             ;   in Loop: Header=BB2_57 Depth=2
	s_or_b32 exec_lo, exec_lo, s15
.LBB2_1100:                             ;   in Loop: Header=BB2_57 Depth=2
	s_delay_alu instid0(SALU_CYCLE_1) | instskip(SKIP_3) | instid1(VALU_DEP_1)
	s_or_b32 exec_lo, exec_lo, s14
	v_dual_lshlrev_b32 v16, 10, v46 :: v_dual_mov_b32 v42, 0
	s_mov_b32 s13, 0
	s_mov_b32 s15, exec_lo
                                        ; implicit-def: $vgpr43
                                        ; implicit-def: $vgpr17
	v_cmpx_ne_u32_e64 v101, v16
	s_cbranch_execz .LBB2_1594
; %bb.1101:                             ;   in Loop: Header=BB2_57 Depth=2
	v_dual_lshlrev_b32 v2, 5, v103 :: v_dual_sub_nc_u32 v9, v101, v16
	s_mov_b32 s63, exec_lo
	s_delay_alu instid0(VALU_DEP_1) | instskip(NEXT) | instid1(VALU_DEP_1)
	v_dual_sub_nc_u32 v2, v108, v2 :: v_dual_ashrrev_i32 v10, 31, v9
	v_ashrrev_i32_e32 v8, 31, v2
	s_delay_alu instid0(VALU_DEP_1) | instskip(NEXT) | instid1(VALU_DEP_1)
	v_dual_lshrrev_b32 v10, 23, v10 :: v_dual_lshrrev_b32 v8, 27, v8
	v_add_nc_u32_e32 v8, v2, v8
	s_delay_alu instid0(VALU_DEP_1) | instskip(NEXT) | instid1(VALU_DEP_1)
	v_and_b32_e32 v11, 0xffffffe0, v8
	v_dual_add_nc_u32 v10, v9, v10 :: v_dual_sub_nc_u32 v17, v2, v11
	s_delay_alu instid0(VALU_DEP_1) | instskip(SKIP_1) | instid1(VALU_DEP_2)
	v_and_b32_e32 v103, 0xfffffe00, v10
	v_dual_ashrrev_i32 v8, 5, v8 :: v_dual_ashrrev_i32 v10, 9, v10
	v_dual_lshlrev_b32 v2, 4, v17 :: v_dual_sub_nc_u32 v44, v9, v103
	s_delay_alu instid0(VALU_DEP_1) | instskip(NEXT) | instid1(VALU_DEP_2)
	v_lshl_add_u32 v2, v8, 9, v2
	v_cmp_lt_i32_e64 s13, 15, v44
	s_delay_alu instid0(VALU_DEP_1) | instskip(NEXT) | instid1(VALU_DEP_1)
	v_add_co_ci_u32_e64 v10, null, 0, v10, s13
	v_dual_sub_nc_u32 v46, v9, v2 :: v_dual_sub_nc_u32 v45, v10, v8
	s_delay_alu instid0(VALU_DEP_1)
	v_cmpx_lt_i32_e32 15, v46
	s_cbranch_execz .LBB2_1593
; %bb.1102:                             ;   in Loop: Header=BB2_57 Depth=2
	s_trap 2
	ds_load_b64 v[8:9], v0
	v_add_nc_u32_e32 v118, v2, v16
	s_delay_alu instid0(VALU_DEP_1)
	v_ashrrev_i32_e32 v119, 31, v118
	s_wait_dscnt 0x0
	v_readfirstlane_b32 s72, v8
	v_readfirstlane_b32 s73, v9
	s_and_b32 s74, s72, 3
	s_bfe_i32 s14, s72, 0x80000
	s_clz_i32_u32 s77, s74
	s_bfe_u32 s75, s72, 0x50002
	s_min_u32 s77, s77, 32
	s_and_b32 s76, s72, 0x7c
	s_sub_co_i32 s88, s77, 29
	s_lshl_b32 s78, s72, 24
	s_sext_i32_i8 s79, s72
	s_lshl_b64 s[72:73], s[72:73], s88
	s_and_b32 s78, s78, 0x80000000
	s_sub_co_i32 s73, 30, s77
	s_and_b32 s72, s72, 3
	s_cmp_gt_i32 s79, -1
	s_cselect_b32 s77, s47, 0xff800000
	s_cmp_eq_u32 s74, 0
	s_cselect_b32 s77, s77, 0x7f800001
	s_cmp_eq_u32 s75, 0
	s_cselect_b32 s73, s73, s75
	s_cselect_b32 s72, s72, s74
	s_lshl_b32 s73, s73, 23
	s_lshl_b32 s72, s72, 21
	s_add_co_i32 s73, s73, s78
	s_delay_alu instid0(SALU_CYCLE_1) | instskip(NEXT) | instid1(SALU_CYCLE_1)
	s_or_b32 s72, s73, s72
	s_add_co_i32 s73, s72, 0x38000000
	s_cmp_eq_u32 s76, 0x7c
	s_mov_b32 s72, 0
	s_cselect_b32 s73, s77, s73
	s_and_b32 s74, s14, 0xff
	s_branch .LBB2_1105
.LBB2_1103:                             ;   in Loop: Header=BB2_1105 Depth=3
	s_or_b32 exec_lo, exec_lo, s75
.LBB2_1104:                             ;   in Loop: Header=BB2_1105 Depth=3
	s_delay_alu instid0(SALU_CYCLE_1)
	s_or_b32 exec_lo, exec_lo, s14
	v_lshl_or_b32 v2, v60, 8, v59
	v_dual_lshlrev_b32 v9, 16, v42 :: v_dual_lshlrev_b32 v10, 24, v43
	v_sub_nc_u32_e32 v46, v46, v52
	v_lshl_or_b32 v11, v56, 8, v47
	v_lshl_or_b32 v41, v62, 8, v61
	v_dual_lshlrev_b32 v42, 16, v63 :: v_dual_lshlrev_b32 v43, 24, v72
	v_or3_b32 v9, v2, v9, v10
	v_dual_lshlrev_b32 v2, 16, v57 :: v_dual_lshlrev_b32 v10, 24, v58
	v_lshlrev_b32_e32 v47, 24, v8
	v_lshlrev_b32_e32 v40, 16, v40
	v_lshl_or_b32 v56, v74, 8, v73
	v_add_nc_u64_e32 v[18:19], v[116:117], v[118:119]
	v_cmp_gt_i32_e32 vcc_lo, 16, v46
	v_add_nc_u64_e32 v[118:119], v[118:119], v[52:53]
	v_or3_b32 v8, v11, v2, v10
	v_or3_b32 v10, v41, v42, v43
	;; [unrolled: 1-line block ×3, first 2 shown]
	v_sub_nc_u32_e32 v45, v45, v32
	s_or_b32 s72, vcc_lo, s72
	global_store_b128 v[18:19], v[8:11], off th:TH_STORE_NT
	s_wait_xcnt 0x0
	s_and_not1_b32 exec_lo, exec_lo, s72
	s_cbranch_execz .LBB2_1592
.LBB2_1105:                             ;   Parent Loop BB2_47 Depth=1
                                        ;     Parent Loop BB2_57 Depth=2
                                        ; =>    This Inner Loop Header: Depth=3
	s_cmp_lt_i32 s74, 0x80
	s_cbranch_scc1 .LBB2_1109
; %bb.1106:                             ;   in Loop: Header=BB2_1105 Depth=3
	s_and_b32 s14, 0xffff, s74
	s_delay_alu instid0(SALU_CYCLE_1)
	s_cmp_eq_u32 s14, 0x80
	s_mov_b32 s14, -1
	s_cbranch_scc0 .LBB2_1108
; %bb.1107:                             ;   in Loop: Header=BB2_1105 Depth=3
	s_mov_b32 s14, 0
.LBB2_1108:                             ;   in Loop: Header=BB2_1105 Depth=3
	s_brev_b32 s75, 1
	s_branch .LBB2_1111
.LBB2_1109:                             ;   in Loop: Header=BB2_1105 Depth=3
	s_mov_b32 s14, 0
	s_brev_b32 s75, 1
	s_cbranch_execz .LBB2_1111
; %bb.1110:                             ;   in Loop: Header=BB2_1105 Depth=3
	s_and_b32 s14, 0xffff, s74
	s_mov_b32 s75, 0
	s_cmp_lg_u32 s14, 0
	s_cselect_b32 s14, -1, 0
.LBB2_1111:                             ;   in Loop: Header=BB2_1105 Depth=3
	s_delay_alu instid0(SALU_CYCLE_1)
	s_and_not1_b32 vcc_lo, exec_lo, s14
	s_cbranch_vccnz .LBB2_1113
; %bb.1112:                             ;   in Loop: Header=BB2_1105 Depth=3
	s_mov_b32 s75, s73
.LBB2_1113:                             ;   in Loop: Header=BB2_1105 Depth=3
	v_add_nc_u64_e32 v[8:9], v[114:115], v[118:119]
	global_load_b128 v[8:11], v[8:9], off th:TH_LOAD_NT
	s_wait_loadcnt 0x0
	v_and_b32_e32 v2, 0xff, v8
	s_delay_alu instid0(VALU_DEP_1)
	v_cmp_ne_u16_e32 vcc_lo, 0, v2
	v_mov_b32_e32 v2, 0
	s_wait_xcnt 0x0
	s_and_saveexec_b32 s14, vcc_lo
	s_cbranch_execz .LBB2_1123
; %bb.1114:                             ;   in Loop: Header=BB2_1105 Depth=3
	v_bfe_i32 v41, v8, 0, 8
	v_bfrev_b32_e32 v2, 1
	s_mov_b32 s76, exec_lo
	s_delay_alu instid0(VALU_DEP_2)
	v_cmpx_ne_u16_e32 0xff80, v41
	s_cbranch_execz .LBB2_1122
; %bb.1115:                             ;   in Loop: Header=BB2_1105 Depth=3
	v_and_b32_e32 v2, 0x7c, v8
	v_and_b32_e32 v40, 3, v8
	s_delay_alu instid0(VALU_DEP_2) | instskip(SKIP_1) | instid1(SALU_CYCLE_1)
	v_cmp_ne_u32_e32 vcc_lo, 0x7c, v2
                                        ; implicit-def: $vgpr2
	s_and_saveexec_b32 s77, vcc_lo
	s_xor_b32 s77, exec_lo, s77
	s_cbranch_execz .LBB2_1119
; %bb.1116:                             ;   in Loop: Header=BB2_1105 Depth=3
	v_bfe_u32 v2, v8, 2, 5
	s_mov_b32 s78, exec_lo
	s_delay_alu instid0(VALU_DEP_1)
	v_cmpx_eq_u32_e32 0, v2
; %bb.1117:                             ;   in Loop: Header=BB2_1105 Depth=3
	v_clz_i32_u32_e32 v2, v40
	s_delay_alu instid0(VALU_DEP_1) | instskip(NEXT) | instid1(VALU_DEP_1)
	v_min_u32_e32 v2, 32, v2
	v_subrev_nc_u32_e32 v18, 29, v2
	v_sub_nc_u32_e32 v2, 30, v2
	s_delay_alu instid0(VALU_DEP_2) | instskip(NEXT) | instid1(VALU_DEP_1)
	v_lshlrev_b64_e32 v[18:19], v18, v[8:9]
	v_and_b32_e32 v40, 3, v18
; %bb.1118:                             ;   in Loop: Header=BB2_1105 Depth=3
	s_or_b32 exec_lo, exec_lo, s78
	v_lshlrev_b32_e32 v18, 24, v8
                                        ; implicit-def: $vgpr41
	s_delay_alu instid0(VALU_DEP_1) | instskip(NEXT) | instid1(VALU_DEP_1)
	v_and_b32_e32 v18, 0x80000000, v18
	v_lshl_add_u32 v2, v2, 23, v18
	s_delay_alu instid0(VALU_DEP_1) | instskip(NEXT) | instid1(VALU_DEP_1)
	v_lshl_or_b32 v2, v40, 21, v2
                                        ; implicit-def: $vgpr40
	v_add_nc_u32_e32 v2, 0x38000000, v2
.LBB2_1119:                             ;   in Loop: Header=BB2_1105 Depth=3
	s_and_not1_saveexec_b32 s77, s77
; %bb.1120:                             ;   in Loop: Header=BB2_1105 Depth=3
	v_cmp_lt_i16_e32 vcc_lo, -1, v41
	v_cndmask_b32_e32 v2, 0xff800000, v111, vcc_lo
	v_cmp_eq_u32_e32 vcc_lo, 0, v40
	s_delay_alu instid0(VALU_DEP_2)
	v_cndmask_b32_e32 v2, 0x7f800001, v2, vcc_lo
; %bb.1121:                             ;   in Loop: Header=BB2_1105 Depth=3
	s_or_b32 exec_lo, exec_lo, s77
.LBB2_1122:                             ;   in Loop: Header=BB2_1105 Depth=3
	s_delay_alu instid0(SALU_CYCLE_1)
	s_or_b32 exec_lo, exec_lo, s76
.LBB2_1123:                             ;   in Loop: Header=BB2_1105 Depth=3
	s_delay_alu instid0(SALU_CYCLE_1) | instskip(NEXT) | instid1(VALU_DEP_1)
	s_or_b32 exec_lo, exec_lo, s14
	v_dual_mul_f32 v40, s75, v2 :: v_dual_mov_b32 v19, v3
                                        ; implicit-def: $vgpr47
	s_mov_b32 s14, exec_lo
	s_delay_alu instid0(VALU_DEP_1) | instskip(SKIP_2) | instid1(VALU_DEP_3)
	v_and_b32_e32 v18, 0x7f800000, v40
	v_and_b32_e32 v2, 0x7fffff, v40
	v_lshrrev_b32_e32 v41, 24, v40
	v_cmpx_ne_u64_e32 0x7f800000, v[18:19]
	s_xor_b32 s76, exec_lo, s14
	s_cbranch_execz .LBB2_1137
; %bb.1124:                             ;   in Loop: Header=BB2_1105 Depth=3
	v_and_b32_e32 v18, 0x7fffffff, v40
	v_mov_b32_e32 v19, v3
	v_and_b32_e32 v56, 0x80, v41
                                        ; implicit-def: $vgpr47
	s_mov_b32 s14, exec_lo
	s_delay_alu instid0(VALU_DEP_2)
	v_cmpx_gt_u64_e32 0x47600001, v[18:19]
	s_xor_b32 s77, exec_lo, s14
	s_cbranch_execz .LBB2_1134
; %bb.1125:                             ;   in Loop: Header=BB2_1105 Depth=3
	v_mov_b32_e32 v47, 0
	s_mov_b32 s78, exec_lo
	v_cmpx_ne_u32_e32 0, v40
	s_cbranch_execz .LBB2_1133
; %bb.1126:                             ;   in Loop: Header=BB2_1105 Depth=3
	v_bfe_u32 v47, v40, 23, 8
	v_or_b32_e32 v40, 0x800000, v2
	s_delay_alu instid0(VALU_DEP_2) | instskip(SKIP_1) | instid1(VALU_DEP_2)
	v_dual_mov_b32 v41, v3 :: v_dual_sub_nc_u32 v18, 0x71, v47
	v_cmp_gt_u32_e32 vcc_lo, 0x72, v47
	v_cndmask_b32_e32 v18, 0, v18, vcc_lo
	v_cmp_eq_u32_e32 vcc_lo, 0, v47
	s_delay_alu instid0(VALU_DEP_2) | instskip(NEXT) | instid1(VALU_DEP_1)
	v_cndmask_b32_e64 v57, v18, 0x70, vcc_lo
	v_dual_cndmask_b32 v40, v40, v2, vcc_lo :: v_dual_add_nc_u32 v18, 21, v57
	v_add_nc_u32_e32 v42, 20, v57
	s_delay_alu instid0(VALU_DEP_2) | instskip(NEXT) | instid1(VALU_DEP_2)
	v_lshlrev_b64_e64 v[18:19], v18, -1
	v_lshlrev_b64_e64 v[42:43], v42, 1
	s_delay_alu instid0(VALU_DEP_2) | instskip(SKIP_1) | instid1(VALU_DEP_4)
	v_bfi_b32 v18, v18, 0, v40
	v_lshrrev_b64 v[40:41], v57, v[40:41]
	v_bfi_b32 v19, v19, 0, 0
	s_delay_alu instid0(VALU_DEP_1) | instskip(NEXT) | instid1(VALU_DEP_3)
	v_cmp_eq_u64_e64 s14, v[18:19], v[42:43]
	v_mov_b64_e32 v[42:43], v[40:41]
	s_and_saveexec_b32 s79, s14
; %bb.1127:                             ;   in Loop: Header=BB2_1105 Depth=3
	v_bfe_u32 v18, v40, 21, 1
	v_mov_b32_e32 v19, v3
	s_delay_alu instid0(VALU_DEP_1) | instskip(NEXT) | instid1(VALU_DEP_1)
	v_add_nc_u64_e32 v[18:19], v[40:41], v[18:19]
	v_add_nc_u64_e32 v[42:43], -1, v[18:19]
; %bb.1128:                             ;   in Loop: Header=BB2_1105 Depth=3
	s_or_b32 exec_lo, exec_lo, s79
	v_add_nc_u32_e32 v2, 0xffffff81, v47
	v_lshrrev_b32_e32 v18, 23, v40
	s_mov_b32 s14, exec_lo
	s_delay_alu instid0(VALU_DEP_2) | instskip(NEXT) | instid1(VALU_DEP_1)
	v_cndmask_b32_e64 v2, v2, 0xffffff82, vcc_lo
	v_add3_u32 v43, v57, v2, v18
	v_and_b32_e32 v2, 0x1fffff, v42
                                        ; implicit-def: $vgpr42
	s_delay_alu instid0(VALU_DEP_1) | instskip(NEXT) | instid1(VALU_DEP_1)
	v_dual_add_nc_u32 v47, 14, v43 :: v_dual_add_nc_u32 v2, v2, v40
                                        ; implicit-def: $vgpr40_vgpr41
	v_cmpx_ne_u32_e32 0, v47
	s_xor_b32 s14, exec_lo, s14
; %bb.1129:                             ;   in Loop: Header=BB2_1105 Depth=3
	s_delay_alu instid0(VALU_DEP_2) | instskip(SKIP_1) | instid1(VALU_DEP_1)
	v_cmp_lt_u64_e32 vcc_lo, 0xffffff, v[2:3]
	v_add_nc_u32_e32 v18, 15, v43
	v_cndmask_b32_e32 v42, v47, v18, vcc_lo
	v_cndmask_b32_e64 v18, 0, 1, vcc_lo
	s_delay_alu instid0(VALU_DEP_1)
	v_lshrrev_b64 v[40:41], v18, v[2:3]
; %bb.1130:                             ;   in Loop: Header=BB2_1105 Depth=3
	s_and_not1_saveexec_b32 s14, s14
; %bb.1131:                             ;   in Loop: Header=BB2_1105 Depth=3
	v_mov_b64_e32 v[40:41], v[2:3]
	v_bfe_u32 v42, v2, 23, 1
; %bb.1132:                             ;   in Loop: Header=BB2_1105 Depth=3
	s_or_b32 exec_lo, exec_lo, s14
	s_delay_alu instid0(VALU_DEP_2) | instskip(NEXT) | instid1(VALU_DEP_2)
	v_lshrrev_b64 v[18:19], 21, v[40:41]
	v_cmp_gt_i32_e32 vcc_lo, 32, v42
	v_min_i32_e32 v2, 31, v42
	v_cmp_eq_u32_e64 s14, 0, v42
	s_delay_alu instid0(VALU_DEP_2) | instskip(SKIP_1) | instid1(VALU_DEP_2)
	v_dual_cndmask_b32 v19, 0, v19 :: v_dual_lshlrev_b32 v2, 2, v2
	v_cndmask_b32_e32 v18, 3, v18, vcc_lo
	v_and_b32_e32 v2, 0xfc, v2
	s_delay_alu instid0(VALU_DEP_2) | instskip(NEXT) | instid1(VALU_DEP_2)
	v_cmp_eq_u64_e32 vcc_lo, 0, v[18:19]
	v_and_or_b32 v2, v18, 3, v2
	s_and_b32 s14, s14, vcc_lo
	s_delay_alu instid0(VALU_DEP_1) | instid1(SALU_CYCLE_1)
	v_cndmask_b32_e64 v2, v2, 0, s14
	s_delay_alu instid0(VALU_DEP_1)
	v_or_b32_e32 v47, v2, v56
.LBB2_1133:                             ;   in Loop: Header=BB2_1105 Depth=3
	s_or_b32 exec_lo, exec_lo, s78
                                        ; implicit-def: $vgpr56
.LBB2_1134:                             ;   in Loop: Header=BB2_1105 Depth=3
	s_and_not1_saveexec_b32 s14, s77
; %bb.1135:                             ;   in Loop: Header=BB2_1105 Depth=3
	v_or_b32_e32 v47, 0x7b, v56
; %bb.1136:                             ;   in Loop: Header=BB2_1105 Depth=3
	s_or_b32 exec_lo, exec_lo, s14
                                        ; implicit-def: $vgpr40
                                        ; implicit-def: $vgpr41
.LBB2_1137:                             ;   in Loop: Header=BB2_1105 Depth=3
	s_and_not1_saveexec_b32 s14, s76
	s_cbranch_execz .LBB2_1143
; %bb.1138:                             ;   in Loop: Header=BB2_1105 Depth=3
	s_mov_b32 s76, exec_lo
                                        ; implicit-def: $vgpr47
	v_cmpx_ne_u64_e32 0, v[2:3]
	s_xor_b32 s76, exec_lo, s76
; %bb.1139:                             ;   in Loop: Header=BB2_1105 Depth=3
	v_or_b32_e32 v47, 0x7f, v41
                                        ; implicit-def: $vgpr40
; %bb.1140:                             ;   in Loop: Header=BB2_1105 Depth=3
	s_and_not1_saveexec_b32 s76, s76
; %bb.1141:                             ;   in Loop: Header=BB2_1105 Depth=3
	v_cmp_lt_i32_e32 vcc_lo, -1, v40
	v_cndmask_b32_e32 v47, 0xfc, v120, vcc_lo
; %bb.1142:                             ;   in Loop: Header=BB2_1105 Depth=3
	s_or_b32 exec_lo, exec_lo, s76
.LBB2_1143:                             ;   in Loop: Header=BB2_1105 Depth=3
	s_delay_alu instid0(SALU_CYCLE_1) | instskip(SKIP_3) | instid1(VALU_DEP_2)
	s_or_b32 exec_lo, exec_lo, s14
	v_lshrrev_b16 v40, 8, v8
	v_mov_b32_e32 v41, 0
	s_mov_b32 s14, exec_lo
	v_cmpx_ne_u16_e32 0, v40
	s_cbranch_execz .LBB2_1153
; %bb.1144:                             ;   in Loop: Header=BB2_1105 Depth=3
	v_bfrev_b32_e32 v41, 1
	s_mov_b32 s76, exec_lo
	v_cmpx_ne_u16_e32 0x80, v40
	s_cbranch_execz .LBB2_1152
; %bb.1145:                             ;   in Loop: Header=BB2_1105 Depth=3
	v_and_b32_e32 v42, 0xffff, v40
	s_mov_b32 s77, exec_lo
                                        ; implicit-def: $vgpr41
	s_delay_alu instid0(VALU_DEP_1) | instskip(SKIP_1) | instid1(VALU_DEP_2)
	v_and_b32_e32 v18, 0x7c, v42
	v_and_b32_e32 v2, 3, v42
	v_cmpx_ne_u32_e32 0x7c, v18
	s_xor_b32 s77, exec_lo, s77
	s_cbranch_execz .LBB2_1149
; %bb.1146:                             ;   in Loop: Header=BB2_1105 Depth=3
	v_bfe_u32 v41, v42, 2, 5
	s_mov_b32 s78, exec_lo
	s_delay_alu instid0(VALU_DEP_1)
	v_cmpx_eq_u32_e32 0, v41
	s_cbranch_execz .LBB2_1148
; %bb.1147:                             ;   in Loop: Header=BB2_1105 Depth=3
	v_clz_i32_u32_e32 v2, v2
	v_mov_b32_e32 v41, v3
	s_delay_alu instid0(VALU_DEP_2) | instskip(NEXT) | instid1(VALU_DEP_1)
	v_min_u32_e32 v2, 32, v2
	v_subrev_nc_u32_e32 v18, 29, v2
	s_delay_alu instid0(VALU_DEP_1) | instskip(SKIP_1) | instid1(VALU_DEP_2)
	v_lshlrev_b64_e32 v[18:19], v18, v[40:41]
	v_sub_nc_u32_e32 v41, 30, v2
	v_and_b32_e32 v2, 3, v18
.LBB2_1148:                             ;   in Loop: Header=BB2_1105 Depth=3
	s_or_b32 exec_lo, exec_lo, s78
	v_lshlrev_b32_e32 v18, 16, v8
	s_delay_alu instid0(VALU_DEP_1) | instskip(NEXT) | instid1(VALU_DEP_1)
	v_and_b32_e32 v18, 0x80000000, v18
	v_lshl_add_u32 v18, v41, 23, v18
	s_delay_alu instid0(VALU_DEP_1) | instskip(NEXT) | instid1(VALU_DEP_1)
	v_lshl_or_b32 v2, v2, 21, v18
	v_add_nc_u32_e32 v41, 0x38000000, v2
                                        ; implicit-def: $vgpr2
.LBB2_1149:                             ;   in Loop: Header=BB2_1105 Depth=3
	s_and_not1_saveexec_b32 s77, s77
; %bb.1150:                             ;   in Loop: Header=BB2_1105 Depth=3
	v_cmp_lt_i16_e32 vcc_lo, -1, v8
	v_cndmask_b32_e32 v18, 0xff800000, v111, vcc_lo
	v_cmp_eq_u32_e32 vcc_lo, 0, v2
	s_delay_alu instid0(VALU_DEP_2)
	v_cndmask_b32_e32 v41, 0x7f800001, v18, vcc_lo
; %bb.1151:                             ;   in Loop: Header=BB2_1105 Depth=3
	s_or_b32 exec_lo, exec_lo, s77
.LBB2_1152:                             ;   in Loop: Header=BB2_1105 Depth=3
	s_delay_alu instid0(SALU_CYCLE_1)
	s_or_b32 exec_lo, exec_lo, s76
.LBB2_1153:                             ;   in Loop: Header=BB2_1105 Depth=3
	s_delay_alu instid0(SALU_CYCLE_1) | instskip(NEXT) | instid1(VALU_DEP_1)
	s_or_b32 exec_lo, exec_lo, s14
	v_dual_mul_f32 v40, s75, v41 :: v_dual_mov_b32 v19, v3
                                        ; implicit-def: $vgpr56
	s_mov_b32 s14, exec_lo
	s_delay_alu instid0(VALU_DEP_1) | instskip(SKIP_2) | instid1(VALU_DEP_3)
	v_and_b32_e32 v18, 0x7f800000, v40
	v_and_b32_e32 v2, 0x7fffff, v40
	v_lshrrev_b32_e32 v41, 24, v40
	v_cmpx_ne_u64_e32 0x7f800000, v[18:19]
	s_xor_b32 s76, exec_lo, s14
	s_cbranch_execz .LBB2_1167
; %bb.1154:                             ;   in Loop: Header=BB2_1105 Depth=3
	v_and_b32_e32 v18, 0x7fffffff, v40
	v_mov_b32_e32 v19, v3
	v_and_b32_e32 v57, 0x80, v41
                                        ; implicit-def: $vgpr56
	s_mov_b32 s14, exec_lo
	s_delay_alu instid0(VALU_DEP_2)
	v_cmpx_gt_u64_e32 0x47600001, v[18:19]
	s_xor_b32 s77, exec_lo, s14
	s_cbranch_execz .LBB2_1164
; %bb.1155:                             ;   in Loop: Header=BB2_1105 Depth=3
	v_mov_b32_e32 v56, 0
	s_mov_b32 s78, exec_lo
	v_cmpx_ne_u32_e32 0, v40
	s_cbranch_execz .LBB2_1163
; %bb.1156:                             ;   in Loop: Header=BB2_1105 Depth=3
	v_bfe_u32 v56, v40, 23, 8
	v_or_b32_e32 v40, 0x800000, v2
	s_delay_alu instid0(VALU_DEP_2) | instskip(SKIP_1) | instid1(VALU_DEP_2)
	v_dual_mov_b32 v41, v3 :: v_dual_sub_nc_u32 v18, 0x71, v56
	v_cmp_gt_u32_e32 vcc_lo, 0x72, v56
	v_cndmask_b32_e32 v18, 0, v18, vcc_lo
	v_cmp_eq_u32_e32 vcc_lo, 0, v56
	s_delay_alu instid0(VALU_DEP_2) | instskip(SKIP_1) | instid1(VALU_DEP_2)
	v_cndmask_b32_e64 v58, v18, 0x70, vcc_lo
	v_cndmask_b32_e32 v40, v40, v2, vcc_lo
	v_dual_add_nc_u32 v18, 21, v58 :: v_dual_add_nc_u32 v42, 20, v58
	s_delay_alu instid0(VALU_DEP_1) | instskip(NEXT) | instid1(VALU_DEP_2)
	v_lshlrev_b64_e64 v[18:19], v18, -1
	v_lshlrev_b64_e64 v[42:43], v42, 1
	s_delay_alu instid0(VALU_DEP_2) | instskip(SKIP_1) | instid1(VALU_DEP_4)
	v_bfi_b32 v18, v18, 0, v40
	v_lshrrev_b64 v[40:41], v58, v[40:41]
	v_bfi_b32 v19, v19, 0, 0
	s_delay_alu instid0(VALU_DEP_1) | instskip(NEXT) | instid1(VALU_DEP_3)
	v_cmp_eq_u64_e64 s14, v[18:19], v[42:43]
	v_mov_b64_e32 v[42:43], v[40:41]
	s_and_saveexec_b32 s79, s14
; %bb.1157:                             ;   in Loop: Header=BB2_1105 Depth=3
	v_bfe_u32 v18, v40, 21, 1
	v_mov_b32_e32 v19, v3
	s_delay_alu instid0(VALU_DEP_1) | instskip(NEXT) | instid1(VALU_DEP_1)
	v_add_nc_u64_e32 v[18:19], v[40:41], v[18:19]
	v_add_nc_u64_e32 v[42:43], -1, v[18:19]
; %bb.1158:                             ;   in Loop: Header=BB2_1105 Depth=3
	s_or_b32 exec_lo, exec_lo, s79
	v_add_nc_u32_e32 v2, 0xffffff81, v56
	v_lshrrev_b32_e32 v18, 23, v40
	s_mov_b32 s14, exec_lo
	s_delay_alu instid0(VALU_DEP_2) | instskip(NEXT) | instid1(VALU_DEP_1)
	v_cndmask_b32_e64 v2, v2, 0xffffff82, vcc_lo
	v_add3_u32 v43, v58, v2, v18
	v_and_b32_e32 v2, 0x1fffff, v42
                                        ; implicit-def: $vgpr42
	s_delay_alu instid0(VALU_DEP_1) | instskip(NEXT) | instid1(VALU_DEP_1)
	v_dual_add_nc_u32 v56, 14, v43 :: v_dual_add_nc_u32 v2, v2, v40
                                        ; implicit-def: $vgpr40_vgpr41
	v_cmpx_ne_u32_e32 0, v56
	s_xor_b32 s14, exec_lo, s14
; %bb.1159:                             ;   in Loop: Header=BB2_1105 Depth=3
	s_delay_alu instid0(VALU_DEP_2) | instskip(SKIP_1) | instid1(VALU_DEP_1)
	v_cmp_lt_u64_e32 vcc_lo, 0xffffff, v[2:3]
	v_add_nc_u32_e32 v18, 15, v43
	v_cndmask_b32_e32 v42, v56, v18, vcc_lo
	v_cndmask_b32_e64 v18, 0, 1, vcc_lo
	s_delay_alu instid0(VALU_DEP_1)
	v_lshrrev_b64 v[40:41], v18, v[2:3]
; %bb.1160:                             ;   in Loop: Header=BB2_1105 Depth=3
	s_and_not1_saveexec_b32 s14, s14
; %bb.1161:                             ;   in Loop: Header=BB2_1105 Depth=3
	v_mov_b64_e32 v[40:41], v[2:3]
	v_bfe_u32 v42, v2, 23, 1
; %bb.1162:                             ;   in Loop: Header=BB2_1105 Depth=3
	s_or_b32 exec_lo, exec_lo, s14
	s_delay_alu instid0(VALU_DEP_2) | instskip(NEXT) | instid1(VALU_DEP_2)
	v_lshrrev_b64 v[18:19], 21, v[40:41]
	v_cmp_gt_i32_e32 vcc_lo, 32, v42
	v_min_i32_e32 v2, 31, v42
	v_cmp_eq_u32_e64 s14, 0, v42
	s_delay_alu instid0(VALU_DEP_2) | instskip(SKIP_1) | instid1(VALU_DEP_2)
	v_dual_cndmask_b32 v19, 0, v19 :: v_dual_lshlrev_b32 v2, 2, v2
	v_cndmask_b32_e32 v18, 3, v18, vcc_lo
	v_and_b32_e32 v2, 0xfc, v2
	s_delay_alu instid0(VALU_DEP_2) | instskip(NEXT) | instid1(VALU_DEP_2)
	v_cmp_eq_u64_e32 vcc_lo, 0, v[18:19]
	v_and_or_b32 v2, v18, 3, v2
	s_and_b32 s14, s14, vcc_lo
	s_delay_alu instid0(VALU_DEP_1) | instid1(SALU_CYCLE_1)
	v_cndmask_b32_e64 v2, v2, 0, s14
	s_delay_alu instid0(VALU_DEP_1)
	v_or_b32_e32 v56, v2, v57
.LBB2_1163:                             ;   in Loop: Header=BB2_1105 Depth=3
	s_or_b32 exec_lo, exec_lo, s78
                                        ; implicit-def: $vgpr57
.LBB2_1164:                             ;   in Loop: Header=BB2_1105 Depth=3
	s_and_not1_saveexec_b32 s14, s77
; %bb.1165:                             ;   in Loop: Header=BB2_1105 Depth=3
	v_or_b32_e32 v56, 0x7b, v57
; %bb.1166:                             ;   in Loop: Header=BB2_1105 Depth=3
	s_or_b32 exec_lo, exec_lo, s14
                                        ; implicit-def: $vgpr40
                                        ; implicit-def: $vgpr41
.LBB2_1167:                             ;   in Loop: Header=BB2_1105 Depth=3
	s_and_not1_saveexec_b32 s14, s76
	s_cbranch_execz .LBB2_1173
; %bb.1168:                             ;   in Loop: Header=BB2_1105 Depth=3
	s_mov_b32 s76, exec_lo
                                        ; implicit-def: $vgpr56
	v_cmpx_ne_u64_e32 0, v[2:3]
	s_xor_b32 s76, exec_lo, s76
; %bb.1169:                             ;   in Loop: Header=BB2_1105 Depth=3
	v_or_b32_e32 v56, 0x7f, v41
                                        ; implicit-def: $vgpr40
; %bb.1170:                             ;   in Loop: Header=BB2_1105 Depth=3
	s_and_not1_saveexec_b32 s76, s76
; %bb.1171:                             ;   in Loop: Header=BB2_1105 Depth=3
	v_cmp_lt_i32_e32 vcc_lo, -1, v40
	v_cndmask_b32_e32 v56, 0xfc, v120, vcc_lo
; %bb.1172:                             ;   in Loop: Header=BB2_1105 Depth=3
	s_or_b32 exec_lo, exec_lo, s76
.LBB2_1173:                             ;   in Loop: Header=BB2_1105 Depth=3
	s_delay_alu instid0(SALU_CYCLE_1) | instskip(SKIP_2) | instid1(VALU_DEP_1)
	s_or_b32 exec_lo, exec_lo, s14
	v_dual_lshrrev_b32 v2, 16, v8 :: v_dual_mov_b32 v40, 0
	s_mov_b32 s14, exec_lo
	v_and_b32_e32 v41, 0xff, v2
	s_delay_alu instid0(VALU_DEP_1)
	v_cmpx_ne_u16_e32 0, v41
	s_cbranch_execz .LBB2_1183
; %bb.1174:                             ;   in Loop: Header=BB2_1105 Depth=3
	v_bfrev_b32_e32 v40, 1
	s_mov_b32 s76, exec_lo
	v_cmpx_ne_u16_e32 0x80, v41
	s_cbranch_execz .LBB2_1182
; %bb.1175:                             ;   in Loop: Header=BB2_1105 Depth=3
	v_and_b32_e32 v18, 0x7c0000, v8
	v_bfe_u32 v41, v8, 16, 2
	s_mov_b32 s77, exec_lo
                                        ; implicit-def: $vgpr40
	s_delay_alu instid0(VALU_DEP_2)
	v_cmpx_ne_u32_e32 0x7c0000, v18
	s_xor_b32 s77, exec_lo, s77
	s_cbranch_execz .LBB2_1179
; %bb.1176:                             ;   in Loop: Header=BB2_1105 Depth=3
	v_bfe_u32 v40, v8, 18, 5
	s_mov_b32 s78, exec_lo
	s_delay_alu instid0(VALU_DEP_1)
	v_cmpx_eq_u32_e32 0, v40
; %bb.1177:                             ;   in Loop: Header=BB2_1105 Depth=3
	v_clz_i32_u32_e32 v18, v41
	s_delay_alu instid0(VALU_DEP_1) | instskip(NEXT) | instid1(VALU_DEP_1)
	v_min_u32_e32 v40, 32, v18
	v_subrev_nc_u32_e32 v18, 29, v40
	s_delay_alu instid0(VALU_DEP_1) | instskip(NEXT) | instid1(VALU_DEP_1)
	v_lshlrev_b64_e32 v[18:19], v18, v[2:3]
	v_dual_sub_nc_u32 v40, 30, v40 :: v_dual_bitop2_b32 v41, 3, v18 bitop3:0x40
; %bb.1178:                             ;   in Loop: Header=BB2_1105 Depth=3
	s_or_b32 exec_lo, exec_lo, s78
	v_lshlrev_b32_e32 v2, 24, v2
	s_delay_alu instid0(VALU_DEP_1) | instskip(NEXT) | instid1(VALU_DEP_1)
	v_and_b32_e32 v2, 0x80000000, v2
	v_lshl_add_u32 v2, v40, 23, v2
	s_delay_alu instid0(VALU_DEP_1) | instskip(NEXT) | instid1(VALU_DEP_1)
	v_lshl_or_b32 v2, v41, 21, v2
                                        ; implicit-def: $vgpr41
	v_add_nc_u32_e32 v40, 0x38000000, v2
                                        ; implicit-def: $vgpr2
.LBB2_1179:                             ;   in Loop: Header=BB2_1105 Depth=3
	s_and_not1_saveexec_b32 s77, s77
; %bb.1180:                             ;   in Loop: Header=BB2_1105 Depth=3
	v_bfe_i32 v2, v2, 0, 8
	s_delay_alu instid0(VALU_DEP_1) | instskip(SKIP_2) | instid1(VALU_DEP_2)
	v_cmp_lt_i16_e32 vcc_lo, -1, v2
	v_cndmask_b32_e32 v2, 0xff800000, v111, vcc_lo
	v_cmp_eq_u32_e32 vcc_lo, 0, v41
	v_cndmask_b32_e32 v40, 0x7f800001, v2, vcc_lo
; %bb.1181:                             ;   in Loop: Header=BB2_1105 Depth=3
	s_or_b32 exec_lo, exec_lo, s77
.LBB2_1182:                             ;   in Loop: Header=BB2_1105 Depth=3
	s_delay_alu instid0(SALU_CYCLE_1)
	s_or_b32 exec_lo, exec_lo, s76
.LBB2_1183:                             ;   in Loop: Header=BB2_1105 Depth=3
	s_delay_alu instid0(SALU_CYCLE_1) | instskip(NEXT) | instid1(VALU_DEP_1)
	s_or_b32 exec_lo, exec_lo, s14
	v_dual_mul_f32 v40, s75, v40 :: v_dual_mov_b32 v19, v3
                                        ; implicit-def: $vgpr57
	s_mov_b32 s14, exec_lo
	s_delay_alu instid0(VALU_DEP_1) | instskip(SKIP_2) | instid1(VALU_DEP_3)
	v_and_b32_e32 v18, 0x7f800000, v40
	v_and_b32_e32 v2, 0x7fffff, v40
	v_lshrrev_b32_e32 v41, 24, v40
	v_cmpx_ne_u64_e32 0x7f800000, v[18:19]
	s_xor_b32 s76, exec_lo, s14
	s_cbranch_execz .LBB2_1197
; %bb.1184:                             ;   in Loop: Header=BB2_1105 Depth=3
	v_and_b32_e32 v18, 0x7fffffff, v40
	v_mov_b32_e32 v19, v3
	v_and_b32_e32 v58, 0x80, v41
                                        ; implicit-def: $vgpr57
	s_mov_b32 s14, exec_lo
	s_delay_alu instid0(VALU_DEP_2)
	v_cmpx_gt_u64_e32 0x47600001, v[18:19]
	s_xor_b32 s77, exec_lo, s14
	s_cbranch_execz .LBB2_1194
; %bb.1185:                             ;   in Loop: Header=BB2_1105 Depth=3
	v_mov_b32_e32 v57, 0
	s_mov_b32 s78, exec_lo
	v_cmpx_ne_u32_e32 0, v40
	s_cbranch_execz .LBB2_1193
; %bb.1186:                             ;   in Loop: Header=BB2_1105 Depth=3
	v_bfe_u32 v57, v40, 23, 8
	v_or_b32_e32 v40, 0x800000, v2
	s_delay_alu instid0(VALU_DEP_2) | instskip(SKIP_1) | instid1(VALU_DEP_2)
	v_dual_mov_b32 v41, v3 :: v_dual_sub_nc_u32 v18, 0x71, v57
	v_cmp_gt_u32_e32 vcc_lo, 0x72, v57
	v_cndmask_b32_e32 v18, 0, v18, vcc_lo
	v_cmp_eq_u32_e32 vcc_lo, 0, v57
	s_delay_alu instid0(VALU_DEP_2) | instskip(NEXT) | instid1(VALU_DEP_1)
	v_cndmask_b32_e64 v59, v18, 0x70, vcc_lo
	v_dual_cndmask_b32 v40, v40, v2, vcc_lo :: v_dual_add_nc_u32 v18, 21, v59
	v_add_nc_u32_e32 v42, 20, v59
	s_delay_alu instid0(VALU_DEP_2) | instskip(NEXT) | instid1(VALU_DEP_2)
	v_lshlrev_b64_e64 v[18:19], v18, -1
	v_lshlrev_b64_e64 v[42:43], v42, 1
	s_delay_alu instid0(VALU_DEP_2) | instskip(SKIP_1) | instid1(VALU_DEP_4)
	v_bfi_b32 v18, v18, 0, v40
	v_lshrrev_b64 v[40:41], v59, v[40:41]
	v_bfi_b32 v19, v19, 0, 0
	s_delay_alu instid0(VALU_DEP_1) | instskip(NEXT) | instid1(VALU_DEP_3)
	v_cmp_eq_u64_e64 s14, v[18:19], v[42:43]
	v_mov_b64_e32 v[42:43], v[40:41]
	s_and_saveexec_b32 s79, s14
; %bb.1187:                             ;   in Loop: Header=BB2_1105 Depth=3
	v_bfe_u32 v18, v40, 21, 1
	v_mov_b32_e32 v19, v3
	s_delay_alu instid0(VALU_DEP_1) | instskip(NEXT) | instid1(VALU_DEP_1)
	v_add_nc_u64_e32 v[18:19], v[40:41], v[18:19]
	v_add_nc_u64_e32 v[42:43], -1, v[18:19]
; %bb.1188:                             ;   in Loop: Header=BB2_1105 Depth=3
	s_or_b32 exec_lo, exec_lo, s79
	v_add_nc_u32_e32 v2, 0xffffff81, v57
	v_lshrrev_b32_e32 v18, 23, v40
	s_mov_b32 s14, exec_lo
	s_delay_alu instid0(VALU_DEP_2) | instskip(NEXT) | instid1(VALU_DEP_1)
	v_cndmask_b32_e64 v2, v2, 0xffffff82, vcc_lo
	v_add3_u32 v43, v59, v2, v18
	v_and_b32_e32 v2, 0x1fffff, v42
                                        ; implicit-def: $vgpr42
	s_delay_alu instid0(VALU_DEP_1) | instskip(NEXT) | instid1(VALU_DEP_1)
	v_dual_add_nc_u32 v57, 14, v43 :: v_dual_add_nc_u32 v2, v2, v40
                                        ; implicit-def: $vgpr40_vgpr41
	v_cmpx_ne_u32_e32 0, v57
	s_xor_b32 s14, exec_lo, s14
; %bb.1189:                             ;   in Loop: Header=BB2_1105 Depth=3
	s_delay_alu instid0(VALU_DEP_2) | instskip(SKIP_1) | instid1(VALU_DEP_1)
	v_cmp_lt_u64_e32 vcc_lo, 0xffffff, v[2:3]
	v_add_nc_u32_e32 v18, 15, v43
	v_cndmask_b32_e32 v42, v57, v18, vcc_lo
	v_cndmask_b32_e64 v18, 0, 1, vcc_lo
	s_delay_alu instid0(VALU_DEP_1)
	v_lshrrev_b64 v[40:41], v18, v[2:3]
; %bb.1190:                             ;   in Loop: Header=BB2_1105 Depth=3
	s_and_not1_saveexec_b32 s14, s14
; %bb.1191:                             ;   in Loop: Header=BB2_1105 Depth=3
	v_mov_b64_e32 v[40:41], v[2:3]
	v_bfe_u32 v42, v2, 23, 1
; %bb.1192:                             ;   in Loop: Header=BB2_1105 Depth=3
	s_or_b32 exec_lo, exec_lo, s14
	s_delay_alu instid0(VALU_DEP_2) | instskip(NEXT) | instid1(VALU_DEP_2)
	v_lshrrev_b64 v[18:19], 21, v[40:41]
	v_cmp_gt_i32_e32 vcc_lo, 32, v42
	v_min_i32_e32 v2, 31, v42
	v_cmp_eq_u32_e64 s14, 0, v42
	s_delay_alu instid0(VALU_DEP_2) | instskip(SKIP_1) | instid1(VALU_DEP_2)
	v_dual_cndmask_b32 v19, 0, v19 :: v_dual_lshlrev_b32 v2, 2, v2
	v_cndmask_b32_e32 v18, 3, v18, vcc_lo
	v_and_b32_e32 v2, 0xfc, v2
	s_delay_alu instid0(VALU_DEP_2) | instskip(NEXT) | instid1(VALU_DEP_2)
	v_cmp_eq_u64_e32 vcc_lo, 0, v[18:19]
	v_and_or_b32 v2, v18, 3, v2
	s_and_b32 s14, s14, vcc_lo
	s_delay_alu instid0(VALU_DEP_1) | instid1(SALU_CYCLE_1)
	v_cndmask_b32_e64 v2, v2, 0, s14
	s_delay_alu instid0(VALU_DEP_1)
	v_or_b32_e32 v57, v2, v58
.LBB2_1193:                             ;   in Loop: Header=BB2_1105 Depth=3
	s_or_b32 exec_lo, exec_lo, s78
                                        ; implicit-def: $vgpr58
.LBB2_1194:                             ;   in Loop: Header=BB2_1105 Depth=3
	s_and_not1_saveexec_b32 s14, s77
; %bb.1195:                             ;   in Loop: Header=BB2_1105 Depth=3
	v_or_b32_e32 v57, 0x7b, v58
; %bb.1196:                             ;   in Loop: Header=BB2_1105 Depth=3
	s_or_b32 exec_lo, exec_lo, s14
                                        ; implicit-def: $vgpr40
                                        ; implicit-def: $vgpr41
.LBB2_1197:                             ;   in Loop: Header=BB2_1105 Depth=3
	s_and_not1_saveexec_b32 s14, s76
	s_cbranch_execz .LBB2_1203
; %bb.1198:                             ;   in Loop: Header=BB2_1105 Depth=3
	s_mov_b32 s76, exec_lo
                                        ; implicit-def: $vgpr57
	v_cmpx_ne_u64_e32 0, v[2:3]
	s_xor_b32 s76, exec_lo, s76
; %bb.1199:                             ;   in Loop: Header=BB2_1105 Depth=3
	v_or_b32_e32 v57, 0x7f, v41
                                        ; implicit-def: $vgpr40
; %bb.1200:                             ;   in Loop: Header=BB2_1105 Depth=3
	s_and_not1_saveexec_b32 s76, s76
; %bb.1201:                             ;   in Loop: Header=BB2_1105 Depth=3
	v_cmp_lt_i32_e32 vcc_lo, -1, v40
	v_cndmask_b32_e32 v57, 0xfc, v120, vcc_lo
; %bb.1202:                             ;   in Loop: Header=BB2_1105 Depth=3
	s_or_b32 exec_lo, exec_lo, s76
.LBB2_1203:                             ;   in Loop: Header=BB2_1105 Depth=3
	s_delay_alu instid0(SALU_CYCLE_1)
	s_or_b32 exec_lo, exec_lo, s14
	v_mov_b32_e32 v40, 0
	s_mov_b32 s14, exec_lo
	v_cmpx_lt_u32_e32 0xffffff, v8
	s_cbranch_execz .LBB2_1213
; %bb.1204:                             ;   in Loop: Header=BB2_1105 Depth=3
	v_lshrrev_b32_e32 v2, 24, v8
	v_bfrev_b32_e32 v40, 1
	s_mov_b32 s76, exec_lo
	s_delay_alu instid0(VALU_DEP_2)
	v_cmpx_ne_u32_e32 0x80, v2
	s_cbranch_execz .LBB2_1212
; %bb.1205:                             ;   in Loop: Header=BB2_1105 Depth=3
	v_and_b32_e32 v18, 0x7c000000, v8
	v_bfe_u32 v41, v8, 24, 2
	s_mov_b32 s77, exec_lo
                                        ; implicit-def: $vgpr40
	s_delay_alu instid0(VALU_DEP_2)
	v_cmpx_ne_u32_e32 0x7c000000, v18
	s_xor_b32 s77, exec_lo, s77
	s_cbranch_execz .LBB2_1209
; %bb.1206:                             ;   in Loop: Header=BB2_1105 Depth=3
	v_bfe_u32 v40, v8, 26, 5
	s_mov_b32 s78, exec_lo
	s_delay_alu instid0(VALU_DEP_1)
	v_cmpx_eq_u32_e32 0, v40
; %bb.1207:                             ;   in Loop: Header=BB2_1105 Depth=3
	v_clz_i32_u32_e32 v18, v41
	s_delay_alu instid0(VALU_DEP_1) | instskip(NEXT) | instid1(VALU_DEP_1)
	v_min_u32_e32 v40, 32, v18
	v_subrev_nc_u32_e32 v18, 29, v40
	s_delay_alu instid0(VALU_DEP_1) | instskip(NEXT) | instid1(VALU_DEP_1)
	v_lshlrev_b64_e32 v[18:19], v18, v[2:3]
	v_dual_sub_nc_u32 v40, 30, v40 :: v_dual_bitop2_b32 v41, 3, v18 bitop3:0x40
; %bb.1208:                             ;   in Loop: Header=BB2_1105 Depth=3
	s_or_b32 exec_lo, exec_lo, s78
	v_and_b32_e32 v2, 0x80000000, v8
	s_delay_alu instid0(VALU_DEP_1) | instskip(NEXT) | instid1(VALU_DEP_1)
	v_lshl_add_u32 v2, v40, 23, v2
	v_lshl_or_b32 v2, v41, 21, v2
                                        ; implicit-def: $vgpr41
	s_delay_alu instid0(VALU_DEP_1)
	v_add_nc_u32_e32 v40, 0x38000000, v2
.LBB2_1209:                             ;   in Loop: Header=BB2_1105 Depth=3
	s_and_not1_saveexec_b32 s77, s77
; %bb.1210:                             ;   in Loop: Header=BB2_1105 Depth=3
	v_cmp_lt_i32_e32 vcc_lo, -1, v8
	v_cndmask_b32_e32 v2, 0xff800000, v111, vcc_lo
	v_cmp_eq_u32_e32 vcc_lo, 0, v41
	s_delay_alu instid0(VALU_DEP_2)
	v_cndmask_b32_e32 v40, 0x7f800001, v2, vcc_lo
; %bb.1211:                             ;   in Loop: Header=BB2_1105 Depth=3
	s_or_b32 exec_lo, exec_lo, s77
.LBB2_1212:                             ;   in Loop: Header=BB2_1105 Depth=3
	s_delay_alu instid0(SALU_CYCLE_1)
	s_or_b32 exec_lo, exec_lo, s76
.LBB2_1213:                             ;   in Loop: Header=BB2_1105 Depth=3
	s_delay_alu instid0(SALU_CYCLE_1) | instskip(NEXT) | instid1(VALU_DEP_1)
	s_or_b32 exec_lo, exec_lo, s14
	v_dual_mul_f32 v40, s75, v40 :: v_dual_mov_b32 v19, v3
                                        ; implicit-def: $vgpr58
	s_mov_b32 s14, exec_lo
	s_delay_alu instid0(VALU_DEP_1) | instskip(SKIP_2) | instid1(VALU_DEP_3)
	v_and_b32_e32 v18, 0x7f800000, v40
	v_and_b32_e32 v2, 0x7fffff, v40
	v_lshrrev_b32_e32 v41, 24, v40
	v_cmpx_ne_u64_e32 0x7f800000, v[18:19]
	s_xor_b32 s76, exec_lo, s14
	s_cbranch_execz .LBB2_1227
; %bb.1214:                             ;   in Loop: Header=BB2_1105 Depth=3
	v_and_b32_e32 v18, 0x7fffffff, v40
	v_mov_b32_e32 v19, v3
	v_and_b32_e32 v59, 0x80, v41
                                        ; implicit-def: $vgpr58
	s_mov_b32 s14, exec_lo
	s_delay_alu instid0(VALU_DEP_2)
	v_cmpx_gt_u64_e32 0x47600001, v[18:19]
	s_xor_b32 s77, exec_lo, s14
	s_cbranch_execz .LBB2_1224
; %bb.1215:                             ;   in Loop: Header=BB2_1105 Depth=3
	v_mov_b32_e32 v58, 0
	s_mov_b32 s78, exec_lo
	v_cmpx_ne_u32_e32 0, v40
	s_cbranch_execz .LBB2_1223
; %bb.1216:                             ;   in Loop: Header=BB2_1105 Depth=3
	v_bfe_u32 v58, v40, 23, 8
	v_or_b32_e32 v40, 0x800000, v2
	s_delay_alu instid0(VALU_DEP_2) | instskip(SKIP_1) | instid1(VALU_DEP_2)
	v_dual_mov_b32 v41, v3 :: v_dual_sub_nc_u32 v18, 0x71, v58
	v_cmp_gt_u32_e32 vcc_lo, 0x72, v58
	v_cndmask_b32_e32 v18, 0, v18, vcc_lo
	v_cmp_eq_u32_e32 vcc_lo, 0, v58
	s_delay_alu instid0(VALU_DEP_2) | instskip(NEXT) | instid1(VALU_DEP_1)
	v_cndmask_b32_e64 v60, v18, 0x70, vcc_lo
	v_dual_cndmask_b32 v40, v40, v2, vcc_lo :: v_dual_add_nc_u32 v18, 21, v60
	v_add_nc_u32_e32 v42, 20, v60
	s_delay_alu instid0(VALU_DEP_2) | instskip(NEXT) | instid1(VALU_DEP_2)
	v_lshlrev_b64_e64 v[18:19], v18, -1
	v_lshlrev_b64_e64 v[42:43], v42, 1
	s_delay_alu instid0(VALU_DEP_2) | instskip(SKIP_1) | instid1(VALU_DEP_4)
	v_bfi_b32 v18, v18, 0, v40
	v_lshrrev_b64 v[40:41], v60, v[40:41]
	v_bfi_b32 v19, v19, 0, 0
	s_delay_alu instid0(VALU_DEP_1) | instskip(NEXT) | instid1(VALU_DEP_3)
	v_cmp_eq_u64_e64 s14, v[18:19], v[42:43]
	v_mov_b64_e32 v[42:43], v[40:41]
	s_and_saveexec_b32 s79, s14
; %bb.1217:                             ;   in Loop: Header=BB2_1105 Depth=3
	v_bfe_u32 v18, v40, 21, 1
	v_mov_b32_e32 v19, v3
	s_delay_alu instid0(VALU_DEP_1) | instskip(NEXT) | instid1(VALU_DEP_1)
	v_add_nc_u64_e32 v[18:19], v[40:41], v[18:19]
	v_add_nc_u64_e32 v[42:43], -1, v[18:19]
; %bb.1218:                             ;   in Loop: Header=BB2_1105 Depth=3
	s_or_b32 exec_lo, exec_lo, s79
	v_add_nc_u32_e32 v2, 0xffffff81, v58
	v_lshrrev_b32_e32 v18, 23, v40
	s_mov_b32 s14, exec_lo
	s_delay_alu instid0(VALU_DEP_2) | instskip(NEXT) | instid1(VALU_DEP_1)
	v_cndmask_b32_e64 v2, v2, 0xffffff82, vcc_lo
	v_add3_u32 v43, v60, v2, v18
	v_and_b32_e32 v2, 0x1fffff, v42
                                        ; implicit-def: $vgpr42
	s_delay_alu instid0(VALU_DEP_1) | instskip(NEXT) | instid1(VALU_DEP_1)
	v_dual_add_nc_u32 v58, 14, v43 :: v_dual_add_nc_u32 v2, v2, v40
                                        ; implicit-def: $vgpr40_vgpr41
	v_cmpx_ne_u32_e32 0, v58
	s_xor_b32 s14, exec_lo, s14
; %bb.1219:                             ;   in Loop: Header=BB2_1105 Depth=3
	s_delay_alu instid0(VALU_DEP_2) | instskip(SKIP_1) | instid1(VALU_DEP_1)
	v_cmp_lt_u64_e32 vcc_lo, 0xffffff, v[2:3]
	v_add_nc_u32_e32 v18, 15, v43
	v_cndmask_b32_e32 v42, v58, v18, vcc_lo
	v_cndmask_b32_e64 v18, 0, 1, vcc_lo
	s_delay_alu instid0(VALU_DEP_1)
	v_lshrrev_b64 v[40:41], v18, v[2:3]
; %bb.1220:                             ;   in Loop: Header=BB2_1105 Depth=3
	s_and_not1_saveexec_b32 s14, s14
; %bb.1221:                             ;   in Loop: Header=BB2_1105 Depth=3
	v_mov_b64_e32 v[40:41], v[2:3]
	v_bfe_u32 v42, v2, 23, 1
; %bb.1222:                             ;   in Loop: Header=BB2_1105 Depth=3
	s_or_b32 exec_lo, exec_lo, s14
	s_delay_alu instid0(VALU_DEP_2) | instskip(NEXT) | instid1(VALU_DEP_2)
	v_lshrrev_b64 v[18:19], 21, v[40:41]
	v_cmp_gt_i32_e32 vcc_lo, 32, v42
	v_min_i32_e32 v2, 31, v42
	v_cmp_eq_u32_e64 s14, 0, v42
	s_delay_alu instid0(VALU_DEP_2) | instskip(SKIP_1) | instid1(VALU_DEP_2)
	v_dual_cndmask_b32 v19, 0, v19 :: v_dual_lshlrev_b32 v2, 2, v2
	v_cndmask_b32_e32 v18, 3, v18, vcc_lo
	v_and_b32_e32 v2, 0xfc, v2
	s_delay_alu instid0(VALU_DEP_2) | instskip(NEXT) | instid1(VALU_DEP_2)
	v_cmp_eq_u64_e32 vcc_lo, 0, v[18:19]
	v_and_or_b32 v2, v18, 3, v2
	s_and_b32 s14, s14, vcc_lo
	s_delay_alu instid0(VALU_DEP_1) | instid1(SALU_CYCLE_1)
	v_cndmask_b32_e64 v2, v2, 0, s14
	s_delay_alu instid0(VALU_DEP_1)
	v_or_b32_e32 v58, v2, v59
.LBB2_1223:                             ;   in Loop: Header=BB2_1105 Depth=3
	s_or_b32 exec_lo, exec_lo, s78
                                        ; implicit-def: $vgpr59
.LBB2_1224:                             ;   in Loop: Header=BB2_1105 Depth=3
	s_and_not1_saveexec_b32 s14, s77
; %bb.1225:                             ;   in Loop: Header=BB2_1105 Depth=3
	v_or_b32_e32 v58, 0x7b, v59
; %bb.1226:                             ;   in Loop: Header=BB2_1105 Depth=3
	s_or_b32 exec_lo, exec_lo, s14
                                        ; implicit-def: $vgpr40
                                        ; implicit-def: $vgpr41
.LBB2_1227:                             ;   in Loop: Header=BB2_1105 Depth=3
	s_and_not1_saveexec_b32 s14, s76
	s_cbranch_execz .LBB2_1233
; %bb.1228:                             ;   in Loop: Header=BB2_1105 Depth=3
	s_mov_b32 s76, exec_lo
                                        ; implicit-def: $vgpr58
	v_cmpx_ne_u64_e32 0, v[2:3]
	s_xor_b32 s76, exec_lo, s76
; %bb.1229:                             ;   in Loop: Header=BB2_1105 Depth=3
	v_or_b32_e32 v58, 0x7f, v41
                                        ; implicit-def: $vgpr40
; %bb.1230:                             ;   in Loop: Header=BB2_1105 Depth=3
	s_and_not1_saveexec_b32 s76, s76
; %bb.1231:                             ;   in Loop: Header=BB2_1105 Depth=3
	v_cmp_lt_i32_e32 vcc_lo, -1, v40
	v_cndmask_b32_e32 v58, 0xfc, v120, vcc_lo
; %bb.1232:                             ;   in Loop: Header=BB2_1105 Depth=3
	s_or_b32 exec_lo, exec_lo, s76
.LBB2_1233:                             ;   in Loop: Header=BB2_1105 Depth=3
	s_delay_alu instid0(SALU_CYCLE_1) | instskip(SKIP_3) | instid1(VALU_DEP_2)
	s_or_b32 exec_lo, exec_lo, s14
	v_and_b32_e32 v41, 0xff, v9
	v_dual_mov_b32 v2, v9 :: v_dual_mov_b32 v40, 0
	s_mov_b32 s14, exec_lo
	v_cmpx_ne_u16_e32 0, v41
	s_cbranch_execz .LBB2_1243
; %bb.1234:                             ;   in Loop: Header=BB2_1105 Depth=3
	v_bfrev_b32_e32 v40, 1
	s_mov_b32 s76, exec_lo
	v_cmpx_ne_u16_e32 0x80, v41
	s_cbranch_execz .LBB2_1242
; %bb.1235:                             ;   in Loop: Header=BB2_1105 Depth=3
	v_and_b32_e32 v18, 0x7c, v9
	v_and_b32_e32 v41, 3, v9
	s_mov_b32 s77, exec_lo
                                        ; implicit-def: $vgpr40
	s_delay_alu instid0(VALU_DEP_2)
	v_cmpx_ne_u32_e32 0x7c, v18
	s_xor_b32 s77, exec_lo, s77
	s_cbranch_execz .LBB2_1239
; %bb.1236:                             ;   in Loop: Header=BB2_1105 Depth=3
	v_bfe_u32 v40, v9, 2, 5
	s_mov_b32 s78, exec_lo
	s_delay_alu instid0(VALU_DEP_1)
	v_cmpx_eq_u32_e32 0, v40
; %bb.1237:                             ;   in Loop: Header=BB2_1105 Depth=3
	v_clz_i32_u32_e32 v18, v41
	s_delay_alu instid0(VALU_DEP_1) | instskip(NEXT) | instid1(VALU_DEP_1)
	v_min_u32_e32 v40, 32, v18
	v_subrev_nc_u32_e32 v18, 29, v40
	s_delay_alu instid0(VALU_DEP_1) | instskip(NEXT) | instid1(VALU_DEP_1)
	v_lshlrev_b64_e32 v[18:19], v18, v[2:3]
	v_dual_sub_nc_u32 v40, 30, v40 :: v_dual_bitop2_b32 v41, 3, v18 bitop3:0x40
; %bb.1238:                             ;   in Loop: Header=BB2_1105 Depth=3
	s_or_b32 exec_lo, exec_lo, s78
	v_lshlrev_b32_e32 v18, 24, v9
	s_delay_alu instid0(VALU_DEP_1) | instskip(NEXT) | instid1(VALU_DEP_1)
	v_and_b32_e32 v18, 0x80000000, v18
	v_lshl_add_u32 v18, v40, 23, v18
	s_delay_alu instid0(VALU_DEP_1) | instskip(NEXT) | instid1(VALU_DEP_1)
	v_lshl_or_b32 v18, v41, 21, v18
                                        ; implicit-def: $vgpr41
	v_add_nc_u32_e32 v40, 0x38000000, v18
.LBB2_1239:                             ;   in Loop: Header=BB2_1105 Depth=3
	s_and_not1_saveexec_b32 s77, s77
; %bb.1240:                             ;   in Loop: Header=BB2_1105 Depth=3
	v_bfe_i32 v18, v9, 0, 8
	s_delay_alu instid0(VALU_DEP_1) | instskip(SKIP_2) | instid1(VALU_DEP_2)
	v_cmp_lt_i16_e32 vcc_lo, -1, v18
	v_cndmask_b32_e32 v18, 0xff800000, v111, vcc_lo
	v_cmp_eq_u32_e32 vcc_lo, 0, v41
	v_cndmask_b32_e32 v40, 0x7f800001, v18, vcc_lo
; %bb.1241:                             ;   in Loop: Header=BB2_1105 Depth=3
	s_or_b32 exec_lo, exec_lo, s77
.LBB2_1242:                             ;   in Loop: Header=BB2_1105 Depth=3
	s_delay_alu instid0(SALU_CYCLE_1)
	s_or_b32 exec_lo, exec_lo, s76
.LBB2_1243:                             ;   in Loop: Header=BB2_1105 Depth=3
	s_delay_alu instid0(SALU_CYCLE_1) | instskip(NEXT) | instid1(VALU_DEP_1)
	s_or_b32 exec_lo, exec_lo, s14
	v_dual_mul_f32 v42, s75, v40 :: v_dual_mov_b32 v19, v3
	v_mov_b32_e32 v41, v3
                                        ; implicit-def: $vgpr59
	s_mov_b32 s14, exec_lo
	s_delay_alu instid0(VALU_DEP_2) | instskip(SKIP_2) | instid1(VALU_DEP_3)
	v_and_b32_e32 v18, 0x7f800000, v42
	v_and_b32_e32 v40, 0x7fffff, v42
	v_lshrrev_b32_e32 v43, 24, v42
	v_cmpx_ne_u64_e32 0x7f800000, v[18:19]
	s_xor_b32 s76, exec_lo, s14
	s_cbranch_execz .LBB2_1257
; %bb.1244:                             ;   in Loop: Header=BB2_1105 Depth=3
	v_and_b32_e32 v18, 0x7fffffff, v42
	v_mov_b32_e32 v19, v3
	v_and_b32_e32 v60, 0x80, v43
                                        ; implicit-def: $vgpr59
	s_mov_b32 s14, exec_lo
	s_delay_alu instid0(VALU_DEP_2)
	v_cmpx_gt_u64_e32 0x47600001, v[18:19]
	s_xor_b32 s77, exec_lo, s14
	s_cbranch_execz .LBB2_1254
; %bb.1245:                             ;   in Loop: Header=BB2_1105 Depth=3
	v_mov_b32_e32 v59, 0
	s_mov_b32 s78, exec_lo
	v_cmpx_ne_u32_e32 0, v42
	s_cbranch_execz .LBB2_1253
; %bb.1246:                             ;   in Loop: Header=BB2_1105 Depth=3
	v_bfe_u32 v59, v42, 23, 8
	v_or_b32_e32 v42, 0x800000, v40
	s_delay_alu instid0(VALU_DEP_2) | instskip(SKIP_1) | instid1(VALU_DEP_2)
	v_sub_nc_u32_e32 v18, 0x71, v59
	v_cmp_gt_u32_e32 vcc_lo, 0x72, v59
	v_cndmask_b32_e32 v18, 0, v18, vcc_lo
	v_cmp_eq_u32_e32 vcc_lo, 0, v59
	s_delay_alu instid0(VALU_DEP_2) | instskip(NEXT) | instid1(VALU_DEP_1)
	v_cndmask_b32_e64 v61, v18, 0x70, vcc_lo
	v_dual_cndmask_b32 v40, v42, v40, vcc_lo :: v_dual_add_nc_u32 v18, 21, v61
	v_add_nc_u32_e32 v43, 20, v61
	s_delay_alu instid0(VALU_DEP_2) | instskip(NEXT) | instid1(VALU_DEP_2)
	v_lshlrev_b64_e64 v[18:19], v18, -1
	v_lshlrev_b64_e64 v[42:43], v43, 1
	s_delay_alu instid0(VALU_DEP_2) | instskip(SKIP_1) | instid1(VALU_DEP_4)
	v_bfi_b32 v18, v18, 0, v40
	v_lshrrev_b64 v[40:41], v61, v[40:41]
	v_bfi_b32 v19, v19, 0, 0
	s_delay_alu instid0(VALU_DEP_1) | instskip(NEXT) | instid1(VALU_DEP_3)
	v_cmp_eq_u64_e64 s14, v[18:19], v[42:43]
	v_mov_b64_e32 v[42:43], v[40:41]
	s_and_saveexec_b32 s79, s14
; %bb.1247:                             ;   in Loop: Header=BB2_1105 Depth=3
	v_bfe_u32 v18, v40, 21, 1
	v_mov_b32_e32 v19, v3
	s_delay_alu instid0(VALU_DEP_1) | instskip(NEXT) | instid1(VALU_DEP_1)
	v_add_nc_u64_e32 v[18:19], v[40:41], v[18:19]
	v_add_nc_u64_e32 v[42:43], -1, v[18:19]
; %bb.1248:                             ;   in Loop: Header=BB2_1105 Depth=3
	s_or_b32 exec_lo, exec_lo, s79
	v_dual_mov_b32 v41, v3 :: v_dual_add_nc_u32 v18, 0xffffff81, v59
	v_lshrrev_b32_e32 v19, 23, v40
	s_mov_b32 s14, exec_lo
	s_delay_alu instid0(VALU_DEP_2) | instskip(NEXT) | instid1(VALU_DEP_1)
	v_cndmask_b32_e64 v18, v18, 0xffffff82, vcc_lo
	v_add3_u32 v43, v61, v18, v19
	v_and_b32_e32 v18, 0x1fffff, v42
                                        ; implicit-def: $vgpr42
	s_delay_alu instid0(VALU_DEP_1) | instskip(NEXT) | instid1(VALU_DEP_1)
	v_dual_add_nc_u32 v59, 14, v43 :: v_dual_add_nc_u32 v40, v18, v40
	v_cmpx_ne_u32_e32 0, v59
	s_xor_b32 s14, exec_lo, s14
; %bb.1249:                             ;   in Loop: Header=BB2_1105 Depth=3
	s_delay_alu instid0(VALU_DEP_2) | instskip(SKIP_1) | instid1(VALU_DEP_1)
	v_cmp_lt_u64_e32 vcc_lo, 0xffffff, v[40:41]
	v_add_nc_u32_e32 v18, 15, v43
	v_cndmask_b32_e32 v42, v59, v18, vcc_lo
	v_cndmask_b32_e64 v18, 0, 1, vcc_lo
	s_delay_alu instid0(VALU_DEP_1)
	v_lshrrev_b64 v[40:41], v18, v[40:41]
; %bb.1250:                             ;   in Loop: Header=BB2_1105 Depth=3
	s_and_not1_saveexec_b32 s14, s14
; %bb.1251:                             ;   in Loop: Header=BB2_1105 Depth=3
	s_delay_alu instid0(VALU_DEP_1)
	v_bfe_u32 v42, v40, 23, 1
; %bb.1252:                             ;   in Loop: Header=BB2_1105 Depth=3
	s_or_b32 exec_lo, exec_lo, s14
	s_delay_alu instid0(VALU_DEP_2) | instskip(NEXT) | instid1(VALU_DEP_2)
	v_lshrrev_b64 v[18:19], 21, v[40:41]
	v_cmp_gt_i32_e32 vcc_lo, 32, v42
	v_min_i32_e32 v40, 31, v42
	v_cmp_eq_u32_e64 s14, 0, v42
	s_delay_alu instid0(VALU_DEP_2) | instskip(SKIP_1) | instid1(VALU_DEP_2)
	v_dual_cndmask_b32 v19, 0, v19 :: v_dual_lshlrev_b32 v40, 2, v40
	v_cndmask_b32_e32 v18, 3, v18, vcc_lo
	v_and_b32_e32 v40, 0xfc, v40
	s_delay_alu instid0(VALU_DEP_2) | instskip(NEXT) | instid1(VALU_DEP_2)
	v_cmp_eq_u64_e32 vcc_lo, 0, v[18:19]
	v_and_or_b32 v18, v18, 3, v40
	s_and_b32 s14, s14, vcc_lo
	s_delay_alu instid0(VALU_DEP_1) | instid1(SALU_CYCLE_1)
	v_cndmask_b32_e64 v18, v18, 0, s14
	s_delay_alu instid0(VALU_DEP_1)
	v_or_b32_e32 v59, v18, v60
.LBB2_1253:                             ;   in Loop: Header=BB2_1105 Depth=3
	s_or_b32 exec_lo, exec_lo, s78
                                        ; implicit-def: $vgpr60
.LBB2_1254:                             ;   in Loop: Header=BB2_1105 Depth=3
	s_and_not1_saveexec_b32 s14, s77
; %bb.1255:                             ;   in Loop: Header=BB2_1105 Depth=3
	v_or_b32_e32 v59, 0x7b, v60
; %bb.1256:                             ;   in Loop: Header=BB2_1105 Depth=3
	s_or_b32 exec_lo, exec_lo, s14
                                        ; implicit-def: $vgpr42
                                        ; implicit-def: $vgpr40_vgpr41
                                        ; implicit-def: $vgpr43
.LBB2_1257:                             ;   in Loop: Header=BB2_1105 Depth=3
	s_and_not1_saveexec_b32 s14, s76
	s_cbranch_execz .LBB2_1263
; %bb.1258:                             ;   in Loop: Header=BB2_1105 Depth=3
	s_mov_b32 s76, exec_lo
                                        ; implicit-def: $vgpr59
	v_cmpx_ne_u64_e32 0, v[40:41]
	s_xor_b32 s76, exec_lo, s76
; %bb.1259:                             ;   in Loop: Header=BB2_1105 Depth=3
	v_or_b32_e32 v59, 0x7f, v43
                                        ; implicit-def: $vgpr42
; %bb.1260:                             ;   in Loop: Header=BB2_1105 Depth=3
	s_and_not1_saveexec_b32 s76, s76
; %bb.1261:                             ;   in Loop: Header=BB2_1105 Depth=3
	v_cmp_lt_i32_e32 vcc_lo, -1, v42
	v_cndmask_b32_e32 v59, 0xfc, v120, vcc_lo
; %bb.1262:                             ;   in Loop: Header=BB2_1105 Depth=3
	s_or_b32 exec_lo, exec_lo, s76
.LBB2_1263:                             ;   in Loop: Header=BB2_1105 Depth=3
	s_delay_alu instid0(SALU_CYCLE_1) | instskip(SKIP_3) | instid1(VALU_DEP_2)
	s_or_b32 exec_lo, exec_lo, s14
	v_lshrrev_b16 v40, 8, v2
	v_mov_b32_e32 v42, 0
	s_mov_b32 s14, exec_lo
	v_cmpx_ne_u16_e32 0, v40
	s_cbranch_execz .LBB2_1273
; %bb.1264:                             ;   in Loop: Header=BB2_1105 Depth=3
	v_bfrev_b32_e32 v42, 1
	s_mov_b32 s76, exec_lo
	v_cmpx_ne_u16_e32 0x80, v40
	s_cbranch_execz .LBB2_1272
; %bb.1265:                             ;   in Loop: Header=BB2_1105 Depth=3
	v_and_b32_e32 v43, 0xffff, v40
	s_mov_b32 s77, exec_lo
                                        ; implicit-def: $vgpr42
	s_delay_alu instid0(VALU_DEP_1) | instskip(SKIP_1) | instid1(VALU_DEP_2)
	v_and_b32_e32 v18, 0x7c, v43
	v_and_b32_e32 v41, 3, v43
	v_cmpx_ne_u32_e32 0x7c, v18
	s_xor_b32 s77, exec_lo, s77
	s_cbranch_execz .LBB2_1269
; %bb.1266:                             ;   in Loop: Header=BB2_1105 Depth=3
	v_bfe_u32 v42, v43, 2, 5
	s_mov_b32 s78, exec_lo
	s_delay_alu instid0(VALU_DEP_1)
	v_cmpx_eq_u32_e32 0, v42
	s_cbranch_execz .LBB2_1268
; %bb.1267:                             ;   in Loop: Header=BB2_1105 Depth=3
	v_clz_i32_u32_e32 v18, v41
	s_delay_alu instid0(VALU_DEP_1) | instskip(SKIP_1) | instid1(VALU_DEP_2)
	v_min_u32_e32 v42, 32, v18
	v_mov_b32_e32 v41, v3
	v_subrev_nc_u32_e32 v18, 29, v42
	v_sub_nc_u32_e32 v42, 30, v42
	s_delay_alu instid0(VALU_DEP_2) | instskip(NEXT) | instid1(VALU_DEP_1)
	v_lshlrev_b64_e32 v[18:19], v18, v[40:41]
	v_and_b32_e32 v41, 3, v18
.LBB2_1268:                             ;   in Loop: Header=BB2_1105 Depth=3
	s_or_b32 exec_lo, exec_lo, s78
	v_lshlrev_b32_e32 v2, 16, v2
	s_delay_alu instid0(VALU_DEP_1) | instskip(NEXT) | instid1(VALU_DEP_1)
	v_and_b32_e32 v2, 0x80000000, v2
	v_lshl_add_u32 v2, v42, 23, v2
	s_delay_alu instid0(VALU_DEP_1) | instskip(NEXT) | instid1(VALU_DEP_1)
	v_lshl_or_b32 v2, v41, 21, v2
                                        ; implicit-def: $vgpr41
	v_add_nc_u32_e32 v42, 0x38000000, v2
.LBB2_1269:                             ;   in Loop: Header=BB2_1105 Depth=3
	s_and_not1_saveexec_b32 s77, s77
; %bb.1270:                             ;   in Loop: Header=BB2_1105 Depth=3
	v_cmp_lt_i16_e32 vcc_lo, -1, v2
	v_cndmask_b32_e32 v2, 0xff800000, v111, vcc_lo
	v_cmp_eq_u32_e32 vcc_lo, 0, v41
	s_delay_alu instid0(VALU_DEP_2)
	v_cndmask_b32_e32 v42, 0x7f800001, v2, vcc_lo
; %bb.1271:                             ;   in Loop: Header=BB2_1105 Depth=3
	s_or_b32 exec_lo, exec_lo, s77
.LBB2_1272:                             ;   in Loop: Header=BB2_1105 Depth=3
	s_delay_alu instid0(SALU_CYCLE_1)
	s_or_b32 exec_lo, exec_lo, s76
.LBB2_1273:                             ;   in Loop: Header=BB2_1105 Depth=3
	s_delay_alu instid0(SALU_CYCLE_1) | instskip(NEXT) | instid1(VALU_DEP_1)
	s_or_b32 exec_lo, exec_lo, s14
	v_dual_mul_f32 v40, s75, v42 :: v_dual_mov_b32 v19, v3
                                        ; implicit-def: $vgpr60
	s_mov_b32 s14, exec_lo
	s_delay_alu instid0(VALU_DEP_1) | instskip(SKIP_2) | instid1(VALU_DEP_3)
	v_and_b32_e32 v18, 0x7f800000, v40
	v_and_b32_e32 v2, 0x7fffff, v40
	v_lshrrev_b32_e32 v41, 24, v40
	v_cmpx_ne_u64_e32 0x7f800000, v[18:19]
	s_xor_b32 s76, exec_lo, s14
	s_cbranch_execz .LBB2_1287
; %bb.1274:                             ;   in Loop: Header=BB2_1105 Depth=3
	v_and_b32_e32 v18, 0x7fffffff, v40
	v_mov_b32_e32 v19, v3
	v_and_b32_e32 v61, 0x80, v41
                                        ; implicit-def: $vgpr60
	s_mov_b32 s14, exec_lo
	s_delay_alu instid0(VALU_DEP_2)
	v_cmpx_gt_u64_e32 0x47600001, v[18:19]
	s_xor_b32 s77, exec_lo, s14
	s_cbranch_execz .LBB2_1284
; %bb.1275:                             ;   in Loop: Header=BB2_1105 Depth=3
	v_mov_b32_e32 v60, 0
	s_mov_b32 s78, exec_lo
	v_cmpx_ne_u32_e32 0, v40
	s_cbranch_execz .LBB2_1283
; %bb.1276:                             ;   in Loop: Header=BB2_1105 Depth=3
	v_bfe_u32 v60, v40, 23, 8
	v_or_b32_e32 v40, 0x800000, v2
	s_delay_alu instid0(VALU_DEP_2) | instskip(SKIP_1) | instid1(VALU_DEP_2)
	v_dual_mov_b32 v41, v3 :: v_dual_sub_nc_u32 v18, 0x71, v60
	v_cmp_gt_u32_e32 vcc_lo, 0x72, v60
	v_cndmask_b32_e32 v18, 0, v18, vcc_lo
	v_cmp_eq_u32_e32 vcc_lo, 0, v60
	s_delay_alu instid0(VALU_DEP_2) | instskip(SKIP_1) | instid1(VALU_DEP_2)
	v_cndmask_b32_e64 v62, v18, 0x70, vcc_lo
	v_cndmask_b32_e32 v40, v40, v2, vcc_lo
	v_dual_add_nc_u32 v18, 21, v62 :: v_dual_add_nc_u32 v42, 20, v62
	s_delay_alu instid0(VALU_DEP_1) | instskip(NEXT) | instid1(VALU_DEP_2)
	v_lshlrev_b64_e64 v[18:19], v18, -1
	v_lshlrev_b64_e64 v[42:43], v42, 1
	s_delay_alu instid0(VALU_DEP_2) | instskip(SKIP_1) | instid1(VALU_DEP_4)
	v_bfi_b32 v18, v18, 0, v40
	v_lshrrev_b64 v[40:41], v62, v[40:41]
	v_bfi_b32 v19, v19, 0, 0
	s_delay_alu instid0(VALU_DEP_1) | instskip(NEXT) | instid1(VALU_DEP_3)
	v_cmp_eq_u64_e64 s14, v[18:19], v[42:43]
	v_mov_b64_e32 v[42:43], v[40:41]
	s_and_saveexec_b32 s79, s14
; %bb.1277:                             ;   in Loop: Header=BB2_1105 Depth=3
	v_bfe_u32 v18, v40, 21, 1
	v_mov_b32_e32 v19, v3
	s_delay_alu instid0(VALU_DEP_1) | instskip(NEXT) | instid1(VALU_DEP_1)
	v_add_nc_u64_e32 v[18:19], v[40:41], v[18:19]
	v_add_nc_u64_e32 v[42:43], -1, v[18:19]
; %bb.1278:                             ;   in Loop: Header=BB2_1105 Depth=3
	s_or_b32 exec_lo, exec_lo, s79
	v_add_nc_u32_e32 v2, 0xffffff81, v60
	v_lshrrev_b32_e32 v18, 23, v40
	s_mov_b32 s14, exec_lo
	s_delay_alu instid0(VALU_DEP_2) | instskip(NEXT) | instid1(VALU_DEP_1)
	v_cndmask_b32_e64 v2, v2, 0xffffff82, vcc_lo
	v_add3_u32 v43, v62, v2, v18
	v_and_b32_e32 v2, 0x1fffff, v42
                                        ; implicit-def: $vgpr42
	s_delay_alu instid0(VALU_DEP_1) | instskip(NEXT) | instid1(VALU_DEP_1)
	v_dual_add_nc_u32 v60, 14, v43 :: v_dual_add_nc_u32 v2, v2, v40
                                        ; implicit-def: $vgpr40_vgpr41
	v_cmpx_ne_u32_e32 0, v60
	s_xor_b32 s14, exec_lo, s14
; %bb.1279:                             ;   in Loop: Header=BB2_1105 Depth=3
	s_delay_alu instid0(VALU_DEP_2) | instskip(SKIP_1) | instid1(VALU_DEP_1)
	v_cmp_lt_u64_e32 vcc_lo, 0xffffff, v[2:3]
	v_add_nc_u32_e32 v18, 15, v43
	v_cndmask_b32_e32 v42, v60, v18, vcc_lo
	v_cndmask_b32_e64 v18, 0, 1, vcc_lo
	s_delay_alu instid0(VALU_DEP_1)
	v_lshrrev_b64 v[40:41], v18, v[2:3]
; %bb.1280:                             ;   in Loop: Header=BB2_1105 Depth=3
	s_and_not1_saveexec_b32 s14, s14
; %bb.1281:                             ;   in Loop: Header=BB2_1105 Depth=3
	v_mov_b64_e32 v[40:41], v[2:3]
	v_bfe_u32 v42, v2, 23, 1
; %bb.1282:                             ;   in Loop: Header=BB2_1105 Depth=3
	s_or_b32 exec_lo, exec_lo, s14
	s_delay_alu instid0(VALU_DEP_2) | instskip(NEXT) | instid1(VALU_DEP_2)
	v_lshrrev_b64 v[18:19], 21, v[40:41]
	v_cmp_gt_i32_e32 vcc_lo, 32, v42
	v_min_i32_e32 v2, 31, v42
	v_cmp_eq_u32_e64 s14, 0, v42
	s_delay_alu instid0(VALU_DEP_2) | instskip(SKIP_1) | instid1(VALU_DEP_2)
	v_dual_cndmask_b32 v19, 0, v19 :: v_dual_lshlrev_b32 v2, 2, v2
	v_cndmask_b32_e32 v18, 3, v18, vcc_lo
	v_and_b32_e32 v2, 0xfc, v2
	s_delay_alu instid0(VALU_DEP_2) | instskip(NEXT) | instid1(VALU_DEP_2)
	v_cmp_eq_u64_e32 vcc_lo, 0, v[18:19]
	v_and_or_b32 v2, v18, 3, v2
	s_and_b32 s14, s14, vcc_lo
	s_delay_alu instid0(VALU_DEP_1) | instid1(SALU_CYCLE_1)
	v_cndmask_b32_e64 v2, v2, 0, s14
	s_delay_alu instid0(VALU_DEP_1)
	v_or_b32_e32 v60, v2, v61
.LBB2_1283:                             ;   in Loop: Header=BB2_1105 Depth=3
	s_or_b32 exec_lo, exec_lo, s78
                                        ; implicit-def: $vgpr61
.LBB2_1284:                             ;   in Loop: Header=BB2_1105 Depth=3
	s_and_not1_saveexec_b32 s14, s77
; %bb.1285:                             ;   in Loop: Header=BB2_1105 Depth=3
	v_or_b32_e32 v60, 0x7b, v61
; %bb.1286:                             ;   in Loop: Header=BB2_1105 Depth=3
	s_or_b32 exec_lo, exec_lo, s14
                                        ; implicit-def: $vgpr40
                                        ; implicit-def: $vgpr41
.LBB2_1287:                             ;   in Loop: Header=BB2_1105 Depth=3
	s_and_not1_saveexec_b32 s14, s76
	s_cbranch_execz .LBB2_1293
; %bb.1288:                             ;   in Loop: Header=BB2_1105 Depth=3
	s_mov_b32 s76, exec_lo
                                        ; implicit-def: $vgpr60
	v_cmpx_ne_u64_e32 0, v[2:3]
	s_xor_b32 s76, exec_lo, s76
; %bb.1289:                             ;   in Loop: Header=BB2_1105 Depth=3
	v_or_b32_e32 v60, 0x7f, v41
                                        ; implicit-def: $vgpr40
; %bb.1290:                             ;   in Loop: Header=BB2_1105 Depth=3
	s_and_not1_saveexec_b32 s76, s76
; %bb.1291:                             ;   in Loop: Header=BB2_1105 Depth=3
	v_cmp_lt_i32_e32 vcc_lo, -1, v40
	v_cndmask_b32_e32 v60, 0xfc, v120, vcc_lo
; %bb.1292:                             ;   in Loop: Header=BB2_1105 Depth=3
	s_or_b32 exec_lo, exec_lo, s76
.LBB2_1293:                             ;   in Loop: Header=BB2_1105 Depth=3
	s_delay_alu instid0(SALU_CYCLE_1) | instskip(SKIP_2) | instid1(VALU_DEP_1)
	s_or_b32 exec_lo, exec_lo, s14
	v_dual_lshrrev_b32 v2, 16, v9 :: v_dual_mov_b32 v40, 0
	s_mov_b32 s14, exec_lo
	v_and_b32_e32 v41, 0xff, v2
	s_delay_alu instid0(VALU_DEP_1)
	v_cmpx_ne_u16_e32 0, v41
	s_cbranch_execz .LBB2_1303
; %bb.1294:                             ;   in Loop: Header=BB2_1105 Depth=3
	v_bfrev_b32_e32 v40, 1
	s_mov_b32 s76, exec_lo
	v_cmpx_ne_u16_e32 0x80, v41
	s_cbranch_execz .LBB2_1302
; %bb.1295:                             ;   in Loop: Header=BB2_1105 Depth=3
	v_and_b32_e32 v18, 0x7c0000, v9
	v_bfe_u32 v41, v9, 16, 2
	s_mov_b32 s77, exec_lo
                                        ; implicit-def: $vgpr40
	s_delay_alu instid0(VALU_DEP_2)
	v_cmpx_ne_u32_e32 0x7c0000, v18
	s_xor_b32 s77, exec_lo, s77
	s_cbranch_execz .LBB2_1299
; %bb.1296:                             ;   in Loop: Header=BB2_1105 Depth=3
	v_bfe_u32 v40, v9, 18, 5
	s_mov_b32 s78, exec_lo
	s_delay_alu instid0(VALU_DEP_1)
	v_cmpx_eq_u32_e32 0, v40
; %bb.1297:                             ;   in Loop: Header=BB2_1105 Depth=3
	v_clz_i32_u32_e32 v18, v41
	s_delay_alu instid0(VALU_DEP_1) | instskip(NEXT) | instid1(VALU_DEP_1)
	v_min_u32_e32 v40, 32, v18
	v_subrev_nc_u32_e32 v18, 29, v40
	s_delay_alu instid0(VALU_DEP_1) | instskip(NEXT) | instid1(VALU_DEP_1)
	v_lshlrev_b64_e32 v[18:19], v18, v[2:3]
	v_dual_sub_nc_u32 v40, 30, v40 :: v_dual_bitop2_b32 v41, 3, v18 bitop3:0x40
; %bb.1298:                             ;   in Loop: Header=BB2_1105 Depth=3
	s_or_b32 exec_lo, exec_lo, s78
	v_lshlrev_b32_e32 v2, 24, v2
	s_delay_alu instid0(VALU_DEP_1) | instskip(NEXT) | instid1(VALU_DEP_1)
	v_and_b32_e32 v2, 0x80000000, v2
	v_lshl_add_u32 v2, v40, 23, v2
	s_delay_alu instid0(VALU_DEP_1) | instskip(NEXT) | instid1(VALU_DEP_1)
	v_lshl_or_b32 v2, v41, 21, v2
                                        ; implicit-def: $vgpr41
	v_add_nc_u32_e32 v40, 0x38000000, v2
                                        ; implicit-def: $vgpr2
.LBB2_1299:                             ;   in Loop: Header=BB2_1105 Depth=3
	s_and_not1_saveexec_b32 s77, s77
; %bb.1300:                             ;   in Loop: Header=BB2_1105 Depth=3
	v_bfe_i32 v2, v2, 0, 8
	s_delay_alu instid0(VALU_DEP_1) | instskip(SKIP_2) | instid1(VALU_DEP_2)
	v_cmp_lt_i16_e32 vcc_lo, -1, v2
	v_cndmask_b32_e32 v2, 0xff800000, v111, vcc_lo
	v_cmp_eq_u32_e32 vcc_lo, 0, v41
	v_cndmask_b32_e32 v40, 0x7f800001, v2, vcc_lo
; %bb.1301:                             ;   in Loop: Header=BB2_1105 Depth=3
	s_or_b32 exec_lo, exec_lo, s77
.LBB2_1302:                             ;   in Loop: Header=BB2_1105 Depth=3
	s_delay_alu instid0(SALU_CYCLE_1)
	s_or_b32 exec_lo, exec_lo, s76
.LBB2_1303:                             ;   in Loop: Header=BB2_1105 Depth=3
	s_delay_alu instid0(SALU_CYCLE_1) | instskip(NEXT) | instid1(VALU_DEP_1)
	s_or_b32 exec_lo, exec_lo, s14
	v_dual_mul_f32 v40, s75, v40 :: v_dual_mov_b32 v19, v3
                                        ; implicit-def: $vgpr42
	s_mov_b32 s14, exec_lo
	s_delay_alu instid0(VALU_DEP_1) | instskip(SKIP_2) | instid1(VALU_DEP_3)
	v_and_b32_e32 v18, 0x7f800000, v40
	v_and_b32_e32 v2, 0x7fffff, v40
	v_lshrrev_b32_e32 v41, 24, v40
	v_cmpx_ne_u64_e32 0x7f800000, v[18:19]
	s_xor_b32 s76, exec_lo, s14
	s_cbranch_execz .LBB2_1317
; %bb.1304:                             ;   in Loop: Header=BB2_1105 Depth=3
	v_and_b32_e32 v18, 0x7fffffff, v40
	v_mov_b32_e32 v19, v3
	v_and_b32_e32 v61, 0x80, v41
                                        ; implicit-def: $vgpr42
	s_mov_b32 s14, exec_lo
	s_delay_alu instid0(VALU_DEP_2)
	v_cmpx_gt_u64_e32 0x47600001, v[18:19]
	s_xor_b32 s77, exec_lo, s14
	s_cbranch_execz .LBB2_1314
; %bb.1305:                             ;   in Loop: Header=BB2_1105 Depth=3
	v_mov_b32_e32 v42, 0
	s_mov_b32 s78, exec_lo
	v_cmpx_ne_u32_e32 0, v40
	s_cbranch_execz .LBB2_1313
; %bb.1306:                             ;   in Loop: Header=BB2_1105 Depth=3
	v_bfe_u32 v62, v40, 23, 8
	v_or_b32_e32 v40, 0x800000, v2
	s_delay_alu instid0(VALU_DEP_2) | instskip(SKIP_1) | instid1(VALU_DEP_2)
	v_dual_mov_b32 v41, v3 :: v_dual_sub_nc_u32 v18, 0x71, v62
	v_cmp_gt_u32_e32 vcc_lo, 0x72, v62
	v_cndmask_b32_e32 v18, 0, v18, vcc_lo
	v_cmp_eq_u32_e32 vcc_lo, 0, v62
	s_delay_alu instid0(VALU_DEP_2) | instskip(NEXT) | instid1(VALU_DEP_1)
	v_cndmask_b32_e64 v63, v18, 0x70, vcc_lo
	v_dual_cndmask_b32 v40, v40, v2, vcc_lo :: v_dual_add_nc_u32 v18, 21, v63
	v_add_nc_u32_e32 v42, 20, v63
	s_delay_alu instid0(VALU_DEP_2) | instskip(NEXT) | instid1(VALU_DEP_2)
	v_lshlrev_b64_e64 v[18:19], v18, -1
	v_lshlrev_b64_e64 v[42:43], v42, 1
	s_delay_alu instid0(VALU_DEP_2) | instskip(SKIP_1) | instid1(VALU_DEP_4)
	v_bfi_b32 v18, v18, 0, v40
	v_lshrrev_b64 v[40:41], v63, v[40:41]
	v_bfi_b32 v19, v19, 0, 0
	s_delay_alu instid0(VALU_DEP_1) | instskip(NEXT) | instid1(VALU_DEP_3)
	v_cmp_eq_u64_e64 s14, v[18:19], v[42:43]
	v_mov_b64_e32 v[42:43], v[40:41]
	s_and_saveexec_b32 s79, s14
; %bb.1307:                             ;   in Loop: Header=BB2_1105 Depth=3
	v_bfe_u32 v18, v40, 21, 1
	v_mov_b32_e32 v19, v3
	s_delay_alu instid0(VALU_DEP_1) | instskip(NEXT) | instid1(VALU_DEP_1)
	v_add_nc_u64_e32 v[18:19], v[40:41], v[18:19]
	v_add_nc_u64_e32 v[42:43], -1, v[18:19]
; %bb.1308:                             ;   in Loop: Header=BB2_1105 Depth=3
	s_or_b32 exec_lo, exec_lo, s79
	v_add_nc_u32_e32 v2, 0xffffff81, v62
	v_lshrrev_b32_e32 v18, 23, v40
	s_mov_b32 s14, exec_lo
	s_delay_alu instid0(VALU_DEP_2) | instskip(NEXT) | instid1(VALU_DEP_1)
	v_cndmask_b32_e64 v2, v2, 0xffffff82, vcc_lo
	v_add3_u32 v43, v63, v2, v18
	v_and_b32_e32 v2, 0x1fffff, v42
                                        ; implicit-def: $vgpr42
	s_delay_alu instid0(VALU_DEP_1) | instskip(NEXT) | instid1(VALU_DEP_1)
	v_dual_add_nc_u32 v62, 14, v43 :: v_dual_add_nc_u32 v2, v2, v40
                                        ; implicit-def: $vgpr40_vgpr41
	v_cmpx_ne_u32_e32 0, v62
	s_xor_b32 s14, exec_lo, s14
; %bb.1309:                             ;   in Loop: Header=BB2_1105 Depth=3
	s_delay_alu instid0(VALU_DEP_2) | instskip(SKIP_1) | instid1(VALU_DEP_1)
	v_cmp_lt_u64_e32 vcc_lo, 0xffffff, v[2:3]
	v_add_nc_u32_e32 v18, 15, v43
	v_cndmask_b32_e32 v42, v62, v18, vcc_lo
	v_cndmask_b32_e64 v18, 0, 1, vcc_lo
	s_delay_alu instid0(VALU_DEP_1)
	v_lshrrev_b64 v[40:41], v18, v[2:3]
; %bb.1310:                             ;   in Loop: Header=BB2_1105 Depth=3
	s_and_not1_saveexec_b32 s14, s14
; %bb.1311:                             ;   in Loop: Header=BB2_1105 Depth=3
	v_mov_b64_e32 v[40:41], v[2:3]
	v_bfe_u32 v42, v2, 23, 1
; %bb.1312:                             ;   in Loop: Header=BB2_1105 Depth=3
	s_or_b32 exec_lo, exec_lo, s14
	s_delay_alu instid0(VALU_DEP_2) | instskip(NEXT) | instid1(VALU_DEP_2)
	v_lshrrev_b64 v[18:19], 21, v[40:41]
	v_cmp_gt_i32_e32 vcc_lo, 32, v42
	v_min_i32_e32 v2, 31, v42
	v_cmp_eq_u32_e64 s14, 0, v42
	s_delay_alu instid0(VALU_DEP_2) | instskip(SKIP_1) | instid1(VALU_DEP_2)
	v_dual_cndmask_b32 v19, 0, v19 :: v_dual_lshlrev_b32 v2, 2, v2
	v_cndmask_b32_e32 v18, 3, v18, vcc_lo
	v_and_b32_e32 v2, 0xfc, v2
	s_delay_alu instid0(VALU_DEP_2) | instskip(NEXT) | instid1(VALU_DEP_2)
	v_cmp_eq_u64_e32 vcc_lo, 0, v[18:19]
	v_and_or_b32 v2, v18, 3, v2
	s_and_b32 s14, s14, vcc_lo
	s_delay_alu instid0(VALU_DEP_1) | instid1(SALU_CYCLE_1)
	v_cndmask_b32_e64 v2, v2, 0, s14
	s_delay_alu instid0(VALU_DEP_1)
	v_or_b32_e32 v42, v2, v61
.LBB2_1313:                             ;   in Loop: Header=BB2_1105 Depth=3
	s_or_b32 exec_lo, exec_lo, s78
                                        ; implicit-def: $vgpr61
.LBB2_1314:                             ;   in Loop: Header=BB2_1105 Depth=3
	s_and_not1_saveexec_b32 s14, s77
; %bb.1315:                             ;   in Loop: Header=BB2_1105 Depth=3
	v_or_b32_e32 v42, 0x7b, v61
; %bb.1316:                             ;   in Loop: Header=BB2_1105 Depth=3
	s_or_b32 exec_lo, exec_lo, s14
                                        ; implicit-def: $vgpr40
                                        ; implicit-def: $vgpr41
.LBB2_1317:                             ;   in Loop: Header=BB2_1105 Depth=3
	s_and_not1_saveexec_b32 s14, s76
	s_cbranch_execz .LBB2_1323
; %bb.1318:                             ;   in Loop: Header=BB2_1105 Depth=3
	s_mov_b32 s76, exec_lo
                                        ; implicit-def: $vgpr42
	v_cmpx_ne_u64_e32 0, v[2:3]
	s_xor_b32 s76, exec_lo, s76
; %bb.1319:                             ;   in Loop: Header=BB2_1105 Depth=3
	v_or_b32_e32 v42, 0x7f, v41
                                        ; implicit-def: $vgpr40
; %bb.1320:                             ;   in Loop: Header=BB2_1105 Depth=3
	s_and_not1_saveexec_b32 s76, s76
; %bb.1321:                             ;   in Loop: Header=BB2_1105 Depth=3
	v_cmp_lt_i32_e32 vcc_lo, -1, v40
	v_cndmask_b32_e32 v42, 0xfc, v120, vcc_lo
; %bb.1322:                             ;   in Loop: Header=BB2_1105 Depth=3
	s_or_b32 exec_lo, exec_lo, s76
.LBB2_1323:                             ;   in Loop: Header=BB2_1105 Depth=3
	s_delay_alu instid0(SALU_CYCLE_1)
	s_or_b32 exec_lo, exec_lo, s14
	v_mov_b32_e32 v40, 0
	s_mov_b32 s14, exec_lo
	v_cmpx_lt_u64_e64 s[22:23], v[8:9]
	s_cbranch_execz .LBB2_1333
; %bb.1324:                             ;   in Loop: Header=BB2_1105 Depth=3
	v_lshrrev_b32_e32 v2, 24, v9
	v_bfrev_b32_e32 v40, 1
	s_mov_b32 s76, exec_lo
	s_delay_alu instid0(VALU_DEP_2)
	v_cmpx_ne_u32_e32 0x80, v2
	s_cbranch_execz .LBB2_1332
; %bb.1325:                             ;   in Loop: Header=BB2_1105 Depth=3
	v_and_b32_e32 v18, 0x7c000000, v9
	v_bfe_u32 v41, v9, 24, 2
	s_mov_b32 s77, exec_lo
                                        ; implicit-def: $vgpr40
	s_delay_alu instid0(VALU_DEP_2)
	v_cmpx_ne_u32_e32 0x7c000000, v18
	s_xor_b32 s77, exec_lo, s77
	s_cbranch_execz .LBB2_1329
; %bb.1326:                             ;   in Loop: Header=BB2_1105 Depth=3
	v_bfe_u32 v40, v9, 26, 5
	s_mov_b32 s78, exec_lo
	s_delay_alu instid0(VALU_DEP_1)
	v_cmpx_eq_u32_e32 0, v40
; %bb.1327:                             ;   in Loop: Header=BB2_1105 Depth=3
	v_clz_i32_u32_e32 v18, v41
	s_delay_alu instid0(VALU_DEP_1) | instskip(NEXT) | instid1(VALU_DEP_1)
	v_min_u32_e32 v40, 32, v18
	v_subrev_nc_u32_e32 v18, 29, v40
	s_delay_alu instid0(VALU_DEP_1) | instskip(NEXT) | instid1(VALU_DEP_1)
	v_lshlrev_b64_e32 v[18:19], v18, v[2:3]
	v_dual_sub_nc_u32 v40, 30, v40 :: v_dual_bitop2_b32 v41, 3, v18 bitop3:0x40
; %bb.1328:                             ;   in Loop: Header=BB2_1105 Depth=3
	s_or_b32 exec_lo, exec_lo, s78
	v_and_b32_e32 v2, 0x80000000, v9
	s_delay_alu instid0(VALU_DEP_1) | instskip(NEXT) | instid1(VALU_DEP_1)
	v_lshl_add_u32 v2, v40, 23, v2
	v_lshl_or_b32 v2, v41, 21, v2
                                        ; implicit-def: $vgpr41
	s_delay_alu instid0(VALU_DEP_1)
	v_add_nc_u32_e32 v40, 0x38000000, v2
.LBB2_1329:                             ;   in Loop: Header=BB2_1105 Depth=3
	s_and_not1_saveexec_b32 s77, s77
; %bb.1330:                             ;   in Loop: Header=BB2_1105 Depth=3
	v_cmp_lt_i64_e32 vcc_lo, -1, v[8:9]
	v_cndmask_b32_e32 v2, 0xff800000, v111, vcc_lo
	v_cmp_eq_u32_e32 vcc_lo, 0, v41
	s_delay_alu instid0(VALU_DEP_2)
	v_cndmask_b32_e32 v40, 0x7f800001, v2, vcc_lo
; %bb.1331:                             ;   in Loop: Header=BB2_1105 Depth=3
	s_or_b32 exec_lo, exec_lo, s77
.LBB2_1332:                             ;   in Loop: Header=BB2_1105 Depth=3
	s_delay_alu instid0(SALU_CYCLE_1)
	s_or_b32 exec_lo, exec_lo, s76
.LBB2_1333:                             ;   in Loop: Header=BB2_1105 Depth=3
	s_delay_alu instid0(SALU_CYCLE_1) | instskip(NEXT) | instid1(VALU_DEP_1)
	s_or_b32 exec_lo, exec_lo, s14
	v_dual_mul_f32 v8, s75, v40 :: v_dual_mov_b32 v19, v3
                                        ; implicit-def: $vgpr43
	s_mov_b32 s14, exec_lo
	s_delay_alu instid0(VALU_DEP_1) | instskip(SKIP_2) | instid1(VALU_DEP_3)
	v_and_b32_e32 v18, 0x7f800000, v8
	v_and_b32_e32 v2, 0x7fffff, v8
	v_lshrrev_b32_e32 v9, 24, v8
	v_cmpx_ne_u64_e32 0x7f800000, v[18:19]
	s_xor_b32 s76, exec_lo, s14
	s_cbranch_execz .LBB2_1347
; %bb.1334:                             ;   in Loop: Header=BB2_1105 Depth=3
	v_and_b32_e32 v18, 0x7fffffff, v8
	v_mov_b32_e32 v19, v3
	v_and_b32_e32 v61, 0x80, v9
                                        ; implicit-def: $vgpr43
	s_mov_b32 s14, exec_lo
	s_delay_alu instid0(VALU_DEP_2)
	v_cmpx_gt_u64_e32 0x47600001, v[18:19]
	s_xor_b32 s77, exec_lo, s14
	s_cbranch_execz .LBB2_1344
; %bb.1335:                             ;   in Loop: Header=BB2_1105 Depth=3
	v_mov_b32_e32 v43, 0
	s_mov_b32 s78, exec_lo
	v_cmpx_ne_u32_e32 0, v8
	s_cbranch_execz .LBB2_1343
; %bb.1336:                             ;   in Loop: Header=BB2_1105 Depth=3
	v_bfe_u32 v43, v8, 23, 8
	v_or_b32_e32 v18, 0x800000, v2
	s_delay_alu instid0(VALU_DEP_2) | instskip(SKIP_1) | instid1(VALU_DEP_2)
	v_dual_mov_b32 v19, v3 :: v_dual_sub_nc_u32 v8, 0x71, v43
	v_cmp_gt_u32_e32 vcc_lo, 0x72, v43
	v_cndmask_b32_e32 v8, 0, v8, vcc_lo
	v_cmp_eq_u32_e32 vcc_lo, 0, v43
	s_delay_alu instid0(VALU_DEP_2) | instskip(SKIP_1) | instid1(VALU_DEP_2)
	v_cndmask_b32_e64 v62, v8, 0x70, vcc_lo
	v_cndmask_b32_e32 v18, v18, v2, vcc_lo
	v_dual_add_nc_u32 v8, 21, v62 :: v_dual_add_nc_u32 v40, 20, v62
	s_delay_alu instid0(VALU_DEP_1) | instskip(NEXT) | instid1(VALU_DEP_2)
	v_lshlrev_b64_e64 v[8:9], v8, -1
	v_lshlrev_b64_e64 v[40:41], v40, 1
	s_delay_alu instid0(VALU_DEP_2) | instskip(NEXT) | instid1(VALU_DEP_3)
	v_bfi_b32 v73, v9, 0, 0
	v_bfi_b32 v72, v8, 0, v18
	v_lshrrev_b64 v[8:9], v62, v[18:19]
	s_delay_alu instid0(VALU_DEP_2) | instskip(NEXT) | instid1(VALU_DEP_2)
	v_cmp_eq_u64_e64 s14, v[72:73], v[40:41]
	v_mov_b64_e32 v[40:41], v[8:9]
	s_and_saveexec_b32 s79, s14
; %bb.1337:                             ;   in Loop: Header=BB2_1105 Depth=3
	v_bfe_u32 v18, v8, 21, 1
	v_mov_b32_e32 v19, v3
	s_delay_alu instid0(VALU_DEP_1) | instskip(NEXT) | instid1(VALU_DEP_1)
	v_add_nc_u64_e32 v[18:19], v[8:9], v[18:19]
	v_add_nc_u64_e32 v[40:41], -1, v[18:19]
; %bb.1338:                             ;   in Loop: Header=BB2_1105 Depth=3
	s_or_b32 exec_lo, exec_lo, s79
	v_add_nc_u32_e32 v2, 0xffffff81, v43
	v_lshrrev_b32_e32 v9, 23, v8
	s_mov_b32 s14, exec_lo
	s_delay_alu instid0(VALU_DEP_2) | instskip(NEXT) | instid1(VALU_DEP_1)
	v_cndmask_b32_e64 v2, v2, 0xffffff82, vcc_lo
	v_add3_u32 v41, v62, v2, v9
	v_and_b32_e32 v2, 0x1fffff, v40
                                        ; implicit-def: $vgpr40
	s_delay_alu instid0(VALU_DEP_1) | instskip(NEXT) | instid1(VALU_DEP_1)
	v_dual_add_nc_u32 v43, 14, v41 :: v_dual_add_nc_u32 v2, v2, v8
                                        ; implicit-def: $vgpr8_vgpr9
	v_cmpx_ne_u32_e32 0, v43
	s_xor_b32 s14, exec_lo, s14
; %bb.1339:                             ;   in Loop: Header=BB2_1105 Depth=3
	s_delay_alu instid0(VALU_DEP_2) | instskip(SKIP_1) | instid1(VALU_DEP_1)
	v_cmp_lt_u64_e32 vcc_lo, 0xffffff, v[2:3]
	v_add_nc_u32_e32 v8, 15, v41
	v_cndmask_b32_e32 v40, v43, v8, vcc_lo
	v_cndmask_b32_e64 v8, 0, 1, vcc_lo
	s_delay_alu instid0(VALU_DEP_1)
	v_lshrrev_b64 v[8:9], v8, v[2:3]
; %bb.1340:                             ;   in Loop: Header=BB2_1105 Depth=3
	s_and_not1_saveexec_b32 s14, s14
; %bb.1341:                             ;   in Loop: Header=BB2_1105 Depth=3
	v_mov_b64_e32 v[8:9], v[2:3]
	v_bfe_u32 v40, v2, 23, 1
; %bb.1342:                             ;   in Loop: Header=BB2_1105 Depth=3
	s_or_b32 exec_lo, exec_lo, s14
	s_delay_alu instid0(VALU_DEP_2) | instskip(NEXT) | instid1(VALU_DEP_2)
	v_lshrrev_b64 v[8:9], 21, v[8:9]
	v_cmp_gt_i32_e32 vcc_lo, 32, v40
	v_min_i32_e32 v2, 31, v40
	v_cmp_eq_u32_e64 s14, 0, v40
	s_delay_alu instid0(VALU_DEP_2) | instskip(SKIP_1) | instid1(VALU_DEP_2)
	v_dual_cndmask_b32 v9, 0, v9 :: v_dual_lshlrev_b32 v2, 2, v2
	v_cndmask_b32_e32 v8, 3, v8, vcc_lo
	v_and_b32_e32 v2, 0xfc, v2
	s_delay_alu instid0(VALU_DEP_2) | instskip(NEXT) | instid1(VALU_DEP_2)
	v_cmp_eq_u64_e32 vcc_lo, 0, v[8:9]
	v_and_or_b32 v2, v8, 3, v2
	s_and_b32 s14, s14, vcc_lo
	s_delay_alu instid0(VALU_DEP_1) | instid1(SALU_CYCLE_1)
	v_cndmask_b32_e64 v2, v2, 0, s14
	s_delay_alu instid0(VALU_DEP_1)
	v_or_b32_e32 v43, v2, v61
.LBB2_1343:                             ;   in Loop: Header=BB2_1105 Depth=3
	s_or_b32 exec_lo, exec_lo, s78
                                        ; implicit-def: $vgpr61
.LBB2_1344:                             ;   in Loop: Header=BB2_1105 Depth=3
	s_and_not1_saveexec_b32 s14, s77
; %bb.1345:                             ;   in Loop: Header=BB2_1105 Depth=3
	v_or_b32_e32 v43, 0x7b, v61
; %bb.1346:                             ;   in Loop: Header=BB2_1105 Depth=3
	s_or_b32 exec_lo, exec_lo, s14
                                        ; implicit-def: $vgpr8
                                        ; implicit-def: $vgpr9
.LBB2_1347:                             ;   in Loop: Header=BB2_1105 Depth=3
	s_and_not1_saveexec_b32 s14, s76
	s_cbranch_execz .LBB2_1353
; %bb.1348:                             ;   in Loop: Header=BB2_1105 Depth=3
	s_mov_b32 s76, exec_lo
                                        ; implicit-def: $vgpr43
	v_cmpx_ne_u64_e32 0, v[2:3]
	s_xor_b32 s76, exec_lo, s76
; %bb.1349:                             ;   in Loop: Header=BB2_1105 Depth=3
	v_or_b32_e32 v43, 0x7f, v9
                                        ; implicit-def: $vgpr8
; %bb.1350:                             ;   in Loop: Header=BB2_1105 Depth=3
	s_and_not1_saveexec_b32 s76, s76
; %bb.1351:                             ;   in Loop: Header=BB2_1105 Depth=3
	v_cmp_lt_i32_e32 vcc_lo, -1, v8
	v_cndmask_b32_e32 v43, 0xfc, v120, vcc_lo
; %bb.1352:                             ;   in Loop: Header=BB2_1105 Depth=3
	s_or_b32 exec_lo, exec_lo, s76
.LBB2_1353:                             ;   in Loop: Header=BB2_1105 Depth=3
	s_delay_alu instid0(SALU_CYCLE_1) | instskip(SKIP_1) | instid1(VALU_DEP_1)
	s_or_b32 exec_lo, exec_lo, s14
	v_and_b32_e32 v2, 0xff, v10
	v_cmp_ne_u16_e32 vcc_lo, 0, v2
	v_mov_b32_e32 v2, 0
	s_and_saveexec_b32 s14, vcc_lo
	s_cbranch_execz .LBB2_1363
; %bb.1354:                             ;   in Loop: Header=BB2_1105 Depth=3
	v_bfe_i32 v9, v10, 0, 8
	v_bfrev_b32_e32 v2, 1
	s_mov_b32 s76, exec_lo
	s_delay_alu instid0(VALU_DEP_2)
	v_cmpx_ne_u16_e32 0xff80, v9
	s_cbranch_execz .LBB2_1362
; %bb.1355:                             ;   in Loop: Header=BB2_1105 Depth=3
	v_and_b32_e32 v2, 0x7c, v10
	v_and_b32_e32 v8, 3, v10
	s_delay_alu instid0(VALU_DEP_2) | instskip(SKIP_1) | instid1(SALU_CYCLE_1)
	v_cmp_ne_u32_e32 vcc_lo, 0x7c, v2
                                        ; implicit-def: $vgpr2
	s_and_saveexec_b32 s77, vcc_lo
	s_xor_b32 s77, exec_lo, s77
	s_cbranch_execz .LBB2_1359
; %bb.1356:                             ;   in Loop: Header=BB2_1105 Depth=3
	v_bfe_u32 v2, v10, 2, 5
	s_mov_b32 s78, exec_lo
	s_delay_alu instid0(VALU_DEP_1)
	v_cmpx_eq_u32_e32 0, v2
; %bb.1357:                             ;   in Loop: Header=BB2_1105 Depth=3
	v_clz_i32_u32_e32 v2, v8
	s_delay_alu instid0(VALU_DEP_1) | instskip(NEXT) | instid1(VALU_DEP_1)
	v_min_u32_e32 v2, 32, v2
	v_subrev_nc_u32_e32 v8, 29, v2
	s_delay_alu instid0(VALU_DEP_1) | instskip(NEXT) | instid1(VALU_DEP_1)
	v_lshlrev_b64_e32 v[8:9], v8, v[10:11]
	v_dual_sub_nc_u32 v2, 30, v2 :: v_dual_bitop2_b32 v8, 3, v8 bitop3:0x40
; %bb.1358:                             ;   in Loop: Header=BB2_1105 Depth=3
	s_or_b32 exec_lo, exec_lo, s78
	v_lshlrev_b32_e32 v9, 24, v10
	s_delay_alu instid0(VALU_DEP_1) | instskip(NEXT) | instid1(VALU_DEP_1)
	v_and_b32_e32 v9, 0x80000000, v9
	v_lshl_add_u32 v2, v2, 23, v9
                                        ; implicit-def: $vgpr9
	s_delay_alu instid0(VALU_DEP_1) | instskip(NEXT) | instid1(VALU_DEP_1)
	v_lshl_or_b32 v2, v8, 21, v2
                                        ; implicit-def: $vgpr8
	v_add_nc_u32_e32 v2, 0x38000000, v2
.LBB2_1359:                             ;   in Loop: Header=BB2_1105 Depth=3
	s_and_not1_saveexec_b32 s77, s77
; %bb.1360:                             ;   in Loop: Header=BB2_1105 Depth=3
	v_cmp_lt_i16_e32 vcc_lo, -1, v9
	v_cndmask_b32_e32 v2, 0xff800000, v111, vcc_lo
	v_cmp_eq_u32_e32 vcc_lo, 0, v8
	s_delay_alu instid0(VALU_DEP_2)
	v_cndmask_b32_e32 v2, 0x7f800001, v2, vcc_lo
; %bb.1361:                             ;   in Loop: Header=BB2_1105 Depth=3
	s_or_b32 exec_lo, exec_lo, s77
.LBB2_1362:                             ;   in Loop: Header=BB2_1105 Depth=3
	s_delay_alu instid0(SALU_CYCLE_1)
	s_or_b32 exec_lo, exec_lo, s76
.LBB2_1363:                             ;   in Loop: Header=BB2_1105 Depth=3
	s_delay_alu instid0(SALU_CYCLE_1) | instskip(NEXT) | instid1(VALU_DEP_1)
	s_or_b32 exec_lo, exec_lo, s14
	v_dual_mul_f32 v8, s75, v2 :: v_dual_mov_b32 v19, v3
                                        ; implicit-def: $vgpr61
	s_mov_b32 s14, exec_lo
	s_delay_alu instid0(VALU_DEP_1) | instskip(SKIP_2) | instid1(VALU_DEP_3)
	v_and_b32_e32 v18, 0x7f800000, v8
	v_and_b32_e32 v2, 0x7fffff, v8
	v_lshrrev_b32_e32 v9, 24, v8
	v_cmpx_ne_u64_e32 0x7f800000, v[18:19]
	s_xor_b32 s76, exec_lo, s14
	s_cbranch_execz .LBB2_1377
; %bb.1364:                             ;   in Loop: Header=BB2_1105 Depth=3
	v_and_b32_e32 v18, 0x7fffffff, v8
	v_mov_b32_e32 v19, v3
	v_and_b32_e32 v62, 0x80, v9
                                        ; implicit-def: $vgpr61
	s_mov_b32 s14, exec_lo
	s_delay_alu instid0(VALU_DEP_2)
	v_cmpx_gt_u64_e32 0x47600001, v[18:19]
	s_xor_b32 s77, exec_lo, s14
	s_cbranch_execz .LBB2_1374
; %bb.1365:                             ;   in Loop: Header=BB2_1105 Depth=3
	v_mov_b32_e32 v61, 0
	s_mov_b32 s78, exec_lo
	v_cmpx_ne_u32_e32 0, v8
	s_cbranch_execz .LBB2_1373
; %bb.1366:                             ;   in Loop: Header=BB2_1105 Depth=3
	v_bfe_u32 v61, v8, 23, 8
	v_or_b32_e32 v18, 0x800000, v2
	s_delay_alu instid0(VALU_DEP_2) | instskip(SKIP_1) | instid1(VALU_DEP_2)
	v_dual_mov_b32 v19, v3 :: v_dual_sub_nc_u32 v8, 0x71, v61
	v_cmp_gt_u32_e32 vcc_lo, 0x72, v61
	v_cndmask_b32_e32 v8, 0, v8, vcc_lo
	v_cmp_eq_u32_e32 vcc_lo, 0, v61
	s_delay_alu instid0(VALU_DEP_2) | instskip(NEXT) | instid1(VALU_DEP_1)
	v_cndmask_b32_e64 v63, v8, 0x70, vcc_lo
	v_dual_cndmask_b32 v18, v18, v2, vcc_lo :: v_dual_add_nc_u32 v8, 21, v63
	v_add_nc_u32_e32 v40, 20, v63
	s_delay_alu instid0(VALU_DEP_2) | instskip(NEXT) | instid1(VALU_DEP_2)
	v_lshlrev_b64_e64 v[8:9], v8, -1
	v_lshlrev_b64_e64 v[40:41], v40, 1
	s_delay_alu instid0(VALU_DEP_2) | instskip(NEXT) | instid1(VALU_DEP_3)
	v_bfi_b32 v73, v9, 0, 0
	v_bfi_b32 v72, v8, 0, v18
	v_lshrrev_b64 v[8:9], v63, v[18:19]
	s_delay_alu instid0(VALU_DEP_2) | instskip(NEXT) | instid1(VALU_DEP_2)
	v_cmp_eq_u64_e64 s14, v[72:73], v[40:41]
	v_mov_b64_e32 v[40:41], v[8:9]
	s_and_saveexec_b32 s79, s14
; %bb.1367:                             ;   in Loop: Header=BB2_1105 Depth=3
	v_bfe_u32 v18, v8, 21, 1
	v_mov_b32_e32 v19, v3
	s_delay_alu instid0(VALU_DEP_1) | instskip(NEXT) | instid1(VALU_DEP_1)
	v_add_nc_u64_e32 v[18:19], v[8:9], v[18:19]
	v_add_nc_u64_e32 v[40:41], -1, v[18:19]
; %bb.1368:                             ;   in Loop: Header=BB2_1105 Depth=3
	s_or_b32 exec_lo, exec_lo, s79
	v_add_nc_u32_e32 v2, 0xffffff81, v61
	v_lshrrev_b32_e32 v9, 23, v8
	s_mov_b32 s14, exec_lo
	s_delay_alu instid0(VALU_DEP_2) | instskip(NEXT) | instid1(VALU_DEP_1)
	v_cndmask_b32_e64 v2, v2, 0xffffff82, vcc_lo
	v_add3_u32 v41, v63, v2, v9
	v_and_b32_e32 v2, 0x1fffff, v40
                                        ; implicit-def: $vgpr40
	s_delay_alu instid0(VALU_DEP_1) | instskip(NEXT) | instid1(VALU_DEP_1)
	v_dual_add_nc_u32 v61, 14, v41 :: v_dual_add_nc_u32 v2, v2, v8
                                        ; implicit-def: $vgpr8_vgpr9
	v_cmpx_ne_u32_e32 0, v61
	s_xor_b32 s14, exec_lo, s14
; %bb.1369:                             ;   in Loop: Header=BB2_1105 Depth=3
	s_delay_alu instid0(VALU_DEP_2) | instskip(SKIP_1) | instid1(VALU_DEP_1)
	v_cmp_lt_u64_e32 vcc_lo, 0xffffff, v[2:3]
	v_add_nc_u32_e32 v8, 15, v41
	v_cndmask_b32_e32 v40, v61, v8, vcc_lo
	v_cndmask_b32_e64 v8, 0, 1, vcc_lo
	s_delay_alu instid0(VALU_DEP_1)
	v_lshrrev_b64 v[8:9], v8, v[2:3]
; %bb.1370:                             ;   in Loop: Header=BB2_1105 Depth=3
	s_and_not1_saveexec_b32 s14, s14
; %bb.1371:                             ;   in Loop: Header=BB2_1105 Depth=3
	v_mov_b64_e32 v[8:9], v[2:3]
	v_bfe_u32 v40, v2, 23, 1
; %bb.1372:                             ;   in Loop: Header=BB2_1105 Depth=3
	s_or_b32 exec_lo, exec_lo, s14
	s_delay_alu instid0(VALU_DEP_2) | instskip(NEXT) | instid1(VALU_DEP_2)
	v_lshrrev_b64 v[8:9], 21, v[8:9]
	v_cmp_gt_i32_e32 vcc_lo, 32, v40
	v_min_i32_e32 v2, 31, v40
	v_cmp_eq_u32_e64 s14, 0, v40
	s_delay_alu instid0(VALU_DEP_2) | instskip(SKIP_1) | instid1(VALU_DEP_2)
	v_dual_cndmask_b32 v9, 0, v9 :: v_dual_lshlrev_b32 v2, 2, v2
	v_cndmask_b32_e32 v8, 3, v8, vcc_lo
	v_and_b32_e32 v2, 0xfc, v2
	s_delay_alu instid0(VALU_DEP_2) | instskip(NEXT) | instid1(VALU_DEP_2)
	v_cmp_eq_u64_e32 vcc_lo, 0, v[8:9]
	v_and_or_b32 v2, v8, 3, v2
	s_and_b32 s14, s14, vcc_lo
	s_delay_alu instid0(VALU_DEP_1) | instid1(SALU_CYCLE_1)
	v_cndmask_b32_e64 v2, v2, 0, s14
	s_delay_alu instid0(VALU_DEP_1)
	v_or_b32_e32 v61, v2, v62
.LBB2_1373:                             ;   in Loop: Header=BB2_1105 Depth=3
	s_or_b32 exec_lo, exec_lo, s78
                                        ; implicit-def: $vgpr62
.LBB2_1374:                             ;   in Loop: Header=BB2_1105 Depth=3
	s_and_not1_saveexec_b32 s14, s77
; %bb.1375:                             ;   in Loop: Header=BB2_1105 Depth=3
	v_or_b32_e32 v61, 0x7b, v62
; %bb.1376:                             ;   in Loop: Header=BB2_1105 Depth=3
	s_or_b32 exec_lo, exec_lo, s14
                                        ; implicit-def: $vgpr8
                                        ; implicit-def: $vgpr9
.LBB2_1377:                             ;   in Loop: Header=BB2_1105 Depth=3
	s_and_not1_saveexec_b32 s14, s76
	s_cbranch_execz .LBB2_1383
; %bb.1378:                             ;   in Loop: Header=BB2_1105 Depth=3
	s_mov_b32 s76, exec_lo
                                        ; implicit-def: $vgpr61
	v_cmpx_ne_u64_e32 0, v[2:3]
	s_xor_b32 s76, exec_lo, s76
; %bb.1379:                             ;   in Loop: Header=BB2_1105 Depth=3
	v_or_b32_e32 v61, 0x7f, v9
                                        ; implicit-def: $vgpr8
; %bb.1380:                             ;   in Loop: Header=BB2_1105 Depth=3
	s_and_not1_saveexec_b32 s76, s76
; %bb.1381:                             ;   in Loop: Header=BB2_1105 Depth=3
	v_cmp_lt_i32_e32 vcc_lo, -1, v8
	v_cndmask_b32_e32 v61, 0xfc, v120, vcc_lo
; %bb.1382:                             ;   in Loop: Header=BB2_1105 Depth=3
	s_or_b32 exec_lo, exec_lo, s76
.LBB2_1383:                             ;   in Loop: Header=BB2_1105 Depth=3
	s_delay_alu instid0(SALU_CYCLE_1) | instskip(SKIP_3) | instid1(VALU_DEP_2)
	s_or_b32 exec_lo, exec_lo, s14
	v_lshrrev_b16 v8, 8, v10
	v_mov_b32_e32 v9, 0
	s_mov_b32 s14, exec_lo
	v_cmpx_ne_u16_e32 0, v8
	s_cbranch_execz .LBB2_1393
; %bb.1384:                             ;   in Loop: Header=BB2_1105 Depth=3
	v_bfrev_b32_e32 v9, 1
	s_mov_b32 s76, exec_lo
	v_cmpx_ne_u16_e32 0x80, v8
	s_cbranch_execz .LBB2_1392
; %bb.1385:                             ;   in Loop: Header=BB2_1105 Depth=3
	v_and_b32_e32 v40, 0xffff, v8
	s_delay_alu instid0(VALU_DEP_1) | instskip(SKIP_1) | instid1(VALU_DEP_2)
	v_and_b32_e32 v9, 0x7c, v40
	v_and_b32_e32 v2, 3, v40
	v_cmp_ne_u32_e32 vcc_lo, 0x7c, v9
                                        ; implicit-def: $vgpr9
	s_and_saveexec_b32 s77, vcc_lo
	s_delay_alu instid0(SALU_CYCLE_1)
	s_xor_b32 s77, exec_lo, s77
	s_cbranch_execz .LBB2_1389
; %bb.1386:                             ;   in Loop: Header=BB2_1105 Depth=3
	v_bfe_u32 v9, v40, 2, 5
	s_mov_b32 s78, exec_lo
	s_delay_alu instid0(VALU_DEP_1)
	v_cmpx_eq_u32_e32 0, v9
; %bb.1387:                             ;   in Loop: Header=BB2_1105 Depth=3
	v_clz_i32_u32_e32 v2, v2
	v_mov_b32_e32 v9, v3
	s_delay_alu instid0(VALU_DEP_2) | instskip(NEXT) | instid1(VALU_DEP_1)
	v_min_u32_e32 v2, 32, v2
	v_subrev_nc_u32_e32 v18, 29, v2
	s_delay_alu instid0(VALU_DEP_1) | instskip(NEXT) | instid1(VALU_DEP_1)
	v_lshlrev_b64_e32 v[8:9], v18, v[8:9]
	v_dual_sub_nc_u32 v9, 30, v2 :: v_dual_bitop2_b32 v2, 3, v8 bitop3:0x40
; %bb.1388:                             ;   in Loop: Header=BB2_1105 Depth=3
	s_or_b32 exec_lo, exec_lo, s78
	v_lshlrev_b32_e32 v8, 16, v10
	s_delay_alu instid0(VALU_DEP_1) | instskip(NEXT) | instid1(VALU_DEP_1)
	v_and_b32_e32 v8, 0x80000000, v8
	v_lshl_add_u32 v8, v9, 23, v8
	s_delay_alu instid0(VALU_DEP_1) | instskip(NEXT) | instid1(VALU_DEP_1)
	v_lshl_or_b32 v2, v2, 21, v8
	v_add_nc_u32_e32 v9, 0x38000000, v2
                                        ; implicit-def: $vgpr2
.LBB2_1389:                             ;   in Loop: Header=BB2_1105 Depth=3
	s_and_not1_saveexec_b32 s77, s77
; %bb.1390:                             ;   in Loop: Header=BB2_1105 Depth=3
	v_cmp_lt_i16_e32 vcc_lo, -1, v10
	v_cndmask_b32_e32 v8, 0xff800000, v111, vcc_lo
	v_cmp_eq_u32_e32 vcc_lo, 0, v2
	s_delay_alu instid0(VALU_DEP_2)
	v_cndmask_b32_e32 v9, 0x7f800001, v8, vcc_lo
; %bb.1391:                             ;   in Loop: Header=BB2_1105 Depth=3
	s_or_b32 exec_lo, exec_lo, s77
.LBB2_1392:                             ;   in Loop: Header=BB2_1105 Depth=3
	s_delay_alu instid0(SALU_CYCLE_1)
	s_or_b32 exec_lo, exec_lo, s76
.LBB2_1393:                             ;   in Loop: Header=BB2_1105 Depth=3
	s_delay_alu instid0(SALU_CYCLE_1) | instskip(NEXT) | instid1(VALU_DEP_1)
	s_or_b32 exec_lo, exec_lo, s14
	v_dual_mul_f32 v8, s75, v9 :: v_dual_mov_b32 v19, v3
                                        ; implicit-def: $vgpr62
	s_mov_b32 s14, exec_lo
	s_delay_alu instid0(VALU_DEP_1) | instskip(SKIP_2) | instid1(VALU_DEP_3)
	v_and_b32_e32 v18, 0x7f800000, v8
	v_and_b32_e32 v2, 0x7fffff, v8
	v_lshrrev_b32_e32 v9, 24, v8
	v_cmpx_ne_u64_e32 0x7f800000, v[18:19]
	s_xor_b32 s76, exec_lo, s14
	s_cbranch_execz .LBB2_1407
; %bb.1394:                             ;   in Loop: Header=BB2_1105 Depth=3
	v_and_b32_e32 v18, 0x7fffffff, v8
	v_mov_b32_e32 v19, v3
	v_and_b32_e32 v63, 0x80, v9
                                        ; implicit-def: $vgpr62
	s_mov_b32 s14, exec_lo
	s_delay_alu instid0(VALU_DEP_2)
	v_cmpx_gt_u64_e32 0x47600001, v[18:19]
	s_xor_b32 s77, exec_lo, s14
	s_cbranch_execz .LBB2_1404
; %bb.1395:                             ;   in Loop: Header=BB2_1105 Depth=3
	v_mov_b32_e32 v62, 0
	s_mov_b32 s78, exec_lo
	v_cmpx_ne_u32_e32 0, v8
	s_cbranch_execz .LBB2_1403
; %bb.1396:                             ;   in Loop: Header=BB2_1105 Depth=3
	v_bfe_u32 v62, v8, 23, 8
	v_or_b32_e32 v18, 0x800000, v2
	s_delay_alu instid0(VALU_DEP_2) | instskip(SKIP_1) | instid1(VALU_DEP_2)
	v_dual_mov_b32 v19, v3 :: v_dual_sub_nc_u32 v8, 0x71, v62
	v_cmp_gt_u32_e32 vcc_lo, 0x72, v62
	v_cndmask_b32_e32 v8, 0, v8, vcc_lo
	v_cmp_eq_u32_e32 vcc_lo, 0, v62
	v_cndmask_b32_e32 v18, v18, v2, vcc_lo
	s_delay_alu instid0(VALU_DEP_3) | instskip(NEXT) | instid1(VALU_DEP_1)
	v_cndmask_b32_e64 v72, v8, 0x70, vcc_lo
	v_dual_add_nc_u32 v8, 21, v72 :: v_dual_add_nc_u32 v40, 20, v72
	s_delay_alu instid0(VALU_DEP_1) | instskip(NEXT) | instid1(VALU_DEP_2)
	v_lshlrev_b64_e64 v[8:9], v8, -1
	v_lshlrev_b64_e64 v[40:41], v40, 1
	s_delay_alu instid0(VALU_DEP_2) | instskip(NEXT) | instid1(VALU_DEP_3)
	v_bfi_b32 v75, v9, 0, 0
	v_bfi_b32 v74, v8, 0, v18
	v_lshrrev_b64 v[8:9], v72, v[18:19]
	s_delay_alu instid0(VALU_DEP_2) | instskip(NEXT) | instid1(VALU_DEP_2)
	v_cmp_eq_u64_e64 s14, v[74:75], v[40:41]
	v_mov_b64_e32 v[40:41], v[8:9]
	s_and_saveexec_b32 s79, s14
; %bb.1397:                             ;   in Loop: Header=BB2_1105 Depth=3
	v_bfe_u32 v18, v8, 21, 1
	v_mov_b32_e32 v19, v3
	s_delay_alu instid0(VALU_DEP_1) | instskip(NEXT) | instid1(VALU_DEP_1)
	v_add_nc_u64_e32 v[18:19], v[8:9], v[18:19]
	v_add_nc_u64_e32 v[40:41], -1, v[18:19]
; %bb.1398:                             ;   in Loop: Header=BB2_1105 Depth=3
	s_or_b32 exec_lo, exec_lo, s79
	v_add_nc_u32_e32 v2, 0xffffff81, v62
	v_lshrrev_b32_e32 v9, 23, v8
	s_mov_b32 s14, exec_lo
	s_delay_alu instid0(VALU_DEP_2) | instskip(NEXT) | instid1(VALU_DEP_1)
	v_cndmask_b32_e64 v2, v2, 0xffffff82, vcc_lo
	v_add3_u32 v41, v72, v2, v9
	v_and_b32_e32 v2, 0x1fffff, v40
                                        ; implicit-def: $vgpr40
	s_delay_alu instid0(VALU_DEP_1) | instskip(NEXT) | instid1(VALU_DEP_1)
	v_dual_add_nc_u32 v62, 14, v41 :: v_dual_add_nc_u32 v2, v2, v8
                                        ; implicit-def: $vgpr8_vgpr9
	v_cmpx_ne_u32_e32 0, v62
	s_xor_b32 s14, exec_lo, s14
; %bb.1399:                             ;   in Loop: Header=BB2_1105 Depth=3
	s_delay_alu instid0(VALU_DEP_2) | instskip(SKIP_1) | instid1(VALU_DEP_1)
	v_cmp_lt_u64_e32 vcc_lo, 0xffffff, v[2:3]
	v_add_nc_u32_e32 v8, 15, v41
	v_cndmask_b32_e32 v40, v62, v8, vcc_lo
	v_cndmask_b32_e64 v8, 0, 1, vcc_lo
	s_delay_alu instid0(VALU_DEP_1)
	v_lshrrev_b64 v[8:9], v8, v[2:3]
; %bb.1400:                             ;   in Loop: Header=BB2_1105 Depth=3
	s_and_not1_saveexec_b32 s14, s14
; %bb.1401:                             ;   in Loop: Header=BB2_1105 Depth=3
	v_mov_b64_e32 v[8:9], v[2:3]
	v_bfe_u32 v40, v2, 23, 1
; %bb.1402:                             ;   in Loop: Header=BB2_1105 Depth=3
	s_or_b32 exec_lo, exec_lo, s14
	s_delay_alu instid0(VALU_DEP_2) | instskip(NEXT) | instid1(VALU_DEP_2)
	v_lshrrev_b64 v[8:9], 21, v[8:9]
	v_cmp_gt_i32_e32 vcc_lo, 32, v40
	v_min_i32_e32 v2, 31, v40
	v_cmp_eq_u32_e64 s14, 0, v40
	s_delay_alu instid0(VALU_DEP_2) | instskip(SKIP_1) | instid1(VALU_DEP_2)
	v_dual_cndmask_b32 v9, 0, v9 :: v_dual_lshlrev_b32 v2, 2, v2
	v_cndmask_b32_e32 v8, 3, v8, vcc_lo
	v_and_b32_e32 v2, 0xfc, v2
	s_delay_alu instid0(VALU_DEP_2) | instskip(NEXT) | instid1(VALU_DEP_2)
	v_cmp_eq_u64_e32 vcc_lo, 0, v[8:9]
	v_and_or_b32 v2, v8, 3, v2
	s_and_b32 s14, s14, vcc_lo
	s_delay_alu instid0(VALU_DEP_1) | instid1(SALU_CYCLE_1)
	v_cndmask_b32_e64 v2, v2, 0, s14
	s_delay_alu instid0(VALU_DEP_1)
	v_or_b32_e32 v62, v2, v63
.LBB2_1403:                             ;   in Loop: Header=BB2_1105 Depth=3
	s_or_b32 exec_lo, exec_lo, s78
                                        ; implicit-def: $vgpr63
.LBB2_1404:                             ;   in Loop: Header=BB2_1105 Depth=3
	s_and_not1_saveexec_b32 s14, s77
; %bb.1405:                             ;   in Loop: Header=BB2_1105 Depth=3
	v_or_b32_e32 v62, 0x7b, v63
; %bb.1406:                             ;   in Loop: Header=BB2_1105 Depth=3
	s_or_b32 exec_lo, exec_lo, s14
                                        ; implicit-def: $vgpr8
                                        ; implicit-def: $vgpr9
.LBB2_1407:                             ;   in Loop: Header=BB2_1105 Depth=3
	s_and_not1_saveexec_b32 s14, s76
	s_cbranch_execz .LBB2_1413
; %bb.1408:                             ;   in Loop: Header=BB2_1105 Depth=3
	s_mov_b32 s76, exec_lo
                                        ; implicit-def: $vgpr62
	v_cmpx_ne_u64_e32 0, v[2:3]
	s_xor_b32 s76, exec_lo, s76
; %bb.1409:                             ;   in Loop: Header=BB2_1105 Depth=3
	v_or_b32_e32 v62, 0x7f, v9
                                        ; implicit-def: $vgpr8
; %bb.1410:                             ;   in Loop: Header=BB2_1105 Depth=3
	s_and_not1_saveexec_b32 s76, s76
; %bb.1411:                             ;   in Loop: Header=BB2_1105 Depth=3
	v_cmp_lt_i32_e32 vcc_lo, -1, v8
	v_cndmask_b32_e32 v62, 0xfc, v120, vcc_lo
; %bb.1412:                             ;   in Loop: Header=BB2_1105 Depth=3
	s_or_b32 exec_lo, exec_lo, s76
.LBB2_1413:                             ;   in Loop: Header=BB2_1105 Depth=3
	s_delay_alu instid0(SALU_CYCLE_1) | instskip(SKIP_2) | instid1(VALU_DEP_1)
	s_or_b32 exec_lo, exec_lo, s14
	v_dual_lshrrev_b32 v2, 16, v10 :: v_dual_mov_b32 v8, 0
	s_mov_b32 s14, exec_lo
	v_and_b32_e32 v9, 0xff, v2
	s_delay_alu instid0(VALU_DEP_1)
	v_cmpx_ne_u16_e32 0, v9
	s_cbranch_execz .LBB2_1423
; %bb.1414:                             ;   in Loop: Header=BB2_1105 Depth=3
	v_bfrev_b32_e32 v8, 1
	s_mov_b32 s76, exec_lo
	v_cmpx_ne_u16_e32 0x80, v9
	s_cbranch_execz .LBB2_1422
; %bb.1415:                             ;   in Loop: Header=BB2_1105 Depth=3
	v_and_b32_e32 v8, 0x7c0000, v10
	v_bfe_u32 v9, v10, 16, 2
	s_delay_alu instid0(VALU_DEP_2) | instskip(SKIP_1) | instid1(SALU_CYCLE_1)
	v_cmp_ne_u32_e32 vcc_lo, 0x7c0000, v8
                                        ; implicit-def: $vgpr8
	s_and_saveexec_b32 s77, vcc_lo
	s_xor_b32 s77, exec_lo, s77
	s_cbranch_execz .LBB2_1419
; %bb.1416:                             ;   in Loop: Header=BB2_1105 Depth=3
	v_bfe_u32 v8, v10, 18, 5
	s_mov_b32 s78, exec_lo
	s_delay_alu instid0(VALU_DEP_1)
	v_cmpx_eq_u32_e32 0, v8
; %bb.1417:                             ;   in Loop: Header=BB2_1105 Depth=3
	v_clz_i32_u32_e32 v8, v9
	s_delay_alu instid0(VALU_DEP_1) | instskip(NEXT) | instid1(VALU_DEP_1)
	v_min_u32_e32 v8, 32, v8
	v_subrev_nc_u32_e32 v9, 29, v8
	s_delay_alu instid0(VALU_DEP_1) | instskip(NEXT) | instid1(VALU_DEP_1)
	v_lshlrev_b64_e32 v[18:19], v9, v[2:3]
	v_dual_sub_nc_u32 v8, 30, v8 :: v_dual_bitop2_b32 v9, 3, v18 bitop3:0x40
; %bb.1418:                             ;   in Loop: Header=BB2_1105 Depth=3
	s_or_b32 exec_lo, exec_lo, s78
	v_lshlrev_b32_e32 v2, 24, v2
	s_delay_alu instid0(VALU_DEP_1) | instskip(NEXT) | instid1(VALU_DEP_1)
	v_and_b32_e32 v2, 0x80000000, v2
	v_lshl_add_u32 v2, v8, 23, v2
	s_delay_alu instid0(VALU_DEP_1) | instskip(NEXT) | instid1(VALU_DEP_1)
	v_lshl_or_b32 v2, v9, 21, v2
                                        ; implicit-def: $vgpr9
	v_add_nc_u32_e32 v8, 0x38000000, v2
                                        ; implicit-def: $vgpr2
.LBB2_1419:                             ;   in Loop: Header=BB2_1105 Depth=3
	s_and_not1_saveexec_b32 s77, s77
; %bb.1420:                             ;   in Loop: Header=BB2_1105 Depth=3
	v_bfe_i32 v2, v2, 0, 8
	s_delay_alu instid0(VALU_DEP_1) | instskip(SKIP_2) | instid1(VALU_DEP_2)
	v_cmp_lt_i16_e32 vcc_lo, -1, v2
	v_cndmask_b32_e32 v2, 0xff800000, v111, vcc_lo
	v_cmp_eq_u32_e32 vcc_lo, 0, v9
	v_cndmask_b32_e32 v8, 0x7f800001, v2, vcc_lo
; %bb.1421:                             ;   in Loop: Header=BB2_1105 Depth=3
	s_or_b32 exec_lo, exec_lo, s77
.LBB2_1422:                             ;   in Loop: Header=BB2_1105 Depth=3
	s_delay_alu instid0(SALU_CYCLE_1)
	s_or_b32 exec_lo, exec_lo, s76
.LBB2_1423:                             ;   in Loop: Header=BB2_1105 Depth=3
	s_delay_alu instid0(SALU_CYCLE_1) | instskip(NEXT) | instid1(VALU_DEP_1)
	s_or_b32 exec_lo, exec_lo, s14
	v_dual_mul_f32 v8, s75, v8 :: v_dual_mov_b32 v19, v3
                                        ; implicit-def: $vgpr63
	s_mov_b32 s14, exec_lo
	s_delay_alu instid0(VALU_DEP_1) | instskip(SKIP_2) | instid1(VALU_DEP_3)
	v_and_b32_e32 v18, 0x7f800000, v8
	v_and_b32_e32 v2, 0x7fffff, v8
	v_lshrrev_b32_e32 v9, 24, v8
	v_cmpx_ne_u64_e32 0x7f800000, v[18:19]
	s_xor_b32 s76, exec_lo, s14
	s_cbranch_execz .LBB2_1437
; %bb.1424:                             ;   in Loop: Header=BB2_1105 Depth=3
	v_and_b32_e32 v18, 0x7fffffff, v8
	v_mov_b32_e32 v19, v3
	v_and_b32_e32 v72, 0x80, v9
                                        ; implicit-def: $vgpr63
	s_mov_b32 s14, exec_lo
	s_delay_alu instid0(VALU_DEP_2)
	v_cmpx_gt_u64_e32 0x47600001, v[18:19]
	s_xor_b32 s77, exec_lo, s14
	s_cbranch_execz .LBB2_1434
; %bb.1425:                             ;   in Loop: Header=BB2_1105 Depth=3
	v_mov_b32_e32 v63, 0
	s_mov_b32 s78, exec_lo
	v_cmpx_ne_u32_e32 0, v8
	s_cbranch_execz .LBB2_1433
; %bb.1426:                             ;   in Loop: Header=BB2_1105 Depth=3
	v_bfe_u32 v63, v8, 23, 8
	v_or_b32_e32 v18, 0x800000, v2
	s_delay_alu instid0(VALU_DEP_2) | instskip(SKIP_1) | instid1(VALU_DEP_2)
	v_dual_mov_b32 v19, v3 :: v_dual_sub_nc_u32 v8, 0x71, v63
	v_cmp_gt_u32_e32 vcc_lo, 0x72, v63
	v_cndmask_b32_e32 v8, 0, v8, vcc_lo
	v_cmp_eq_u32_e32 vcc_lo, 0, v63
	s_delay_alu instid0(VALU_DEP_2) | instskip(NEXT) | instid1(VALU_DEP_1)
	v_cndmask_b32_e64 v73, v8, 0x70, vcc_lo
	v_dual_cndmask_b32 v18, v18, v2, vcc_lo :: v_dual_add_nc_u32 v8, 21, v73
	v_add_nc_u32_e32 v40, 20, v73
	s_delay_alu instid0(VALU_DEP_2) | instskip(NEXT) | instid1(VALU_DEP_2)
	v_lshlrev_b64_e64 v[8:9], v8, -1
	v_lshlrev_b64_e64 v[40:41], v40, 1
	s_delay_alu instid0(VALU_DEP_2) | instskip(NEXT) | instid1(VALU_DEP_3)
	v_bfi_b32 v75, v9, 0, 0
	v_bfi_b32 v74, v8, 0, v18
	v_lshrrev_b64 v[8:9], v73, v[18:19]
	s_delay_alu instid0(VALU_DEP_2) | instskip(NEXT) | instid1(VALU_DEP_2)
	v_cmp_eq_u64_e64 s14, v[74:75], v[40:41]
	v_mov_b64_e32 v[40:41], v[8:9]
	s_and_saveexec_b32 s79, s14
; %bb.1427:                             ;   in Loop: Header=BB2_1105 Depth=3
	v_bfe_u32 v18, v8, 21, 1
	v_mov_b32_e32 v19, v3
	s_delay_alu instid0(VALU_DEP_1) | instskip(NEXT) | instid1(VALU_DEP_1)
	v_add_nc_u64_e32 v[18:19], v[8:9], v[18:19]
	v_add_nc_u64_e32 v[40:41], -1, v[18:19]
; %bb.1428:                             ;   in Loop: Header=BB2_1105 Depth=3
	s_or_b32 exec_lo, exec_lo, s79
	v_add_nc_u32_e32 v2, 0xffffff81, v63
	v_lshrrev_b32_e32 v9, 23, v8
	s_mov_b32 s14, exec_lo
	s_delay_alu instid0(VALU_DEP_2) | instskip(NEXT) | instid1(VALU_DEP_1)
	v_cndmask_b32_e64 v2, v2, 0xffffff82, vcc_lo
	v_add3_u32 v41, v73, v2, v9
	v_and_b32_e32 v2, 0x1fffff, v40
                                        ; implicit-def: $vgpr40
	s_delay_alu instid0(VALU_DEP_1) | instskip(NEXT) | instid1(VALU_DEP_1)
	v_dual_add_nc_u32 v63, 14, v41 :: v_dual_add_nc_u32 v2, v2, v8
                                        ; implicit-def: $vgpr8_vgpr9
	v_cmpx_ne_u32_e32 0, v63
	s_xor_b32 s14, exec_lo, s14
; %bb.1429:                             ;   in Loop: Header=BB2_1105 Depth=3
	s_delay_alu instid0(VALU_DEP_2) | instskip(SKIP_1) | instid1(VALU_DEP_1)
	v_cmp_lt_u64_e32 vcc_lo, 0xffffff, v[2:3]
	v_add_nc_u32_e32 v8, 15, v41
	v_cndmask_b32_e32 v40, v63, v8, vcc_lo
	v_cndmask_b32_e64 v8, 0, 1, vcc_lo
	s_delay_alu instid0(VALU_DEP_1)
	v_lshrrev_b64 v[8:9], v8, v[2:3]
; %bb.1430:                             ;   in Loop: Header=BB2_1105 Depth=3
	s_and_not1_saveexec_b32 s14, s14
; %bb.1431:                             ;   in Loop: Header=BB2_1105 Depth=3
	v_mov_b64_e32 v[8:9], v[2:3]
	v_bfe_u32 v40, v2, 23, 1
; %bb.1432:                             ;   in Loop: Header=BB2_1105 Depth=3
	s_or_b32 exec_lo, exec_lo, s14
	s_delay_alu instid0(VALU_DEP_2) | instskip(NEXT) | instid1(VALU_DEP_2)
	v_lshrrev_b64 v[8:9], 21, v[8:9]
	v_cmp_gt_i32_e32 vcc_lo, 32, v40
	v_min_i32_e32 v2, 31, v40
	v_cmp_eq_u32_e64 s14, 0, v40
	s_delay_alu instid0(VALU_DEP_2) | instskip(SKIP_1) | instid1(VALU_DEP_2)
	v_dual_cndmask_b32 v9, 0, v9 :: v_dual_lshlrev_b32 v2, 2, v2
	v_cndmask_b32_e32 v8, 3, v8, vcc_lo
	v_and_b32_e32 v2, 0xfc, v2
	s_delay_alu instid0(VALU_DEP_2) | instskip(NEXT) | instid1(VALU_DEP_2)
	v_cmp_eq_u64_e32 vcc_lo, 0, v[8:9]
	v_and_or_b32 v2, v8, 3, v2
	s_and_b32 s14, s14, vcc_lo
	s_delay_alu instid0(VALU_DEP_1) | instid1(SALU_CYCLE_1)
	v_cndmask_b32_e64 v2, v2, 0, s14
	s_delay_alu instid0(VALU_DEP_1)
	v_or_b32_e32 v63, v2, v72
.LBB2_1433:                             ;   in Loop: Header=BB2_1105 Depth=3
	s_or_b32 exec_lo, exec_lo, s78
                                        ; implicit-def: $vgpr72
.LBB2_1434:                             ;   in Loop: Header=BB2_1105 Depth=3
	s_and_not1_saveexec_b32 s14, s77
; %bb.1435:                             ;   in Loop: Header=BB2_1105 Depth=3
	v_or_b32_e32 v63, 0x7b, v72
; %bb.1436:                             ;   in Loop: Header=BB2_1105 Depth=3
	s_or_b32 exec_lo, exec_lo, s14
                                        ; implicit-def: $vgpr8
                                        ; implicit-def: $vgpr9
.LBB2_1437:                             ;   in Loop: Header=BB2_1105 Depth=3
	s_and_not1_saveexec_b32 s14, s76
	s_cbranch_execz .LBB2_1443
; %bb.1438:                             ;   in Loop: Header=BB2_1105 Depth=3
	s_mov_b32 s76, exec_lo
                                        ; implicit-def: $vgpr63
	v_cmpx_ne_u64_e32 0, v[2:3]
	s_xor_b32 s76, exec_lo, s76
; %bb.1439:                             ;   in Loop: Header=BB2_1105 Depth=3
	v_or_b32_e32 v63, 0x7f, v9
                                        ; implicit-def: $vgpr8
; %bb.1440:                             ;   in Loop: Header=BB2_1105 Depth=3
	s_and_not1_saveexec_b32 s76, s76
; %bb.1441:                             ;   in Loop: Header=BB2_1105 Depth=3
	v_cmp_lt_i32_e32 vcc_lo, -1, v8
	v_cndmask_b32_e32 v63, 0xfc, v120, vcc_lo
; %bb.1442:                             ;   in Loop: Header=BB2_1105 Depth=3
	s_or_b32 exec_lo, exec_lo, s76
.LBB2_1443:                             ;   in Loop: Header=BB2_1105 Depth=3
	s_delay_alu instid0(SALU_CYCLE_1)
	s_or_b32 exec_lo, exec_lo, s14
	v_mov_b32_e32 v8, 0
	s_mov_b32 s14, exec_lo
	v_cmpx_lt_u32_e32 0xffffff, v10
	s_cbranch_execz .LBB2_1453
; %bb.1444:                             ;   in Loop: Header=BB2_1105 Depth=3
	v_lshrrev_b32_e32 v2, 24, v10
	v_bfrev_b32_e32 v8, 1
	s_mov_b32 s76, exec_lo
	s_delay_alu instid0(VALU_DEP_2)
	v_cmpx_ne_u32_e32 0x80, v2
	s_cbranch_execz .LBB2_1452
; %bb.1445:                             ;   in Loop: Header=BB2_1105 Depth=3
	v_and_b32_e32 v8, 0x7c000000, v10
	v_bfe_u32 v9, v10, 24, 2
	s_delay_alu instid0(VALU_DEP_2) | instskip(SKIP_1) | instid1(SALU_CYCLE_1)
	v_cmp_ne_u32_e32 vcc_lo, 0x7c000000, v8
                                        ; implicit-def: $vgpr8
	s_and_saveexec_b32 s77, vcc_lo
	s_xor_b32 s77, exec_lo, s77
	s_cbranch_execz .LBB2_1449
; %bb.1446:                             ;   in Loop: Header=BB2_1105 Depth=3
	v_bfe_u32 v8, v10, 26, 5
	s_mov_b32 s78, exec_lo
	s_delay_alu instid0(VALU_DEP_1)
	v_cmpx_eq_u32_e32 0, v8
; %bb.1447:                             ;   in Loop: Header=BB2_1105 Depth=3
	v_clz_i32_u32_e32 v8, v9
	s_delay_alu instid0(VALU_DEP_1) | instskip(NEXT) | instid1(VALU_DEP_1)
	v_min_u32_e32 v8, 32, v8
	v_subrev_nc_u32_e32 v9, 29, v8
	s_delay_alu instid0(VALU_DEP_1) | instskip(NEXT) | instid1(VALU_DEP_1)
	v_lshlrev_b64_e32 v[18:19], v9, v[2:3]
	v_dual_sub_nc_u32 v8, 30, v8 :: v_dual_bitop2_b32 v9, 3, v18 bitop3:0x40
; %bb.1448:                             ;   in Loop: Header=BB2_1105 Depth=3
	s_or_b32 exec_lo, exec_lo, s78
	v_and_b32_e32 v2, 0x80000000, v10
	s_delay_alu instid0(VALU_DEP_1) | instskip(NEXT) | instid1(VALU_DEP_1)
	v_lshl_add_u32 v2, v8, 23, v2
	v_lshl_or_b32 v2, v9, 21, v2
                                        ; implicit-def: $vgpr9
	s_delay_alu instid0(VALU_DEP_1)
	v_add_nc_u32_e32 v8, 0x38000000, v2
.LBB2_1449:                             ;   in Loop: Header=BB2_1105 Depth=3
	s_and_not1_saveexec_b32 s77, s77
; %bb.1450:                             ;   in Loop: Header=BB2_1105 Depth=3
	v_cmp_lt_i32_e32 vcc_lo, -1, v10
	v_cndmask_b32_e32 v2, 0xff800000, v111, vcc_lo
	v_cmp_eq_u32_e32 vcc_lo, 0, v9
	s_delay_alu instid0(VALU_DEP_2)
	v_cndmask_b32_e32 v8, 0x7f800001, v2, vcc_lo
; %bb.1451:                             ;   in Loop: Header=BB2_1105 Depth=3
	s_or_b32 exec_lo, exec_lo, s77
.LBB2_1452:                             ;   in Loop: Header=BB2_1105 Depth=3
	s_delay_alu instid0(SALU_CYCLE_1)
	s_or_b32 exec_lo, exec_lo, s76
.LBB2_1453:                             ;   in Loop: Header=BB2_1105 Depth=3
	s_delay_alu instid0(SALU_CYCLE_1) | instskip(NEXT) | instid1(VALU_DEP_1)
	s_or_b32 exec_lo, exec_lo, s14
	v_dual_mul_f32 v8, s75, v8 :: v_dual_mov_b32 v19, v3
                                        ; implicit-def: $vgpr72
	s_mov_b32 s14, exec_lo
	s_delay_alu instid0(VALU_DEP_1) | instskip(SKIP_2) | instid1(VALU_DEP_3)
	v_and_b32_e32 v18, 0x7f800000, v8
	v_and_b32_e32 v2, 0x7fffff, v8
	v_lshrrev_b32_e32 v9, 24, v8
	v_cmpx_ne_u64_e32 0x7f800000, v[18:19]
	s_xor_b32 s76, exec_lo, s14
	s_cbranch_execz .LBB2_1467
; %bb.1454:                             ;   in Loop: Header=BB2_1105 Depth=3
	v_and_b32_e32 v18, 0x7fffffff, v8
	v_mov_b32_e32 v19, v3
	v_and_b32_e32 v73, 0x80, v9
                                        ; implicit-def: $vgpr72
	s_mov_b32 s14, exec_lo
	s_delay_alu instid0(VALU_DEP_2)
	v_cmpx_gt_u64_e32 0x47600001, v[18:19]
	s_xor_b32 s77, exec_lo, s14
	s_cbranch_execz .LBB2_1464
; %bb.1455:                             ;   in Loop: Header=BB2_1105 Depth=3
	v_mov_b32_e32 v72, 0
	s_mov_b32 s78, exec_lo
	v_cmpx_ne_u32_e32 0, v8
	s_cbranch_execz .LBB2_1463
; %bb.1456:                             ;   in Loop: Header=BB2_1105 Depth=3
	v_bfe_u32 v72, v8, 23, 8
	v_or_b32_e32 v18, 0x800000, v2
	s_delay_alu instid0(VALU_DEP_2) | instskip(SKIP_1) | instid1(VALU_DEP_2)
	v_dual_mov_b32 v19, v3 :: v_dual_sub_nc_u32 v8, 0x71, v72
	v_cmp_gt_u32_e32 vcc_lo, 0x72, v72
	v_cndmask_b32_e32 v8, 0, v8, vcc_lo
	v_cmp_eq_u32_e32 vcc_lo, 0, v72
	s_delay_alu instid0(VALU_DEP_2) | instskip(SKIP_1) | instid1(VALU_DEP_2)
	v_cndmask_b32_e64 v74, v8, 0x70, vcc_lo
	v_cndmask_b32_e32 v18, v18, v2, vcc_lo
	v_dual_add_nc_u32 v8, 21, v74 :: v_dual_add_nc_u32 v40, 20, v74
	s_delay_alu instid0(VALU_DEP_1) | instskip(NEXT) | instid1(VALU_DEP_2)
	v_lshlrev_b64_e64 v[8:9], v8, -1
	v_lshlrev_b64_e64 v[40:41], v40, 1
	s_delay_alu instid0(VALU_DEP_2) | instskip(NEXT) | instid1(VALU_DEP_3)
	v_bfi_b32 v77, v9, 0, 0
	v_bfi_b32 v76, v8, 0, v18
	v_lshrrev_b64 v[8:9], v74, v[18:19]
	s_delay_alu instid0(VALU_DEP_2) | instskip(NEXT) | instid1(VALU_DEP_2)
	v_cmp_eq_u64_e64 s14, v[76:77], v[40:41]
	v_mov_b64_e32 v[40:41], v[8:9]
	s_and_saveexec_b32 s79, s14
; %bb.1457:                             ;   in Loop: Header=BB2_1105 Depth=3
	v_bfe_u32 v18, v8, 21, 1
	v_mov_b32_e32 v19, v3
	s_delay_alu instid0(VALU_DEP_1) | instskip(NEXT) | instid1(VALU_DEP_1)
	v_add_nc_u64_e32 v[18:19], v[8:9], v[18:19]
	v_add_nc_u64_e32 v[40:41], -1, v[18:19]
; %bb.1458:                             ;   in Loop: Header=BB2_1105 Depth=3
	s_or_b32 exec_lo, exec_lo, s79
	v_add_nc_u32_e32 v2, 0xffffff81, v72
	v_lshrrev_b32_e32 v9, 23, v8
	s_mov_b32 s14, exec_lo
	s_delay_alu instid0(VALU_DEP_2) | instskip(NEXT) | instid1(VALU_DEP_1)
	v_cndmask_b32_e64 v2, v2, 0xffffff82, vcc_lo
	v_add3_u32 v41, v74, v2, v9
	v_and_b32_e32 v2, 0x1fffff, v40
                                        ; implicit-def: $vgpr40
	s_delay_alu instid0(VALU_DEP_1) | instskip(NEXT) | instid1(VALU_DEP_1)
	v_dual_add_nc_u32 v72, 14, v41 :: v_dual_add_nc_u32 v2, v2, v8
                                        ; implicit-def: $vgpr8_vgpr9
	v_cmpx_ne_u32_e32 0, v72
	s_xor_b32 s14, exec_lo, s14
; %bb.1459:                             ;   in Loop: Header=BB2_1105 Depth=3
	s_delay_alu instid0(VALU_DEP_2) | instskip(SKIP_1) | instid1(VALU_DEP_1)
	v_cmp_lt_u64_e32 vcc_lo, 0xffffff, v[2:3]
	v_add_nc_u32_e32 v8, 15, v41
	v_cndmask_b32_e32 v40, v72, v8, vcc_lo
	v_cndmask_b32_e64 v8, 0, 1, vcc_lo
	s_delay_alu instid0(VALU_DEP_1)
	v_lshrrev_b64 v[8:9], v8, v[2:3]
; %bb.1460:                             ;   in Loop: Header=BB2_1105 Depth=3
	s_and_not1_saveexec_b32 s14, s14
; %bb.1461:                             ;   in Loop: Header=BB2_1105 Depth=3
	v_mov_b64_e32 v[8:9], v[2:3]
	v_bfe_u32 v40, v2, 23, 1
; %bb.1462:                             ;   in Loop: Header=BB2_1105 Depth=3
	s_or_b32 exec_lo, exec_lo, s14
	s_delay_alu instid0(VALU_DEP_2) | instskip(NEXT) | instid1(VALU_DEP_2)
	v_lshrrev_b64 v[8:9], 21, v[8:9]
	v_cmp_gt_i32_e32 vcc_lo, 32, v40
	v_min_i32_e32 v2, 31, v40
	v_cmp_eq_u32_e64 s14, 0, v40
	s_delay_alu instid0(VALU_DEP_2) | instskip(SKIP_1) | instid1(VALU_DEP_2)
	v_dual_cndmask_b32 v9, 0, v9 :: v_dual_lshlrev_b32 v2, 2, v2
	v_cndmask_b32_e32 v8, 3, v8, vcc_lo
	v_and_b32_e32 v2, 0xfc, v2
	s_delay_alu instid0(VALU_DEP_2) | instskip(NEXT) | instid1(VALU_DEP_2)
	v_cmp_eq_u64_e32 vcc_lo, 0, v[8:9]
	v_and_or_b32 v2, v8, 3, v2
	s_and_b32 s14, s14, vcc_lo
	s_delay_alu instid0(VALU_DEP_1) | instid1(SALU_CYCLE_1)
	v_cndmask_b32_e64 v2, v2, 0, s14
	s_delay_alu instid0(VALU_DEP_1)
	v_or_b32_e32 v72, v2, v73
.LBB2_1463:                             ;   in Loop: Header=BB2_1105 Depth=3
	s_or_b32 exec_lo, exec_lo, s78
                                        ; implicit-def: $vgpr73
.LBB2_1464:                             ;   in Loop: Header=BB2_1105 Depth=3
	s_and_not1_saveexec_b32 s14, s77
; %bb.1465:                             ;   in Loop: Header=BB2_1105 Depth=3
	v_or_b32_e32 v72, 0x7b, v73
; %bb.1466:                             ;   in Loop: Header=BB2_1105 Depth=3
	s_or_b32 exec_lo, exec_lo, s14
                                        ; implicit-def: $vgpr8
                                        ; implicit-def: $vgpr9
.LBB2_1467:                             ;   in Loop: Header=BB2_1105 Depth=3
	s_and_not1_saveexec_b32 s14, s76
	s_cbranch_execz .LBB2_1473
; %bb.1468:                             ;   in Loop: Header=BB2_1105 Depth=3
	s_mov_b32 s76, exec_lo
                                        ; implicit-def: $vgpr72
	v_cmpx_ne_u64_e32 0, v[2:3]
	s_xor_b32 s76, exec_lo, s76
; %bb.1469:                             ;   in Loop: Header=BB2_1105 Depth=3
	v_or_b32_e32 v72, 0x7f, v9
                                        ; implicit-def: $vgpr8
; %bb.1470:                             ;   in Loop: Header=BB2_1105 Depth=3
	s_and_not1_saveexec_b32 s76, s76
; %bb.1471:                             ;   in Loop: Header=BB2_1105 Depth=3
	v_cmp_lt_i32_e32 vcc_lo, -1, v8
	v_cndmask_b32_e32 v72, 0xfc, v120, vcc_lo
; %bb.1472:                             ;   in Loop: Header=BB2_1105 Depth=3
	s_or_b32 exec_lo, exec_lo, s76
.LBB2_1473:                             ;   in Loop: Header=BB2_1105 Depth=3
	s_delay_alu instid0(SALU_CYCLE_1) | instskip(SKIP_3) | instid1(VALU_DEP_2)
	s_or_b32 exec_lo, exec_lo, s14
	v_and_b32_e32 v9, 0xff, v11
	v_dual_mov_b32 v2, v11 :: v_dual_mov_b32 v8, 0
	s_mov_b32 s14, exec_lo
	v_cmpx_ne_u16_e32 0, v9
	s_cbranch_execz .LBB2_1483
; %bb.1474:                             ;   in Loop: Header=BB2_1105 Depth=3
	v_bfrev_b32_e32 v8, 1
	s_mov_b32 s76, exec_lo
	v_cmpx_ne_u16_e32 0x80, v9
	s_cbranch_execz .LBB2_1482
; %bb.1475:                             ;   in Loop: Header=BB2_1105 Depth=3
	v_and_b32_e32 v8, 0x7c, v11
	v_and_b32_e32 v9, 3, v11
	s_delay_alu instid0(VALU_DEP_2) | instskip(SKIP_1) | instid1(SALU_CYCLE_1)
	v_cmp_ne_u32_e32 vcc_lo, 0x7c, v8
                                        ; implicit-def: $vgpr8
	s_and_saveexec_b32 s77, vcc_lo
	s_xor_b32 s77, exec_lo, s77
	s_cbranch_execz .LBB2_1479
; %bb.1476:                             ;   in Loop: Header=BB2_1105 Depth=3
	v_bfe_u32 v8, v11, 2, 5
	s_mov_b32 s78, exec_lo
	s_delay_alu instid0(VALU_DEP_1)
	v_cmpx_eq_u32_e32 0, v8
; %bb.1477:                             ;   in Loop: Header=BB2_1105 Depth=3
	v_clz_i32_u32_e32 v8, v9
	s_delay_alu instid0(VALU_DEP_1) | instskip(NEXT) | instid1(VALU_DEP_1)
	v_min_u32_e32 v8, 32, v8
	v_subrev_nc_u32_e32 v9, 29, v8
	s_delay_alu instid0(VALU_DEP_1) | instskip(NEXT) | instid1(VALU_DEP_1)
	v_lshlrev_b64_e32 v[18:19], v9, v[2:3]
	v_dual_sub_nc_u32 v8, 30, v8 :: v_dual_bitop2_b32 v9, 3, v18 bitop3:0x40
; %bb.1478:                             ;   in Loop: Header=BB2_1105 Depth=3
	s_or_b32 exec_lo, exec_lo, s78
	v_lshlrev_b32_e32 v18, 24, v11
	s_delay_alu instid0(VALU_DEP_1) | instskip(NEXT) | instid1(VALU_DEP_1)
	v_and_b32_e32 v18, 0x80000000, v18
	v_lshl_add_u32 v8, v8, 23, v18
	s_delay_alu instid0(VALU_DEP_1) | instskip(NEXT) | instid1(VALU_DEP_1)
	v_lshl_or_b32 v8, v9, 21, v8
                                        ; implicit-def: $vgpr9
	v_add_nc_u32_e32 v8, 0x38000000, v8
.LBB2_1479:                             ;   in Loop: Header=BB2_1105 Depth=3
	s_and_not1_saveexec_b32 s77, s77
; %bb.1480:                             ;   in Loop: Header=BB2_1105 Depth=3
	v_bfe_i32 v8, v11, 0, 8
	s_delay_alu instid0(VALU_DEP_1) | instskip(SKIP_2) | instid1(VALU_DEP_2)
	v_cmp_lt_i16_e32 vcc_lo, -1, v8
	v_cndmask_b32_e32 v8, 0xff800000, v111, vcc_lo
	v_cmp_eq_u32_e32 vcc_lo, 0, v9
	v_cndmask_b32_e32 v8, 0x7f800001, v8, vcc_lo
; %bb.1481:                             ;   in Loop: Header=BB2_1105 Depth=3
	s_or_b32 exec_lo, exec_lo, s77
.LBB2_1482:                             ;   in Loop: Header=BB2_1105 Depth=3
	s_delay_alu instid0(SALU_CYCLE_1)
	s_or_b32 exec_lo, exec_lo, s76
.LBB2_1483:                             ;   in Loop: Header=BB2_1105 Depth=3
	s_delay_alu instid0(SALU_CYCLE_1) | instskip(NEXT) | instid1(VALU_DEP_1)
	s_or_b32 exec_lo, exec_lo, s14
	v_dual_mul_f32 v40, s75, v8 :: v_dual_mov_b32 v19, v3
	v_mov_b32_e32 v9, v3
                                        ; implicit-def: $vgpr73
	s_mov_b32 s14, exec_lo
	s_delay_alu instid0(VALU_DEP_2) | instskip(SKIP_2) | instid1(VALU_DEP_3)
	v_and_b32_e32 v18, 0x7f800000, v40
	v_and_b32_e32 v8, 0x7fffff, v40
	v_lshrrev_b32_e32 v41, 24, v40
	v_cmpx_ne_u64_e32 0x7f800000, v[18:19]
	s_xor_b32 s76, exec_lo, s14
	s_cbranch_execz .LBB2_1497
; %bb.1484:                             ;   in Loop: Header=BB2_1105 Depth=3
	v_and_b32_e32 v18, 0x7fffffff, v40
	v_mov_b32_e32 v19, v3
	v_and_b32_e32 v74, 0x80, v41
                                        ; implicit-def: $vgpr73
	s_mov_b32 s14, exec_lo
	s_delay_alu instid0(VALU_DEP_2)
	v_cmpx_gt_u64_e32 0x47600001, v[18:19]
	s_xor_b32 s77, exec_lo, s14
	s_cbranch_execz .LBB2_1494
; %bb.1485:                             ;   in Loop: Header=BB2_1105 Depth=3
	v_mov_b32_e32 v73, 0
	s_mov_b32 s78, exec_lo
	v_cmpx_ne_u32_e32 0, v40
	s_cbranch_execz .LBB2_1493
; %bb.1486:                             ;   in Loop: Header=BB2_1105 Depth=3
	v_bfe_u32 v73, v40, 23, 8
	v_or_b32_e32 v40, 0x800000, v8
	s_delay_alu instid0(VALU_DEP_2) | instskip(SKIP_1) | instid1(VALU_DEP_2)
	v_sub_nc_u32_e32 v18, 0x71, v73
	v_cmp_gt_u32_e32 vcc_lo, 0x72, v73
	v_cndmask_b32_e32 v18, 0, v18, vcc_lo
	v_cmp_eq_u32_e32 vcc_lo, 0, v73
	s_delay_alu instid0(VALU_DEP_2) | instskip(NEXT) | instid1(VALU_DEP_1)
	v_cndmask_b32_e64 v75, v18, 0x70, vcc_lo
	v_dual_cndmask_b32 v8, v40, v8, vcc_lo :: v_dual_add_nc_u32 v18, 21, v75
	v_add_nc_u32_e32 v41, 20, v75
	s_delay_alu instid0(VALU_DEP_2) | instskip(NEXT) | instid1(VALU_DEP_2)
	v_lshlrev_b64_e64 v[18:19], v18, -1
	v_lshlrev_b64_e64 v[40:41], v41, 1
	s_delay_alu instid0(VALU_DEP_2) | instskip(SKIP_1) | instid1(VALU_DEP_4)
	v_bfi_b32 v18, v18, 0, v8
	v_lshrrev_b64 v[8:9], v75, v[8:9]
	v_bfi_b32 v19, v19, 0, 0
	s_delay_alu instid0(VALU_DEP_1) | instskip(NEXT) | instid1(VALU_DEP_3)
	v_cmp_eq_u64_e64 s14, v[18:19], v[40:41]
	v_mov_b64_e32 v[40:41], v[8:9]
	s_and_saveexec_b32 s79, s14
; %bb.1487:                             ;   in Loop: Header=BB2_1105 Depth=3
	v_bfe_u32 v18, v8, 21, 1
	v_mov_b32_e32 v19, v3
	s_delay_alu instid0(VALU_DEP_1) | instskip(NEXT) | instid1(VALU_DEP_1)
	v_add_nc_u64_e32 v[18:19], v[8:9], v[18:19]
	v_add_nc_u64_e32 v[40:41], -1, v[18:19]
; %bb.1488:                             ;   in Loop: Header=BB2_1105 Depth=3
	s_or_b32 exec_lo, exec_lo, s79
	v_add_nc_u32_e32 v9, 0xffffff81, v73
	v_lshrrev_b32_e32 v18, 23, v8
	s_mov_b32 s14, exec_lo
	s_delay_alu instid0(VALU_DEP_2) | instskip(NEXT) | instid1(VALU_DEP_1)
	v_cndmask_b32_e64 v9, v9, 0xffffff82, vcc_lo
	v_add3_u32 v41, v75, v9, v18
	v_and_b32_e32 v9, 0x1fffff, v40
                                        ; implicit-def: $vgpr40
	s_delay_alu instid0(VALU_DEP_1) | instskip(SKIP_1) | instid1(VALU_DEP_2)
	v_dual_add_nc_u32 v73, 14, v41 :: v_dual_add_nc_u32 v8, v9, v8
	v_mov_b32_e32 v9, v3
	v_cmpx_ne_u32_e32 0, v73
	s_xor_b32 s14, exec_lo, s14
; %bb.1489:                             ;   in Loop: Header=BB2_1105 Depth=3
	s_delay_alu instid0(VALU_DEP_2) | instskip(SKIP_1) | instid1(VALU_DEP_1)
	v_cmp_lt_u64_e32 vcc_lo, 0xffffff, v[8:9]
	v_add_nc_u32_e32 v18, 15, v41
	v_cndmask_b32_e32 v40, v73, v18, vcc_lo
	v_cndmask_b32_e64 v18, 0, 1, vcc_lo
	s_delay_alu instid0(VALU_DEP_1)
	v_lshrrev_b64 v[8:9], v18, v[8:9]
; %bb.1490:                             ;   in Loop: Header=BB2_1105 Depth=3
	s_and_not1_saveexec_b32 s14, s14
; %bb.1491:                             ;   in Loop: Header=BB2_1105 Depth=3
	s_delay_alu instid0(VALU_DEP_1)
	v_bfe_u32 v40, v8, 23, 1
; %bb.1492:                             ;   in Loop: Header=BB2_1105 Depth=3
	s_or_b32 exec_lo, exec_lo, s14
	s_delay_alu instid0(VALU_DEP_2) | instskip(NEXT) | instid1(VALU_DEP_2)
	v_lshrrev_b64 v[8:9], 21, v[8:9]
	v_cmp_gt_i32_e32 vcc_lo, 32, v40
	v_min_i32_e32 v18, 31, v40
	v_cmp_eq_u32_e64 s14, 0, v40
	s_delay_alu instid0(VALU_DEP_2) | instskip(SKIP_1) | instid1(VALU_DEP_2)
	v_dual_cndmask_b32 v9, 0, v9 :: v_dual_lshlrev_b32 v18, 2, v18
	v_cndmask_b32_e32 v8, 3, v8, vcc_lo
	v_and_b32_e32 v18, 0xfc, v18
	s_delay_alu instid0(VALU_DEP_2) | instskip(NEXT) | instid1(VALU_DEP_2)
	v_cmp_eq_u64_e32 vcc_lo, 0, v[8:9]
	v_and_or_b32 v8, v8, 3, v18
	s_and_b32 s14, s14, vcc_lo
	s_delay_alu instid0(VALU_DEP_1) | instid1(SALU_CYCLE_1)
	v_cndmask_b32_e64 v8, v8, 0, s14
	s_delay_alu instid0(VALU_DEP_1)
	v_or_b32_e32 v73, v8, v74
.LBB2_1493:                             ;   in Loop: Header=BB2_1105 Depth=3
	s_or_b32 exec_lo, exec_lo, s78
                                        ; implicit-def: $vgpr74
.LBB2_1494:                             ;   in Loop: Header=BB2_1105 Depth=3
	s_and_not1_saveexec_b32 s14, s77
; %bb.1495:                             ;   in Loop: Header=BB2_1105 Depth=3
	v_or_b32_e32 v73, 0x7b, v74
; %bb.1496:                             ;   in Loop: Header=BB2_1105 Depth=3
	s_or_b32 exec_lo, exec_lo, s14
                                        ; implicit-def: $vgpr40
                                        ; implicit-def: $vgpr8_vgpr9
                                        ; implicit-def: $vgpr41
.LBB2_1497:                             ;   in Loop: Header=BB2_1105 Depth=3
	s_and_not1_saveexec_b32 s14, s76
	s_cbranch_execz .LBB2_1503
; %bb.1498:                             ;   in Loop: Header=BB2_1105 Depth=3
	s_mov_b32 s76, exec_lo
                                        ; implicit-def: $vgpr73
	v_cmpx_ne_u64_e32 0, v[8:9]
	s_xor_b32 s76, exec_lo, s76
; %bb.1499:                             ;   in Loop: Header=BB2_1105 Depth=3
	v_or_b32_e32 v73, 0x7f, v41
                                        ; implicit-def: $vgpr40
; %bb.1500:                             ;   in Loop: Header=BB2_1105 Depth=3
	s_and_not1_saveexec_b32 s76, s76
; %bb.1501:                             ;   in Loop: Header=BB2_1105 Depth=3
	v_cmp_lt_i32_e32 vcc_lo, -1, v40
	v_cndmask_b32_e32 v73, 0xfc, v120, vcc_lo
; %bb.1502:                             ;   in Loop: Header=BB2_1105 Depth=3
	s_or_b32 exec_lo, exec_lo, s76
.LBB2_1503:                             ;   in Loop: Header=BB2_1105 Depth=3
	s_delay_alu instid0(SALU_CYCLE_1) | instskip(SKIP_3) | instid1(VALU_DEP_2)
	s_or_b32 exec_lo, exec_lo, s14
	v_lshrrev_b16 v8, 8, v2
	v_mov_b32_e32 v40, 0
	s_mov_b32 s14, exec_lo
	v_cmpx_ne_u16_e32 0, v8
	s_cbranch_execz .LBB2_1513
; %bb.1504:                             ;   in Loop: Header=BB2_1105 Depth=3
	v_bfrev_b32_e32 v40, 1
	s_mov_b32 s76, exec_lo
	v_cmpx_ne_u16_e32 0x80, v8
	s_cbranch_execz .LBB2_1512
; %bb.1505:                             ;   in Loop: Header=BB2_1105 Depth=3
	v_and_b32_e32 v41, 0xffff, v8
	s_mov_b32 s77, exec_lo
                                        ; implicit-def: $vgpr40
	s_delay_alu instid0(VALU_DEP_1) | instskip(SKIP_1) | instid1(VALU_DEP_2)
	v_and_b32_e32 v18, 0x7c, v41
	v_and_b32_e32 v9, 3, v41
	v_cmpx_ne_u32_e32 0x7c, v18
	s_xor_b32 s77, exec_lo, s77
	s_cbranch_execz .LBB2_1509
; %bb.1506:                             ;   in Loop: Header=BB2_1105 Depth=3
	v_bfe_u32 v40, v41, 2, 5
	s_mov_b32 s78, exec_lo
	s_delay_alu instid0(VALU_DEP_1)
	v_cmpx_eq_u32_e32 0, v40
; %bb.1507:                             ;   in Loop: Header=BB2_1105 Depth=3
	v_clz_i32_u32_e32 v9, v9
	s_delay_alu instid0(VALU_DEP_1) | instskip(NEXT) | instid1(VALU_DEP_1)
	v_min_u32_e32 v18, 32, v9
	v_dual_mov_b32 v9, v3 :: v_dual_sub_nc_u32 v40, 30, v18
	v_subrev_nc_u32_e32 v19, 29, v18
	s_delay_alu instid0(VALU_DEP_1) | instskip(NEXT) | instid1(VALU_DEP_1)
	v_lshlrev_b64_e32 v[8:9], v19, v[8:9]
	v_and_b32_e32 v9, 3, v8
; %bb.1508:                             ;   in Loop: Header=BB2_1105 Depth=3
	s_or_b32 exec_lo, exec_lo, s78
	v_lshlrev_b32_e32 v2, 16, v2
	s_delay_alu instid0(VALU_DEP_1) | instskip(NEXT) | instid1(VALU_DEP_1)
	v_and_b32_e32 v2, 0x80000000, v2
	v_lshl_add_u32 v2, v40, 23, v2
	s_delay_alu instid0(VALU_DEP_1) | instskip(NEXT) | instid1(VALU_DEP_1)
	v_lshl_or_b32 v2, v9, 21, v2
                                        ; implicit-def: $vgpr9
	v_add_nc_u32_e32 v40, 0x38000000, v2
.LBB2_1509:                             ;   in Loop: Header=BB2_1105 Depth=3
	s_and_not1_saveexec_b32 s77, s77
; %bb.1510:                             ;   in Loop: Header=BB2_1105 Depth=3
	v_cmp_lt_i16_e32 vcc_lo, -1, v2
	v_cndmask_b32_e32 v2, 0xff800000, v111, vcc_lo
	v_cmp_eq_u32_e32 vcc_lo, 0, v9
	s_delay_alu instid0(VALU_DEP_2)
	v_cndmask_b32_e32 v40, 0x7f800001, v2, vcc_lo
; %bb.1511:                             ;   in Loop: Header=BB2_1105 Depth=3
	s_or_b32 exec_lo, exec_lo, s77
.LBB2_1512:                             ;   in Loop: Header=BB2_1105 Depth=3
	s_delay_alu instid0(SALU_CYCLE_1)
	s_or_b32 exec_lo, exec_lo, s76
.LBB2_1513:                             ;   in Loop: Header=BB2_1105 Depth=3
	s_delay_alu instid0(SALU_CYCLE_1) | instskip(NEXT) | instid1(VALU_DEP_1)
	s_or_b32 exec_lo, exec_lo, s14
	v_dual_mul_f32 v8, s75, v40 :: v_dual_mov_b32 v19, v3
                                        ; implicit-def: $vgpr74
	s_mov_b32 s14, exec_lo
	s_delay_alu instid0(VALU_DEP_1) | instskip(SKIP_2) | instid1(VALU_DEP_3)
	v_and_b32_e32 v18, 0x7f800000, v8
	v_and_b32_e32 v2, 0x7fffff, v8
	v_lshrrev_b32_e32 v9, 24, v8
	v_cmpx_ne_u64_e32 0x7f800000, v[18:19]
	s_xor_b32 s76, exec_lo, s14
	s_cbranch_execz .LBB2_1527
; %bb.1514:                             ;   in Loop: Header=BB2_1105 Depth=3
	v_and_b32_e32 v18, 0x7fffffff, v8
	v_mov_b32_e32 v19, v3
	v_and_b32_e32 v75, 0x80, v9
                                        ; implicit-def: $vgpr74
	s_mov_b32 s14, exec_lo
	s_delay_alu instid0(VALU_DEP_2)
	v_cmpx_gt_u64_e32 0x47600001, v[18:19]
	s_xor_b32 s77, exec_lo, s14
	s_cbranch_execz .LBB2_1524
; %bb.1515:                             ;   in Loop: Header=BB2_1105 Depth=3
	v_mov_b32_e32 v74, 0
	s_mov_b32 s78, exec_lo
	v_cmpx_ne_u32_e32 0, v8
	s_cbranch_execz .LBB2_1523
; %bb.1516:                             ;   in Loop: Header=BB2_1105 Depth=3
	v_bfe_u32 v74, v8, 23, 8
	v_or_b32_e32 v18, 0x800000, v2
	s_delay_alu instid0(VALU_DEP_2) | instskip(SKIP_1) | instid1(VALU_DEP_2)
	v_dual_mov_b32 v19, v3 :: v_dual_sub_nc_u32 v8, 0x71, v74
	v_cmp_gt_u32_e32 vcc_lo, 0x72, v74
	v_cndmask_b32_e32 v8, 0, v8, vcc_lo
	v_cmp_eq_u32_e32 vcc_lo, 0, v74
	v_cndmask_b32_e32 v18, v18, v2, vcc_lo
	s_delay_alu instid0(VALU_DEP_3) | instskip(NEXT) | instid1(VALU_DEP_1)
	v_cndmask_b32_e64 v76, v8, 0x70, vcc_lo
	v_dual_add_nc_u32 v8, 21, v76 :: v_dual_add_nc_u32 v40, 20, v76
	s_delay_alu instid0(VALU_DEP_1) | instskip(NEXT) | instid1(VALU_DEP_2)
	v_lshlrev_b64_e64 v[8:9], v8, -1
	v_lshlrev_b64_e64 v[40:41], v40, 1
	s_delay_alu instid0(VALU_DEP_2) | instskip(NEXT) | instid1(VALU_DEP_3)
	v_bfi_b32 v79, v9, 0, 0
	v_bfi_b32 v78, v8, 0, v18
	v_lshrrev_b64 v[8:9], v76, v[18:19]
	s_delay_alu instid0(VALU_DEP_2) | instskip(NEXT) | instid1(VALU_DEP_2)
	v_cmp_eq_u64_e64 s14, v[78:79], v[40:41]
	v_mov_b64_e32 v[40:41], v[8:9]
	s_and_saveexec_b32 s79, s14
; %bb.1517:                             ;   in Loop: Header=BB2_1105 Depth=3
	v_bfe_u32 v18, v8, 21, 1
	v_mov_b32_e32 v19, v3
	s_delay_alu instid0(VALU_DEP_1) | instskip(NEXT) | instid1(VALU_DEP_1)
	v_add_nc_u64_e32 v[18:19], v[8:9], v[18:19]
	v_add_nc_u64_e32 v[40:41], -1, v[18:19]
; %bb.1518:                             ;   in Loop: Header=BB2_1105 Depth=3
	s_or_b32 exec_lo, exec_lo, s79
	v_add_nc_u32_e32 v2, 0xffffff81, v74
	v_lshrrev_b32_e32 v9, 23, v8
	s_mov_b32 s14, exec_lo
	s_delay_alu instid0(VALU_DEP_2) | instskip(NEXT) | instid1(VALU_DEP_1)
	v_cndmask_b32_e64 v2, v2, 0xffffff82, vcc_lo
	v_add3_u32 v41, v76, v2, v9
	v_and_b32_e32 v2, 0x1fffff, v40
                                        ; implicit-def: $vgpr40
	s_delay_alu instid0(VALU_DEP_1) | instskip(NEXT) | instid1(VALU_DEP_1)
	v_dual_add_nc_u32 v74, 14, v41 :: v_dual_add_nc_u32 v2, v2, v8
                                        ; implicit-def: $vgpr8_vgpr9
	v_cmpx_ne_u32_e32 0, v74
	s_xor_b32 s14, exec_lo, s14
; %bb.1519:                             ;   in Loop: Header=BB2_1105 Depth=3
	s_delay_alu instid0(VALU_DEP_2) | instskip(SKIP_1) | instid1(VALU_DEP_1)
	v_cmp_lt_u64_e32 vcc_lo, 0xffffff, v[2:3]
	v_add_nc_u32_e32 v8, 15, v41
	v_cndmask_b32_e32 v40, v74, v8, vcc_lo
	v_cndmask_b32_e64 v8, 0, 1, vcc_lo
	s_delay_alu instid0(VALU_DEP_1)
	v_lshrrev_b64 v[8:9], v8, v[2:3]
; %bb.1520:                             ;   in Loop: Header=BB2_1105 Depth=3
	s_and_not1_saveexec_b32 s14, s14
; %bb.1521:                             ;   in Loop: Header=BB2_1105 Depth=3
	v_mov_b64_e32 v[8:9], v[2:3]
	v_bfe_u32 v40, v2, 23, 1
; %bb.1522:                             ;   in Loop: Header=BB2_1105 Depth=3
	s_or_b32 exec_lo, exec_lo, s14
	s_delay_alu instid0(VALU_DEP_2) | instskip(NEXT) | instid1(VALU_DEP_2)
	v_lshrrev_b64 v[8:9], 21, v[8:9]
	v_cmp_gt_i32_e32 vcc_lo, 32, v40
	v_min_i32_e32 v2, 31, v40
	v_cmp_eq_u32_e64 s14, 0, v40
	s_delay_alu instid0(VALU_DEP_2) | instskip(SKIP_1) | instid1(VALU_DEP_2)
	v_dual_cndmask_b32 v9, 0, v9 :: v_dual_lshlrev_b32 v2, 2, v2
	v_cndmask_b32_e32 v8, 3, v8, vcc_lo
	v_and_b32_e32 v2, 0xfc, v2
	s_delay_alu instid0(VALU_DEP_2) | instskip(NEXT) | instid1(VALU_DEP_2)
	v_cmp_eq_u64_e32 vcc_lo, 0, v[8:9]
	v_and_or_b32 v2, v8, 3, v2
	s_and_b32 s14, s14, vcc_lo
	s_delay_alu instid0(VALU_DEP_1) | instid1(SALU_CYCLE_1)
	v_cndmask_b32_e64 v2, v2, 0, s14
	s_delay_alu instid0(VALU_DEP_1)
	v_or_b32_e32 v74, v2, v75
.LBB2_1523:                             ;   in Loop: Header=BB2_1105 Depth=3
	s_or_b32 exec_lo, exec_lo, s78
                                        ; implicit-def: $vgpr75
.LBB2_1524:                             ;   in Loop: Header=BB2_1105 Depth=3
	s_and_not1_saveexec_b32 s14, s77
; %bb.1525:                             ;   in Loop: Header=BB2_1105 Depth=3
	v_or_b32_e32 v74, 0x7b, v75
; %bb.1526:                             ;   in Loop: Header=BB2_1105 Depth=3
	s_or_b32 exec_lo, exec_lo, s14
                                        ; implicit-def: $vgpr8
                                        ; implicit-def: $vgpr9
.LBB2_1527:                             ;   in Loop: Header=BB2_1105 Depth=3
	s_and_not1_saveexec_b32 s14, s76
	s_cbranch_execz .LBB2_1533
; %bb.1528:                             ;   in Loop: Header=BB2_1105 Depth=3
	s_mov_b32 s76, exec_lo
                                        ; implicit-def: $vgpr74
	v_cmpx_ne_u64_e32 0, v[2:3]
	s_xor_b32 s76, exec_lo, s76
; %bb.1529:                             ;   in Loop: Header=BB2_1105 Depth=3
	v_or_b32_e32 v74, 0x7f, v9
                                        ; implicit-def: $vgpr8
; %bb.1530:                             ;   in Loop: Header=BB2_1105 Depth=3
	s_and_not1_saveexec_b32 s76, s76
; %bb.1531:                             ;   in Loop: Header=BB2_1105 Depth=3
	v_cmp_lt_i32_e32 vcc_lo, -1, v8
	v_cndmask_b32_e32 v74, 0xfc, v120, vcc_lo
; %bb.1532:                             ;   in Loop: Header=BB2_1105 Depth=3
	s_or_b32 exec_lo, exec_lo, s76
.LBB2_1533:                             ;   in Loop: Header=BB2_1105 Depth=3
	s_delay_alu instid0(SALU_CYCLE_1) | instskip(SKIP_2) | instid1(VALU_DEP_1)
	s_or_b32 exec_lo, exec_lo, s14
	v_dual_lshrrev_b32 v2, 16, v11 :: v_dual_mov_b32 v8, 0
	s_mov_b32 s14, exec_lo
	v_and_b32_e32 v9, 0xff, v2
	s_delay_alu instid0(VALU_DEP_1)
	v_cmpx_ne_u16_e32 0, v9
	s_cbranch_execz .LBB2_1543
; %bb.1534:                             ;   in Loop: Header=BB2_1105 Depth=3
	v_bfrev_b32_e32 v8, 1
	s_mov_b32 s76, exec_lo
	v_cmpx_ne_u16_e32 0x80, v9
	s_cbranch_execz .LBB2_1542
; %bb.1535:                             ;   in Loop: Header=BB2_1105 Depth=3
	v_and_b32_e32 v8, 0x7c0000, v11
	v_bfe_u32 v9, v11, 16, 2
	s_delay_alu instid0(VALU_DEP_2) | instskip(SKIP_1) | instid1(SALU_CYCLE_1)
	v_cmp_ne_u32_e32 vcc_lo, 0x7c0000, v8
                                        ; implicit-def: $vgpr8
	s_and_saveexec_b32 s77, vcc_lo
	s_xor_b32 s77, exec_lo, s77
	s_cbranch_execz .LBB2_1539
; %bb.1536:                             ;   in Loop: Header=BB2_1105 Depth=3
	v_bfe_u32 v8, v11, 18, 5
	s_mov_b32 s78, exec_lo
	s_delay_alu instid0(VALU_DEP_1)
	v_cmpx_eq_u32_e32 0, v8
; %bb.1537:                             ;   in Loop: Header=BB2_1105 Depth=3
	v_clz_i32_u32_e32 v8, v9
	s_delay_alu instid0(VALU_DEP_1) | instskip(NEXT) | instid1(VALU_DEP_1)
	v_min_u32_e32 v8, 32, v8
	v_subrev_nc_u32_e32 v9, 29, v8
	s_delay_alu instid0(VALU_DEP_1) | instskip(NEXT) | instid1(VALU_DEP_1)
	v_lshlrev_b64_e32 v[18:19], v9, v[2:3]
	v_dual_sub_nc_u32 v8, 30, v8 :: v_dual_bitop2_b32 v9, 3, v18 bitop3:0x40
; %bb.1538:                             ;   in Loop: Header=BB2_1105 Depth=3
	s_or_b32 exec_lo, exec_lo, s78
	v_lshlrev_b32_e32 v2, 24, v2
	s_delay_alu instid0(VALU_DEP_1) | instskip(NEXT) | instid1(VALU_DEP_1)
	v_and_b32_e32 v2, 0x80000000, v2
	v_lshl_add_u32 v2, v8, 23, v2
	s_delay_alu instid0(VALU_DEP_1) | instskip(NEXT) | instid1(VALU_DEP_1)
	v_lshl_or_b32 v2, v9, 21, v2
                                        ; implicit-def: $vgpr9
	v_add_nc_u32_e32 v8, 0x38000000, v2
                                        ; implicit-def: $vgpr2
.LBB2_1539:                             ;   in Loop: Header=BB2_1105 Depth=3
	s_and_not1_saveexec_b32 s77, s77
; %bb.1540:                             ;   in Loop: Header=BB2_1105 Depth=3
	v_bfe_i32 v2, v2, 0, 8
	s_delay_alu instid0(VALU_DEP_1) | instskip(SKIP_2) | instid1(VALU_DEP_2)
	v_cmp_lt_i16_e32 vcc_lo, -1, v2
	v_cndmask_b32_e32 v2, 0xff800000, v111, vcc_lo
	v_cmp_eq_u32_e32 vcc_lo, 0, v9
	v_cndmask_b32_e32 v8, 0x7f800001, v2, vcc_lo
; %bb.1541:                             ;   in Loop: Header=BB2_1105 Depth=3
	s_or_b32 exec_lo, exec_lo, s77
.LBB2_1542:                             ;   in Loop: Header=BB2_1105 Depth=3
	s_delay_alu instid0(SALU_CYCLE_1)
	s_or_b32 exec_lo, exec_lo, s76
.LBB2_1543:                             ;   in Loop: Header=BB2_1105 Depth=3
	s_delay_alu instid0(SALU_CYCLE_1) | instskip(NEXT) | instid1(VALU_DEP_1)
	s_or_b32 exec_lo, exec_lo, s14
	v_dual_mul_f32 v8, s75, v8 :: v_dual_mov_b32 v19, v3
                                        ; implicit-def: $vgpr40
	s_mov_b32 s14, exec_lo
	s_delay_alu instid0(VALU_DEP_1) | instskip(SKIP_2) | instid1(VALU_DEP_3)
	v_and_b32_e32 v18, 0x7f800000, v8
	v_and_b32_e32 v2, 0x7fffff, v8
	v_lshrrev_b32_e32 v9, 24, v8
	v_cmpx_ne_u64_e32 0x7f800000, v[18:19]
	s_xor_b32 s76, exec_lo, s14
	s_cbranch_execz .LBB2_1557
; %bb.1544:                             ;   in Loop: Header=BB2_1105 Depth=3
	v_and_b32_e32 v18, 0x7fffffff, v8
	v_mov_b32_e32 v19, v3
	v_and_b32_e32 v75, 0x80, v9
                                        ; implicit-def: $vgpr40
	s_mov_b32 s14, exec_lo
	s_delay_alu instid0(VALU_DEP_2)
	v_cmpx_gt_u64_e32 0x47600001, v[18:19]
	s_xor_b32 s77, exec_lo, s14
	s_cbranch_execz .LBB2_1554
; %bb.1545:                             ;   in Loop: Header=BB2_1105 Depth=3
	v_mov_b32_e32 v40, 0
	s_mov_b32 s78, exec_lo
	v_cmpx_ne_u32_e32 0, v8
	s_cbranch_execz .LBB2_1553
; %bb.1546:                             ;   in Loop: Header=BB2_1105 Depth=3
	v_bfe_u32 v76, v8, 23, 8
	v_or_b32_e32 v18, 0x800000, v2
	s_delay_alu instid0(VALU_DEP_2) | instskip(SKIP_1) | instid1(VALU_DEP_2)
	v_dual_mov_b32 v19, v3 :: v_dual_sub_nc_u32 v8, 0x71, v76
	v_cmp_gt_u32_e32 vcc_lo, 0x72, v76
	v_cndmask_b32_e32 v8, 0, v8, vcc_lo
	v_cmp_eq_u32_e32 vcc_lo, 0, v76
	s_delay_alu instid0(VALU_DEP_2) | instskip(NEXT) | instid1(VALU_DEP_1)
	v_cndmask_b32_e64 v77, v8, 0x70, vcc_lo
	v_dual_cndmask_b32 v18, v18, v2, vcc_lo :: v_dual_add_nc_u32 v8, 21, v77
	v_add_nc_u32_e32 v40, 20, v77
	s_delay_alu instid0(VALU_DEP_2) | instskip(NEXT) | instid1(VALU_DEP_2)
	v_lshlrev_b64_e64 v[8:9], v8, -1
	v_lshlrev_b64_e64 v[40:41], v40, 1
	s_delay_alu instid0(VALU_DEP_2) | instskip(NEXT) | instid1(VALU_DEP_3)
	v_bfi_b32 v79, v9, 0, 0
	v_bfi_b32 v78, v8, 0, v18
	v_lshrrev_b64 v[8:9], v77, v[18:19]
	s_delay_alu instid0(VALU_DEP_2) | instskip(NEXT) | instid1(VALU_DEP_2)
	v_cmp_eq_u64_e64 s14, v[78:79], v[40:41]
	v_mov_b64_e32 v[40:41], v[8:9]
	s_and_saveexec_b32 s79, s14
; %bb.1547:                             ;   in Loop: Header=BB2_1105 Depth=3
	v_bfe_u32 v18, v8, 21, 1
	v_mov_b32_e32 v19, v3
	s_delay_alu instid0(VALU_DEP_1) | instskip(NEXT) | instid1(VALU_DEP_1)
	v_add_nc_u64_e32 v[18:19], v[8:9], v[18:19]
	v_add_nc_u64_e32 v[40:41], -1, v[18:19]
; %bb.1548:                             ;   in Loop: Header=BB2_1105 Depth=3
	s_or_b32 exec_lo, exec_lo, s79
	v_add_nc_u32_e32 v2, 0xffffff81, v76
	v_lshrrev_b32_e32 v9, 23, v8
	s_mov_b32 s14, exec_lo
	s_delay_alu instid0(VALU_DEP_2) | instskip(NEXT) | instid1(VALU_DEP_1)
	v_cndmask_b32_e64 v2, v2, 0xffffff82, vcc_lo
	v_add3_u32 v41, v77, v2, v9
	v_and_b32_e32 v2, 0x1fffff, v40
                                        ; implicit-def: $vgpr40
	s_delay_alu instid0(VALU_DEP_1) | instskip(NEXT) | instid1(VALU_DEP_1)
	v_dual_add_nc_u32 v76, 14, v41 :: v_dual_add_nc_u32 v2, v2, v8
                                        ; implicit-def: $vgpr8_vgpr9
	v_cmpx_ne_u32_e32 0, v76
	s_xor_b32 s14, exec_lo, s14
; %bb.1549:                             ;   in Loop: Header=BB2_1105 Depth=3
	s_delay_alu instid0(VALU_DEP_2) | instskip(SKIP_1) | instid1(VALU_DEP_1)
	v_cmp_lt_u64_e32 vcc_lo, 0xffffff, v[2:3]
	v_add_nc_u32_e32 v8, 15, v41
	v_cndmask_b32_e32 v40, v76, v8, vcc_lo
	v_cndmask_b32_e64 v8, 0, 1, vcc_lo
	s_delay_alu instid0(VALU_DEP_1)
	v_lshrrev_b64 v[8:9], v8, v[2:3]
; %bb.1550:                             ;   in Loop: Header=BB2_1105 Depth=3
	s_and_not1_saveexec_b32 s14, s14
; %bb.1551:                             ;   in Loop: Header=BB2_1105 Depth=3
	v_mov_b64_e32 v[8:9], v[2:3]
	v_bfe_u32 v40, v2, 23, 1
; %bb.1552:                             ;   in Loop: Header=BB2_1105 Depth=3
	s_or_b32 exec_lo, exec_lo, s14
	s_delay_alu instid0(VALU_DEP_2) | instskip(NEXT) | instid1(VALU_DEP_2)
	v_lshrrev_b64 v[8:9], 21, v[8:9]
	v_cmp_gt_i32_e32 vcc_lo, 32, v40
	v_min_i32_e32 v2, 31, v40
	v_cmp_eq_u32_e64 s14, 0, v40
	s_delay_alu instid0(VALU_DEP_2) | instskip(SKIP_1) | instid1(VALU_DEP_2)
	v_dual_cndmask_b32 v9, 0, v9 :: v_dual_lshlrev_b32 v2, 2, v2
	v_cndmask_b32_e32 v8, 3, v8, vcc_lo
	v_and_b32_e32 v2, 0xfc, v2
	s_delay_alu instid0(VALU_DEP_2) | instskip(NEXT) | instid1(VALU_DEP_2)
	v_cmp_eq_u64_e32 vcc_lo, 0, v[8:9]
	v_and_or_b32 v2, v8, 3, v2
	s_and_b32 s14, s14, vcc_lo
	s_delay_alu instid0(VALU_DEP_1) | instid1(SALU_CYCLE_1)
	v_cndmask_b32_e64 v2, v2, 0, s14
	s_delay_alu instid0(VALU_DEP_1)
	v_or_b32_e32 v40, v2, v75
.LBB2_1553:                             ;   in Loop: Header=BB2_1105 Depth=3
	s_or_b32 exec_lo, exec_lo, s78
                                        ; implicit-def: $vgpr75
.LBB2_1554:                             ;   in Loop: Header=BB2_1105 Depth=3
	s_and_not1_saveexec_b32 s14, s77
; %bb.1555:                             ;   in Loop: Header=BB2_1105 Depth=3
	v_or_b32_e32 v40, 0x7b, v75
; %bb.1556:                             ;   in Loop: Header=BB2_1105 Depth=3
	s_or_b32 exec_lo, exec_lo, s14
                                        ; implicit-def: $vgpr8
                                        ; implicit-def: $vgpr9
.LBB2_1557:                             ;   in Loop: Header=BB2_1105 Depth=3
	s_and_not1_saveexec_b32 s14, s76
	s_cbranch_execz .LBB2_1563
; %bb.1558:                             ;   in Loop: Header=BB2_1105 Depth=3
	s_mov_b32 s76, exec_lo
                                        ; implicit-def: $vgpr40
	v_cmpx_ne_u64_e32 0, v[2:3]
	s_xor_b32 s76, exec_lo, s76
; %bb.1559:                             ;   in Loop: Header=BB2_1105 Depth=3
	v_or_b32_e32 v40, 0x7f, v9
                                        ; implicit-def: $vgpr8
; %bb.1560:                             ;   in Loop: Header=BB2_1105 Depth=3
	s_and_not1_saveexec_b32 s76, s76
; %bb.1561:                             ;   in Loop: Header=BB2_1105 Depth=3
	v_cmp_lt_i32_e32 vcc_lo, -1, v8
	v_cndmask_b32_e32 v40, 0xfc, v120, vcc_lo
; %bb.1562:                             ;   in Loop: Header=BB2_1105 Depth=3
	s_or_b32 exec_lo, exec_lo, s76
.LBB2_1563:                             ;   in Loop: Header=BB2_1105 Depth=3
	s_delay_alu instid0(SALU_CYCLE_1)
	s_or_b32 exec_lo, exec_lo, s14
	v_mov_b32_e32 v8, 0
	s_mov_b32 s14, exec_lo
	v_cmpx_lt_u64_e64 s[22:23], v[10:11]
	s_cbranch_execz .LBB2_1573
; %bb.1564:                             ;   in Loop: Header=BB2_1105 Depth=3
	v_lshrrev_b32_e32 v2, 24, v11
	v_bfrev_b32_e32 v8, 1
	s_mov_b32 s76, exec_lo
	s_delay_alu instid0(VALU_DEP_2)
	v_cmpx_ne_u32_e32 0x80, v2
	s_cbranch_execz .LBB2_1572
; %bb.1565:                             ;   in Loop: Header=BB2_1105 Depth=3
	v_and_b32_e32 v8, 0x7c000000, v11
	v_bfe_u32 v9, v11, 24, 2
	s_delay_alu instid0(VALU_DEP_2) | instskip(SKIP_1) | instid1(SALU_CYCLE_1)
	v_cmp_ne_u32_e32 vcc_lo, 0x7c000000, v8
                                        ; implicit-def: $vgpr8
	s_and_saveexec_b32 s77, vcc_lo
	s_xor_b32 s77, exec_lo, s77
	s_cbranch_execz .LBB2_1569
; %bb.1566:                             ;   in Loop: Header=BB2_1105 Depth=3
	v_bfe_u32 v8, v11, 26, 5
	s_mov_b32 s78, exec_lo
	s_delay_alu instid0(VALU_DEP_1)
	v_cmpx_eq_u32_e32 0, v8
; %bb.1567:                             ;   in Loop: Header=BB2_1105 Depth=3
	v_clz_i32_u32_e32 v8, v9
	s_delay_alu instid0(VALU_DEP_1) | instskip(NEXT) | instid1(VALU_DEP_1)
	v_min_u32_e32 v8, 32, v8
	v_subrev_nc_u32_e32 v9, 29, v8
	s_delay_alu instid0(VALU_DEP_1) | instskip(NEXT) | instid1(VALU_DEP_1)
	v_lshlrev_b64_e32 v[18:19], v9, v[2:3]
	v_dual_sub_nc_u32 v8, 30, v8 :: v_dual_bitop2_b32 v9, 3, v18 bitop3:0x40
; %bb.1568:                             ;   in Loop: Header=BB2_1105 Depth=3
	s_or_b32 exec_lo, exec_lo, s78
	v_and_b32_e32 v2, 0x80000000, v11
                                        ; implicit-def: $vgpr10_vgpr11
	s_delay_alu instid0(VALU_DEP_1) | instskip(NEXT) | instid1(VALU_DEP_1)
	v_lshl_add_u32 v2, v8, 23, v2
	v_lshl_or_b32 v2, v9, 21, v2
                                        ; implicit-def: $vgpr9
	s_delay_alu instid0(VALU_DEP_1)
	v_add_nc_u32_e32 v8, 0x38000000, v2
.LBB2_1569:                             ;   in Loop: Header=BB2_1105 Depth=3
	s_and_not1_saveexec_b32 s77, s77
; %bb.1570:                             ;   in Loop: Header=BB2_1105 Depth=3
	v_cmp_lt_i64_e32 vcc_lo, -1, v[10:11]
	v_cndmask_b32_e32 v2, 0xff800000, v111, vcc_lo
	v_cmp_eq_u32_e32 vcc_lo, 0, v9
	s_delay_alu instid0(VALU_DEP_2)
	v_cndmask_b32_e32 v8, 0x7f800001, v2, vcc_lo
; %bb.1571:                             ;   in Loop: Header=BB2_1105 Depth=3
	s_or_b32 exec_lo, exec_lo, s77
.LBB2_1572:                             ;   in Loop: Header=BB2_1105 Depth=3
	s_delay_alu instid0(SALU_CYCLE_1)
	s_or_b32 exec_lo, exec_lo, s76
.LBB2_1573:                             ;   in Loop: Header=BB2_1105 Depth=3
	s_delay_alu instid0(SALU_CYCLE_1) | instskip(NEXT) | instid1(VALU_DEP_1)
	s_or_b32 exec_lo, exec_lo, s14
	v_dual_mul_f32 v9, s75, v8 :: v_dual_mov_b32 v11, v3
                                        ; implicit-def: $vgpr8
	s_delay_alu instid0(VALU_DEP_1) | instskip(SKIP_1) | instid1(VALU_DEP_2)
	v_and_b32_e32 v10, 0x7f800000, v9
	v_and_b32_e32 v2, 0x7fffff, v9
	v_cmp_ne_u64_e32 vcc_lo, 0x7f800000, v[10:11]
	v_lshrrev_b32_e32 v10, 24, v9
	s_and_saveexec_b32 s14, vcc_lo
	s_delay_alu instid0(SALU_CYCLE_1)
	s_xor_b32 s75, exec_lo, s14
	s_cbranch_execz .LBB2_1587
; %bb.1574:                             ;   in Loop: Header=BB2_1105 Depth=3
	v_and_b32_e32 v18, 0x7fffffff, v9
	v_mov_b32_e32 v19, v3
	v_and_b32_e32 v41, 0x80, v10
                                        ; implicit-def: $vgpr8
	s_mov_b32 s14, exec_lo
	s_delay_alu instid0(VALU_DEP_2)
	v_cmpx_gt_u64_e32 0x47600001, v[18:19]
	s_xor_b32 s76, exec_lo, s14
	s_cbranch_execz .LBB2_1584
; %bb.1575:                             ;   in Loop: Header=BB2_1105 Depth=3
	v_mov_b32_e32 v8, 0
	s_mov_b32 s77, exec_lo
	v_cmpx_ne_u32_e32 0, v9
	s_cbranch_execz .LBB2_1583
; %bb.1576:                             ;   in Loop: Header=BB2_1105 Depth=3
	v_bfe_u32 v75, v9, 23, 8
	v_or_b32_e32 v10, 0x800000, v2
	s_mov_b32 s78, exec_lo
	s_delay_alu instid0(VALU_DEP_2) | instskip(SKIP_1) | instid1(VALU_DEP_2)
	v_dual_mov_b32 v11, v3 :: v_dual_sub_nc_u32 v8, 0x71, v75
	v_cmp_gt_u32_e32 vcc_lo, 0x72, v75
	v_cndmask_b32_e32 v8, 0, v8, vcc_lo
	v_cmp_eq_u32_e32 vcc_lo, 0, v75
	v_cndmask_b32_e32 v10, v10, v2, vcc_lo
	s_delay_alu instid0(VALU_DEP_3) | instskip(NEXT) | instid1(VALU_DEP_1)
	v_cndmask_b32_e64 v76, v8, 0x70, vcc_lo
	v_dual_add_nc_u32 v8, 21, v76 :: v_dual_add_nc_u32 v18, 20, v76
	s_delay_alu instid0(VALU_DEP_1) | instskip(NEXT) | instid1(VALU_DEP_2)
	v_lshlrev_b64_e64 v[8:9], v8, -1
	v_lshlrev_b64_e64 v[18:19], v18, 1
	s_delay_alu instid0(VALU_DEP_2) | instskip(NEXT) | instid1(VALU_DEP_3)
	v_bfi_b32 v79, v9, 0, 0
	v_bfi_b32 v78, v8, 0, v10
	v_lshrrev_b64 v[8:9], v76, v[10:11]
	s_delay_alu instid0(VALU_DEP_1) | instskip(NEXT) | instid1(VALU_DEP_3)
	v_mov_b64_e32 v[10:11], v[8:9]
	v_cmpx_eq_u64_e64 v[78:79], v[18:19]
; %bb.1577:                             ;   in Loop: Header=BB2_1105 Depth=3
	v_bfe_u32 v10, v8, 21, 1
	v_mov_b32_e32 v11, v3
	s_delay_alu instid0(VALU_DEP_1) | instskip(NEXT) | instid1(VALU_DEP_1)
	v_add_nc_u64_e32 v[10:11], v[8:9], v[10:11]
	v_add_nc_u64_e32 v[10:11], -1, v[10:11]
; %bb.1578:                             ;   in Loop: Header=BB2_1105 Depth=3
	s_or_b32 exec_lo, exec_lo, s78
	v_add_nc_u32_e32 v2, 0xffffff81, v75
	v_lshrrev_b32_e32 v9, 23, v8
	s_mov_b32 s14, exec_lo
	s_delay_alu instid0(VALU_DEP_2) | instskip(NEXT) | instid1(VALU_DEP_1)
	v_cndmask_b32_e64 v2, v2, 0xffffff82, vcc_lo
	v_add3_u32 v11, v76, v2, v9
	v_and_b32_e32 v2, 0x1fffff, v10
                                        ; implicit-def: $vgpr10
	s_delay_alu instid0(VALU_DEP_1) | instskip(NEXT) | instid1(VALU_DEP_1)
	v_dual_add_nc_u32 v75, 14, v11 :: v_dual_add_nc_u32 v2, v2, v8
                                        ; implicit-def: $vgpr8_vgpr9
	v_cmpx_ne_u32_e32 0, v75
	s_xor_b32 s14, exec_lo, s14
; %bb.1579:                             ;   in Loop: Header=BB2_1105 Depth=3
	s_delay_alu instid0(VALU_DEP_2) | instskip(SKIP_1) | instid1(VALU_DEP_1)
	v_cmp_lt_u64_e32 vcc_lo, 0xffffff, v[2:3]
	v_add_nc_u32_e32 v8, 15, v11
	v_cndmask_b32_e32 v10, v75, v8, vcc_lo
	v_cndmask_b32_e64 v8, 0, 1, vcc_lo
	s_delay_alu instid0(VALU_DEP_1)
	v_lshrrev_b64 v[8:9], v8, v[2:3]
; %bb.1580:                             ;   in Loop: Header=BB2_1105 Depth=3
	s_and_not1_saveexec_b32 s14, s14
; %bb.1581:                             ;   in Loop: Header=BB2_1105 Depth=3
	v_mov_b64_e32 v[8:9], v[2:3]
	v_bfe_u32 v10, v2, 23, 1
; %bb.1582:                             ;   in Loop: Header=BB2_1105 Depth=3
	s_or_b32 exec_lo, exec_lo, s14
	s_delay_alu instid0(VALU_DEP_2) | instskip(NEXT) | instid1(VALU_DEP_2)
	v_lshrrev_b64 v[8:9], 21, v[8:9]
	v_cmp_gt_i32_e32 vcc_lo, 32, v10
	v_min_i32_e32 v2, 31, v10
	v_cmp_eq_u32_e64 s14, 0, v10
	s_delay_alu instid0(VALU_DEP_2) | instskip(SKIP_1) | instid1(VALU_DEP_2)
	v_dual_cndmask_b32 v9, 0, v9 :: v_dual_lshlrev_b32 v2, 2, v2
	v_cndmask_b32_e32 v8, 3, v8, vcc_lo
	v_and_b32_e32 v2, 0xfc, v2
	s_delay_alu instid0(VALU_DEP_2) | instskip(NEXT) | instid1(VALU_DEP_2)
	v_cmp_eq_u64_e32 vcc_lo, 0, v[8:9]
	v_and_or_b32 v2, v8, 3, v2
	s_and_b32 s14, s14, vcc_lo
	s_delay_alu instid0(VALU_DEP_1) | instid1(SALU_CYCLE_1)
	v_cndmask_b32_e64 v2, v2, 0, s14
	s_delay_alu instid0(VALU_DEP_1)
	v_or_b32_e32 v8, v2, v41
.LBB2_1583:                             ;   in Loop: Header=BB2_1105 Depth=3
	s_or_b32 exec_lo, exec_lo, s77
                                        ; implicit-def: $vgpr41
.LBB2_1584:                             ;   in Loop: Header=BB2_1105 Depth=3
	s_and_not1_saveexec_b32 s14, s76
; %bb.1585:                             ;   in Loop: Header=BB2_1105 Depth=3
	v_or_b32_e32 v8, 0x7b, v41
; %bb.1586:                             ;   in Loop: Header=BB2_1105 Depth=3
	s_or_b32 exec_lo, exec_lo, s14
                                        ; implicit-def: $vgpr9
                                        ; implicit-def: $vgpr10
.LBB2_1587:                             ;   in Loop: Header=BB2_1105 Depth=3
	s_and_not1_saveexec_b32 s14, s75
	s_cbranch_execz .LBB2_1104
; %bb.1588:                             ;   in Loop: Header=BB2_1105 Depth=3
	s_mov_b32 s75, exec_lo
                                        ; implicit-def: $vgpr8
	v_cmpx_ne_u64_e32 0, v[2:3]
	s_xor_b32 s75, exec_lo, s75
; %bb.1589:                             ;   in Loop: Header=BB2_1105 Depth=3
	v_or_b32_e32 v8, 0x7f, v10
                                        ; implicit-def: $vgpr9
; %bb.1590:                             ;   in Loop: Header=BB2_1105 Depth=3
	s_and_not1_saveexec_b32 s75, s75
	s_cbranch_execz .LBB2_1103
; %bb.1591:                             ;   in Loop: Header=BB2_1105 Depth=3
	v_cmp_lt_i32_e32 vcc_lo, -1, v9
	v_cndmask_b32_e32 v8, 0xfc, v120, vcc_lo
	s_branch .LBB2_1103
.LBB2_1592:                             ;   in Loop: Header=BB2_57 Depth=2
	s_or_b32 exec_lo, exec_lo, s72
.LBB2_1593:                             ;   in Loop: Header=BB2_57 Depth=2
	s_delay_alu instid0(SALU_CYCLE_1) | instskip(NEXT) | instid1(VALU_DEP_2)
	s_or_b32 exec_lo, exec_lo, s63
	v_cmp_lt_i32_e32 vcc_lo, 0, v45
	v_dual_cndmask_b32 v9, 0, v32, vcc_lo :: v_dual_bitop2_b32 v2, 15, v101 bitop3:0x40
	s_delay_alu instid0(VALU_DEP_1) | instskip(NEXT) | instid1(VALU_DEP_1)
	v_dual_sub_nc_u32 v8, v44, v2 :: v_dual_cndmask_b32 v43, v44, v2, s13
	v_dual_cndmask_b32 v2, 0, v8, s13 :: v_dual_sub_nc_u32 v8, v9, v45
	s_delay_alu instid0(VALU_DEP_2) | instskip(NEXT) | instid1(VALU_DEP_2)
	v_cmp_ne_u32_e32 vcc_lo, 0, v43
	v_add3_u32 v42, v103, v16, v2
	s_delay_alu instid0(VALU_DEP_3)
	v_lshl_add_u32 v17, v8, 5, v17
	s_and_b32 s13, vcc_lo, exec_lo
.LBB2_1594:                             ;   in Loop: Header=BB2_57 Depth=2
	s_or_b32 exec_lo, exec_lo, s15
	s_and_saveexec_b32 s63, s13
	s_cbranch_execz .LBB2_1925
.LBB2_1595:                             ;   in Loop: Header=BB2_57 Depth=2
	v_dual_ashrrev_i32 v2, 31, v17 :: v_dual_ashrrev_i32 v8, 31, v43
	s_mov_b32 s72, exec_lo
	s_delay_alu instid0(VALU_DEP_1) | instskip(NEXT) | instid1(VALU_DEP_1)
	v_dual_lshrrev_b32 v2, 27, v2 :: v_dual_lshrrev_b32 v8, 24, v8
	v_dual_add_nc_u32 v2, v17, v2 :: v_dual_add_nc_u32 v8, v43, v8
	s_delay_alu instid0(VALU_DEP_1) | instskip(NEXT) | instid1(VALU_DEP_1)
	v_dual_ashrrev_i32 v16, 5, v2 :: v_dual_ashrrev_i32 v44, 8, v8
	v_sub_nc_u32_e32 v103, v44, v16
	s_delay_alu instid0(VALU_DEP_1)
	v_cmpx_lt_i32_e32 0, v103
	s_cbranch_execz .LBB2_1879
; %bb.1596:                             ;   in Loop: Header=BB2_57 Depth=2
	v_and_b32_e32 v2, 0xffffffe0, v2
	s_mov_b32 s73, 0
	s_delay_alu instid0(VALU_DEP_1) | instskip(NEXT) | instid1(VALU_DEP_1)
	v_dual_lshlrev_b32 v8, 8, v16 :: v_dual_sub_nc_u32 v2, v17, v2
	v_add3_u32 v8, v42, v2, v8
	s_delay_alu instid0(VALU_DEP_1)
	v_ashrrev_i32_e32 v9, 31, v8
	s_branch .LBB2_1599
.LBB2_1597:                             ;   in Loop: Header=BB2_1599 Depth=3
	s_or_b32 exec_lo, exec_lo, s14
.LBB2_1598:                             ;   in Loop: Header=BB2_1599 Depth=3
	s_delay_alu instid0(SALU_CYCLE_1)
	s_or_b32 exec_lo, exec_lo, s13
	v_sub_nc_u32_e32 v103, v103, v32
	v_add_nc_u64_e32 v[18:19], v[8:9], v[116:117]
	v_add_nc_u64_e32 v[114:115], v[114:115], v[54:55]
	;; [unrolled: 1-line block ×3, first 2 shown]
	s_clause 0x7
	flat_store_b8 v[18:19], v45 th:TH_STORE_NT
	flat_store_b8 v[18:19], v46 offset:32 th:TH_STORE_NT
	flat_store_b8 v[18:19], v47 offset:64 th:TH_STORE_NT
	;; [unrolled: 1-line block ×7, first 2 shown]
	v_cmp_gt_i32_e32 vcc_lo, 1, v103
	s_or_b32 s73, vcc_lo, s73
	s_wait_xcnt 0x0
	s_and_not1_b32 exec_lo, exec_lo, s73
	s_cbranch_execz .LBB2_1878
.LBB2_1599:                             ;   Parent Loop BB2_47 Depth=1
                                        ;     Parent Loop BB2_57 Depth=2
                                        ; =>    This Inner Loop Header: Depth=3
	s_trap 2
	ds_load_b64 v[10:11], v0
	s_mov_b32 s74, 0
	s_wait_dscnt 0x0
	v_and_b32_e32 v2, 0xff, v10
	v_readfirstlane_b32 s14, v10
	v_readfirstlane_b32 s15, v11
	s_delay_alu instid0(VALU_DEP_3)
	v_cmp_eq_u32_e32 vcc_lo, 0, v2
	s_cbranch_vccnz .LBB2_1607
; %bb.1600:                             ;   in Loop: Header=BB2_1599 Depth=3
	s_bfe_i32 s13, s14, 0x80000
	s_delay_alu instid0(SALU_CYCLE_1) | instskip(NEXT) | instid1(SALU_CYCLE_1)
	s_and_b32 s74, 0xffff, s13
	s_cmp_eq_u32 s74, 0xff80
	s_brev_b32 s74, 1
	s_cbranch_scc1 .LBB2_1607
; %bb.1601:                             ;   in Loop: Header=BB2_1599 Depth=3
	s_and_b32 s74, s14, 0x7c
	s_and_b32 s75, s14, 3
	s_cmp_lg_u32 s74, 0x7c
	s_mov_b32 s76, -1
                                        ; implicit-def: $sgpr74
	s_cbranch_scc0 .LBB2_1605
; %bb.1602:                             ;   in Loop: Header=BB2_1599 Depth=3
	s_bfe_u32 s74, s14, 0x50002
	s_mov_b32 s76, s75
	s_cmp_lg_u32 s74, 0
	s_cbranch_scc1 .LBB2_1604
; %bb.1603:                             ;   in Loop: Header=BB2_1599 Depth=3
	s_clz_i32_u32 s74, s75
	s_delay_alu instid0(SALU_CYCLE_1) | instskip(NEXT) | instid1(SALU_CYCLE_1)
	s_min_u32 s74, s74, 32
	s_sub_co_i32 s76, s74, 29
	s_sub_co_i32 s74, 30, s74
	s_lshl_b64 s[14:15], s[14:15], s76
	s_delay_alu instid0(SALU_CYCLE_1)
	s_and_b32 s76, s14, 3
.LBB2_1604:                             ;   in Loop: Header=BB2_1599 Depth=3
	s_sext_i32_i16 s14, s13
	s_lshl_b32 s15, s74, 23
	s_and_b32 s14, s14, 0x80000000
	s_lshl_b32 s74, s76, 21
	s_add_co_i32 s15, s15, s14
	s_mov_b32 s76, 0
	s_or_b32 s14, s15, s74
	s_delay_alu instid0(SALU_CYCLE_1)
	s_add_co_i32 s74, s14, 0x38000000
.LBB2_1605:                             ;   in Loop: Header=BB2_1599 Depth=3
	s_and_b32 vcc_lo, exec_lo, s76
	s_cbranch_vccz .LBB2_1607
; %bb.1606:                             ;   in Loop: Header=BB2_1599 Depth=3
	s_sext_i32_i16 s13, s13
	s_delay_alu instid0(SALU_CYCLE_1)
	s_cmp_gt_i32 s13, -1
	s_cselect_b32 s13, s47, 0xff800000
	s_cmp_eq_u32 s75, 0
	s_cselect_b32 s74, s13, 0x7f800001
.LBB2_1607:                             ;   in Loop: Header=BB2_1599 Depth=3
	v_add_nc_u64_e32 v[10:11], v[8:9], v[114:115]
	v_mov_b32_e32 v119, 0
	s_mov_b32 s13, exec_lo
	flat_load_i8 v118, v[10:11] th:TH_LOAD_NT
	s_wait_loadcnt_dscnt 0x0
	v_cmpx_ne_u16_e32 0, v118
	s_cbranch_execz .LBB2_1617
; %bb.1608:                             ;   in Loop: Header=BB2_1599 Depth=3
	v_bfrev_b32_e32 v119, 1
	s_mov_b32 s14, exec_lo
	v_cmpx_ne_u16_e32 0xff80, v118
	s_cbranch_execz .LBB2_1616
; %bb.1609:                             ;   in Loop: Header=BB2_1599 Depth=3
	v_and_b32_e32 v18, 0x7c, v118
	v_and_b32_e32 v2, 3, v118
	s_mov_b32 s15, exec_lo
                                        ; implicit-def: $vgpr119
	s_delay_alu instid0(VALU_DEP_2)
	v_cmpx_ne_u32_e32 0x7c, v18
	s_xor_b32 s15, exec_lo, s15
	s_cbranch_execz .LBB2_1613
; %bb.1610:                             ;   in Loop: Header=BB2_1599 Depth=3
	v_and_b32_e32 v18, 0xff, v118
	s_mov_b32 s75, exec_lo
	s_delay_alu instid0(VALU_DEP_1) | instskip(NEXT) | instid1(VALU_DEP_1)
	v_bfe_u32 v119, v18, 2, 5
	v_cmpx_eq_u32_e32 0, v119
	s_cbranch_execz .LBB2_1612
; %bb.1611:                             ;   in Loop: Header=BB2_1599 Depth=3
	v_clz_i32_u32_e32 v2, v2
	v_mov_b32_e32 v119, v3
	s_delay_alu instid0(VALU_DEP_2) | instskip(NEXT) | instid1(VALU_DEP_1)
	v_min_u32_e32 v2, 32, v2
	v_subrev_nc_u32_e32 v18, 29, v2
	s_delay_alu instid0(VALU_DEP_1) | instskip(SKIP_1) | instid1(VALU_DEP_2)
	v_lshlrev_b64_e32 v[18:19], v18, v[118:119]
	v_sub_nc_u32_e32 v119, 30, v2
	v_and_b32_e32 v2, 3, v18
.LBB2_1612:                             ;   in Loop: Header=BB2_1599 Depth=3
	s_or_b32 exec_lo, exec_lo, s75
	v_bfe_i32 v18, v118, 0, 16
                                        ; implicit-def: $vgpr118
	s_delay_alu instid0(VALU_DEP_1) | instskip(NEXT) | instid1(VALU_DEP_1)
	v_and_b32_e32 v18, 0x80000000, v18
	v_lshl_add_u32 v18, v119, 23, v18
	s_delay_alu instid0(VALU_DEP_1) | instskip(NEXT) | instid1(VALU_DEP_1)
	v_lshl_or_b32 v2, v2, 21, v18
	v_add_nc_u32_e32 v119, 0x38000000, v2
                                        ; implicit-def: $vgpr2
.LBB2_1613:                             ;   in Loop: Header=BB2_1599 Depth=3
	s_and_not1_saveexec_b32 s15, s15
; %bb.1614:                             ;   in Loop: Header=BB2_1599 Depth=3
	v_cmp_lt_i16_e32 vcc_lo, -1, v118
	v_cndmask_b32_e32 v18, 0xff800000, v111, vcc_lo
	v_cmp_eq_u32_e32 vcc_lo, 0, v2
	s_delay_alu instid0(VALU_DEP_2)
	v_cndmask_b32_e32 v119, 0x7f800001, v18, vcc_lo
; %bb.1615:                             ;   in Loop: Header=BB2_1599 Depth=3
	s_or_b32 exec_lo, exec_lo, s15
.LBB2_1616:                             ;   in Loop: Header=BB2_1599 Depth=3
	s_delay_alu instid0(SALU_CYCLE_1)
	s_or_b32 exec_lo, exec_lo, s14
.LBB2_1617:                             ;   in Loop: Header=BB2_1599 Depth=3
	s_delay_alu instid0(SALU_CYCLE_1) | instskip(NEXT) | instid1(VALU_DEP_1)
	s_or_b32 exec_lo, exec_lo, s13
	v_dual_mul_f32 v118, s74, v119 :: v_dual_mov_b32 v19, v3
                                        ; implicit-def: $vgpr45
	s_mov_b32 s13, exec_lo
	s_delay_alu instid0(VALU_DEP_1) | instskip(SKIP_1) | instid1(VALU_DEP_2)
	v_and_b32_e32 v18, 0x7f800000, v118
	v_and_b32_e32 v2, 0x7fffff, v118
	v_cmpx_ne_u64_e32 0x7f800000, v[18:19]
	s_xor_b32 s14, exec_lo, s13
	s_cbranch_execz .LBB2_1635
; %bb.1618:                             ;   in Loop: Header=BB2_1599 Depth=3
	v_dual_mov_b32 v19, v3 :: v_dual_lshrrev_b32 v119, 24, v118
	v_and_b32_e32 v18, 0x7fffffff, v118
                                        ; implicit-def: $vgpr45
	s_mov_b32 s13, exec_lo
	s_delay_alu instid0(VALU_DEP_2) | instskip(NEXT) | instid1(VALU_DEP_2)
	v_and_b32_e32 v46, 0x80, v119
	v_cmpx_gt_u64_e32 0x47600001, v[18:19]
	s_xor_b32 s15, exec_lo, s13
	s_cbranch_execz .LBB2_1632
; %bb.1619:                             ;   in Loop: Header=BB2_1599 Depth=3
	v_mov_b32_e32 v45, 0
	s_mov_b32 s75, exec_lo
	v_cmpx_ne_u32_e32 0, v118
	s_cbranch_execz .LBB2_1631
; %bb.1620:                             ;   in Loop: Header=BB2_1599 Depth=3
	v_bfe_u32 v45, v118, 23, 8
	v_or_b32_e32 v118, 0x800000, v2
	s_delay_alu instid0(VALU_DEP_2) | instskip(SKIP_1) | instid1(VALU_DEP_2)
	v_dual_mov_b32 v119, v3 :: v_dual_sub_nc_u32 v18, 0x71, v45
	v_cmp_gt_u32_e32 vcc_lo, 0x72, v45
	v_cndmask_b32_e32 v18, 0, v18, vcc_lo
	v_cmp_eq_u32_e32 vcc_lo, 0, v45
	s_delay_alu instid0(VALU_DEP_2) | instskip(NEXT) | instid1(VALU_DEP_1)
	v_cndmask_b32_e64 v47, v18, 0x70, vcc_lo
	v_dual_cndmask_b32 v118, v118, v2, vcc_lo :: v_dual_add_nc_u32 v18, 21, v47
	v_add_nc_u32_e32 v40, 20, v47
	s_delay_alu instid0(VALU_DEP_2) | instskip(NEXT) | instid1(VALU_DEP_2)
	v_lshlrev_b64_e64 v[18:19], v18, -1
	v_lshlrev_b64_e64 v[40:41], v40, 1
	s_delay_alu instid0(VALU_DEP_2) | instskip(SKIP_1) | instid1(VALU_DEP_4)
	v_bfi_b32 v18, v18, 0, v118
	v_lshrrev_b64 v[118:119], v47, v[118:119]
	v_bfi_b32 v19, v19, 0, 0
	s_delay_alu instid0(VALU_DEP_1) | instskip(NEXT) | instid1(VALU_DEP_3)
	v_cmp_eq_u64_e64 s13, v[18:19], v[40:41]
	v_mov_b64_e32 v[40:41], v[118:119]
	s_and_saveexec_b32 s76, s13
; %bb.1621:                             ;   in Loop: Header=BB2_1599 Depth=3
	v_bfe_u32 v18, v118, 21, 1
	v_mov_b32_e32 v19, v3
	s_delay_alu instid0(VALU_DEP_1) | instskip(NEXT) | instid1(VALU_DEP_1)
	v_add_nc_u64_e32 v[18:19], v[118:119], v[18:19]
	v_add_nc_u64_e32 v[40:41], -1, v[18:19]
; %bb.1622:                             ;   in Loop: Header=BB2_1599 Depth=3
	s_or_b32 exec_lo, exec_lo, s76
	v_add_nc_u32_e32 v2, 0xffffff81, v45
	v_lshrrev_b32_e32 v18, 23, v118
	s_mov_b32 s13, exec_lo
	s_delay_alu instid0(VALU_DEP_2) | instskip(NEXT) | instid1(VALU_DEP_1)
	v_cndmask_b32_e64 v2, v2, 0xffffff82, vcc_lo
	v_add3_u32 v41, v47, v2, v18
	v_and_b32_e32 v2, 0x1fffff, v40
                                        ; implicit-def: $vgpr40
	s_delay_alu instid0(VALU_DEP_1) | instskip(NEXT) | instid1(VALU_DEP_1)
	v_dual_add_nc_u32 v45, 14, v41 :: v_dual_add_nc_u32 v2, v2, v118
                                        ; implicit-def: $vgpr118_vgpr119
	v_cmpx_ne_u32_e32 0, v45
	s_xor_b32 s13, exec_lo, s13
; %bb.1623:                             ;   in Loop: Header=BB2_1599 Depth=3
	s_delay_alu instid0(VALU_DEP_2) | instskip(SKIP_1) | instid1(VALU_DEP_1)
	v_cmp_lt_u64_e32 vcc_lo, 0xffffff, v[2:3]
	v_add_nc_u32_e32 v18, 15, v41
	v_cndmask_b32_e32 v40, v45, v18, vcc_lo
	v_cndmask_b32_e64 v18, 0, 1, vcc_lo
	s_delay_alu instid0(VALU_DEP_1)
	v_lshrrev_b64 v[118:119], v18, v[2:3]
; %bb.1624:                             ;   in Loop: Header=BB2_1599 Depth=3
	s_and_not1_saveexec_b32 s13, s13
; %bb.1625:                             ;   in Loop: Header=BB2_1599 Depth=3
	v_mov_b64_e32 v[118:119], v[2:3]
	v_bfe_u32 v40, v2, 23, 1
; %bb.1626:                             ;   in Loop: Header=BB2_1599 Depth=3
	s_or_b32 exec_lo, exec_lo, s13
	s_delay_alu instid0(VALU_DEP_2) | instskip(NEXT) | instid1(VALU_DEP_2)
	v_lshrrev_b64 v[18:19], 21, v[118:119]
	v_cmp_gt_i32_e32 vcc_lo, 32, v40
	v_cmp_ne_u32_e64 s13, 0, v40
                                        ; implicit-def: $vgpr45
	s_delay_alu instid0(VALU_DEP_3) | instskip(NEXT) | instid1(VALU_DEP_1)
	v_dual_cndmask_b32 v119, 0, v19 :: v_dual_cndmask_b32 v118, 3, v18
	v_cmp_ne_u64_e32 vcc_lo, 0, v[118:119]
	s_or_b32 s13, s13, vcc_lo
	s_delay_alu instid0(SALU_CYCLE_1) | instskip(NEXT) | instid1(SALU_CYCLE_1)
	s_and_saveexec_b32 s76, s13
	s_xor_b32 s13, exec_lo, s76
; %bb.1627:                             ;   in Loop: Header=BB2_1599 Depth=3
	v_min_i32_e32 v2, 31, v40
	s_delay_alu instid0(VALU_DEP_1) | instskip(NEXT) | instid1(VALU_DEP_1)
	v_lshl_or_b32 v2, v2, 2, v46
                                        ; implicit-def: $vgpr46
	v_and_or_b32 v45, v118, 3, v2
; %bb.1628:                             ;   in Loop: Header=BB2_1599 Depth=3
	s_and_not1_saveexec_b32 s13, s13
; %bb.1629:                             ;   in Loop: Header=BB2_1599 Depth=3
	v_mov_b32_e32 v45, v46
; %bb.1630:                             ;   in Loop: Header=BB2_1599 Depth=3
	s_or_b32 exec_lo, exec_lo, s13
.LBB2_1631:                             ;   in Loop: Header=BB2_1599 Depth=3
	s_delay_alu instid0(SALU_CYCLE_1)
	s_or_b32 exec_lo, exec_lo, s75
                                        ; implicit-def: $vgpr46
.LBB2_1632:                             ;   in Loop: Header=BB2_1599 Depth=3
	s_and_not1_saveexec_b32 s13, s15
; %bb.1633:                             ;   in Loop: Header=BB2_1599 Depth=3
	v_or_b32_e32 v45, 0x7b, v46
; %bb.1634:                             ;   in Loop: Header=BB2_1599 Depth=3
	s_or_b32 exec_lo, exec_lo, s13
                                        ; implicit-def: $vgpr118
.LBB2_1635:                             ;   in Loop: Header=BB2_1599 Depth=3
	s_and_not1_saveexec_b32 s13, s14
	s_cbranch_execz .LBB2_1641
; %bb.1636:                             ;   in Loop: Header=BB2_1599 Depth=3
	s_mov_b32 s14, exec_lo
                                        ; implicit-def: $vgpr45
	v_cmpx_ne_u64_e32 0, v[2:3]
	s_xor_b32 s14, exec_lo, s14
; %bb.1637:                             ;   in Loop: Header=BB2_1599 Depth=3
	v_lshrrev_b32_e32 v2, 24, v118
                                        ; implicit-def: $vgpr118
	s_delay_alu instid0(VALU_DEP_1)
	v_or_b32_e32 v45, 0x7f, v2
; %bb.1638:                             ;   in Loop: Header=BB2_1599 Depth=3
	s_and_not1_saveexec_b32 s14, s14
; %bb.1639:                             ;   in Loop: Header=BB2_1599 Depth=3
	v_cmp_lt_i32_e32 vcc_lo, -1, v118
	v_cndmask_b32_e64 v45, -4, 0x7c, vcc_lo
; %bb.1640:                             ;   in Loop: Header=BB2_1599 Depth=3
	s_or_b32 exec_lo, exec_lo, s14
.LBB2_1641:                             ;   in Loop: Header=BB2_1599 Depth=3
	s_delay_alu instid0(SALU_CYCLE_1)
	s_or_b32 exec_lo, exec_lo, s13
	flat_load_i8 v118, v[10:11] offset:32 th:TH_LOAD_NT
	v_mov_b32_e32 v119, 0
	s_mov_b32 s13, exec_lo
	s_wait_loadcnt_dscnt 0x0
	v_cmpx_ne_u16_e32 0, v118
	s_cbranch_execz .LBB2_1651
; %bb.1642:                             ;   in Loop: Header=BB2_1599 Depth=3
	v_bfrev_b32_e32 v119, 1
	s_mov_b32 s14, exec_lo
	v_cmpx_ne_u16_e32 0xff80, v118
	s_cbranch_execz .LBB2_1650
; %bb.1643:                             ;   in Loop: Header=BB2_1599 Depth=3
	v_and_b32_e32 v18, 0x7c, v118
	v_and_b32_e32 v2, 3, v118
	s_mov_b32 s15, exec_lo
                                        ; implicit-def: $vgpr119
	s_delay_alu instid0(VALU_DEP_2)
	v_cmpx_ne_u32_e32 0x7c, v18
	s_xor_b32 s15, exec_lo, s15
	s_cbranch_execz .LBB2_1647
; %bb.1644:                             ;   in Loop: Header=BB2_1599 Depth=3
	v_and_b32_e32 v18, 0xff, v118
	s_mov_b32 s75, exec_lo
	s_delay_alu instid0(VALU_DEP_1) | instskip(NEXT) | instid1(VALU_DEP_1)
	v_bfe_u32 v119, v18, 2, 5
	v_cmpx_eq_u32_e32 0, v119
	s_cbranch_execz .LBB2_1646
; %bb.1645:                             ;   in Loop: Header=BB2_1599 Depth=3
	v_clz_i32_u32_e32 v2, v2
	v_mov_b32_e32 v119, v3
	s_delay_alu instid0(VALU_DEP_2) | instskip(NEXT) | instid1(VALU_DEP_1)
	v_min_u32_e32 v2, 32, v2
	v_subrev_nc_u32_e32 v18, 29, v2
	s_delay_alu instid0(VALU_DEP_1) | instskip(SKIP_1) | instid1(VALU_DEP_2)
	v_lshlrev_b64_e32 v[18:19], v18, v[118:119]
	v_sub_nc_u32_e32 v119, 30, v2
	v_and_b32_e32 v2, 3, v18
.LBB2_1646:                             ;   in Loop: Header=BB2_1599 Depth=3
	s_or_b32 exec_lo, exec_lo, s75
	v_bfe_i32 v18, v118, 0, 16
                                        ; implicit-def: $vgpr118
	s_delay_alu instid0(VALU_DEP_1) | instskip(NEXT) | instid1(VALU_DEP_1)
	v_and_b32_e32 v18, 0x80000000, v18
	v_lshl_add_u32 v18, v119, 23, v18
	s_delay_alu instid0(VALU_DEP_1) | instskip(NEXT) | instid1(VALU_DEP_1)
	v_lshl_or_b32 v2, v2, 21, v18
	v_add_nc_u32_e32 v119, 0x38000000, v2
                                        ; implicit-def: $vgpr2
.LBB2_1647:                             ;   in Loop: Header=BB2_1599 Depth=3
	s_and_not1_saveexec_b32 s15, s15
; %bb.1648:                             ;   in Loop: Header=BB2_1599 Depth=3
	v_cmp_lt_i16_e32 vcc_lo, -1, v118
	v_cndmask_b32_e32 v18, 0xff800000, v111, vcc_lo
	v_cmp_eq_u32_e32 vcc_lo, 0, v2
	s_delay_alu instid0(VALU_DEP_2)
	v_cndmask_b32_e32 v119, 0x7f800001, v18, vcc_lo
; %bb.1649:                             ;   in Loop: Header=BB2_1599 Depth=3
	s_or_b32 exec_lo, exec_lo, s15
.LBB2_1650:                             ;   in Loop: Header=BB2_1599 Depth=3
	s_delay_alu instid0(SALU_CYCLE_1)
	s_or_b32 exec_lo, exec_lo, s14
.LBB2_1651:                             ;   in Loop: Header=BB2_1599 Depth=3
	s_delay_alu instid0(SALU_CYCLE_1) | instskip(NEXT) | instid1(VALU_DEP_1)
	s_or_b32 exec_lo, exec_lo, s13
	v_dual_mul_f32 v118, s74, v119 :: v_dual_mov_b32 v19, v3
                                        ; implicit-def: $vgpr46
	s_mov_b32 s13, exec_lo
	s_delay_alu instid0(VALU_DEP_1) | instskip(SKIP_1) | instid1(VALU_DEP_2)
	v_and_b32_e32 v18, 0x7f800000, v118
	v_and_b32_e32 v2, 0x7fffff, v118
	v_cmpx_ne_u64_e32 0x7f800000, v[18:19]
	s_xor_b32 s14, exec_lo, s13
	s_cbranch_execz .LBB2_1669
; %bb.1652:                             ;   in Loop: Header=BB2_1599 Depth=3
	v_dual_mov_b32 v19, v3 :: v_dual_lshrrev_b32 v119, 24, v118
	v_and_b32_e32 v18, 0x7fffffff, v118
                                        ; implicit-def: $vgpr46
	s_mov_b32 s13, exec_lo
	s_delay_alu instid0(VALU_DEP_2) | instskip(NEXT) | instid1(VALU_DEP_2)
	v_and_b32_e32 v47, 0x80, v119
	v_cmpx_gt_u64_e32 0x47600001, v[18:19]
	s_xor_b32 s15, exec_lo, s13
	s_cbranch_execz .LBB2_1666
; %bb.1653:                             ;   in Loop: Header=BB2_1599 Depth=3
	v_mov_b32_e32 v46, 0
	s_mov_b32 s75, exec_lo
	v_cmpx_ne_u32_e32 0, v118
	s_cbranch_execz .LBB2_1665
; %bb.1654:                             ;   in Loop: Header=BB2_1599 Depth=3
	v_bfe_u32 v46, v118, 23, 8
	v_or_b32_e32 v118, 0x800000, v2
	s_delay_alu instid0(VALU_DEP_2) | instskip(SKIP_1) | instid1(VALU_DEP_2)
	v_dual_mov_b32 v119, v3 :: v_dual_sub_nc_u32 v18, 0x71, v46
	v_cmp_gt_u32_e32 vcc_lo, 0x72, v46
	v_cndmask_b32_e32 v18, 0, v18, vcc_lo
	v_cmp_eq_u32_e32 vcc_lo, 0, v46
	s_delay_alu instid0(VALU_DEP_2) | instskip(NEXT) | instid1(VALU_DEP_1)
	v_cndmask_b32_e64 v56, v18, 0x70, vcc_lo
	v_dual_cndmask_b32 v118, v118, v2, vcc_lo :: v_dual_add_nc_u32 v18, 21, v56
	v_add_nc_u32_e32 v40, 20, v56
	s_delay_alu instid0(VALU_DEP_2) | instskip(NEXT) | instid1(VALU_DEP_2)
	v_lshlrev_b64_e64 v[18:19], v18, -1
	v_lshlrev_b64_e64 v[40:41], v40, 1
	s_delay_alu instid0(VALU_DEP_2) | instskip(SKIP_1) | instid1(VALU_DEP_4)
	v_bfi_b32 v18, v18, 0, v118
	v_lshrrev_b64 v[118:119], v56, v[118:119]
	v_bfi_b32 v19, v19, 0, 0
	s_delay_alu instid0(VALU_DEP_1) | instskip(NEXT) | instid1(VALU_DEP_3)
	v_cmp_eq_u64_e64 s13, v[18:19], v[40:41]
	v_mov_b64_e32 v[40:41], v[118:119]
	s_and_saveexec_b32 s76, s13
; %bb.1655:                             ;   in Loop: Header=BB2_1599 Depth=3
	v_bfe_u32 v18, v118, 21, 1
	v_mov_b32_e32 v19, v3
	s_delay_alu instid0(VALU_DEP_1) | instskip(NEXT) | instid1(VALU_DEP_1)
	v_add_nc_u64_e32 v[18:19], v[118:119], v[18:19]
	v_add_nc_u64_e32 v[40:41], -1, v[18:19]
; %bb.1656:                             ;   in Loop: Header=BB2_1599 Depth=3
	s_or_b32 exec_lo, exec_lo, s76
	v_add_nc_u32_e32 v2, 0xffffff81, v46
	v_lshrrev_b32_e32 v18, 23, v118
	s_mov_b32 s13, exec_lo
	s_delay_alu instid0(VALU_DEP_2) | instskip(NEXT) | instid1(VALU_DEP_1)
	v_cndmask_b32_e64 v2, v2, 0xffffff82, vcc_lo
	v_add3_u32 v41, v56, v2, v18
	v_and_b32_e32 v2, 0x1fffff, v40
                                        ; implicit-def: $vgpr40
	s_delay_alu instid0(VALU_DEP_1) | instskip(NEXT) | instid1(VALU_DEP_1)
	v_dual_add_nc_u32 v46, 14, v41 :: v_dual_add_nc_u32 v2, v2, v118
                                        ; implicit-def: $vgpr118_vgpr119
	v_cmpx_ne_u32_e32 0, v46
	s_xor_b32 s13, exec_lo, s13
; %bb.1657:                             ;   in Loop: Header=BB2_1599 Depth=3
	s_delay_alu instid0(VALU_DEP_2) | instskip(SKIP_1) | instid1(VALU_DEP_1)
	v_cmp_lt_u64_e32 vcc_lo, 0xffffff, v[2:3]
	v_add_nc_u32_e32 v18, 15, v41
	v_cndmask_b32_e32 v40, v46, v18, vcc_lo
	v_cndmask_b32_e64 v18, 0, 1, vcc_lo
	s_delay_alu instid0(VALU_DEP_1)
	v_lshrrev_b64 v[118:119], v18, v[2:3]
; %bb.1658:                             ;   in Loop: Header=BB2_1599 Depth=3
	s_and_not1_saveexec_b32 s13, s13
; %bb.1659:                             ;   in Loop: Header=BB2_1599 Depth=3
	v_mov_b64_e32 v[118:119], v[2:3]
	v_bfe_u32 v40, v2, 23, 1
; %bb.1660:                             ;   in Loop: Header=BB2_1599 Depth=3
	s_or_b32 exec_lo, exec_lo, s13
	s_delay_alu instid0(VALU_DEP_2) | instskip(NEXT) | instid1(VALU_DEP_2)
	v_lshrrev_b64 v[18:19], 21, v[118:119]
	v_cmp_gt_i32_e32 vcc_lo, 32, v40
	v_cmp_ne_u32_e64 s13, 0, v40
                                        ; implicit-def: $vgpr46
	s_delay_alu instid0(VALU_DEP_3) | instskip(NEXT) | instid1(VALU_DEP_1)
	v_dual_cndmask_b32 v119, 0, v19 :: v_dual_cndmask_b32 v118, 3, v18
	v_cmp_ne_u64_e32 vcc_lo, 0, v[118:119]
	s_or_b32 s13, s13, vcc_lo
	s_delay_alu instid0(SALU_CYCLE_1) | instskip(NEXT) | instid1(SALU_CYCLE_1)
	s_and_saveexec_b32 s76, s13
	s_xor_b32 s13, exec_lo, s76
; %bb.1661:                             ;   in Loop: Header=BB2_1599 Depth=3
	v_min_i32_e32 v2, 31, v40
	s_delay_alu instid0(VALU_DEP_1) | instskip(NEXT) | instid1(VALU_DEP_1)
	v_lshl_or_b32 v2, v2, 2, v47
                                        ; implicit-def: $vgpr47
	v_and_or_b32 v46, v118, 3, v2
; %bb.1662:                             ;   in Loop: Header=BB2_1599 Depth=3
	s_and_not1_saveexec_b32 s13, s13
; %bb.1663:                             ;   in Loop: Header=BB2_1599 Depth=3
	v_mov_b32_e32 v46, v47
; %bb.1664:                             ;   in Loop: Header=BB2_1599 Depth=3
	s_or_b32 exec_lo, exec_lo, s13
.LBB2_1665:                             ;   in Loop: Header=BB2_1599 Depth=3
	s_delay_alu instid0(SALU_CYCLE_1)
	s_or_b32 exec_lo, exec_lo, s75
                                        ; implicit-def: $vgpr47
.LBB2_1666:                             ;   in Loop: Header=BB2_1599 Depth=3
	s_and_not1_saveexec_b32 s13, s15
; %bb.1667:                             ;   in Loop: Header=BB2_1599 Depth=3
	v_or_b32_e32 v46, 0x7b, v47
; %bb.1668:                             ;   in Loop: Header=BB2_1599 Depth=3
	s_or_b32 exec_lo, exec_lo, s13
                                        ; implicit-def: $vgpr118
.LBB2_1669:                             ;   in Loop: Header=BB2_1599 Depth=3
	s_and_not1_saveexec_b32 s13, s14
	s_cbranch_execz .LBB2_1675
; %bb.1670:                             ;   in Loop: Header=BB2_1599 Depth=3
	s_mov_b32 s14, exec_lo
                                        ; implicit-def: $vgpr46
	v_cmpx_ne_u64_e32 0, v[2:3]
	s_xor_b32 s14, exec_lo, s14
; %bb.1671:                             ;   in Loop: Header=BB2_1599 Depth=3
	v_lshrrev_b32_e32 v2, 24, v118
                                        ; implicit-def: $vgpr118
	s_delay_alu instid0(VALU_DEP_1)
	v_or_b32_e32 v46, 0x7f, v2
; %bb.1672:                             ;   in Loop: Header=BB2_1599 Depth=3
	s_and_not1_saveexec_b32 s14, s14
; %bb.1673:                             ;   in Loop: Header=BB2_1599 Depth=3
	v_cmp_lt_i32_e32 vcc_lo, -1, v118
	v_cndmask_b32_e64 v46, -4, 0x7c, vcc_lo
; %bb.1674:                             ;   in Loop: Header=BB2_1599 Depth=3
	s_or_b32 exec_lo, exec_lo, s14
.LBB2_1675:                             ;   in Loop: Header=BB2_1599 Depth=3
	s_delay_alu instid0(SALU_CYCLE_1)
	s_or_b32 exec_lo, exec_lo, s13
	flat_load_i8 v118, v[10:11] offset:64 th:TH_LOAD_NT
	v_mov_b32_e32 v119, 0
	s_mov_b32 s13, exec_lo
	s_wait_loadcnt_dscnt 0x0
	v_cmpx_ne_u16_e32 0, v118
	s_cbranch_execz .LBB2_1685
; %bb.1676:                             ;   in Loop: Header=BB2_1599 Depth=3
	v_bfrev_b32_e32 v119, 1
	s_mov_b32 s14, exec_lo
	v_cmpx_ne_u16_e32 0xff80, v118
	s_cbranch_execz .LBB2_1684
; %bb.1677:                             ;   in Loop: Header=BB2_1599 Depth=3
	v_and_b32_e32 v18, 0x7c, v118
	v_and_b32_e32 v2, 3, v118
	s_mov_b32 s15, exec_lo
                                        ; implicit-def: $vgpr119
	s_delay_alu instid0(VALU_DEP_2)
	v_cmpx_ne_u32_e32 0x7c, v18
	s_xor_b32 s15, exec_lo, s15
	s_cbranch_execz .LBB2_1681
; %bb.1678:                             ;   in Loop: Header=BB2_1599 Depth=3
	v_and_b32_e32 v18, 0xff, v118
	s_mov_b32 s75, exec_lo
	s_delay_alu instid0(VALU_DEP_1) | instskip(NEXT) | instid1(VALU_DEP_1)
	v_bfe_u32 v119, v18, 2, 5
	v_cmpx_eq_u32_e32 0, v119
	s_cbranch_execz .LBB2_1680
; %bb.1679:                             ;   in Loop: Header=BB2_1599 Depth=3
	v_clz_i32_u32_e32 v2, v2
	v_mov_b32_e32 v119, v3
	s_delay_alu instid0(VALU_DEP_2) | instskip(NEXT) | instid1(VALU_DEP_1)
	v_min_u32_e32 v2, 32, v2
	v_subrev_nc_u32_e32 v18, 29, v2
	s_delay_alu instid0(VALU_DEP_1) | instskip(SKIP_1) | instid1(VALU_DEP_2)
	v_lshlrev_b64_e32 v[18:19], v18, v[118:119]
	v_sub_nc_u32_e32 v119, 30, v2
	v_and_b32_e32 v2, 3, v18
.LBB2_1680:                             ;   in Loop: Header=BB2_1599 Depth=3
	s_or_b32 exec_lo, exec_lo, s75
	v_bfe_i32 v18, v118, 0, 16
                                        ; implicit-def: $vgpr118
	s_delay_alu instid0(VALU_DEP_1) | instskip(NEXT) | instid1(VALU_DEP_1)
	v_and_b32_e32 v18, 0x80000000, v18
	v_lshl_add_u32 v18, v119, 23, v18
	s_delay_alu instid0(VALU_DEP_1) | instskip(NEXT) | instid1(VALU_DEP_1)
	v_lshl_or_b32 v2, v2, 21, v18
	v_add_nc_u32_e32 v119, 0x38000000, v2
                                        ; implicit-def: $vgpr2
.LBB2_1681:                             ;   in Loop: Header=BB2_1599 Depth=3
	s_and_not1_saveexec_b32 s15, s15
; %bb.1682:                             ;   in Loop: Header=BB2_1599 Depth=3
	v_cmp_lt_i16_e32 vcc_lo, -1, v118
	v_cndmask_b32_e32 v18, 0xff800000, v111, vcc_lo
	v_cmp_eq_u32_e32 vcc_lo, 0, v2
	s_delay_alu instid0(VALU_DEP_2)
	v_cndmask_b32_e32 v119, 0x7f800001, v18, vcc_lo
; %bb.1683:                             ;   in Loop: Header=BB2_1599 Depth=3
	s_or_b32 exec_lo, exec_lo, s15
.LBB2_1684:                             ;   in Loop: Header=BB2_1599 Depth=3
	s_delay_alu instid0(SALU_CYCLE_1)
	s_or_b32 exec_lo, exec_lo, s14
.LBB2_1685:                             ;   in Loop: Header=BB2_1599 Depth=3
	s_delay_alu instid0(SALU_CYCLE_1) | instskip(NEXT) | instid1(VALU_DEP_1)
	s_or_b32 exec_lo, exec_lo, s13
	v_dual_mul_f32 v118, s74, v119 :: v_dual_mov_b32 v19, v3
                                        ; implicit-def: $vgpr47
	s_mov_b32 s13, exec_lo
	s_delay_alu instid0(VALU_DEP_1) | instskip(SKIP_1) | instid1(VALU_DEP_2)
	v_and_b32_e32 v18, 0x7f800000, v118
	v_and_b32_e32 v2, 0x7fffff, v118
	v_cmpx_ne_u64_e32 0x7f800000, v[18:19]
	s_xor_b32 s14, exec_lo, s13
	s_cbranch_execz .LBB2_1703
; %bb.1686:                             ;   in Loop: Header=BB2_1599 Depth=3
	v_dual_mov_b32 v19, v3 :: v_dual_lshrrev_b32 v119, 24, v118
	v_and_b32_e32 v18, 0x7fffffff, v118
                                        ; implicit-def: $vgpr47
	s_mov_b32 s13, exec_lo
	s_delay_alu instid0(VALU_DEP_2) | instskip(NEXT) | instid1(VALU_DEP_2)
	v_and_b32_e32 v56, 0x80, v119
	v_cmpx_gt_u64_e32 0x47600001, v[18:19]
	s_xor_b32 s15, exec_lo, s13
	s_cbranch_execz .LBB2_1700
; %bb.1687:                             ;   in Loop: Header=BB2_1599 Depth=3
	v_mov_b32_e32 v47, 0
	s_mov_b32 s75, exec_lo
	v_cmpx_ne_u32_e32 0, v118
	s_cbranch_execz .LBB2_1699
; %bb.1688:                             ;   in Loop: Header=BB2_1599 Depth=3
	v_bfe_u32 v47, v118, 23, 8
	v_or_b32_e32 v118, 0x800000, v2
	s_delay_alu instid0(VALU_DEP_2) | instskip(SKIP_1) | instid1(VALU_DEP_2)
	v_dual_mov_b32 v119, v3 :: v_dual_sub_nc_u32 v18, 0x71, v47
	v_cmp_gt_u32_e32 vcc_lo, 0x72, v47
	v_cndmask_b32_e32 v18, 0, v18, vcc_lo
	v_cmp_eq_u32_e32 vcc_lo, 0, v47
	s_delay_alu instid0(VALU_DEP_2) | instskip(NEXT) | instid1(VALU_DEP_1)
	v_cndmask_b32_e64 v57, v18, 0x70, vcc_lo
	v_dual_cndmask_b32 v118, v118, v2, vcc_lo :: v_dual_add_nc_u32 v18, 21, v57
	v_add_nc_u32_e32 v40, 20, v57
	s_delay_alu instid0(VALU_DEP_2) | instskip(NEXT) | instid1(VALU_DEP_2)
	v_lshlrev_b64_e64 v[18:19], v18, -1
	v_lshlrev_b64_e64 v[40:41], v40, 1
	s_delay_alu instid0(VALU_DEP_2) | instskip(SKIP_1) | instid1(VALU_DEP_4)
	v_bfi_b32 v18, v18, 0, v118
	v_lshrrev_b64 v[118:119], v57, v[118:119]
	v_bfi_b32 v19, v19, 0, 0
	s_delay_alu instid0(VALU_DEP_1) | instskip(NEXT) | instid1(VALU_DEP_3)
	v_cmp_eq_u64_e64 s13, v[18:19], v[40:41]
	v_mov_b64_e32 v[40:41], v[118:119]
	s_and_saveexec_b32 s76, s13
; %bb.1689:                             ;   in Loop: Header=BB2_1599 Depth=3
	v_bfe_u32 v18, v118, 21, 1
	v_mov_b32_e32 v19, v3
	s_delay_alu instid0(VALU_DEP_1) | instskip(NEXT) | instid1(VALU_DEP_1)
	v_add_nc_u64_e32 v[18:19], v[118:119], v[18:19]
	v_add_nc_u64_e32 v[40:41], -1, v[18:19]
; %bb.1690:                             ;   in Loop: Header=BB2_1599 Depth=3
	s_or_b32 exec_lo, exec_lo, s76
	v_add_nc_u32_e32 v2, 0xffffff81, v47
	v_lshrrev_b32_e32 v18, 23, v118
	s_mov_b32 s13, exec_lo
	s_delay_alu instid0(VALU_DEP_2) | instskip(NEXT) | instid1(VALU_DEP_1)
	v_cndmask_b32_e64 v2, v2, 0xffffff82, vcc_lo
	v_add3_u32 v41, v57, v2, v18
	v_and_b32_e32 v2, 0x1fffff, v40
                                        ; implicit-def: $vgpr40
	s_delay_alu instid0(VALU_DEP_1) | instskip(NEXT) | instid1(VALU_DEP_1)
	v_dual_add_nc_u32 v47, 14, v41 :: v_dual_add_nc_u32 v2, v2, v118
                                        ; implicit-def: $vgpr118_vgpr119
	v_cmpx_ne_u32_e32 0, v47
	s_xor_b32 s13, exec_lo, s13
; %bb.1691:                             ;   in Loop: Header=BB2_1599 Depth=3
	s_delay_alu instid0(VALU_DEP_2) | instskip(SKIP_1) | instid1(VALU_DEP_1)
	v_cmp_lt_u64_e32 vcc_lo, 0xffffff, v[2:3]
	v_add_nc_u32_e32 v18, 15, v41
	v_cndmask_b32_e32 v40, v47, v18, vcc_lo
	v_cndmask_b32_e64 v18, 0, 1, vcc_lo
	s_delay_alu instid0(VALU_DEP_1)
	v_lshrrev_b64 v[118:119], v18, v[2:3]
; %bb.1692:                             ;   in Loop: Header=BB2_1599 Depth=3
	s_and_not1_saveexec_b32 s13, s13
; %bb.1693:                             ;   in Loop: Header=BB2_1599 Depth=3
	v_mov_b64_e32 v[118:119], v[2:3]
	v_bfe_u32 v40, v2, 23, 1
; %bb.1694:                             ;   in Loop: Header=BB2_1599 Depth=3
	s_or_b32 exec_lo, exec_lo, s13
	s_delay_alu instid0(VALU_DEP_2) | instskip(NEXT) | instid1(VALU_DEP_2)
	v_lshrrev_b64 v[18:19], 21, v[118:119]
	v_cmp_gt_i32_e32 vcc_lo, 32, v40
	v_cmp_ne_u32_e64 s13, 0, v40
                                        ; implicit-def: $vgpr47
	s_delay_alu instid0(VALU_DEP_3) | instskip(NEXT) | instid1(VALU_DEP_1)
	v_dual_cndmask_b32 v119, 0, v19 :: v_dual_cndmask_b32 v118, 3, v18
	v_cmp_ne_u64_e32 vcc_lo, 0, v[118:119]
	s_or_b32 s13, s13, vcc_lo
	s_delay_alu instid0(SALU_CYCLE_1) | instskip(NEXT) | instid1(SALU_CYCLE_1)
	s_and_saveexec_b32 s76, s13
	s_xor_b32 s13, exec_lo, s76
; %bb.1695:                             ;   in Loop: Header=BB2_1599 Depth=3
	v_min_i32_e32 v2, 31, v40
	s_delay_alu instid0(VALU_DEP_1) | instskip(NEXT) | instid1(VALU_DEP_1)
	v_lshl_or_b32 v2, v2, 2, v56
                                        ; implicit-def: $vgpr56
	v_and_or_b32 v47, v118, 3, v2
; %bb.1696:                             ;   in Loop: Header=BB2_1599 Depth=3
	s_and_not1_saveexec_b32 s13, s13
; %bb.1697:                             ;   in Loop: Header=BB2_1599 Depth=3
	v_mov_b32_e32 v47, v56
; %bb.1698:                             ;   in Loop: Header=BB2_1599 Depth=3
	s_or_b32 exec_lo, exec_lo, s13
.LBB2_1699:                             ;   in Loop: Header=BB2_1599 Depth=3
	s_delay_alu instid0(SALU_CYCLE_1)
	s_or_b32 exec_lo, exec_lo, s75
                                        ; implicit-def: $vgpr56
.LBB2_1700:                             ;   in Loop: Header=BB2_1599 Depth=3
	s_and_not1_saveexec_b32 s13, s15
; %bb.1701:                             ;   in Loop: Header=BB2_1599 Depth=3
	v_or_b32_e32 v47, 0x7b, v56
; %bb.1702:                             ;   in Loop: Header=BB2_1599 Depth=3
	s_or_b32 exec_lo, exec_lo, s13
                                        ; implicit-def: $vgpr118
.LBB2_1703:                             ;   in Loop: Header=BB2_1599 Depth=3
	s_and_not1_saveexec_b32 s13, s14
	s_cbranch_execz .LBB2_1709
; %bb.1704:                             ;   in Loop: Header=BB2_1599 Depth=3
	s_mov_b32 s14, exec_lo
                                        ; implicit-def: $vgpr47
	v_cmpx_ne_u64_e32 0, v[2:3]
	s_xor_b32 s14, exec_lo, s14
; %bb.1705:                             ;   in Loop: Header=BB2_1599 Depth=3
	v_lshrrev_b32_e32 v2, 24, v118
                                        ; implicit-def: $vgpr118
	s_delay_alu instid0(VALU_DEP_1)
	v_or_b32_e32 v47, 0x7f, v2
; %bb.1706:                             ;   in Loop: Header=BB2_1599 Depth=3
	s_and_not1_saveexec_b32 s14, s14
; %bb.1707:                             ;   in Loop: Header=BB2_1599 Depth=3
	v_cmp_lt_i32_e32 vcc_lo, -1, v118
	v_cndmask_b32_e64 v47, -4, 0x7c, vcc_lo
; %bb.1708:                             ;   in Loop: Header=BB2_1599 Depth=3
	s_or_b32 exec_lo, exec_lo, s14
.LBB2_1709:                             ;   in Loop: Header=BB2_1599 Depth=3
	s_delay_alu instid0(SALU_CYCLE_1)
	s_or_b32 exec_lo, exec_lo, s13
	flat_load_i8 v118, v[10:11] offset:96 th:TH_LOAD_NT
	v_mov_b32_e32 v119, 0
	s_mov_b32 s13, exec_lo
	s_wait_loadcnt_dscnt 0x0
	v_cmpx_ne_u16_e32 0, v118
	s_cbranch_execz .LBB2_1719
; %bb.1710:                             ;   in Loop: Header=BB2_1599 Depth=3
	v_bfrev_b32_e32 v119, 1
	s_mov_b32 s14, exec_lo
	v_cmpx_ne_u16_e32 0xff80, v118
	s_cbranch_execz .LBB2_1718
; %bb.1711:                             ;   in Loop: Header=BB2_1599 Depth=3
	v_and_b32_e32 v18, 0x7c, v118
	v_and_b32_e32 v2, 3, v118
	s_mov_b32 s15, exec_lo
                                        ; implicit-def: $vgpr119
	s_delay_alu instid0(VALU_DEP_2)
	v_cmpx_ne_u32_e32 0x7c, v18
	s_xor_b32 s15, exec_lo, s15
	s_cbranch_execz .LBB2_1715
; %bb.1712:                             ;   in Loop: Header=BB2_1599 Depth=3
	v_and_b32_e32 v18, 0xff, v118
	s_mov_b32 s75, exec_lo
	s_delay_alu instid0(VALU_DEP_1) | instskip(NEXT) | instid1(VALU_DEP_1)
	v_bfe_u32 v119, v18, 2, 5
	v_cmpx_eq_u32_e32 0, v119
	s_cbranch_execz .LBB2_1714
; %bb.1713:                             ;   in Loop: Header=BB2_1599 Depth=3
	v_clz_i32_u32_e32 v2, v2
	v_mov_b32_e32 v119, v3
	s_delay_alu instid0(VALU_DEP_2) | instskip(NEXT) | instid1(VALU_DEP_1)
	v_min_u32_e32 v2, 32, v2
	v_subrev_nc_u32_e32 v18, 29, v2
	s_delay_alu instid0(VALU_DEP_1) | instskip(SKIP_1) | instid1(VALU_DEP_2)
	v_lshlrev_b64_e32 v[18:19], v18, v[118:119]
	v_sub_nc_u32_e32 v119, 30, v2
	v_and_b32_e32 v2, 3, v18
.LBB2_1714:                             ;   in Loop: Header=BB2_1599 Depth=3
	s_or_b32 exec_lo, exec_lo, s75
	v_bfe_i32 v18, v118, 0, 16
                                        ; implicit-def: $vgpr118
	s_delay_alu instid0(VALU_DEP_1) | instskip(NEXT) | instid1(VALU_DEP_1)
	v_and_b32_e32 v18, 0x80000000, v18
	v_lshl_add_u32 v18, v119, 23, v18
	s_delay_alu instid0(VALU_DEP_1) | instskip(NEXT) | instid1(VALU_DEP_1)
	v_lshl_or_b32 v2, v2, 21, v18
	v_add_nc_u32_e32 v119, 0x38000000, v2
                                        ; implicit-def: $vgpr2
.LBB2_1715:                             ;   in Loop: Header=BB2_1599 Depth=3
	s_and_not1_saveexec_b32 s15, s15
; %bb.1716:                             ;   in Loop: Header=BB2_1599 Depth=3
	v_cmp_lt_i16_e32 vcc_lo, -1, v118
	v_cndmask_b32_e32 v18, 0xff800000, v111, vcc_lo
	v_cmp_eq_u32_e32 vcc_lo, 0, v2
	s_delay_alu instid0(VALU_DEP_2)
	v_cndmask_b32_e32 v119, 0x7f800001, v18, vcc_lo
; %bb.1717:                             ;   in Loop: Header=BB2_1599 Depth=3
	s_or_b32 exec_lo, exec_lo, s15
.LBB2_1718:                             ;   in Loop: Header=BB2_1599 Depth=3
	s_delay_alu instid0(SALU_CYCLE_1)
	s_or_b32 exec_lo, exec_lo, s14
.LBB2_1719:                             ;   in Loop: Header=BB2_1599 Depth=3
	s_delay_alu instid0(SALU_CYCLE_1) | instskip(NEXT) | instid1(VALU_DEP_1)
	s_or_b32 exec_lo, exec_lo, s13
	v_dual_mul_f32 v118, s74, v119 :: v_dual_mov_b32 v19, v3
                                        ; implicit-def: $vgpr56
	s_mov_b32 s13, exec_lo
	s_delay_alu instid0(VALU_DEP_1) | instskip(SKIP_1) | instid1(VALU_DEP_2)
	v_and_b32_e32 v18, 0x7f800000, v118
	v_and_b32_e32 v2, 0x7fffff, v118
	v_cmpx_ne_u64_e32 0x7f800000, v[18:19]
	s_xor_b32 s14, exec_lo, s13
	s_cbranch_execz .LBB2_1737
; %bb.1720:                             ;   in Loop: Header=BB2_1599 Depth=3
	v_dual_mov_b32 v19, v3 :: v_dual_lshrrev_b32 v119, 24, v118
	v_and_b32_e32 v18, 0x7fffffff, v118
                                        ; implicit-def: $vgpr56
	s_mov_b32 s13, exec_lo
	s_delay_alu instid0(VALU_DEP_2) | instskip(NEXT) | instid1(VALU_DEP_2)
	v_and_b32_e32 v57, 0x80, v119
	v_cmpx_gt_u64_e32 0x47600001, v[18:19]
	s_xor_b32 s15, exec_lo, s13
	s_cbranch_execz .LBB2_1734
; %bb.1721:                             ;   in Loop: Header=BB2_1599 Depth=3
	v_mov_b32_e32 v56, 0
	s_mov_b32 s75, exec_lo
	v_cmpx_ne_u32_e32 0, v118
	s_cbranch_execz .LBB2_1733
; %bb.1722:                             ;   in Loop: Header=BB2_1599 Depth=3
	v_bfe_u32 v56, v118, 23, 8
	v_or_b32_e32 v118, 0x800000, v2
	s_delay_alu instid0(VALU_DEP_2) | instskip(SKIP_1) | instid1(VALU_DEP_2)
	v_dual_mov_b32 v119, v3 :: v_dual_sub_nc_u32 v18, 0x71, v56
	v_cmp_gt_u32_e32 vcc_lo, 0x72, v56
	v_cndmask_b32_e32 v18, 0, v18, vcc_lo
	v_cmp_eq_u32_e32 vcc_lo, 0, v56
	s_delay_alu instid0(VALU_DEP_2) | instskip(SKIP_1) | instid1(VALU_DEP_2)
	v_cndmask_b32_e64 v58, v18, 0x70, vcc_lo
	v_cndmask_b32_e32 v118, v118, v2, vcc_lo
	v_dual_add_nc_u32 v18, 21, v58 :: v_dual_add_nc_u32 v40, 20, v58
	s_delay_alu instid0(VALU_DEP_1) | instskip(NEXT) | instid1(VALU_DEP_2)
	v_lshlrev_b64_e64 v[18:19], v18, -1
	v_lshlrev_b64_e64 v[40:41], v40, 1
	s_delay_alu instid0(VALU_DEP_2) | instskip(SKIP_1) | instid1(VALU_DEP_4)
	v_bfi_b32 v18, v18, 0, v118
	v_lshrrev_b64 v[118:119], v58, v[118:119]
	v_bfi_b32 v19, v19, 0, 0
	s_delay_alu instid0(VALU_DEP_1) | instskip(NEXT) | instid1(VALU_DEP_3)
	v_cmp_eq_u64_e64 s13, v[18:19], v[40:41]
	v_mov_b64_e32 v[40:41], v[118:119]
	s_and_saveexec_b32 s76, s13
; %bb.1723:                             ;   in Loop: Header=BB2_1599 Depth=3
	v_bfe_u32 v18, v118, 21, 1
	v_mov_b32_e32 v19, v3
	s_delay_alu instid0(VALU_DEP_1) | instskip(NEXT) | instid1(VALU_DEP_1)
	v_add_nc_u64_e32 v[18:19], v[118:119], v[18:19]
	v_add_nc_u64_e32 v[40:41], -1, v[18:19]
; %bb.1724:                             ;   in Loop: Header=BB2_1599 Depth=3
	s_or_b32 exec_lo, exec_lo, s76
	v_add_nc_u32_e32 v2, 0xffffff81, v56
	v_lshrrev_b32_e32 v18, 23, v118
	s_mov_b32 s13, exec_lo
	s_delay_alu instid0(VALU_DEP_2) | instskip(NEXT) | instid1(VALU_DEP_1)
	v_cndmask_b32_e64 v2, v2, 0xffffff82, vcc_lo
	v_add3_u32 v41, v58, v2, v18
	v_and_b32_e32 v2, 0x1fffff, v40
                                        ; implicit-def: $vgpr40
	s_delay_alu instid0(VALU_DEP_1) | instskip(NEXT) | instid1(VALU_DEP_1)
	v_dual_add_nc_u32 v56, 14, v41 :: v_dual_add_nc_u32 v2, v2, v118
                                        ; implicit-def: $vgpr118_vgpr119
	v_cmpx_ne_u32_e32 0, v56
	s_xor_b32 s13, exec_lo, s13
; %bb.1725:                             ;   in Loop: Header=BB2_1599 Depth=3
	s_delay_alu instid0(VALU_DEP_2) | instskip(SKIP_1) | instid1(VALU_DEP_1)
	v_cmp_lt_u64_e32 vcc_lo, 0xffffff, v[2:3]
	v_add_nc_u32_e32 v18, 15, v41
	v_cndmask_b32_e32 v40, v56, v18, vcc_lo
	v_cndmask_b32_e64 v18, 0, 1, vcc_lo
	s_delay_alu instid0(VALU_DEP_1)
	v_lshrrev_b64 v[118:119], v18, v[2:3]
; %bb.1726:                             ;   in Loop: Header=BB2_1599 Depth=3
	s_and_not1_saveexec_b32 s13, s13
; %bb.1727:                             ;   in Loop: Header=BB2_1599 Depth=3
	v_mov_b64_e32 v[118:119], v[2:3]
	v_bfe_u32 v40, v2, 23, 1
; %bb.1728:                             ;   in Loop: Header=BB2_1599 Depth=3
	s_or_b32 exec_lo, exec_lo, s13
	s_delay_alu instid0(VALU_DEP_2) | instskip(NEXT) | instid1(VALU_DEP_2)
	v_lshrrev_b64 v[18:19], 21, v[118:119]
	v_cmp_gt_i32_e32 vcc_lo, 32, v40
	v_cmp_ne_u32_e64 s13, 0, v40
                                        ; implicit-def: $vgpr56
	s_delay_alu instid0(VALU_DEP_3) | instskip(NEXT) | instid1(VALU_DEP_1)
	v_dual_cndmask_b32 v119, 0, v19 :: v_dual_cndmask_b32 v118, 3, v18
	v_cmp_ne_u64_e32 vcc_lo, 0, v[118:119]
	s_or_b32 s13, s13, vcc_lo
	s_delay_alu instid0(SALU_CYCLE_1) | instskip(NEXT) | instid1(SALU_CYCLE_1)
	s_and_saveexec_b32 s76, s13
	s_xor_b32 s13, exec_lo, s76
; %bb.1729:                             ;   in Loop: Header=BB2_1599 Depth=3
	v_min_i32_e32 v2, 31, v40
	s_delay_alu instid0(VALU_DEP_1) | instskip(NEXT) | instid1(VALU_DEP_1)
	v_lshl_or_b32 v2, v2, 2, v57
                                        ; implicit-def: $vgpr57
	v_and_or_b32 v56, v118, 3, v2
; %bb.1730:                             ;   in Loop: Header=BB2_1599 Depth=3
	s_and_not1_saveexec_b32 s13, s13
; %bb.1731:                             ;   in Loop: Header=BB2_1599 Depth=3
	v_mov_b32_e32 v56, v57
; %bb.1732:                             ;   in Loop: Header=BB2_1599 Depth=3
	s_or_b32 exec_lo, exec_lo, s13
.LBB2_1733:                             ;   in Loop: Header=BB2_1599 Depth=3
	s_delay_alu instid0(SALU_CYCLE_1)
	s_or_b32 exec_lo, exec_lo, s75
                                        ; implicit-def: $vgpr57
.LBB2_1734:                             ;   in Loop: Header=BB2_1599 Depth=3
	s_and_not1_saveexec_b32 s13, s15
; %bb.1735:                             ;   in Loop: Header=BB2_1599 Depth=3
	v_or_b32_e32 v56, 0x7b, v57
; %bb.1736:                             ;   in Loop: Header=BB2_1599 Depth=3
	s_or_b32 exec_lo, exec_lo, s13
                                        ; implicit-def: $vgpr118
.LBB2_1737:                             ;   in Loop: Header=BB2_1599 Depth=3
	s_and_not1_saveexec_b32 s13, s14
	s_cbranch_execz .LBB2_1743
; %bb.1738:                             ;   in Loop: Header=BB2_1599 Depth=3
	s_mov_b32 s14, exec_lo
                                        ; implicit-def: $vgpr56
	v_cmpx_ne_u64_e32 0, v[2:3]
	s_xor_b32 s14, exec_lo, s14
; %bb.1739:                             ;   in Loop: Header=BB2_1599 Depth=3
	v_lshrrev_b32_e32 v2, 24, v118
                                        ; implicit-def: $vgpr118
	s_delay_alu instid0(VALU_DEP_1)
	v_or_b32_e32 v56, 0x7f, v2
; %bb.1740:                             ;   in Loop: Header=BB2_1599 Depth=3
	s_and_not1_saveexec_b32 s14, s14
; %bb.1741:                             ;   in Loop: Header=BB2_1599 Depth=3
	v_cmp_lt_i32_e32 vcc_lo, -1, v118
	v_cndmask_b32_e64 v56, -4, 0x7c, vcc_lo
; %bb.1742:                             ;   in Loop: Header=BB2_1599 Depth=3
	s_or_b32 exec_lo, exec_lo, s14
.LBB2_1743:                             ;   in Loop: Header=BB2_1599 Depth=3
	s_delay_alu instid0(SALU_CYCLE_1)
	s_or_b32 exec_lo, exec_lo, s13
	flat_load_i8 v118, v[10:11] offset:128 th:TH_LOAD_NT
	v_mov_b32_e32 v119, 0
	s_mov_b32 s13, exec_lo
	s_wait_loadcnt_dscnt 0x0
	v_cmpx_ne_u16_e32 0, v118
	s_cbranch_execz .LBB2_1753
; %bb.1744:                             ;   in Loop: Header=BB2_1599 Depth=3
	v_bfrev_b32_e32 v119, 1
	s_mov_b32 s14, exec_lo
	v_cmpx_ne_u16_e32 0xff80, v118
	s_cbranch_execz .LBB2_1752
; %bb.1745:                             ;   in Loop: Header=BB2_1599 Depth=3
	v_and_b32_e32 v18, 0x7c, v118
	v_and_b32_e32 v2, 3, v118
	s_mov_b32 s15, exec_lo
                                        ; implicit-def: $vgpr119
	s_delay_alu instid0(VALU_DEP_2)
	v_cmpx_ne_u32_e32 0x7c, v18
	s_xor_b32 s15, exec_lo, s15
	s_cbranch_execz .LBB2_1749
; %bb.1746:                             ;   in Loop: Header=BB2_1599 Depth=3
	v_and_b32_e32 v18, 0xff, v118
	s_mov_b32 s75, exec_lo
	s_delay_alu instid0(VALU_DEP_1) | instskip(NEXT) | instid1(VALU_DEP_1)
	v_bfe_u32 v119, v18, 2, 5
	v_cmpx_eq_u32_e32 0, v119
	s_cbranch_execz .LBB2_1748
; %bb.1747:                             ;   in Loop: Header=BB2_1599 Depth=3
	v_clz_i32_u32_e32 v2, v2
	v_mov_b32_e32 v119, v3
	s_delay_alu instid0(VALU_DEP_2) | instskip(NEXT) | instid1(VALU_DEP_1)
	v_min_u32_e32 v2, 32, v2
	v_subrev_nc_u32_e32 v18, 29, v2
	s_delay_alu instid0(VALU_DEP_1) | instskip(SKIP_1) | instid1(VALU_DEP_2)
	v_lshlrev_b64_e32 v[18:19], v18, v[118:119]
	v_sub_nc_u32_e32 v119, 30, v2
	v_and_b32_e32 v2, 3, v18
.LBB2_1748:                             ;   in Loop: Header=BB2_1599 Depth=3
	s_or_b32 exec_lo, exec_lo, s75
	v_bfe_i32 v18, v118, 0, 16
                                        ; implicit-def: $vgpr118
	s_delay_alu instid0(VALU_DEP_1) | instskip(NEXT) | instid1(VALU_DEP_1)
	v_and_b32_e32 v18, 0x80000000, v18
	v_lshl_add_u32 v18, v119, 23, v18
	s_delay_alu instid0(VALU_DEP_1) | instskip(NEXT) | instid1(VALU_DEP_1)
	v_lshl_or_b32 v2, v2, 21, v18
	v_add_nc_u32_e32 v119, 0x38000000, v2
                                        ; implicit-def: $vgpr2
.LBB2_1749:                             ;   in Loop: Header=BB2_1599 Depth=3
	s_and_not1_saveexec_b32 s15, s15
; %bb.1750:                             ;   in Loop: Header=BB2_1599 Depth=3
	v_cmp_lt_i16_e32 vcc_lo, -1, v118
	v_cndmask_b32_e32 v18, 0xff800000, v111, vcc_lo
	v_cmp_eq_u32_e32 vcc_lo, 0, v2
	s_delay_alu instid0(VALU_DEP_2)
	v_cndmask_b32_e32 v119, 0x7f800001, v18, vcc_lo
; %bb.1751:                             ;   in Loop: Header=BB2_1599 Depth=3
	s_or_b32 exec_lo, exec_lo, s15
.LBB2_1752:                             ;   in Loop: Header=BB2_1599 Depth=3
	s_delay_alu instid0(SALU_CYCLE_1)
	s_or_b32 exec_lo, exec_lo, s14
.LBB2_1753:                             ;   in Loop: Header=BB2_1599 Depth=3
	s_delay_alu instid0(SALU_CYCLE_1) | instskip(NEXT) | instid1(VALU_DEP_1)
	s_or_b32 exec_lo, exec_lo, s13
	v_dual_mul_f32 v118, s74, v119 :: v_dual_mov_b32 v19, v3
                                        ; implicit-def: $vgpr57
	s_mov_b32 s13, exec_lo
	s_delay_alu instid0(VALU_DEP_1) | instskip(SKIP_1) | instid1(VALU_DEP_2)
	v_and_b32_e32 v18, 0x7f800000, v118
	v_and_b32_e32 v2, 0x7fffff, v118
	v_cmpx_ne_u64_e32 0x7f800000, v[18:19]
	s_xor_b32 s14, exec_lo, s13
	s_cbranch_execz .LBB2_1771
; %bb.1754:                             ;   in Loop: Header=BB2_1599 Depth=3
	v_dual_mov_b32 v19, v3 :: v_dual_lshrrev_b32 v119, 24, v118
	v_and_b32_e32 v18, 0x7fffffff, v118
                                        ; implicit-def: $vgpr57
	s_mov_b32 s13, exec_lo
	s_delay_alu instid0(VALU_DEP_2) | instskip(NEXT) | instid1(VALU_DEP_2)
	v_and_b32_e32 v58, 0x80, v119
	v_cmpx_gt_u64_e32 0x47600001, v[18:19]
	s_xor_b32 s15, exec_lo, s13
	s_cbranch_execz .LBB2_1768
; %bb.1755:                             ;   in Loop: Header=BB2_1599 Depth=3
	v_mov_b32_e32 v57, 0
	s_mov_b32 s75, exec_lo
	v_cmpx_ne_u32_e32 0, v118
	s_cbranch_execz .LBB2_1767
; %bb.1756:                             ;   in Loop: Header=BB2_1599 Depth=3
	v_bfe_u32 v57, v118, 23, 8
	v_or_b32_e32 v118, 0x800000, v2
	s_delay_alu instid0(VALU_DEP_2) | instskip(SKIP_1) | instid1(VALU_DEP_2)
	v_dual_mov_b32 v119, v3 :: v_dual_sub_nc_u32 v18, 0x71, v57
	v_cmp_gt_u32_e32 vcc_lo, 0x72, v57
	v_cndmask_b32_e32 v18, 0, v18, vcc_lo
	v_cmp_eq_u32_e32 vcc_lo, 0, v57
	s_delay_alu instid0(VALU_DEP_2) | instskip(NEXT) | instid1(VALU_DEP_1)
	v_cndmask_b32_e64 v59, v18, 0x70, vcc_lo
	v_dual_cndmask_b32 v118, v118, v2, vcc_lo :: v_dual_add_nc_u32 v18, 21, v59
	v_add_nc_u32_e32 v40, 20, v59
	s_delay_alu instid0(VALU_DEP_2) | instskip(NEXT) | instid1(VALU_DEP_2)
	v_lshlrev_b64_e64 v[18:19], v18, -1
	v_lshlrev_b64_e64 v[40:41], v40, 1
	s_delay_alu instid0(VALU_DEP_2) | instskip(SKIP_1) | instid1(VALU_DEP_4)
	v_bfi_b32 v18, v18, 0, v118
	v_lshrrev_b64 v[118:119], v59, v[118:119]
	v_bfi_b32 v19, v19, 0, 0
	s_delay_alu instid0(VALU_DEP_1) | instskip(NEXT) | instid1(VALU_DEP_3)
	v_cmp_eq_u64_e64 s13, v[18:19], v[40:41]
	v_mov_b64_e32 v[40:41], v[118:119]
	s_and_saveexec_b32 s76, s13
; %bb.1757:                             ;   in Loop: Header=BB2_1599 Depth=3
	v_bfe_u32 v18, v118, 21, 1
	v_mov_b32_e32 v19, v3
	s_delay_alu instid0(VALU_DEP_1) | instskip(NEXT) | instid1(VALU_DEP_1)
	v_add_nc_u64_e32 v[18:19], v[118:119], v[18:19]
	v_add_nc_u64_e32 v[40:41], -1, v[18:19]
; %bb.1758:                             ;   in Loop: Header=BB2_1599 Depth=3
	s_or_b32 exec_lo, exec_lo, s76
	v_add_nc_u32_e32 v2, 0xffffff81, v57
	v_lshrrev_b32_e32 v18, 23, v118
	s_mov_b32 s13, exec_lo
	s_delay_alu instid0(VALU_DEP_2) | instskip(NEXT) | instid1(VALU_DEP_1)
	v_cndmask_b32_e64 v2, v2, 0xffffff82, vcc_lo
	v_add3_u32 v41, v59, v2, v18
	v_and_b32_e32 v2, 0x1fffff, v40
                                        ; implicit-def: $vgpr40
	s_delay_alu instid0(VALU_DEP_1) | instskip(NEXT) | instid1(VALU_DEP_1)
	v_dual_add_nc_u32 v57, 14, v41 :: v_dual_add_nc_u32 v2, v2, v118
                                        ; implicit-def: $vgpr118_vgpr119
	v_cmpx_ne_u32_e32 0, v57
	s_xor_b32 s13, exec_lo, s13
; %bb.1759:                             ;   in Loop: Header=BB2_1599 Depth=3
	s_delay_alu instid0(VALU_DEP_2) | instskip(SKIP_1) | instid1(VALU_DEP_1)
	v_cmp_lt_u64_e32 vcc_lo, 0xffffff, v[2:3]
	v_add_nc_u32_e32 v18, 15, v41
	v_cndmask_b32_e32 v40, v57, v18, vcc_lo
	v_cndmask_b32_e64 v18, 0, 1, vcc_lo
	s_delay_alu instid0(VALU_DEP_1)
	v_lshrrev_b64 v[118:119], v18, v[2:3]
; %bb.1760:                             ;   in Loop: Header=BB2_1599 Depth=3
	s_and_not1_saveexec_b32 s13, s13
; %bb.1761:                             ;   in Loop: Header=BB2_1599 Depth=3
	v_mov_b64_e32 v[118:119], v[2:3]
	v_bfe_u32 v40, v2, 23, 1
; %bb.1762:                             ;   in Loop: Header=BB2_1599 Depth=3
	s_or_b32 exec_lo, exec_lo, s13
	s_delay_alu instid0(VALU_DEP_2) | instskip(NEXT) | instid1(VALU_DEP_2)
	v_lshrrev_b64 v[18:19], 21, v[118:119]
	v_cmp_gt_i32_e32 vcc_lo, 32, v40
	v_cmp_ne_u32_e64 s13, 0, v40
                                        ; implicit-def: $vgpr57
	s_delay_alu instid0(VALU_DEP_3) | instskip(NEXT) | instid1(VALU_DEP_1)
	v_dual_cndmask_b32 v119, 0, v19 :: v_dual_cndmask_b32 v118, 3, v18
	v_cmp_ne_u64_e32 vcc_lo, 0, v[118:119]
	s_or_b32 s13, s13, vcc_lo
	s_delay_alu instid0(SALU_CYCLE_1) | instskip(NEXT) | instid1(SALU_CYCLE_1)
	s_and_saveexec_b32 s76, s13
	s_xor_b32 s13, exec_lo, s76
; %bb.1763:                             ;   in Loop: Header=BB2_1599 Depth=3
	v_min_i32_e32 v2, 31, v40
	s_delay_alu instid0(VALU_DEP_1) | instskip(NEXT) | instid1(VALU_DEP_1)
	v_lshl_or_b32 v2, v2, 2, v58
                                        ; implicit-def: $vgpr58
	v_and_or_b32 v57, v118, 3, v2
; %bb.1764:                             ;   in Loop: Header=BB2_1599 Depth=3
	s_and_not1_saveexec_b32 s13, s13
; %bb.1765:                             ;   in Loop: Header=BB2_1599 Depth=3
	v_mov_b32_e32 v57, v58
; %bb.1766:                             ;   in Loop: Header=BB2_1599 Depth=3
	s_or_b32 exec_lo, exec_lo, s13
.LBB2_1767:                             ;   in Loop: Header=BB2_1599 Depth=3
	s_delay_alu instid0(SALU_CYCLE_1)
	s_or_b32 exec_lo, exec_lo, s75
                                        ; implicit-def: $vgpr58
.LBB2_1768:                             ;   in Loop: Header=BB2_1599 Depth=3
	s_and_not1_saveexec_b32 s13, s15
; %bb.1769:                             ;   in Loop: Header=BB2_1599 Depth=3
	v_or_b32_e32 v57, 0x7b, v58
; %bb.1770:                             ;   in Loop: Header=BB2_1599 Depth=3
	s_or_b32 exec_lo, exec_lo, s13
                                        ; implicit-def: $vgpr118
.LBB2_1771:                             ;   in Loop: Header=BB2_1599 Depth=3
	s_and_not1_saveexec_b32 s13, s14
	s_cbranch_execz .LBB2_1777
; %bb.1772:                             ;   in Loop: Header=BB2_1599 Depth=3
	s_mov_b32 s14, exec_lo
                                        ; implicit-def: $vgpr57
	v_cmpx_ne_u64_e32 0, v[2:3]
	s_xor_b32 s14, exec_lo, s14
; %bb.1773:                             ;   in Loop: Header=BB2_1599 Depth=3
	v_lshrrev_b32_e32 v2, 24, v118
                                        ; implicit-def: $vgpr118
	s_delay_alu instid0(VALU_DEP_1)
	v_or_b32_e32 v57, 0x7f, v2
; %bb.1774:                             ;   in Loop: Header=BB2_1599 Depth=3
	s_and_not1_saveexec_b32 s14, s14
; %bb.1775:                             ;   in Loop: Header=BB2_1599 Depth=3
	v_cmp_lt_i32_e32 vcc_lo, -1, v118
	v_cndmask_b32_e64 v57, -4, 0x7c, vcc_lo
; %bb.1776:                             ;   in Loop: Header=BB2_1599 Depth=3
	s_or_b32 exec_lo, exec_lo, s14
.LBB2_1777:                             ;   in Loop: Header=BB2_1599 Depth=3
	s_delay_alu instid0(SALU_CYCLE_1)
	s_or_b32 exec_lo, exec_lo, s13
	flat_load_i8 v118, v[10:11] offset:160 th:TH_LOAD_NT
	v_mov_b32_e32 v119, 0
	s_mov_b32 s13, exec_lo
	s_wait_loadcnt_dscnt 0x0
	v_cmpx_ne_u16_e32 0, v118
	s_cbranch_execz .LBB2_1787
; %bb.1778:                             ;   in Loop: Header=BB2_1599 Depth=3
	v_bfrev_b32_e32 v119, 1
	s_mov_b32 s14, exec_lo
	v_cmpx_ne_u16_e32 0xff80, v118
	s_cbranch_execz .LBB2_1786
; %bb.1779:                             ;   in Loop: Header=BB2_1599 Depth=3
	v_and_b32_e32 v18, 0x7c, v118
	v_and_b32_e32 v2, 3, v118
	s_mov_b32 s15, exec_lo
                                        ; implicit-def: $vgpr119
	s_delay_alu instid0(VALU_DEP_2)
	v_cmpx_ne_u32_e32 0x7c, v18
	s_xor_b32 s15, exec_lo, s15
	s_cbranch_execz .LBB2_1783
; %bb.1780:                             ;   in Loop: Header=BB2_1599 Depth=3
	v_and_b32_e32 v18, 0xff, v118
	s_mov_b32 s75, exec_lo
	s_delay_alu instid0(VALU_DEP_1) | instskip(NEXT) | instid1(VALU_DEP_1)
	v_bfe_u32 v119, v18, 2, 5
	v_cmpx_eq_u32_e32 0, v119
	s_cbranch_execz .LBB2_1782
; %bb.1781:                             ;   in Loop: Header=BB2_1599 Depth=3
	v_clz_i32_u32_e32 v2, v2
	v_mov_b32_e32 v119, v3
	s_delay_alu instid0(VALU_DEP_2) | instskip(NEXT) | instid1(VALU_DEP_1)
	v_min_u32_e32 v2, 32, v2
	v_subrev_nc_u32_e32 v18, 29, v2
	s_delay_alu instid0(VALU_DEP_1) | instskip(SKIP_1) | instid1(VALU_DEP_2)
	v_lshlrev_b64_e32 v[18:19], v18, v[118:119]
	v_sub_nc_u32_e32 v119, 30, v2
	v_and_b32_e32 v2, 3, v18
.LBB2_1782:                             ;   in Loop: Header=BB2_1599 Depth=3
	s_or_b32 exec_lo, exec_lo, s75
	v_bfe_i32 v18, v118, 0, 16
                                        ; implicit-def: $vgpr118
	s_delay_alu instid0(VALU_DEP_1) | instskip(NEXT) | instid1(VALU_DEP_1)
	v_and_b32_e32 v18, 0x80000000, v18
	v_lshl_add_u32 v18, v119, 23, v18
	s_delay_alu instid0(VALU_DEP_1) | instskip(NEXT) | instid1(VALU_DEP_1)
	v_lshl_or_b32 v2, v2, 21, v18
	v_add_nc_u32_e32 v119, 0x38000000, v2
                                        ; implicit-def: $vgpr2
.LBB2_1783:                             ;   in Loop: Header=BB2_1599 Depth=3
	s_and_not1_saveexec_b32 s15, s15
; %bb.1784:                             ;   in Loop: Header=BB2_1599 Depth=3
	v_cmp_lt_i16_e32 vcc_lo, -1, v118
	v_cndmask_b32_e32 v18, 0xff800000, v111, vcc_lo
	v_cmp_eq_u32_e32 vcc_lo, 0, v2
	s_delay_alu instid0(VALU_DEP_2)
	v_cndmask_b32_e32 v119, 0x7f800001, v18, vcc_lo
; %bb.1785:                             ;   in Loop: Header=BB2_1599 Depth=3
	s_or_b32 exec_lo, exec_lo, s15
.LBB2_1786:                             ;   in Loop: Header=BB2_1599 Depth=3
	s_delay_alu instid0(SALU_CYCLE_1)
	s_or_b32 exec_lo, exec_lo, s14
.LBB2_1787:                             ;   in Loop: Header=BB2_1599 Depth=3
	s_delay_alu instid0(SALU_CYCLE_1) | instskip(NEXT) | instid1(VALU_DEP_1)
	s_or_b32 exec_lo, exec_lo, s13
	v_dual_mul_f32 v118, s74, v119 :: v_dual_mov_b32 v19, v3
                                        ; implicit-def: $vgpr58
	s_mov_b32 s13, exec_lo
	s_delay_alu instid0(VALU_DEP_1) | instskip(SKIP_1) | instid1(VALU_DEP_2)
	v_and_b32_e32 v18, 0x7f800000, v118
	v_and_b32_e32 v2, 0x7fffff, v118
	v_cmpx_ne_u64_e32 0x7f800000, v[18:19]
	s_xor_b32 s14, exec_lo, s13
	s_cbranch_execz .LBB2_1805
; %bb.1788:                             ;   in Loop: Header=BB2_1599 Depth=3
	v_dual_mov_b32 v19, v3 :: v_dual_lshrrev_b32 v119, 24, v118
	v_and_b32_e32 v18, 0x7fffffff, v118
                                        ; implicit-def: $vgpr58
	s_mov_b32 s13, exec_lo
	s_delay_alu instid0(VALU_DEP_2) | instskip(NEXT) | instid1(VALU_DEP_2)
	v_and_b32_e32 v59, 0x80, v119
	v_cmpx_gt_u64_e32 0x47600001, v[18:19]
	s_xor_b32 s15, exec_lo, s13
	s_cbranch_execz .LBB2_1802
; %bb.1789:                             ;   in Loop: Header=BB2_1599 Depth=3
	v_mov_b32_e32 v58, 0
	s_mov_b32 s75, exec_lo
	v_cmpx_ne_u32_e32 0, v118
	s_cbranch_execz .LBB2_1801
; %bb.1790:                             ;   in Loop: Header=BB2_1599 Depth=3
	v_bfe_u32 v58, v118, 23, 8
	v_or_b32_e32 v118, 0x800000, v2
	s_delay_alu instid0(VALU_DEP_2) | instskip(SKIP_1) | instid1(VALU_DEP_2)
	v_dual_mov_b32 v119, v3 :: v_dual_sub_nc_u32 v18, 0x71, v58
	v_cmp_gt_u32_e32 vcc_lo, 0x72, v58
	v_cndmask_b32_e32 v18, 0, v18, vcc_lo
	v_cmp_eq_u32_e32 vcc_lo, 0, v58
	s_delay_alu instid0(VALU_DEP_2) | instskip(NEXT) | instid1(VALU_DEP_1)
	v_cndmask_b32_e64 v60, v18, 0x70, vcc_lo
	v_dual_cndmask_b32 v118, v118, v2, vcc_lo :: v_dual_add_nc_u32 v18, 21, v60
	v_add_nc_u32_e32 v40, 20, v60
	s_delay_alu instid0(VALU_DEP_2) | instskip(NEXT) | instid1(VALU_DEP_2)
	v_lshlrev_b64_e64 v[18:19], v18, -1
	v_lshlrev_b64_e64 v[40:41], v40, 1
	s_delay_alu instid0(VALU_DEP_2) | instskip(SKIP_1) | instid1(VALU_DEP_4)
	v_bfi_b32 v18, v18, 0, v118
	v_lshrrev_b64 v[118:119], v60, v[118:119]
	v_bfi_b32 v19, v19, 0, 0
	s_delay_alu instid0(VALU_DEP_1) | instskip(NEXT) | instid1(VALU_DEP_3)
	v_cmp_eq_u64_e64 s13, v[18:19], v[40:41]
	v_mov_b64_e32 v[40:41], v[118:119]
	s_and_saveexec_b32 s76, s13
; %bb.1791:                             ;   in Loop: Header=BB2_1599 Depth=3
	v_bfe_u32 v18, v118, 21, 1
	v_mov_b32_e32 v19, v3
	s_delay_alu instid0(VALU_DEP_1) | instskip(NEXT) | instid1(VALU_DEP_1)
	v_add_nc_u64_e32 v[18:19], v[118:119], v[18:19]
	v_add_nc_u64_e32 v[40:41], -1, v[18:19]
; %bb.1792:                             ;   in Loop: Header=BB2_1599 Depth=3
	s_or_b32 exec_lo, exec_lo, s76
	v_add_nc_u32_e32 v2, 0xffffff81, v58
	v_lshrrev_b32_e32 v18, 23, v118
	s_mov_b32 s13, exec_lo
	s_delay_alu instid0(VALU_DEP_2) | instskip(NEXT) | instid1(VALU_DEP_1)
	v_cndmask_b32_e64 v2, v2, 0xffffff82, vcc_lo
	v_add3_u32 v41, v60, v2, v18
	v_and_b32_e32 v2, 0x1fffff, v40
                                        ; implicit-def: $vgpr40
	s_delay_alu instid0(VALU_DEP_1) | instskip(NEXT) | instid1(VALU_DEP_1)
	v_dual_add_nc_u32 v58, 14, v41 :: v_dual_add_nc_u32 v2, v2, v118
                                        ; implicit-def: $vgpr118_vgpr119
	v_cmpx_ne_u32_e32 0, v58
	s_xor_b32 s13, exec_lo, s13
; %bb.1793:                             ;   in Loop: Header=BB2_1599 Depth=3
	s_delay_alu instid0(VALU_DEP_2) | instskip(SKIP_1) | instid1(VALU_DEP_1)
	v_cmp_lt_u64_e32 vcc_lo, 0xffffff, v[2:3]
	v_add_nc_u32_e32 v18, 15, v41
	v_cndmask_b32_e32 v40, v58, v18, vcc_lo
	v_cndmask_b32_e64 v18, 0, 1, vcc_lo
	s_delay_alu instid0(VALU_DEP_1)
	v_lshrrev_b64 v[118:119], v18, v[2:3]
; %bb.1794:                             ;   in Loop: Header=BB2_1599 Depth=3
	s_and_not1_saveexec_b32 s13, s13
; %bb.1795:                             ;   in Loop: Header=BB2_1599 Depth=3
	v_mov_b64_e32 v[118:119], v[2:3]
	v_bfe_u32 v40, v2, 23, 1
; %bb.1796:                             ;   in Loop: Header=BB2_1599 Depth=3
	s_or_b32 exec_lo, exec_lo, s13
	s_delay_alu instid0(VALU_DEP_2) | instskip(NEXT) | instid1(VALU_DEP_2)
	v_lshrrev_b64 v[18:19], 21, v[118:119]
	v_cmp_gt_i32_e32 vcc_lo, 32, v40
	v_cmp_ne_u32_e64 s13, 0, v40
                                        ; implicit-def: $vgpr58
	s_delay_alu instid0(VALU_DEP_3) | instskip(NEXT) | instid1(VALU_DEP_1)
	v_dual_cndmask_b32 v119, 0, v19 :: v_dual_cndmask_b32 v118, 3, v18
	v_cmp_ne_u64_e32 vcc_lo, 0, v[118:119]
	s_or_b32 s13, s13, vcc_lo
	s_delay_alu instid0(SALU_CYCLE_1) | instskip(NEXT) | instid1(SALU_CYCLE_1)
	s_and_saveexec_b32 s76, s13
	s_xor_b32 s13, exec_lo, s76
; %bb.1797:                             ;   in Loop: Header=BB2_1599 Depth=3
	v_min_i32_e32 v2, 31, v40
	s_delay_alu instid0(VALU_DEP_1) | instskip(NEXT) | instid1(VALU_DEP_1)
	v_lshl_or_b32 v2, v2, 2, v59
                                        ; implicit-def: $vgpr59
	v_and_or_b32 v58, v118, 3, v2
; %bb.1798:                             ;   in Loop: Header=BB2_1599 Depth=3
	s_and_not1_saveexec_b32 s13, s13
; %bb.1799:                             ;   in Loop: Header=BB2_1599 Depth=3
	v_mov_b32_e32 v58, v59
; %bb.1800:                             ;   in Loop: Header=BB2_1599 Depth=3
	s_or_b32 exec_lo, exec_lo, s13
.LBB2_1801:                             ;   in Loop: Header=BB2_1599 Depth=3
	s_delay_alu instid0(SALU_CYCLE_1)
	s_or_b32 exec_lo, exec_lo, s75
                                        ; implicit-def: $vgpr59
.LBB2_1802:                             ;   in Loop: Header=BB2_1599 Depth=3
	s_and_not1_saveexec_b32 s13, s15
; %bb.1803:                             ;   in Loop: Header=BB2_1599 Depth=3
	v_or_b32_e32 v58, 0x7b, v59
; %bb.1804:                             ;   in Loop: Header=BB2_1599 Depth=3
	s_or_b32 exec_lo, exec_lo, s13
                                        ; implicit-def: $vgpr118
.LBB2_1805:                             ;   in Loop: Header=BB2_1599 Depth=3
	s_and_not1_saveexec_b32 s13, s14
	s_cbranch_execz .LBB2_1811
; %bb.1806:                             ;   in Loop: Header=BB2_1599 Depth=3
	s_mov_b32 s14, exec_lo
                                        ; implicit-def: $vgpr58
	v_cmpx_ne_u64_e32 0, v[2:3]
	s_xor_b32 s14, exec_lo, s14
; %bb.1807:                             ;   in Loop: Header=BB2_1599 Depth=3
	v_lshrrev_b32_e32 v2, 24, v118
                                        ; implicit-def: $vgpr118
	s_delay_alu instid0(VALU_DEP_1)
	v_or_b32_e32 v58, 0x7f, v2
; %bb.1808:                             ;   in Loop: Header=BB2_1599 Depth=3
	s_and_not1_saveexec_b32 s14, s14
; %bb.1809:                             ;   in Loop: Header=BB2_1599 Depth=3
	v_cmp_lt_i32_e32 vcc_lo, -1, v118
	v_cndmask_b32_e64 v58, -4, 0x7c, vcc_lo
; %bb.1810:                             ;   in Loop: Header=BB2_1599 Depth=3
	s_or_b32 exec_lo, exec_lo, s14
.LBB2_1811:                             ;   in Loop: Header=BB2_1599 Depth=3
	s_delay_alu instid0(SALU_CYCLE_1)
	s_or_b32 exec_lo, exec_lo, s13
	flat_load_i8 v118, v[10:11] offset:192 th:TH_LOAD_NT
	v_mov_b32_e32 v119, 0
	s_mov_b32 s13, exec_lo
	s_wait_loadcnt_dscnt 0x0
	v_cmpx_ne_u16_e32 0, v118
	s_cbranch_execz .LBB2_1821
; %bb.1812:                             ;   in Loop: Header=BB2_1599 Depth=3
	v_bfrev_b32_e32 v119, 1
	s_mov_b32 s14, exec_lo
	v_cmpx_ne_u16_e32 0xff80, v118
	s_cbranch_execz .LBB2_1820
; %bb.1813:                             ;   in Loop: Header=BB2_1599 Depth=3
	v_and_b32_e32 v18, 0x7c, v118
	v_and_b32_e32 v2, 3, v118
	s_mov_b32 s15, exec_lo
                                        ; implicit-def: $vgpr119
	s_delay_alu instid0(VALU_DEP_2)
	v_cmpx_ne_u32_e32 0x7c, v18
	s_xor_b32 s15, exec_lo, s15
	s_cbranch_execz .LBB2_1817
; %bb.1814:                             ;   in Loop: Header=BB2_1599 Depth=3
	v_and_b32_e32 v18, 0xff, v118
	s_mov_b32 s75, exec_lo
	s_delay_alu instid0(VALU_DEP_1) | instskip(NEXT) | instid1(VALU_DEP_1)
	v_bfe_u32 v119, v18, 2, 5
	v_cmpx_eq_u32_e32 0, v119
	s_cbranch_execz .LBB2_1816
; %bb.1815:                             ;   in Loop: Header=BB2_1599 Depth=3
	v_clz_i32_u32_e32 v2, v2
	v_mov_b32_e32 v119, v3
	s_delay_alu instid0(VALU_DEP_2) | instskip(NEXT) | instid1(VALU_DEP_1)
	v_min_u32_e32 v2, 32, v2
	v_subrev_nc_u32_e32 v18, 29, v2
	s_delay_alu instid0(VALU_DEP_1) | instskip(SKIP_1) | instid1(VALU_DEP_2)
	v_lshlrev_b64_e32 v[18:19], v18, v[118:119]
	v_sub_nc_u32_e32 v119, 30, v2
	v_and_b32_e32 v2, 3, v18
.LBB2_1816:                             ;   in Loop: Header=BB2_1599 Depth=3
	s_or_b32 exec_lo, exec_lo, s75
	v_bfe_i32 v18, v118, 0, 16
                                        ; implicit-def: $vgpr118
	s_delay_alu instid0(VALU_DEP_1) | instskip(NEXT) | instid1(VALU_DEP_1)
	v_and_b32_e32 v18, 0x80000000, v18
	v_lshl_add_u32 v18, v119, 23, v18
	s_delay_alu instid0(VALU_DEP_1) | instskip(NEXT) | instid1(VALU_DEP_1)
	v_lshl_or_b32 v2, v2, 21, v18
	v_add_nc_u32_e32 v119, 0x38000000, v2
                                        ; implicit-def: $vgpr2
.LBB2_1817:                             ;   in Loop: Header=BB2_1599 Depth=3
	s_and_not1_saveexec_b32 s15, s15
; %bb.1818:                             ;   in Loop: Header=BB2_1599 Depth=3
	v_cmp_lt_i16_e32 vcc_lo, -1, v118
	v_cndmask_b32_e32 v18, 0xff800000, v111, vcc_lo
	v_cmp_eq_u32_e32 vcc_lo, 0, v2
	s_delay_alu instid0(VALU_DEP_2)
	v_cndmask_b32_e32 v119, 0x7f800001, v18, vcc_lo
; %bb.1819:                             ;   in Loop: Header=BB2_1599 Depth=3
	s_or_b32 exec_lo, exec_lo, s15
.LBB2_1820:                             ;   in Loop: Header=BB2_1599 Depth=3
	s_delay_alu instid0(SALU_CYCLE_1)
	s_or_b32 exec_lo, exec_lo, s14
.LBB2_1821:                             ;   in Loop: Header=BB2_1599 Depth=3
	s_delay_alu instid0(SALU_CYCLE_1) | instskip(NEXT) | instid1(VALU_DEP_1)
	s_or_b32 exec_lo, exec_lo, s13
	v_dual_mul_f32 v118, s74, v119 :: v_dual_mov_b32 v19, v3
                                        ; implicit-def: $vgpr40
	s_mov_b32 s13, exec_lo
	s_delay_alu instid0(VALU_DEP_1) | instskip(SKIP_1) | instid1(VALU_DEP_2)
	v_and_b32_e32 v18, 0x7f800000, v118
	v_and_b32_e32 v2, 0x7fffff, v118
	v_cmpx_ne_u64_e32 0x7f800000, v[18:19]
	s_xor_b32 s14, exec_lo, s13
	s_cbranch_execz .LBB2_1839
; %bb.1822:                             ;   in Loop: Header=BB2_1599 Depth=3
	v_dual_mov_b32 v19, v3 :: v_dual_lshrrev_b32 v119, 24, v118
	v_and_b32_e32 v18, 0x7fffffff, v118
                                        ; implicit-def: $vgpr40
	s_mov_b32 s13, exec_lo
	s_delay_alu instid0(VALU_DEP_2) | instskip(NEXT) | instid1(VALU_DEP_2)
	v_and_b32_e32 v59, 0x80, v119
	v_cmpx_gt_u64_e32 0x47600001, v[18:19]
	s_xor_b32 s15, exec_lo, s13
	s_cbranch_execz .LBB2_1836
; %bb.1823:                             ;   in Loop: Header=BB2_1599 Depth=3
	v_mov_b32_e32 v40, 0
	s_mov_b32 s75, exec_lo
	v_cmpx_ne_u32_e32 0, v118
	s_cbranch_execz .LBB2_1835
; %bb.1824:                             ;   in Loop: Header=BB2_1599 Depth=3
	v_bfe_u32 v60, v118, 23, 8
	v_or_b32_e32 v118, 0x800000, v2
	s_delay_alu instid0(VALU_DEP_2) | instskip(SKIP_1) | instid1(VALU_DEP_2)
	v_dual_mov_b32 v119, v3 :: v_dual_sub_nc_u32 v18, 0x71, v60
	v_cmp_gt_u32_e32 vcc_lo, 0x72, v60
	v_cndmask_b32_e32 v18, 0, v18, vcc_lo
	v_cmp_eq_u32_e32 vcc_lo, 0, v60
	s_delay_alu instid0(VALU_DEP_2) | instskip(NEXT) | instid1(VALU_DEP_1)
	v_cndmask_b32_e64 v61, v18, 0x70, vcc_lo
	v_dual_cndmask_b32 v118, v118, v2, vcc_lo :: v_dual_add_nc_u32 v18, 21, v61
	v_add_nc_u32_e32 v40, 20, v61
	s_delay_alu instid0(VALU_DEP_2) | instskip(NEXT) | instid1(VALU_DEP_2)
	v_lshlrev_b64_e64 v[18:19], v18, -1
	v_lshlrev_b64_e64 v[40:41], v40, 1
	s_delay_alu instid0(VALU_DEP_2) | instskip(SKIP_1) | instid1(VALU_DEP_4)
	v_bfi_b32 v18, v18, 0, v118
	v_lshrrev_b64 v[118:119], v61, v[118:119]
	v_bfi_b32 v19, v19, 0, 0
	s_delay_alu instid0(VALU_DEP_1) | instskip(NEXT) | instid1(VALU_DEP_3)
	v_cmp_eq_u64_e64 s13, v[18:19], v[40:41]
	v_mov_b64_e32 v[40:41], v[118:119]
	s_and_saveexec_b32 s76, s13
; %bb.1825:                             ;   in Loop: Header=BB2_1599 Depth=3
	v_bfe_u32 v18, v118, 21, 1
	v_mov_b32_e32 v19, v3
	s_delay_alu instid0(VALU_DEP_1) | instskip(NEXT) | instid1(VALU_DEP_1)
	v_add_nc_u64_e32 v[18:19], v[118:119], v[18:19]
	v_add_nc_u64_e32 v[40:41], -1, v[18:19]
; %bb.1826:                             ;   in Loop: Header=BB2_1599 Depth=3
	s_or_b32 exec_lo, exec_lo, s76
	v_add_nc_u32_e32 v2, 0xffffff81, v60
	v_lshrrev_b32_e32 v18, 23, v118
	s_mov_b32 s13, exec_lo
                                        ; implicit-def: $vgpr41
	s_delay_alu instid0(VALU_DEP_2) | instskip(NEXT) | instid1(VALU_DEP_1)
	v_cndmask_b32_e64 v2, v2, 0xffffff82, vcc_lo
	v_add3_u32 v60, v61, v2, v18
	v_and_b32_e32 v2, 0x1fffff, v40
	s_delay_alu instid0(VALU_DEP_1) | instskip(NEXT) | instid1(VALU_DEP_1)
	v_dual_add_nc_u32 v40, 14, v60 :: v_dual_add_nc_u32 v2, v2, v118
                                        ; implicit-def: $vgpr118_vgpr119
	v_cmpx_ne_u32_e32 0, v40
	s_xor_b32 s13, exec_lo, s13
; %bb.1827:                             ;   in Loop: Header=BB2_1599 Depth=3
	s_delay_alu instid0(VALU_DEP_2) | instskip(SKIP_1) | instid1(VALU_DEP_1)
	v_cmp_lt_u64_e32 vcc_lo, 0xffffff, v[2:3]
	v_add_nc_u32_e32 v18, 15, v60
	v_cndmask_b32_e32 v41, v40, v18, vcc_lo
	v_cndmask_b32_e64 v18, 0, 1, vcc_lo
	s_delay_alu instid0(VALU_DEP_1)
	v_lshrrev_b64 v[118:119], v18, v[2:3]
; %bb.1828:                             ;   in Loop: Header=BB2_1599 Depth=3
	s_and_not1_saveexec_b32 s13, s13
; %bb.1829:                             ;   in Loop: Header=BB2_1599 Depth=3
	v_mov_b64_e32 v[118:119], v[2:3]
	v_bfe_u32 v41, v2, 23, 1
; %bb.1830:                             ;   in Loop: Header=BB2_1599 Depth=3
	s_or_b32 exec_lo, exec_lo, s13
	s_delay_alu instid0(VALU_DEP_2) | instskip(NEXT) | instid1(VALU_DEP_2)
	v_lshrrev_b64 v[18:19], 21, v[118:119]
	v_cmp_gt_i32_e32 vcc_lo, 32, v41
	v_cmp_ne_u32_e64 s13, 0, v41
                                        ; implicit-def: $vgpr40
	s_delay_alu instid0(VALU_DEP_3) | instskip(NEXT) | instid1(VALU_DEP_1)
	v_dual_cndmask_b32 v119, 0, v19 :: v_dual_cndmask_b32 v118, 3, v18
	v_cmp_ne_u64_e32 vcc_lo, 0, v[118:119]
	s_or_b32 s13, s13, vcc_lo
	s_delay_alu instid0(SALU_CYCLE_1) | instskip(NEXT) | instid1(SALU_CYCLE_1)
	s_and_saveexec_b32 s76, s13
	s_xor_b32 s13, exec_lo, s76
; %bb.1831:                             ;   in Loop: Header=BB2_1599 Depth=3
	v_min_i32_e32 v2, 31, v41
	s_delay_alu instid0(VALU_DEP_1) | instskip(NEXT) | instid1(VALU_DEP_1)
	v_lshl_or_b32 v2, v2, 2, v59
                                        ; implicit-def: $vgpr59
	v_and_or_b32 v40, v118, 3, v2
; %bb.1832:                             ;   in Loop: Header=BB2_1599 Depth=3
	s_and_not1_saveexec_b32 s13, s13
; %bb.1833:                             ;   in Loop: Header=BB2_1599 Depth=3
	v_mov_b32_e32 v40, v59
; %bb.1834:                             ;   in Loop: Header=BB2_1599 Depth=3
	s_or_b32 exec_lo, exec_lo, s13
.LBB2_1835:                             ;   in Loop: Header=BB2_1599 Depth=3
	s_delay_alu instid0(SALU_CYCLE_1)
	s_or_b32 exec_lo, exec_lo, s75
                                        ; implicit-def: $vgpr59
.LBB2_1836:                             ;   in Loop: Header=BB2_1599 Depth=3
	s_and_not1_saveexec_b32 s13, s15
; %bb.1837:                             ;   in Loop: Header=BB2_1599 Depth=3
	v_or_b32_e32 v40, 0x7b, v59
; %bb.1838:                             ;   in Loop: Header=BB2_1599 Depth=3
	s_or_b32 exec_lo, exec_lo, s13
                                        ; implicit-def: $vgpr118
.LBB2_1839:                             ;   in Loop: Header=BB2_1599 Depth=3
	s_and_not1_saveexec_b32 s13, s14
	s_cbranch_execz .LBB2_1845
; %bb.1840:                             ;   in Loop: Header=BB2_1599 Depth=3
	s_mov_b32 s14, exec_lo
                                        ; implicit-def: $vgpr40
	v_cmpx_ne_u64_e32 0, v[2:3]
	s_xor_b32 s14, exec_lo, s14
; %bb.1841:                             ;   in Loop: Header=BB2_1599 Depth=3
	v_lshrrev_b32_e32 v2, 24, v118
                                        ; implicit-def: $vgpr118
	s_delay_alu instid0(VALU_DEP_1)
	v_or_b32_e32 v40, 0x7f, v2
; %bb.1842:                             ;   in Loop: Header=BB2_1599 Depth=3
	s_and_not1_saveexec_b32 s14, s14
; %bb.1843:                             ;   in Loop: Header=BB2_1599 Depth=3
	v_cmp_lt_i32_e32 vcc_lo, -1, v118
	v_cndmask_b32_e64 v40, -4, 0x7c, vcc_lo
; %bb.1844:                             ;   in Loop: Header=BB2_1599 Depth=3
	s_or_b32 exec_lo, exec_lo, s14
.LBB2_1845:                             ;   in Loop: Header=BB2_1599 Depth=3
	s_delay_alu instid0(SALU_CYCLE_1)
	s_or_b32 exec_lo, exec_lo, s13
	flat_load_i8 v10, v[10:11] offset:224 th:TH_LOAD_NT
	s_wait_xcnt 0x0
	v_mov_b32_e32 v11, 0
	s_mov_b32 s13, exec_lo
	s_wait_loadcnt_dscnt 0x0
	v_cmpx_ne_u16_e32 0, v10
	s_cbranch_execz .LBB2_1855
; %bb.1846:                             ;   in Loop: Header=BB2_1599 Depth=3
	v_bfrev_b32_e32 v11, 1
	s_mov_b32 s14, exec_lo
	v_cmpx_ne_u16_e32 0xff80, v10
	s_cbranch_execz .LBB2_1854
; %bb.1847:                             ;   in Loop: Header=BB2_1599 Depth=3
	v_and_b32_e32 v11, 0x7c, v10
	v_and_b32_e32 v2, 3, v10
	s_delay_alu instid0(VALU_DEP_2) | instskip(SKIP_1) | instid1(SALU_CYCLE_1)
	v_cmp_ne_u32_e32 vcc_lo, 0x7c, v11
                                        ; implicit-def: $vgpr11
	s_and_saveexec_b32 s15, vcc_lo
	s_xor_b32 s15, exec_lo, s15
	s_cbranch_execz .LBB2_1851
; %bb.1848:                             ;   in Loop: Header=BB2_1599 Depth=3
	v_and_b32_e32 v11, 0xff, v10
	s_mov_b32 s75, exec_lo
	s_delay_alu instid0(VALU_DEP_1) | instskip(NEXT) | instid1(VALU_DEP_1)
	v_bfe_u32 v11, v11, 2, 5
	v_cmpx_eq_u32_e32 0, v11
	s_cbranch_execz .LBB2_1850
; %bb.1849:                             ;   in Loop: Header=BB2_1599 Depth=3
	v_clz_i32_u32_e32 v2, v2
	v_mov_b32_e32 v11, v3
	s_delay_alu instid0(VALU_DEP_2) | instskip(NEXT) | instid1(VALU_DEP_1)
	v_min_u32_e32 v2, 32, v2
	v_subrev_nc_u32_e32 v18, 29, v2
	s_delay_alu instid0(VALU_DEP_1) | instskip(SKIP_1) | instid1(VALU_DEP_2)
	v_lshlrev_b64_e32 v[18:19], v18, v[10:11]
	v_sub_nc_u32_e32 v11, 30, v2
	v_and_b32_e32 v2, 3, v18
.LBB2_1850:                             ;   in Loop: Header=BB2_1599 Depth=3
	s_or_b32 exec_lo, exec_lo, s75
	v_bfe_i32 v10, v10, 0, 16
	s_delay_alu instid0(VALU_DEP_1) | instskip(NEXT) | instid1(VALU_DEP_1)
	v_and_b32_e32 v10, 0x80000000, v10
	v_lshl_add_u32 v10, v11, 23, v10
	s_delay_alu instid0(VALU_DEP_1) | instskip(NEXT) | instid1(VALU_DEP_1)
	v_lshl_or_b32 v2, v2, 21, v10
                                        ; implicit-def: $vgpr10
	v_add_nc_u32_e32 v11, 0x38000000, v2
                                        ; implicit-def: $vgpr2
.LBB2_1851:                             ;   in Loop: Header=BB2_1599 Depth=3
	s_and_not1_saveexec_b32 s15, s15
; %bb.1852:                             ;   in Loop: Header=BB2_1599 Depth=3
	v_cmp_lt_i16_e32 vcc_lo, -1, v10
	v_cndmask_b32_e32 v10, 0xff800000, v111, vcc_lo
	v_cmp_eq_u32_e32 vcc_lo, 0, v2
	s_delay_alu instid0(VALU_DEP_2)
	v_cndmask_b32_e32 v11, 0x7f800001, v10, vcc_lo
; %bb.1853:                             ;   in Loop: Header=BB2_1599 Depth=3
	s_or_b32 exec_lo, exec_lo, s15
.LBB2_1854:                             ;   in Loop: Header=BB2_1599 Depth=3
	s_delay_alu instid0(SALU_CYCLE_1)
	s_or_b32 exec_lo, exec_lo, s14
.LBB2_1855:                             ;   in Loop: Header=BB2_1599 Depth=3
	s_delay_alu instid0(SALU_CYCLE_1) | instskip(NEXT) | instid1(VALU_DEP_1)
	s_or_b32 exec_lo, exec_lo, s13
	v_dual_mul_f32 v10, s74, v11 :: v_dual_mov_b32 v19, v3
                                        ; implicit-def: $vgpr11
	s_mov_b32 s13, exec_lo
	s_delay_alu instid0(VALU_DEP_1) | instskip(SKIP_1) | instid1(VALU_DEP_2)
	v_and_b32_e32 v18, 0x7f800000, v10
	v_and_b32_e32 v2, 0x7fffff, v10
	v_cmpx_ne_u64_e32 0x7f800000, v[18:19]
	s_xor_b32 s14, exec_lo, s13
	s_cbranch_execz .LBB2_1873
; %bb.1856:                             ;   in Loop: Header=BB2_1599 Depth=3
	v_dual_mov_b32 v19, v3 :: v_dual_lshrrev_b32 v11, 24, v10
	v_and_b32_e32 v18, 0x7fffffff, v10
	s_mov_b32 s13, exec_lo
	s_delay_alu instid0(VALU_DEP_2) | instskip(NEXT) | instid1(VALU_DEP_2)
	v_and_b32_e32 v41, 0x80, v11
                                        ; implicit-def: $vgpr11
	v_cmpx_gt_u64_e32 0x47600001, v[18:19]
	s_xor_b32 s15, exec_lo, s13
	s_cbranch_execz .LBB2_1870
; %bb.1857:                             ;   in Loop: Header=BB2_1599 Depth=3
	v_mov_b32_e32 v11, 0
	s_mov_b32 s74, exec_lo
	v_cmpx_ne_u32_e32 0, v10
	s_cbranch_execz .LBB2_1869
; %bb.1858:                             ;   in Loop: Header=BB2_1599 Depth=3
	v_bfe_u32 v59, v10, 23, 8
	v_or_b32_e32 v18, 0x800000, v2
	s_delay_alu instid0(VALU_DEP_2) | instskip(SKIP_1) | instid1(VALU_DEP_2)
	v_dual_mov_b32 v19, v3 :: v_dual_sub_nc_u32 v10, 0x71, v59
	v_cmp_gt_u32_e32 vcc_lo, 0x72, v59
	v_cndmask_b32_e32 v10, 0, v10, vcc_lo
	v_cmp_eq_u32_e32 vcc_lo, 0, v59
	s_delay_alu instid0(VALU_DEP_2) | instskip(NEXT) | instid1(VALU_DEP_1)
	v_cndmask_b32_e64 v60, v10, 0x70, vcc_lo
	v_dual_cndmask_b32 v18, v18, v2, vcc_lo :: v_dual_add_nc_u32 v10, 21, v60
	v_add_nc_u32_e32 v118, 20, v60
	s_delay_alu instid0(VALU_DEP_2) | instskip(NEXT) | instid1(VALU_DEP_2)
	v_lshlrev_b64_e64 v[10:11], v10, -1
	v_lshlrev_b64_e64 v[118:119], v118, 1
	s_delay_alu instid0(VALU_DEP_2) | instskip(NEXT) | instid1(VALU_DEP_3)
	v_bfi_b32 v63, v11, 0, 0
	v_bfi_b32 v62, v10, 0, v18
	v_lshrrev_b64 v[10:11], v60, v[18:19]
	s_delay_alu instid0(VALU_DEP_2) | instskip(NEXT) | instid1(VALU_DEP_2)
	v_cmp_eq_u64_e64 s13, v[62:63], v[118:119]
	v_mov_b64_e32 v[118:119], v[10:11]
	s_and_saveexec_b32 s75, s13
; %bb.1859:                             ;   in Loop: Header=BB2_1599 Depth=3
	v_bfe_u32 v18, v10, 21, 1
	v_mov_b32_e32 v19, v3
	s_delay_alu instid0(VALU_DEP_1) | instskip(NEXT) | instid1(VALU_DEP_1)
	v_add_nc_u64_e32 v[18:19], v[10:11], v[18:19]
	v_add_nc_u64_e32 v[118:119], -1, v[18:19]
; %bb.1860:                             ;   in Loop: Header=BB2_1599 Depth=3
	s_or_b32 exec_lo, exec_lo, s75
	v_add_nc_u32_e32 v2, 0xffffff81, v59
	v_lshrrev_b32_e32 v11, 23, v10
	s_mov_b32 s13, exec_lo
	s_delay_alu instid0(VALU_DEP_2) | instskip(NEXT) | instid1(VALU_DEP_1)
	v_cndmask_b32_e64 v2, v2, 0xffffff82, vcc_lo
	v_add3_u32 v119, v60, v2, v11
	v_and_b32_e32 v2, 0x1fffff, v118
                                        ; implicit-def: $vgpr118
	s_delay_alu instid0(VALU_DEP_1) | instskip(NEXT) | instid1(VALU_DEP_1)
	v_dual_add_nc_u32 v59, 14, v119 :: v_dual_add_nc_u32 v2, v2, v10
                                        ; implicit-def: $vgpr10_vgpr11
	v_cmpx_ne_u32_e32 0, v59
	s_xor_b32 s13, exec_lo, s13
; %bb.1861:                             ;   in Loop: Header=BB2_1599 Depth=3
	s_delay_alu instid0(VALU_DEP_2) | instskip(SKIP_1) | instid1(VALU_DEP_1)
	v_cmp_lt_u64_e32 vcc_lo, 0xffffff, v[2:3]
	v_add_nc_u32_e32 v10, 15, v119
	v_cndmask_b32_e32 v118, v59, v10, vcc_lo
	v_cndmask_b32_e64 v10, 0, 1, vcc_lo
	s_delay_alu instid0(VALU_DEP_1)
	v_lshrrev_b64 v[10:11], v10, v[2:3]
; %bb.1862:                             ;   in Loop: Header=BB2_1599 Depth=3
	s_and_not1_saveexec_b32 s13, s13
; %bb.1863:                             ;   in Loop: Header=BB2_1599 Depth=3
	v_mov_b64_e32 v[10:11], v[2:3]
	v_bfe_u32 v118, v2, 23, 1
; %bb.1864:                             ;   in Loop: Header=BB2_1599 Depth=3
	s_or_b32 exec_lo, exec_lo, s13
	s_delay_alu instid0(VALU_DEP_2) | instskip(NEXT) | instid1(VALU_DEP_2)
	v_lshrrev_b64 v[10:11], 21, v[10:11]
	v_cmp_gt_i32_e32 vcc_lo, 32, v118
	v_cmp_ne_u32_e64 s13, 0, v118
	s_delay_alu instid0(VALU_DEP_3) | instskip(NEXT) | instid1(VALU_DEP_1)
	v_dual_cndmask_b32 v11, 0, v11 :: v_dual_cndmask_b32 v10, 3, v10
	v_cmp_ne_u64_e32 vcc_lo, 0, v[10:11]
                                        ; implicit-def: $vgpr11
	s_or_b32 s13, s13, vcc_lo
	s_delay_alu instid0(SALU_CYCLE_1) | instskip(NEXT) | instid1(SALU_CYCLE_1)
	s_and_saveexec_b32 s75, s13
	s_xor_b32 s13, exec_lo, s75
; %bb.1865:                             ;   in Loop: Header=BB2_1599 Depth=3
	v_min_i32_e32 v2, 31, v118
	s_delay_alu instid0(VALU_DEP_1) | instskip(NEXT) | instid1(VALU_DEP_1)
	v_lshl_or_b32 v2, v2, 2, v41
                                        ; implicit-def: $vgpr41
	v_and_or_b32 v11, v10, 3, v2
; %bb.1866:                             ;   in Loop: Header=BB2_1599 Depth=3
	s_and_not1_saveexec_b32 s13, s13
; %bb.1867:                             ;   in Loop: Header=BB2_1599 Depth=3
	v_mov_b32_e32 v11, v41
; %bb.1868:                             ;   in Loop: Header=BB2_1599 Depth=3
	s_or_b32 exec_lo, exec_lo, s13
.LBB2_1869:                             ;   in Loop: Header=BB2_1599 Depth=3
	s_delay_alu instid0(SALU_CYCLE_1)
	s_or_b32 exec_lo, exec_lo, s74
                                        ; implicit-def: $vgpr41
.LBB2_1870:                             ;   in Loop: Header=BB2_1599 Depth=3
	s_and_not1_saveexec_b32 s13, s15
; %bb.1871:                             ;   in Loop: Header=BB2_1599 Depth=3
	v_or_b32_e32 v11, 0x7b, v41
; %bb.1872:                             ;   in Loop: Header=BB2_1599 Depth=3
	s_or_b32 exec_lo, exec_lo, s13
                                        ; implicit-def: $vgpr10
.LBB2_1873:                             ;   in Loop: Header=BB2_1599 Depth=3
	s_and_not1_saveexec_b32 s13, s14
	s_cbranch_execz .LBB2_1598
; %bb.1874:                             ;   in Loop: Header=BB2_1599 Depth=3
	s_mov_b32 s14, exec_lo
                                        ; implicit-def: $vgpr11
	v_cmpx_ne_u64_e32 0, v[2:3]
	s_xor_b32 s14, exec_lo, s14
; %bb.1875:                             ;   in Loop: Header=BB2_1599 Depth=3
	v_lshrrev_b32_e32 v2, 24, v10
                                        ; implicit-def: $vgpr10
	s_delay_alu instid0(VALU_DEP_1)
	v_or_b32_e32 v11, 0x7f, v2
; %bb.1876:                             ;   in Loop: Header=BB2_1599 Depth=3
	s_and_not1_saveexec_b32 s14, s14
	s_cbranch_execz .LBB2_1597
; %bb.1877:                             ;   in Loop: Header=BB2_1599 Depth=3
	v_cmp_lt_i32_e32 vcc_lo, -1, v10
	v_cndmask_b32_e64 v11, -4, 0x7c, vcc_lo
	s_branch .LBB2_1597
.LBB2_1878:                             ;   in Loop: Header=BB2_57 Depth=2
	s_or_b32 exec_lo, exec_lo, s73
.LBB2_1879:                             ;   in Loop: Header=BB2_57 Depth=2
	s_delay_alu instid0(SALU_CYCLE_1) | instskip(SKIP_1) | instid1(VALU_DEP_1)
	s_or_b32 exec_lo, exec_lo, s72
	v_lshlrev_b32_e32 v2, 8, v44
	v_cmp_ne_u32_e32 vcc_lo, v43, v2
	s_and_b32 exec_lo, exec_lo, vcc_lo
	s_cbranch_execz .LBB2_1925
; %bb.1880:                             ;   in Loop: Header=BB2_57 Depth=2
	v_dual_lshlrev_b32 v8, 5, v16 :: v_dual_lshlrev_b32 v9, 5, v103
	s_delay_alu instid0(VALU_DEP_1) | instskip(NEXT) | instid1(VALU_DEP_1)
	v_sub_nc_u32_e32 v8, v17, v8
	v_sub_nc_u32_e32 v8, v8, v9
	s_delay_alu instid0(VALU_DEP_1) | instskip(NEXT) | instid1(VALU_DEP_1)
	v_add_nc_u32_e32 v2, v2, v8
	v_sub_nc_u32_e32 v16, v43, v2
	s_delay_alu instid0(VALU_DEP_1)
	v_cmp_lt_i32_e32 vcc_lo, 0, v16
	s_and_b32 exec_lo, exec_lo, vcc_lo
	s_cbranch_execz .LBB2_1925
; %bb.1881:                             ;   in Loop: Header=BB2_57 Depth=2
	s_trap 2
	ds_load_b64 v[8:9], v0
	v_add_nc_u32_e32 v10, v2, v42
	s_mov_b32 s72, 0
	s_delay_alu instid0(VALU_DEP_1)
	v_ashrrev_i32_e32 v11, 31, v10
	s_branch .LBB2_1884
.LBB2_1882:                             ;   in Loop: Header=BB2_1884 Depth=3
	s_or_b32 exec_lo, exec_lo, s14
.LBB2_1883:                             ;   in Loop: Header=BB2_1884 Depth=3
	s_delay_alu instid0(SALU_CYCLE_1)
	s_or_b32 exec_lo, exec_lo, s13
	v_sub_nc_u32_e32 v16, v16, v34
	v_add_nc_u64_e32 v[10:11], v[10:11], v[34:35]
	flat_store_b8 v[114:115], v103 th:TH_STORE_NT
	v_cmp_gt_i32_e32 vcc_lo, 1, v16
	s_or_b32 s72, vcc_lo, s72
	s_wait_xcnt 0x0
	s_and_not1_b32 exec_lo, exec_lo, s72
	s_cbranch_execz .LBB2_1925
.LBB2_1884:                             ;   Parent Loop BB2_47 Depth=1
                                        ;     Parent Loop BB2_57 Depth=2
                                        ; =>    This Inner Loop Header: Depth=3
	s_trap 2
	ds_load_b64 v[18:19], v0
	s_mov_b32 s13, 0
	s_wait_dscnt 0x0
	v_and_b32_e32 v2, 0xff, v18
	v_readfirstlane_b32 s14, v18
	v_readfirstlane_b32 s15, v19
	s_delay_alu instid0(VALU_DEP_3)
	v_cmp_eq_u32_e32 vcc_lo, 0, v2
	s_cbranch_vccnz .LBB2_1892
; %bb.1885:                             ;   in Loop: Header=BB2_1884 Depth=3
	s_bfe_i32 s74, s14, 0x80000
	s_delay_alu instid0(SALU_CYCLE_1) | instskip(NEXT) | instid1(SALU_CYCLE_1)
	s_and_b32 s13, 0xffff, s74
	s_cmp_eq_u32 s13, 0xff80
	s_brev_b32 s13, 1
	s_cbranch_scc1 .LBB2_1892
; %bb.1886:                             ;   in Loop: Header=BB2_1884 Depth=3
	s_and_b32 s13, s14, 0x7c
	s_and_b32 s73, s14, 3
	s_mov_b32 s75, -1
	s_cmp_lg_u32 s13, 0x7c
	s_sext_i32_i16 s74, s74
                                        ; implicit-def: $sgpr13
	s_cbranch_scc0 .LBB2_1890
; %bb.1887:                             ;   in Loop: Header=BB2_1884 Depth=3
	s_bfe_u32 s13, s14, 0x50002
	s_mov_b32 s75, s73
	s_cmp_lg_u32 s13, 0
	s_cbranch_scc1 .LBB2_1889
; %bb.1888:                             ;   in Loop: Header=BB2_1884 Depth=3
	s_clz_i32_u32 s13, s73
	s_delay_alu instid0(SALU_CYCLE_1) | instskip(NEXT) | instid1(SALU_CYCLE_1)
	s_min_u32 s13, s13, 32
	s_sub_co_i32 s75, s13, 29
	s_sub_co_i32 s13, 30, s13
	s_lshl_b64 s[14:15], s[14:15], s75
	s_delay_alu instid0(SALU_CYCLE_1)
	s_and_b32 s75, s14, 3
.LBB2_1889:                             ;   in Loop: Header=BB2_1884 Depth=3
	s_and_b32 s14, s74, 0x80000000
	s_lshl_b32 s13, s13, 23
	s_lshl_b32 s15, s75, 21
	s_add_co_i32 s13, s13, s14
	s_mov_b32 s75, 0
	s_or_b32 s13, s13, s15
	s_delay_alu instid0(SALU_CYCLE_1)
	s_add_co_i32 s13, s13, 0x38000000
.LBB2_1890:                             ;   in Loop: Header=BB2_1884 Depth=3
	s_and_b32 vcc_lo, exec_lo, s75
	s_cbranch_vccz .LBB2_1892
; %bb.1891:                             ;   in Loop: Header=BB2_1884 Depth=3
	s_cmp_gt_i32 s74, -1
	s_cselect_b32 s13, s47, 0xff800000
	s_cmp_eq_u32 s73, 0
	s_cselect_b32 s13, s13, 0x7f800001
.LBB2_1892:                             ;   in Loop: Header=BB2_1884 Depth=3
	v_add_nc_u64_e32 v[114:115], v[8:9], v[10:11]
	v_mov_b32_e32 v17, 0
	s_mov_b32 s14, exec_lo
	flat_load_i8 v116, v[114:115] th:TH_LOAD_NT
	s_wait_loadcnt_dscnt 0x0
	v_cmpx_ne_u16_e32 0, v116
	s_cbranch_execz .LBB2_1902
; %bb.1893:                             ;   in Loop: Header=BB2_1884 Depth=3
	v_bfrev_b32_e32 v17, 1
	s_mov_b32 s15, exec_lo
	v_cmpx_ne_u16_e32 0xff80, v116
	s_cbranch_execz .LBB2_1901
; %bb.1894:                             ;   in Loop: Header=BB2_1884 Depth=3
	v_and_b32_e32 v17, 0x7c, v116
	v_and_b32_e32 v2, 3, v116
	s_delay_alu instid0(VALU_DEP_2) | instskip(SKIP_1) | instid1(SALU_CYCLE_1)
	v_cmp_ne_u32_e32 vcc_lo, 0x7c, v17
                                        ; implicit-def: $vgpr17
	s_and_saveexec_b32 s73, vcc_lo
	s_xor_b32 s73, exec_lo, s73
	s_cbranch_execz .LBB2_1898
; %bb.1895:                             ;   in Loop: Header=BB2_1884 Depth=3
	v_and_b32_e32 v17, 0xff, v116
	s_mov_b32 s74, exec_lo
	s_delay_alu instid0(VALU_DEP_1) | instskip(NEXT) | instid1(VALU_DEP_1)
	v_bfe_u32 v17, v17, 2, 5
	v_cmpx_eq_u32_e32 0, v17
	s_cbranch_execz .LBB2_1897
; %bb.1896:                             ;   in Loop: Header=BB2_1884 Depth=3
	v_clz_i32_u32_e32 v2, v2
	s_delay_alu instid0(VALU_DEP_1) | instskip(SKIP_1) | instid1(VALU_DEP_2)
	v_min_u32_e32 v2, 32, v2
	v_mov_b32_e32 v117, v3
	v_subrev_nc_u32_e32 v17, 29, v2
	s_delay_alu instid0(VALU_DEP_1) | instskip(SKIP_1) | instid1(VALU_DEP_2)
	v_lshlrev_b64_e32 v[18:19], v17, v[116:117]
	v_sub_nc_u32_e32 v17, 30, v2
	v_and_b32_e32 v2, 3, v18
.LBB2_1897:                             ;   in Loop: Header=BB2_1884 Depth=3
	s_or_b32 exec_lo, exec_lo, s74
	v_bfe_i32 v18, v116, 0, 16
                                        ; implicit-def: $vgpr116
	s_delay_alu instid0(VALU_DEP_1) | instskip(NEXT) | instid1(VALU_DEP_1)
	v_and_b32_e32 v18, 0x80000000, v18
	v_lshl_add_u32 v17, v17, 23, v18
	s_delay_alu instid0(VALU_DEP_1) | instskip(NEXT) | instid1(VALU_DEP_1)
	v_lshl_or_b32 v2, v2, 21, v17
	v_add_nc_u32_e32 v17, 0x38000000, v2
                                        ; implicit-def: $vgpr2
.LBB2_1898:                             ;   in Loop: Header=BB2_1884 Depth=3
	s_and_not1_saveexec_b32 s73, s73
; %bb.1899:                             ;   in Loop: Header=BB2_1884 Depth=3
	v_cmp_lt_i16_e32 vcc_lo, -1, v116
	v_cndmask_b32_e32 v17, 0xff800000, v111, vcc_lo
	v_cmp_eq_u32_e32 vcc_lo, 0, v2
	s_delay_alu instid0(VALU_DEP_2)
	v_cndmask_b32_e32 v17, 0x7f800001, v17, vcc_lo
; %bb.1900:                             ;   in Loop: Header=BB2_1884 Depth=3
	s_or_b32 exec_lo, exec_lo, s73
.LBB2_1901:                             ;   in Loop: Header=BB2_1884 Depth=3
	s_delay_alu instid0(SALU_CYCLE_1)
	s_or_b32 exec_lo, exec_lo, s15
.LBB2_1902:                             ;   in Loop: Header=BB2_1884 Depth=3
	s_delay_alu instid0(SALU_CYCLE_1) | instskip(NEXT) | instid1(VALU_DEP_1)
	s_or_b32 exec_lo, exec_lo, s14
	v_dual_mul_f32 v116, s13, v17 :: v_dual_mov_b32 v19, v3
                                        ; implicit-def: $vgpr103
	s_mov_b32 s13, exec_lo
	s_delay_alu instid0(VALU_DEP_1) | instskip(SKIP_1) | instid1(VALU_DEP_2)
	v_and_b32_e32 v18, 0x7f800000, v116
	v_and_b32_e32 v2, 0x7fffff, v116
	v_cmpx_ne_u64_e32 0x7f800000, v[18:19]
	s_xor_b32 s14, exec_lo, s13
	s_cbranch_execz .LBB2_1920
; %bb.1903:                             ;   in Loop: Header=BB2_1884 Depth=3
	v_dual_mov_b32 v19, v3 :: v_dual_lshrrev_b32 v17, 24, v116
	v_and_b32_e32 v18, 0x7fffffff, v116
                                        ; implicit-def: $vgpr103
	s_mov_b32 s13, exec_lo
	s_delay_alu instid0(VALU_DEP_2) | instskip(NEXT) | instid1(VALU_DEP_2)
	v_and_b32_e32 v17, 0x80, v17
	v_cmpx_gt_u64_e32 0x47600001, v[18:19]
	s_xor_b32 s15, exec_lo, s13
	s_cbranch_execz .LBB2_1917
; %bb.1904:                             ;   in Loop: Header=BB2_1884 Depth=3
	v_mov_b32_e32 v103, 0
	s_mov_b32 s73, exec_lo
	v_cmpx_ne_u32_e32 0, v116
	s_cbranch_execz .LBB2_1916
; %bb.1905:                             ;   in Loop: Header=BB2_1884 Depth=3
	v_bfe_u32 v103, v116, 23, 8
	v_or_b32_e32 v116, 0x800000, v2
	s_delay_alu instid0(VALU_DEP_2) | instskip(SKIP_1) | instid1(VALU_DEP_2)
	v_dual_mov_b32 v117, v3 :: v_dual_sub_nc_u32 v18, 0x71, v103
	v_cmp_gt_u32_e32 vcc_lo, 0x72, v103
	v_cndmask_b32_e32 v18, 0, v18, vcc_lo
	v_cmp_eq_u32_e32 vcc_lo, 0, v103
	s_delay_alu instid0(VALU_DEP_2) | instskip(NEXT) | instid1(VALU_DEP_1)
	v_cndmask_b32_e64 v40, v18, 0x70, vcc_lo
	v_dual_cndmask_b32 v116, v116, v2, vcc_lo :: v_dual_add_nc_u32 v18, 21, v40
	v_add_nc_u32_e32 v118, 20, v40
	s_delay_alu instid0(VALU_DEP_2) | instskip(NEXT) | instid1(VALU_DEP_2)
	v_lshlrev_b64_e64 v[18:19], v18, -1
	v_lshlrev_b64_e64 v[118:119], v118, 1
	s_delay_alu instid0(VALU_DEP_2) | instskip(SKIP_1) | instid1(VALU_DEP_4)
	v_bfi_b32 v18, v18, 0, v116
	v_lshrrev_b64 v[116:117], v40, v[116:117]
	v_bfi_b32 v19, v19, 0, 0
	s_delay_alu instid0(VALU_DEP_1) | instskip(NEXT) | instid1(VALU_DEP_3)
	v_cmp_eq_u64_e64 s13, v[18:19], v[118:119]
	v_mov_b64_e32 v[118:119], v[116:117]
	s_and_saveexec_b32 s74, s13
; %bb.1906:                             ;   in Loop: Header=BB2_1884 Depth=3
	v_bfe_u32 v18, v116, 21, 1
	v_mov_b32_e32 v19, v3
	s_delay_alu instid0(VALU_DEP_1) | instskip(NEXT) | instid1(VALU_DEP_1)
	v_add_nc_u64_e32 v[18:19], v[116:117], v[18:19]
	v_add_nc_u64_e32 v[118:119], -1, v[18:19]
; %bb.1907:                             ;   in Loop: Header=BB2_1884 Depth=3
	s_or_b32 exec_lo, exec_lo, s74
	v_add_nc_u32_e32 v2, 0xffffff81, v103
	v_lshrrev_b32_e32 v18, 23, v116
	s_mov_b32 s13, exec_lo
	s_delay_alu instid0(VALU_DEP_2) | instskip(NEXT) | instid1(VALU_DEP_1)
	v_cndmask_b32_e64 v2, v2, 0xffffff82, vcc_lo
	v_add3_u32 v103, v40, v2, v18
	v_and_b32_e32 v2, 0x1fffff, v118
                                        ; implicit-def: $vgpr118
	s_delay_alu instid0(VALU_DEP_1) | instskip(NEXT) | instid1(VALU_DEP_1)
	v_dual_add_nc_u32 v119, 14, v103 :: v_dual_add_nc_u32 v2, v2, v116
                                        ; implicit-def: $vgpr116_vgpr117
	v_cmpx_ne_u32_e32 0, v119
	s_xor_b32 s13, exec_lo, s13
; %bb.1908:                             ;   in Loop: Header=BB2_1884 Depth=3
	s_delay_alu instid0(VALU_DEP_2) | instskip(SKIP_1) | instid1(VALU_DEP_1)
	v_cmp_lt_u64_e32 vcc_lo, 0xffffff, v[2:3]
	v_add_nc_u32_e32 v18, 15, v103
	v_cndmask_b32_e32 v118, v119, v18, vcc_lo
	v_cndmask_b32_e64 v18, 0, 1, vcc_lo
	s_delay_alu instid0(VALU_DEP_1)
	v_lshrrev_b64 v[116:117], v18, v[2:3]
; %bb.1909:                             ;   in Loop: Header=BB2_1884 Depth=3
	s_and_not1_saveexec_b32 s13, s13
; %bb.1910:                             ;   in Loop: Header=BB2_1884 Depth=3
	v_mov_b64_e32 v[116:117], v[2:3]
	v_bfe_u32 v118, v2, 23, 1
; %bb.1911:                             ;   in Loop: Header=BB2_1884 Depth=3
	s_or_b32 exec_lo, exec_lo, s13
	s_delay_alu instid0(VALU_DEP_2) | instskip(NEXT) | instid1(VALU_DEP_2)
	v_lshrrev_b64 v[18:19], 21, v[116:117]
	v_cmp_gt_i32_e32 vcc_lo, 32, v118
	v_cmp_ne_u32_e64 s13, 0, v118
                                        ; implicit-def: $vgpr103
	s_delay_alu instid0(VALU_DEP_3) | instskip(NEXT) | instid1(VALU_DEP_1)
	v_dual_cndmask_b32 v117, 0, v19 :: v_dual_cndmask_b32 v116, 3, v18
	v_cmp_ne_u64_e32 vcc_lo, 0, v[116:117]
	s_or_b32 s13, s13, vcc_lo
	s_delay_alu instid0(SALU_CYCLE_1) | instskip(NEXT) | instid1(SALU_CYCLE_1)
	s_and_saveexec_b32 s74, s13
	s_xor_b32 s13, exec_lo, s74
; %bb.1912:                             ;   in Loop: Header=BB2_1884 Depth=3
	v_min_i32_e32 v2, 31, v118
	s_delay_alu instid0(VALU_DEP_1) | instskip(NEXT) | instid1(VALU_DEP_1)
	v_lshl_or_b32 v2, v2, 2, v17
                                        ; implicit-def: $vgpr17
	v_and_or_b32 v103, v116, 3, v2
; %bb.1913:                             ;   in Loop: Header=BB2_1884 Depth=3
	s_and_not1_saveexec_b32 s13, s13
; %bb.1914:                             ;   in Loop: Header=BB2_1884 Depth=3
	v_mov_b32_e32 v103, v17
; %bb.1915:                             ;   in Loop: Header=BB2_1884 Depth=3
	s_or_b32 exec_lo, exec_lo, s13
.LBB2_1916:                             ;   in Loop: Header=BB2_1884 Depth=3
	s_delay_alu instid0(SALU_CYCLE_1)
	s_or_b32 exec_lo, exec_lo, s73
                                        ; implicit-def: $vgpr17
.LBB2_1917:                             ;   in Loop: Header=BB2_1884 Depth=3
	s_and_not1_saveexec_b32 s13, s15
; %bb.1918:                             ;   in Loop: Header=BB2_1884 Depth=3
	v_or_b32_e32 v103, 0x7b, v17
; %bb.1919:                             ;   in Loop: Header=BB2_1884 Depth=3
	s_or_b32 exec_lo, exec_lo, s13
                                        ; implicit-def: $vgpr116
.LBB2_1920:                             ;   in Loop: Header=BB2_1884 Depth=3
	s_and_not1_saveexec_b32 s13, s14
	s_cbranch_execz .LBB2_1883
; %bb.1921:                             ;   in Loop: Header=BB2_1884 Depth=3
	s_mov_b32 s14, exec_lo
                                        ; implicit-def: $vgpr103
	v_cmpx_ne_u64_e32 0, v[2:3]
	s_xor_b32 s14, exec_lo, s14
; %bb.1922:                             ;   in Loop: Header=BB2_1884 Depth=3
	v_lshrrev_b32_e32 v2, 24, v116
                                        ; implicit-def: $vgpr116
	s_delay_alu instid0(VALU_DEP_1)
	v_or_b32_e32 v103, 0x7f, v2
; %bb.1923:                             ;   in Loop: Header=BB2_1884 Depth=3
	s_and_not1_saveexec_b32 s14, s14
	s_cbranch_execz .LBB2_1882
; %bb.1924:                             ;   in Loop: Header=BB2_1884 Depth=3
	v_cmp_lt_i32_e32 vcc_lo, -1, v116
	v_cndmask_b32_e64 v103, -4, 0x7c, vcc_lo
	s_branch .LBB2_1882
.LBB2_1925:                             ;   in Loop: Header=BB2_57 Depth=2
	s_or_b32 exec_lo, exec_lo, s63
	v_cmp_lt_i32_e64 s13, 0, v101
	s_and_saveexec_b32 s14, s2
	s_cbranch_execz .LBB2_1944
.LBB2_1926:                             ;   in Loop: Header=BB2_57 Depth=2
	s_and_saveexec_b32 s15, s3
	s_delay_alu instid0(SALU_CYCLE_1)
	s_xor_b32 s15, exec_lo, s15
	s_cbranch_execz .LBB2_1941
; %bb.1927:                             ;   in Loop: Header=BB2_57 Depth=2
	s_and_saveexec_b32 s63, s6
	s_cbranch_execz .LBB2_1940
; %bb.1928:                             ;   in Loop: Header=BB2_57 Depth=2
	s_mov_b32 s73, exec_lo
	s_mov_b32 s72, exec_lo
	v_mbcnt_lo_u32_b32 v2, s73, 0
	global_wb scope:SCOPE_DEV
	s_wait_storecnt 0x0
	s_wait_loadcnt_dscnt 0x0
	global_inv scope:SCOPE_DEV
	v_cmpx_eq_u32_e32 0, v2
	s_cbranch_execz .LBB2_1930
; %bb.1929:                             ;   in Loop: Header=BB2_57 Depth=2
	s_bcnt1_i32_b32 s73, s73
	s_delay_alu instid0(SALU_CYCLE_1)
	v_dual_mov_b32 v9, v3 :: v_dual_mov_b32 v8, s73
	s_wait_loadcnt 0x0
	ds_add_u64 v0, v[8:9]
	s_trap 2
.LBB2_1930:                             ;   in Loop: Header=BB2_57 Depth=2
	s_or_b32 exec_lo, exec_lo, s72
	s_trap 2
	ds_load_b64 v[8:9], v0
	s_wait_dscnt 0x0
	v_add_nc_u64_e32 v[12:13], v[12:13], v[32:33]
	s_mov_b32 s72, exec_lo
	s_delay_alu instid0(VALU_DEP_1)
	v_cmpx_lt_u64_e64 v[8:9], v[12:13]
	s_cbranch_execz .LBB2_1939
; %bb.1931:                             ;   in Loop: Header=BB2_57 Depth=2
	s_mov_b32 s73, 0
	s_mov_b32 s76, 0
                                        ; implicit-def: $sgpr74
                                        ; implicit-def: $sgpr75
	s_branch .LBB2_1933
.LBB2_1932:                             ;   in Loop: Header=BB2_1933 Depth=3
	s_or_b32 exec_lo, exec_lo, s78
	s_delay_alu instid0(SALU_CYCLE_1) | instskip(NEXT) | instid1(SALU_CYCLE_1)
	s_and_b32 s77, exec_lo, s79
	s_or_b32 s73, s77, s73
	s_and_not1_b32 s74, s74, exec_lo
	s_and_b32 s77, s75, exec_lo
	s_delay_alu instid0(SALU_CYCLE_1)
	s_or_b32 s74, s74, s77
	s_and_not1_b32 exec_lo, exec_lo, s73
	s_cbranch_execz .LBB2_1937
.LBB2_1933:                             ;   Parent Loop BB2_47 Depth=1
                                        ;     Parent Loop BB2_57 Depth=2
                                        ; =>    This Inner Loop Header: Depth=3
	s_add_co_i32 s76, s76, 1
	s_delay_alu instid0(SALU_CYCLE_1) | instskip(SKIP_1) | instid1(SALU_CYCLE_1)
	s_cmp_lg_u32 s76, 0x2710
	s_cselect_b32 s77, -1, 0
	s_and_b32 vcc_lo, exec_lo, s77
	s_cbranch_vccz .LBB2_1935
; %bb.1934:                             ;   in Loop: Header=BB2_1933 Depth=3
	s_mov_b32 s79, -1
	s_or_b32 s75, s75, exec_lo
	s_and_saveexec_b32 s78, s77
	s_cbranch_execz .LBB2_1932
	s_branch .LBB2_1936
.LBB2_1935:                             ;   in Loop: Header=BB2_1933 Depth=3
	s_trap 2
	ds_load_b64 v[8:9], v0
	s_and_not1_b32 s77, s77, exec_lo
	s_mov_b32 s76, 0
	s_wait_loadcnt_dscnt 0x0
	flat_load_b32 v2, v[8:9] scope:SCOPE_SYS
	s_wait_loadcnt_dscnt 0x0
	global_inv scope:SCOPE_SYS
	v_cmp_eq_u32_e32 vcc_lo, 0, v2
	s_and_b32 s78, vcc_lo, exec_lo
	s_delay_alu instid0(SALU_CYCLE_1)
	s_or_b32 s77, s77, s78
	s_mov_b32 s79, -1
	s_or_b32 s75, s75, exec_lo
	s_and_saveexec_b32 s78, s77
	s_cbranch_execz .LBB2_1932
.LBB2_1936:                             ;   in Loop: Header=BB2_1933 Depth=3
	s_sleep 1
	s_trap 2
	ds_load_b64 v[8:9], v0
	s_wait_dscnt 0x0
	s_and_not1_b32 s75, s75, exec_lo
	v_cmp_ge_u64_e32 vcc_lo, v[8:9], v[12:13]
	s_or_not1_b32 s79, vcc_lo, exec_lo
	s_branch .LBB2_1932
.LBB2_1937:                             ;   in Loop: Header=BB2_57 Depth=2
	s_or_b32 exec_lo, exec_lo, s73
	s_and_saveexec_b32 s73, s74
	s_delay_alu instid0(SALU_CYCLE_1)
	s_xor_b32 s73, exec_lo, s73
	s_cbranch_execz .LBB2_1939
; %bb.1938:                             ;   in Loop: Header=BB2_57 Depth=2
	ds_store_b32 v0, v110
	s_trap 2
.LBB2_1939:                             ;   in Loop: Header=BB2_57 Depth=2
	s_or_b32 exec_lo, exec_lo, s72
	;;#ASMSTART
	s_wakeup
	;;#ASMEND
.LBB2_1940:                             ;   in Loop: Header=BB2_57 Depth=2
	s_or_b32 exec_lo, exec_lo, s63
.LBB2_1941:                             ;   in Loop: Header=BB2_57 Depth=2
	s_and_not1_saveexec_b32 s15, s15
	s_cbranch_execz .LBB2_1943
; %bb.1942:                             ;   in Loop: Header=BB2_57 Depth=2
	global_wb scope:SCOPE_DEV
	s_wait_storecnt 0x0
	s_wait_loadcnt_dscnt 0x0
	global_inv scope:SCOPE_DEV
	s_barrier_signal -1
	s_barrier_wait -1
.LBB2_1943:                             ;   in Loop: Header=BB2_57 Depth=2
	s_or_b32 exec_lo, exec_lo, s15
.LBB2_1944:                             ;   in Loop: Header=BB2_57 Depth=2
	s_delay_alu instid0(SALU_CYCLE_1) | instskip(SKIP_2) | instid1(SALU_CYCLE_1)
	s_or_b32 exec_lo, exec_lo, s14
	v_and_b32_e32 v2, 16, v106
	s_and_saveexec_b32 s14, s12
	s_xor_b32 s14, exec_lo, s14
	s_cbranch_execz .LBB2_1948
; %bb.1945:                             ;   in Loop: Header=BB2_57 Depth=2
	v_and_b32_e32 v2, 16, v106
	s_delay_alu instid0(VALU_DEP_1) | instskip(SKIP_2) | instid1(SALU_CYCLE_1)
	v_cmp_ne_u32_e32 vcc_lo, 0, v2
	v_and_b32_e32 v2, 16, v106
	s_and_b32 s15, vcc_lo, s13
	s_and_saveexec_b32 s13, s15
	s_cbranch_execz .LBB2_1947
; %bb.1946:                             ;   in Loop: Header=BB2_57 Depth=2
	v_mov_b32_e32 v2, 1
	global_wb scope:SCOPE_SYS
	s_wait_storecnt 0x0
	s_wait_loadcnt_dscnt 0x0
	global_inv scope:SCOPE_SYS
.LBB2_1947:                             ;   in Loop: Header=BB2_57 Depth=2
	s_or_b32 exec_lo, exec_lo, s13
.LBB2_1948:                             ;   in Loop: Header=BB2_57 Depth=2
	s_and_not1_saveexec_b32 s13, s14
	s_cbranch_execz .LBB2_1967
; %bb.1949:                             ;   in Loop: Header=BB2_57 Depth=2
	s_and_saveexec_b32 s14, s3
	s_delay_alu instid0(SALU_CYCLE_1)
	s_xor_b32 s14, exec_lo, s14
	s_cbranch_execz .LBB2_1964
; %bb.1950:                             ;   in Loop: Header=BB2_57 Depth=2
	s_and_saveexec_b32 s15, s6
	s_cbranch_execz .LBB2_1963
; %bb.1951:                             ;   in Loop: Header=BB2_57 Depth=2
	s_mov_b32 s72, exec_lo
	s_mov_b32 s63, exec_lo
	v_mbcnt_lo_u32_b32 v8, s72, 0
	;;#ASMSTART
	s_waitcnt lgkmcnt(0) vmcnt(0)
	;;#ASMEND
	s_delay_alu instid0(VALU_DEP_1)
	v_cmpx_eq_u32_e32 0, v8
	s_cbranch_execz .LBB2_1953
; %bb.1952:                             ;   in Loop: Header=BB2_57 Depth=2
	s_bcnt1_i32_b32 s72, s72
	s_delay_alu instid0(SALU_CYCLE_1)
	v_dual_mov_b32 v9, v3 :: v_dual_mov_b32 v8, s72
	s_wait_storecnt 0x0
	s_wait_loadcnt_dscnt 0x0
	ds_add_u64 v0, v[8:9]
	s_trap 2
.LBB2_1953:                             ;   in Loop: Header=BB2_57 Depth=2
	s_or_b32 exec_lo, exec_lo, s63
	s_trap 2
	ds_load_b64 v[8:9], v0
	s_wait_dscnt 0x0
	v_add_nc_u64_e32 v[12:13], v[12:13], v[32:33]
	s_mov_b32 s63, exec_lo
	s_delay_alu instid0(VALU_DEP_1)
	v_cmpx_lt_u64_e64 v[8:9], v[12:13]
	s_cbranch_execz .LBB2_1962
; %bb.1954:                             ;   in Loop: Header=BB2_57 Depth=2
	s_mov_b32 s72, 0
	s_mov_b32 s75, 0
                                        ; implicit-def: $sgpr73
                                        ; implicit-def: $sgpr74
	s_branch .LBB2_1956
.LBB2_1955:                             ;   in Loop: Header=BB2_1956 Depth=3
	s_or_b32 exec_lo, exec_lo, s77
	s_delay_alu instid0(SALU_CYCLE_1) | instskip(NEXT) | instid1(SALU_CYCLE_1)
	s_and_b32 s76, exec_lo, s78
	s_or_b32 s72, s76, s72
	s_and_not1_b32 s73, s73, exec_lo
	s_and_b32 s76, s74, exec_lo
	s_delay_alu instid0(SALU_CYCLE_1)
	s_or_b32 s73, s73, s76
	s_and_not1_b32 exec_lo, exec_lo, s72
	s_cbranch_execz .LBB2_1960
.LBB2_1956:                             ;   Parent Loop BB2_47 Depth=1
                                        ;     Parent Loop BB2_57 Depth=2
                                        ; =>    This Inner Loop Header: Depth=3
	s_add_co_i32 s75, s75, 1
	s_delay_alu instid0(SALU_CYCLE_1) | instskip(SKIP_1) | instid1(SALU_CYCLE_1)
	s_cmp_lg_u32 s75, 0x2710
	s_cselect_b32 s76, -1, 0
	s_and_b32 vcc_lo, exec_lo, s76
	s_cbranch_vccz .LBB2_1958
; %bb.1957:                             ;   in Loop: Header=BB2_1956 Depth=3
	s_mov_b32 s78, -1
	s_or_b32 s74, s74, exec_lo
	s_and_saveexec_b32 s77, s76
	s_cbranch_execz .LBB2_1955
	s_branch .LBB2_1959
.LBB2_1958:                             ;   in Loop: Header=BB2_1956 Depth=3
	s_trap 2
	ds_load_b64 v[8:9], v0
	s_and_not1_b32 s76, s76, exec_lo
	s_mov_b32 s75, 0
	s_wait_storecnt 0x0
	s_wait_loadcnt_dscnt 0x0
	flat_load_b32 v8, v[8:9] scope:SCOPE_SYS
	s_wait_loadcnt_dscnt 0x0
	global_inv scope:SCOPE_SYS
	v_cmp_eq_u32_e32 vcc_lo, 0, v8
	s_and_b32 s77, vcc_lo, exec_lo
	s_delay_alu instid0(SALU_CYCLE_1)
	s_or_b32 s76, s76, s77
	s_mov_b32 s78, -1
	s_or_b32 s74, s74, exec_lo
	s_and_saveexec_b32 s77, s76
	s_cbranch_execz .LBB2_1955
.LBB2_1959:                             ;   in Loop: Header=BB2_1956 Depth=3
	s_sleep 1
	s_trap 2
	ds_load_b64 v[8:9], v0
	s_wait_dscnt 0x0
	s_and_not1_b32 s74, s74, exec_lo
	v_cmp_ge_u64_e32 vcc_lo, v[8:9], v[12:13]
	s_or_not1_b32 s78, vcc_lo, exec_lo
	s_branch .LBB2_1955
.LBB2_1960:                             ;   in Loop: Header=BB2_57 Depth=2
	s_or_b32 exec_lo, exec_lo, s72
	s_and_saveexec_b32 s72, s73
	s_delay_alu instid0(SALU_CYCLE_1)
	s_xor_b32 s72, exec_lo, s72
	s_cbranch_execz .LBB2_1962
; %bb.1961:                             ;   in Loop: Header=BB2_57 Depth=2
	ds_store_b32 v0, v110
	s_trap 2
.LBB2_1962:                             ;   in Loop: Header=BB2_57 Depth=2
	s_or_b32 exec_lo, exec_lo, s63
	;;#ASMSTART
	s_wakeup
	;;#ASMEND
.LBB2_1963:                             ;   in Loop: Header=BB2_57 Depth=2
	s_or_b32 exec_lo, exec_lo, s15
.LBB2_1964:                             ;   in Loop: Header=BB2_57 Depth=2
	s_and_not1_saveexec_b32 s14, s14
	s_cbranch_execz .LBB2_1966
; %bb.1965:                             ;   in Loop: Header=BB2_57 Depth=2
	;;#ASMSTART
	s_waitcnt lgkmcnt(0) vmcnt(0)
	;;#ASMEND
	s_barrier_signal -1
	s_barrier_wait -1
.LBB2_1966:                             ;   in Loop: Header=BB2_57 Depth=2
	s_or_b32 exec_lo, exec_lo, s14
.LBB2_1967:                             ;   in Loop: Header=BB2_57 Depth=2
	s_delay_alu instid0(SALU_CYCLE_1) | instskip(NEXT) | instid1(SALU_CYCLE_1)
	s_or_b32 exec_lo, exec_lo, s13
	s_mov_b32 s13, exec_lo
	v_cmpx_ne_u32_e32 0, v2
	s_cbranch_execz .LBB2_56
; %bb.1968:                             ;   in Loop: Header=BB2_57 Depth=2
	s_and_saveexec_b32 s14, s5
	s_cbranch_execz .LBB2_55
; %bb.1969:                             ;   in Loop: Header=BB2_57 Depth=2
	global_wb scope:SCOPE_SYS
	s_wait_storecnt 0x0
	s_wait_loadcnt_dscnt 0x0
	flat_store_b32 v[26:27], v110 scope:SCOPE_SYS
	s_branch .LBB2_55
.LBB2_1970:                             ;   in Loop: Header=BB2_47 Depth=1
	s_or_b32 exec_lo, exec_lo, s29
.LBB2_1971:                             ;   in Loop: Header=BB2_47 Depth=1
	s_delay_alu instid0(SALU_CYCLE_1) | instskip(NEXT) | instid1(SALU_CYCLE_1)
	s_or_b32 exec_lo, exec_lo, s18
	s_mov_b32 s14, exec_lo
	v_cmpx_gt_i32_e32 2, v2
	s_cbranch_execz .LBB2_2043
; %bb.1972:                             ;   in Loop: Header=BB2_47 Depth=1
	v_cmp_eq_u32_e64 s18, 0, v2
	s_mov_b32 s15, 0
	s_branch .LBB2_1975
.LBB2_1973:                             ;   in Loop: Header=BB2_1975 Depth=2
	s_wait_xcnt 0x0
	s_or_b32 exec_lo, exec_lo, s18
	v_add_nc_u64_e32 v[86:87], 2, v[86:87]
	global_wb scope:SCOPE_SYS
	s_wait_storecnt 0x0
	s_wait_loadcnt_dscnt 0x0
	flat_store_b64 v[20:21], v[86:87] scope:SCOPE_SYS
.LBB2_1974:                             ;   in Loop: Header=BB2_1975 Depth=2
	s_wait_xcnt 0x0
	s_or_b32 exec_lo, exec_lo, s13
	v_add_nc_u32_e32 v102, v100, v102
	s_mov_b32 s18, 0
	s_and_not1_b32 exec_lo, exec_lo, s15
	s_cbranch_execz .LBB2_2042
.LBB2_1975:                             ;   Parent Loop BB2_47 Depth=1
                                        ; =>  This Loop Header: Depth=2
                                        ;       Child Loop BB2_1981 Depth 3
                                        ;       Child Loop BB2_2005 Depth 3
	;; [unrolled: 1-line block ×3, first 2 shown]
	s_delay_alu instid0(VALU_DEP_1) | instskip(SKIP_2) | instid1(VALU_DEP_2)
	v_sub_nc_u32_e32 v2, v30, v102
	v_and_b32_e32 v8, 8, v106
	s_mov_b32 s29, exec_lo
	v_min_i32_e32 v100, v100, v2
	s_delay_alu instid0(VALU_DEP_2)
	v_cmpx_ne_u32_e32 0, v8
	s_cbranch_execz .LBB2_1997
; %bb.1976:                             ;   in Loop: Header=BB2_1975 Depth=2
	s_wait_loadcnt_dscnt 0x1
	v_add_nc_u64_e32 v[10:11], 8, v[28:29]
	v_add_nc_u64_e32 v[8:9], 2, v[86:87]
	s_mov_b32 s42, exec_lo
	s_delay_alu instid0(VALU_DEP_1)
	v_cmpx_lt_u64_e64 v[10:11], v[8:9]
	s_cbranch_execz .LBB2_1988
; %bb.1977:                             ;   in Loop: Header=BB2_1975 Depth=2
	v_and_b32_e32 v2, 64, v106
	s_mov_b32 s43, 0
	s_mov_b32 s74, 0
                                        ; implicit-def: $sgpr63
                                        ; implicit-def: $sgpr72
                                        ; implicit-def: $sgpr73
	s_delay_alu instid0(VALU_DEP_1)
	v_cmp_eq_u32_e32 vcc_lo, 0, v2
	s_branch .LBB2_1981
.LBB2_1978:                             ;   in Loop: Header=BB2_1981 Depth=3
	s_wait_loadcnt_dscnt 0x0
	v_add_nc_u64_e32 v[10:11], 8, v[28:29]
	s_or_b32 s77, s77, exec_lo
	s_delay_alu instid0(VALU_DEP_1)
	v_cmp_ge_u64_e64 s13, v[10:11], v[8:9]
	s_or_not1_b32 s76, s13, exec_lo
.LBB2_1979:                             ;   in Loop: Header=BB2_1981 Depth=3
	s_or_b32 exec_lo, exec_lo, s79
	s_delay_alu instid0(SALU_CYCLE_1)
	s_and_not1_b32 s13, s73, exec_lo
	s_and_b32 s73, s77, exec_lo
	s_and_not1_b32 s72, s72, exec_lo
	s_and_b32 s76, s76, exec_lo
	s_or_b32 s73, s13, s73
	s_or_b32 s72, s72, s76
.LBB2_1980:                             ;   in Loop: Header=BB2_1981 Depth=3
	s_or_b32 exec_lo, exec_lo, s75
	s_delay_alu instid0(SALU_CYCLE_1) | instskip(NEXT) | instid1(SALU_CYCLE_1)
	s_and_b32 s13, exec_lo, s72
	s_or_b32 s43, s13, s43
	s_and_not1_b32 s13, s63, exec_lo
	s_and_b32 s63, s73, exec_lo
	s_delay_alu instid0(SALU_CYCLE_1)
	s_or_b32 s63, s13, s63
	s_and_not1_b32 exec_lo, exec_lo, s43
	s_cbranch_execz .LBB2_1985
.LBB2_1981:                             ;   Parent Loop BB2_47 Depth=1
                                        ;     Parent Loop BB2_1975 Depth=2
                                        ; =>    This Inner Loop Header: Depth=3
	s_sleep 1
	s_wait_loadcnt_dscnt 0x0
	flat_load_b64 v[28:29], v[20:21] scope:SCOPE_SYS
	s_or_b32 s73, s73, exec_lo
	s_or_b32 s72, s72, exec_lo
                                        ; implicit-def: $vgpr2
	s_wait_xcnt 0x0
	s_and_saveexec_b32 s75, vcc_lo
	s_cbranch_execz .LBB2_1980
; %bb.1982:                             ;   in Loop: Header=BB2_1981 Depth=3
	s_cmp_lt_i32 s74, 0x270f
	s_mov_b32 s76, -1
	s_cselect_b32 s78, -1, 0
	s_cmp_gt_i32 s74, 0x270e
	s_cbranch_scc0 .LBB2_1984
; %bb.1983:                             ;   in Loop: Header=BB2_1981 Depth=3
	s_trap 2
	ds_load_b64 v[10:11], v0
	s_and_not1_b32 s74, s78, exec_lo
	s_mov_b32 s77, 0
	s_wait_storecnt 0x0
	s_wait_loadcnt_dscnt 0x0
	flat_load_b32 v2, v[10:11] scope:SCOPE_SYS
	s_wait_loadcnt_dscnt 0x0
	global_inv scope:SCOPE_SYS
	v_cmp_eq_u32_e64 s13, 0, v2
	s_and_b32 s13, s13, exec_lo
	s_delay_alu instid0(SALU_CYCLE_1)
	s_or_b32 s78, s74, s13
	s_mov_b32 s74, 0
	s_and_saveexec_b32 s79, s78
	s_cbranch_execz .LBB2_1979
	s_branch .LBB2_1978
.LBB2_1984:                             ;   in Loop: Header=BB2_1981 Depth=3
	s_add_co_i32 s74, s74, 1
	s_mov_b32 s77, -1
                                        ; implicit-def: $vgpr2
	s_and_saveexec_b32 s79, s78
	s_cbranch_execz .LBB2_1979
	s_branch .LBB2_1978
.LBB2_1985:                             ;   in Loop: Header=BB2_1975 Depth=2
	s_or_b32 exec_lo, exec_lo, s43
	s_xor_b32 s13, s63, -1
	s_delay_alu instid0(SALU_CYCLE_1) | instskip(NEXT) | instid1(SALU_CYCLE_1)
	s_and_saveexec_b32 s43, s13
	s_xor_b32 s13, exec_lo, s43
	s_cbranch_execz .LBB2_1987
; %bb.1986:                             ;   in Loop: Header=BB2_1975 Depth=2
	v_or_b32_e32 v106, 64, v106
	s_wait_storecnt 0x0
	s_wait_loadcnt_dscnt 0x0
	ds_store_b32 v0, v2
	s_trap 2
.LBB2_1987:                             ;   in Loop: Header=BB2_1975 Depth=2
	s_or_b32 exec_lo, exec_lo, s13
.LBB2_1988:                             ;   in Loop: Header=BB2_1975 Depth=2
	s_delay_alu instid0(SALU_CYCLE_1)
	s_or_b32 exec_lo, exec_lo, s42
	v_and_b32_e32 v2, 0x100, v106
	v_dual_mov_b32 v11, v3 :: v_dual_bitop2_b32 v10, 7, v86 bitop3:0x40
	s_mov_b32 s13, -1
	s_mov_b32 s42, exec_lo
	;;#ASMSTART
	s_wakeup
	;;#ASMEND
                                        ; implicit-def: $vgpr86_vgpr87
	v_cmpx_ne_u32_e32 0, v2
	s_cbranch_execz .LBB2_1992
; %bb.1989:                             ;   in Loop: Header=BB2_1975 Depth=2
	v_mad_nc_u64_u32 v[112:113], v10, 24, v[6:7]
	v_ashrrev_i32_e32 v101, 31, v100
	s_mov_b32 s43, exec_lo
                                        ; implicit-def: $vgpr86_vgpr87
	s_clause 0x1
	flat_load_b32 v2, v[112:113]
	flat_store_b64 v[112:113], v[100:101] offset:8
	s_wait_loadcnt_dscnt 0x1
	v_cmp_ne_u32_e32 vcc_lo, 1, v2
	s_wait_xcnt 0x0
	v_cmpx_eq_u32_e32 1, v2
	s_cbranch_execz .LBB2_1991
; %bb.1990:                             ;   in Loop: Header=BB2_1975 Depth=2
	flat_load_b32 v86, v[112:113] offset:4 scope:SCOPE_SYS
	s_wait_loadcnt_dscnt 0x0
	v_ashrrev_i32_e32 v87, 31, v86
.LBB2_1991:                             ;   in Loop: Header=BB2_1975 Depth=2
	s_wait_xcnt 0x0
	s_or_b32 exec_lo, exec_lo, s43
	s_delay_alu instid0(SALU_CYCLE_1)
	s_or_not1_b32 s13, vcc_lo, exec_lo
.LBB2_1992:                             ;   in Loop: Header=BB2_1975 Depth=2
	s_or_b32 exec_lo, exec_lo, s42
	s_and_saveexec_b32 s42, s13
; %bb.1993:                             ;   in Loop: Header=BB2_1975 Depth=2
	v_mul_u64_e32 v[86:87], v[10:11], v[22:23]
; %bb.1994:                             ;   in Loop: Header=BB2_1975 Depth=2
	s_or_b32 exec_lo, exec_lo, s42
	s_delay_alu instid0(VALU_DEP_1)
	v_add_nc_u64_e32 v[10:11], v[24:25], v[86:87]
	v_and_b32_e32 v2, 0x2000, v106
	s_mov_b32 s13, exec_lo
	ds_store_b64 v0, v[10:11] offset:784
	v_cmpx_ne_u32_e32 0, v2
	s_cbranch_execz .LBB2_1996
; %bb.1995:                             ;   in Loop: Header=BB2_1975 Depth=2
	ds_load_b64 v[10:11], v0 offset:872
	s_wait_dscnt 0x0
	v_add_nc_u64_e32 v[10:11], 1, v[10:11]
	ds_store_b64 v0, v[10:11] offset:872
.LBB2_1996:                             ;   in Loop: Header=BB2_1975 Depth=2
	s_or_b32 exec_lo, exec_lo, s13
	v_mov_b64_e32 v[86:87], v[8:9]
.LBB2_1997:                             ;   in Loop: Header=BB2_1975 Depth=2
	s_or_b32 exec_lo, exec_lo, s29
	s_xor_b32 s13, s18, -1
	s_delay_alu instid0(SALU_CYCLE_1) | instskip(NEXT) | instid1(SALU_CYCLE_1)
	s_and_b32 s13, exec_lo, s13
	s_or_b32 s15, s13, s15
	s_and_saveexec_b32 s13, s2
	s_cbranch_execz .LBB2_2016
; %bb.1998:                             ;   in Loop: Header=BB2_1975 Depth=2
	s_and_saveexec_b32 s18, s3
	s_delay_alu instid0(SALU_CYCLE_1)
	s_xor_b32 s18, exec_lo, s18
	s_cbranch_execz .LBB2_2013
; %bb.1999:                             ;   in Loop: Header=BB2_1975 Depth=2
	s_and_saveexec_b32 s29, s6
	s_cbranch_execz .LBB2_2012
; %bb.2000:                             ;   in Loop: Header=BB2_1975 Depth=2
	s_mov_b32 s43, exec_lo
	s_mov_b32 s42, exec_lo
	v_mbcnt_lo_u32_b32 v2, s43, 0
	global_wb scope:SCOPE_DEV
	s_wait_storecnt 0x0
	s_wait_loadcnt_dscnt 0x0
	global_inv scope:SCOPE_DEV
	v_cmpx_eq_u32_e32 0, v2
	s_cbranch_execz .LBB2_2002
; %bb.2001:                             ;   in Loop: Header=BB2_1975 Depth=2
	s_bcnt1_i32_b32 s43, s43
	s_delay_alu instid0(SALU_CYCLE_1)
	v_dual_mov_b32 v9, v3 :: v_dual_mov_b32 v8, s43
	s_wait_loadcnt 0x0
	ds_add_u64 v0, v[8:9]
	s_trap 2
.LBB2_2002:                             ;   in Loop: Header=BB2_1975 Depth=2
	s_or_b32 exec_lo, exec_lo, s42
	s_trap 2
	ds_load_b64 v[8:9], v0
	s_wait_dscnt 0x0
	v_add_nc_u64_e32 v[12:13], v[12:13], v[32:33]
	s_mov_b32 s42, exec_lo
	s_delay_alu instid0(VALU_DEP_1)
	v_cmpx_lt_u64_e64 v[8:9], v[12:13]
	s_cbranch_execz .LBB2_2011
; %bb.2003:                             ;   in Loop: Header=BB2_1975 Depth=2
	s_mov_b32 s43, 0
	s_mov_b32 s73, 0
                                        ; implicit-def: $sgpr63
                                        ; implicit-def: $sgpr72
	s_branch .LBB2_2005
.LBB2_2004:                             ;   in Loop: Header=BB2_2005 Depth=3
	s_or_b32 exec_lo, exec_lo, s75
	s_delay_alu instid0(SALU_CYCLE_1) | instskip(NEXT) | instid1(SALU_CYCLE_1)
	s_and_b32 s74, exec_lo, s76
	s_or_b32 s43, s74, s43
	s_and_not1_b32 s63, s63, exec_lo
	s_and_b32 s74, s72, exec_lo
	s_delay_alu instid0(SALU_CYCLE_1)
	s_or_b32 s63, s63, s74
	s_and_not1_b32 exec_lo, exec_lo, s43
	s_cbranch_execz .LBB2_2009
.LBB2_2005:                             ;   Parent Loop BB2_47 Depth=1
                                        ;     Parent Loop BB2_1975 Depth=2
                                        ; =>    This Inner Loop Header: Depth=3
	s_add_co_i32 s73, s73, 1
	s_delay_alu instid0(SALU_CYCLE_1) | instskip(SKIP_1) | instid1(SALU_CYCLE_1)
	s_cmp_lg_u32 s73, 0x2710
	s_cselect_b32 s74, -1, 0
	s_and_b32 vcc_lo, exec_lo, s74
	s_cbranch_vccz .LBB2_2007
; %bb.2006:                             ;   in Loop: Header=BB2_2005 Depth=3
	s_mov_b32 s76, -1
	s_or_b32 s72, s72, exec_lo
	s_and_saveexec_b32 s75, s74
	s_cbranch_execz .LBB2_2004
	s_branch .LBB2_2008
.LBB2_2007:                             ;   in Loop: Header=BB2_2005 Depth=3
	s_trap 2
	ds_load_b64 v[8:9], v0
	s_and_not1_b32 s74, s74, exec_lo
	s_mov_b32 s73, 0
	s_wait_loadcnt_dscnt 0x0
	flat_load_b32 v2, v[8:9] scope:SCOPE_SYS
	s_wait_loadcnt_dscnt 0x0
	global_inv scope:SCOPE_SYS
	v_cmp_eq_u32_e32 vcc_lo, 0, v2
	s_and_b32 s75, vcc_lo, exec_lo
	s_delay_alu instid0(SALU_CYCLE_1)
	s_or_b32 s74, s74, s75
	s_mov_b32 s76, -1
	s_or_b32 s72, s72, exec_lo
	s_and_saveexec_b32 s75, s74
	s_cbranch_execz .LBB2_2004
.LBB2_2008:                             ;   in Loop: Header=BB2_2005 Depth=3
	s_sleep 1
	s_trap 2
	ds_load_b64 v[8:9], v0
	s_wait_dscnt 0x0
	s_and_not1_b32 s72, s72, exec_lo
	v_cmp_ge_u64_e32 vcc_lo, v[8:9], v[12:13]
	s_or_not1_b32 s76, vcc_lo, exec_lo
	s_branch .LBB2_2004
.LBB2_2009:                             ;   in Loop: Header=BB2_1975 Depth=2
	s_or_b32 exec_lo, exec_lo, s43
	s_and_saveexec_b32 s43, s63
	s_delay_alu instid0(SALU_CYCLE_1)
	s_xor_b32 s43, exec_lo, s43
	s_cbranch_execz .LBB2_2011
; %bb.2010:                             ;   in Loop: Header=BB2_1975 Depth=2
	ds_store_b32 v0, v110
	s_trap 2
.LBB2_2011:                             ;   in Loop: Header=BB2_1975 Depth=2
	s_or_b32 exec_lo, exec_lo, s42
	;;#ASMSTART
	s_wakeup
	;;#ASMEND
.LBB2_2012:                             ;   in Loop: Header=BB2_1975 Depth=2
	s_or_b32 exec_lo, exec_lo, s29
.LBB2_2013:                             ;   in Loop: Header=BB2_1975 Depth=2
	s_and_not1_saveexec_b32 s18, s18
	s_cbranch_execz .LBB2_2015
; %bb.2014:                             ;   in Loop: Header=BB2_1975 Depth=2
	global_wb scope:SCOPE_DEV
	s_wait_storecnt 0x0
	s_wait_loadcnt_dscnt 0x0
	global_inv scope:SCOPE_DEV
	s_barrier_signal -1
	s_barrier_wait -1
.LBB2_2015:                             ;   in Loop: Header=BB2_1975 Depth=2
	s_or_b32 exec_lo, exec_lo, s18
.LBB2_2016:                             ;   in Loop: Header=BB2_1975 Depth=2
	s_delay_alu instid0(SALU_CYCLE_1) | instskip(SKIP_2) | instid1(SALU_CYCLE_1)
	s_or_b32 exec_lo, exec_lo, s13
	v_and_b32_e32 v2, 16, v106
	s_and_saveexec_b32 s13, s12
	s_xor_b32 s18, exec_lo, s13
	s_cbranch_execz .LBB2_2020
; %bb.2017:                             ;   in Loop: Header=BB2_1975 Depth=2
	s_trap 2
	ds_load_b32 v2, v0
	v_cmp_lt_i32_e32 vcc_lo, 0, v100
	s_wait_dscnt 0x0
	v_readfirstlane_b32 s13, v2
	v_and_b32_e32 v2, 16, v106
	s_cmp_eq_u32 s13, 0
	s_delay_alu instid0(VALU_DEP_1) | instskip(SKIP_3) | instid1(SALU_CYCLE_1)
	v_cmp_ne_u32_e64 s13, 0, v2
	s_cselect_b32 s29, -1, 0
	v_and_b32_e32 v2, 16, v106
	s_and_b32 s29, vcc_lo, s29
	s_and_b32 s29, s13, s29
	s_delay_alu instid0(SALU_CYCLE_1)
	s_and_saveexec_b32 s13, s29
	s_cbranch_execz .LBB2_2019
; %bb.2018:                             ;   in Loop: Header=BB2_1975 Depth=2
	v_mov_b32_e32 v2, 1
	global_wb scope:SCOPE_SYS
	s_wait_loadcnt 0x0
	s_wait_storecnt 0x0
	global_inv scope:SCOPE_SYS
.LBB2_2019:                             ;   in Loop: Header=BB2_1975 Depth=2
	s_or_b32 exec_lo, exec_lo, s13
.LBB2_2020:                             ;   in Loop: Header=BB2_1975 Depth=2
	s_and_not1_saveexec_b32 s13, s18
	s_cbranch_execz .LBB2_2039
; %bb.2021:                             ;   in Loop: Header=BB2_1975 Depth=2
	s_and_saveexec_b32 s18, s3
	s_delay_alu instid0(SALU_CYCLE_1)
	s_xor_b32 s18, exec_lo, s18
	s_cbranch_execz .LBB2_2036
; %bb.2022:                             ;   in Loop: Header=BB2_1975 Depth=2
	s_and_saveexec_b32 s29, s6
	s_cbranch_execz .LBB2_2035
; %bb.2023:                             ;   in Loop: Header=BB2_1975 Depth=2
	s_mov_b32 s43, exec_lo
	s_mov_b32 s42, exec_lo
	v_mbcnt_lo_u32_b32 v8, s43, 0
	;;#ASMSTART
	s_waitcnt lgkmcnt(0) vmcnt(0)
	;;#ASMEND
	s_delay_alu instid0(VALU_DEP_1)
	v_cmpx_eq_u32_e32 0, v8
	s_cbranch_execz .LBB2_2025
; %bb.2024:                             ;   in Loop: Header=BB2_1975 Depth=2
	s_bcnt1_i32_b32 s43, s43
	s_delay_alu instid0(SALU_CYCLE_1)
	v_dual_mov_b32 v9, v3 :: v_dual_mov_b32 v8, s43
	s_wait_storecnt 0x0
	s_wait_loadcnt_dscnt 0x0
	ds_add_u64 v0, v[8:9]
	s_trap 2
.LBB2_2025:                             ;   in Loop: Header=BB2_1975 Depth=2
	s_or_b32 exec_lo, exec_lo, s42
	s_trap 2
	ds_load_b64 v[8:9], v0
	s_wait_dscnt 0x0
	v_add_nc_u64_e32 v[12:13], v[12:13], v[32:33]
	s_mov_b32 s42, exec_lo
	s_delay_alu instid0(VALU_DEP_1)
	v_cmpx_lt_u64_e64 v[8:9], v[12:13]
	s_cbranch_execz .LBB2_2034
; %bb.2026:                             ;   in Loop: Header=BB2_1975 Depth=2
	s_mov_b32 s43, 0
	s_mov_b32 s73, 0
                                        ; implicit-def: $sgpr63
                                        ; implicit-def: $sgpr72
	s_branch .LBB2_2028
.LBB2_2027:                             ;   in Loop: Header=BB2_2028 Depth=3
	s_or_b32 exec_lo, exec_lo, s75
	s_delay_alu instid0(SALU_CYCLE_1) | instskip(NEXT) | instid1(SALU_CYCLE_1)
	s_and_b32 s74, exec_lo, s76
	s_or_b32 s43, s74, s43
	s_and_not1_b32 s63, s63, exec_lo
	s_and_b32 s74, s72, exec_lo
	s_delay_alu instid0(SALU_CYCLE_1)
	s_or_b32 s63, s63, s74
	s_and_not1_b32 exec_lo, exec_lo, s43
	s_cbranch_execz .LBB2_2032
.LBB2_2028:                             ;   Parent Loop BB2_47 Depth=1
                                        ;     Parent Loop BB2_1975 Depth=2
                                        ; =>    This Inner Loop Header: Depth=3
	s_add_co_i32 s73, s73, 1
	s_delay_alu instid0(SALU_CYCLE_1) | instskip(SKIP_1) | instid1(SALU_CYCLE_1)
	s_cmp_lg_u32 s73, 0x2710
	s_cselect_b32 s74, -1, 0
	s_and_b32 vcc_lo, exec_lo, s74
	s_cbranch_vccz .LBB2_2030
; %bb.2029:                             ;   in Loop: Header=BB2_2028 Depth=3
	s_mov_b32 s76, -1
	s_or_b32 s72, s72, exec_lo
	s_and_saveexec_b32 s75, s74
	s_cbranch_execz .LBB2_2027
	s_branch .LBB2_2031
.LBB2_2030:                             ;   in Loop: Header=BB2_2028 Depth=3
	s_trap 2
	ds_load_b64 v[8:9], v0
	s_and_not1_b32 s74, s74, exec_lo
	s_mov_b32 s73, 0
	s_wait_storecnt 0x0
	s_wait_loadcnt_dscnt 0x0
	flat_load_b32 v8, v[8:9] scope:SCOPE_SYS
	s_wait_loadcnt_dscnt 0x0
	global_inv scope:SCOPE_SYS
	v_cmp_eq_u32_e32 vcc_lo, 0, v8
	s_and_b32 s75, vcc_lo, exec_lo
	s_delay_alu instid0(SALU_CYCLE_1)
	s_or_b32 s74, s74, s75
	s_mov_b32 s76, -1
	s_or_b32 s72, s72, exec_lo
	s_and_saveexec_b32 s75, s74
	s_cbranch_execz .LBB2_2027
.LBB2_2031:                             ;   in Loop: Header=BB2_2028 Depth=3
	s_sleep 1
	s_trap 2
	ds_load_b64 v[8:9], v0
	s_wait_dscnt 0x0
	s_and_not1_b32 s72, s72, exec_lo
	v_cmp_ge_u64_e32 vcc_lo, v[8:9], v[12:13]
	s_or_not1_b32 s76, vcc_lo, exec_lo
	s_branch .LBB2_2027
.LBB2_2032:                             ;   in Loop: Header=BB2_1975 Depth=2
	s_or_b32 exec_lo, exec_lo, s43
	s_and_saveexec_b32 s43, s63
	s_delay_alu instid0(SALU_CYCLE_1)
	s_xor_b32 s43, exec_lo, s43
	s_cbranch_execz .LBB2_2034
; %bb.2033:                             ;   in Loop: Header=BB2_1975 Depth=2
	ds_store_b32 v0, v110
	s_trap 2
.LBB2_2034:                             ;   in Loop: Header=BB2_1975 Depth=2
	s_or_b32 exec_lo, exec_lo, s42
	;;#ASMSTART
	s_wakeup
	;;#ASMEND
.LBB2_2035:                             ;   in Loop: Header=BB2_1975 Depth=2
	s_or_b32 exec_lo, exec_lo, s29
.LBB2_2036:                             ;   in Loop: Header=BB2_1975 Depth=2
	s_and_not1_saveexec_b32 s18, s18
	s_cbranch_execz .LBB2_2038
; %bb.2037:                             ;   in Loop: Header=BB2_1975 Depth=2
	;;#ASMSTART
	s_waitcnt lgkmcnt(0) vmcnt(0)
	;;#ASMEND
	s_barrier_signal -1
	s_barrier_wait -1
.LBB2_2038:                             ;   in Loop: Header=BB2_1975 Depth=2
	s_or_b32 exec_lo, exec_lo, s18
.LBB2_2039:                             ;   in Loop: Header=BB2_1975 Depth=2
	s_delay_alu instid0(SALU_CYCLE_1) | instskip(NEXT) | instid1(SALU_CYCLE_1)
	s_or_b32 exec_lo, exec_lo, s13
	s_mov_b32 s13, exec_lo
	v_cmpx_ne_u32_e32 0, v2
	s_cbranch_execz .LBB2_1974
; %bb.2040:                             ;   in Loop: Header=BB2_1975 Depth=2
	s_and_saveexec_b32 s18, s5
	s_cbranch_execz .LBB2_1973
; %bb.2041:                             ;   in Loop: Header=BB2_1975 Depth=2
	global_wb scope:SCOPE_SYS
	s_wait_storecnt 0x0
	s_wait_loadcnt_dscnt 0x0
	flat_store_b32 v[26:27], v110 scope:SCOPE_SYS
	s_branch .LBB2_1973
.LBB2_2042:                             ;   in Loop: Header=BB2_47 Depth=1
	s_or_b32 exec_lo, exec_lo, s15
.LBB2_2043:                             ;   in Loop: Header=BB2_47 Depth=1
	s_delay_alu instid0(SALU_CYCLE_1) | instskip(NEXT) | instid1(SALU_CYCLE_1)
	s_or_b32 exec_lo, exec_lo, s14
	s_and_not1_b32 vcc_lo, exec_lo, s57
	s_cbranch_vccnz .LBB2_5112
; %bb.2044:                             ;   in Loop: Header=BB2_47 Depth=1
	s_mov_b32 s18, 2
	s_branch .LBB2_2047
.LBB2_2045:                             ;   in Loop: Header=BB2_2047 Depth=2
	s_or_b32 exec_lo, exec_lo, s15
.LBB2_2046:                             ;   in Loop: Header=BB2_2047 Depth=2
	s_delay_alu instid0(SALU_CYCLE_1) | instskip(SKIP_1) | instid1(SALU_CYCLE_1)
	s_or_b32 exec_lo, exec_lo, s14
	s_add_co_i32 s18, s18, 1
	s_cmp_eq_u32 s18, s16
	s_cbranch_scc1 .LBB2_5112
.LBB2_2047:                             ;   Parent Loop BB2_47 Depth=1
                                        ; =>  This Loop Header: Depth=2
                                        ;       Child Loop BB2_2050 Depth 3
                                        ;         Child Loop BB2_2058 Depth 4
                                        ;         Child Loop BB2_2086 Depth 4
                                        ;         Child Loop BB2_2105 Depth 4
                                        ;         Child Loop BB2_2129 Depth 4
                                        ;         Child Loop BB2_3198 Depth 4
                                        ;         Child Loop BB2_4268 Depth 4
                                        ;         Child Loop BB2_4905 Depth 4
                                        ;         Child Loop BB2_4998 Depth 4
                                        ;         Child Loop BB2_5021 Depth 4
                                        ;       Child Loop BB2_5040 Depth 3
                                        ;         Child Loop BB2_5046 Depth 4
                                        ;         Child Loop BB2_5074 Depth 4
	;; [unrolled: 1-line block ×3, first 2 shown]
	s_sub_co_i32 s13, s46, s18
	s_mov_b32 s42, 0
	s_cmp_ge_i32 s13, s16
	v_mov_b32_e32 v102, 0
	s_cselect_b32 s14, s16, 0
	s_delay_alu instid0(SALU_CYCLE_1) | instskip(NEXT) | instid1(SALU_CYCLE_1)
	s_sub_co_i32 s14, s13, s14
	s_ashr_i32 s15, s14, 31
	s_delay_alu instid0(SALU_CYCLE_1) | instskip(NEXT) | instid1(VALU_DEP_1)
	v_mul_u64_e32 v[112:113], s[14:15], v[84:85]
	v_sub_nc_u64_e32 v[8:9], v[96:97], v[112:113]
	s_delay_alu instid0(VALU_DEP_1) | instskip(NEXT) | instid1(VALU_DEP_1)
	v_min_i64 v[8:9], v[84:85], v[8:9]
	v_max_i32_e32 v92, 0, v8
	v_cmp_lt_i32_e32 vcc_lo, 0, v8
	s_delay_alu instid0(VALU_DEP_2) | instskip(SKIP_1) | instid1(VALU_DEP_1)
	v_add_nc_u32_e32 v2, 31, v92
	s_and_b32 s13, s60, vcc_lo
	v_lshrrev_b32_e32 v2, 1, v2
	s_delay_alu instid0(VALU_DEP_1) | instskip(NEXT) | instid1(VALU_DEP_1)
	v_and_b32_e32 v9, 0x3ffffff0, v2
	v_dual_mov_b32 v2, 0 :: v_dual_max_i32 v100, s56, v9
	s_and_saveexec_b32 s29, s13
	s_cbranch_execz .LBB2_5037
; %bb.2048:                             ;   in Loop: Header=BB2_2047 Depth=2
	v_mov_b32_e32 v102, 0
	s_mov_b32 s63, 1
	s_mov_b32 s43, -1
	s_branch .LBB2_2050
.LBB2_2049:                             ;   in Loop: Header=BB2_2050 Depth=3
	s_wait_xcnt 0x0
	s_or_b32 exec_lo, exec_lo, s13
	v_dual_add_nc_u32 v102, v100, v102 :: v_dual_mov_b32 v2, s63
	s_xor_b32 s13, s43, -1
	s_mov_b32 s43, 0
	s_mov_b32 s63, 2
	s_delay_alu instid0(VALU_DEP_1) | instskip(SKIP_1) | instid1(SALU_CYCLE_1)
	v_cmp_ge_i32_e32 vcc_lo, v102, v92
	s_or_b32 s13, s13, vcc_lo
	s_and_b32 s13, exec_lo, s13
	s_delay_alu instid0(SALU_CYCLE_1) | instskip(NEXT) | instid1(SALU_CYCLE_1)
	s_or_b32 s42, s13, s42
	s_and_not1_b32 exec_lo, exec_lo, s42
	s_cbranch_execz .LBB2_5036
.LBB2_2050:                             ;   Parent Loop BB2_47 Depth=1
                                        ;     Parent Loop BB2_2047 Depth=2
                                        ; =>    This Loop Header: Depth=3
                                        ;         Child Loop BB2_2058 Depth 4
                                        ;         Child Loop BB2_2086 Depth 4
	;; [unrolled: 1-line block ×9, first 2 shown]
	s_and_saveexec_b32 s13, s0
	s_cbranch_execz .LBB2_2052
; %bb.2051:                             ;   in Loop: Header=BB2_2050 Depth=3
	s_trap 2
	ds_load_b64 v[8:9], v0
	v_ashrrev_i32_e32 v103, 31, v102
	s_wait_dscnt 0x0
	v_add_nc_u64_e32 v[8:9], v[8:9], v[98:99]
	s_delay_alu instid0(VALU_DEP_1) | instskip(NEXT) | instid1(VALU_DEP_1)
	v_add_nc_u64_e32 v[8:9], v[8:9], v[112:113]
	v_add_nc_u64_e32 v[8:9], v[8:9], v[102:103]
	ds_store_b64 v0, v[8:9]
	ds_store_b64 v0, v[36:37]
.LBB2_2052:                             ;   in Loop: Header=BB2_2050 Depth=3
	s_or_b32 exec_lo, exec_lo, s13
	v_sub_nc_u32_e32 v2, v92, v102
	v_and_b32_e32 v8, 12, v106
	s_mov_b32 s14, exec_lo
	s_delay_alu instid0(VALU_DEP_2) | instskip(NEXT) | instid1(VALU_DEP_2)
	v_min_i32_e32 v100, v100, v2
	v_cmpx_ne_u32_e32 0, v8
	s_cbranch_execz .LBB2_2078
; %bb.2053:                             ;   in Loop: Header=BB2_2050 Depth=3
	v_and_b32_e32 v2, 8, v106
	v_add_nc_u64_e32 v[8:9], 2, v[86:87]
	s_mov_b32 s15, exec_lo
	s_wait_loadcnt_dscnt 0x1
	s_delay_alu instid0(VALU_DEP_2) | instskip(NEXT) | instid1(VALU_DEP_1)
	v_add_nc_u64_e32 v[10:11], v[28:29], v[2:3]
	v_cmpx_lt_u64_e64 v[10:11], v[8:9]
	s_cbranch_execz .LBB2_2065
; %bb.2054:                             ;   in Loop: Header=BB2_2050 Depth=3
	v_and_b32_e32 v10, 64, v106
	s_mov_b32 s72, 0
	s_mov_b32 s76, 0
                                        ; implicit-def: $sgpr73
                                        ; implicit-def: $sgpr74
                                        ; implicit-def: $sgpr75
	s_delay_alu instid0(VALU_DEP_1)
	v_cmp_eq_u32_e32 vcc_lo, 0, v10
	s_branch .LBB2_2058
.LBB2_2055:                             ;   in Loop: Header=BB2_2058 Depth=4
	s_wait_loadcnt_dscnt 0x0
	v_add_nc_u64_e32 v[16:17], v[28:29], v[2:3]
	s_or_b32 s79, s79, exec_lo
	s_delay_alu instid0(VALU_DEP_1)
	v_cmp_ge_u64_e64 s13, v[16:17], v[8:9]
	s_or_not1_b32 s78, s13, exec_lo
.LBB2_2056:                             ;   in Loop: Header=BB2_2058 Depth=4
	s_or_b32 exec_lo, exec_lo, s89
	s_delay_alu instid0(SALU_CYCLE_1)
	s_and_not1_b32 s13, s75, exec_lo
	s_and_b32 s75, s79, exec_lo
	s_and_not1_b32 s74, s74, exec_lo
	s_and_b32 s78, s78, exec_lo
	s_or_b32 s75, s13, s75
	s_or_b32 s74, s74, s78
.LBB2_2057:                             ;   in Loop: Header=BB2_2058 Depth=4
	s_or_b32 exec_lo, exec_lo, s77
	s_delay_alu instid0(SALU_CYCLE_1) | instskip(NEXT) | instid1(SALU_CYCLE_1)
	s_and_b32 s13, exec_lo, s74
	s_or_b32 s72, s13, s72
	s_and_not1_b32 s13, s73, exec_lo
	s_and_b32 s73, s75, exec_lo
	s_delay_alu instid0(SALU_CYCLE_1)
	s_or_b32 s73, s13, s73
	s_and_not1_b32 exec_lo, exec_lo, s72
	s_cbranch_execz .LBB2_2062
.LBB2_2058:                             ;   Parent Loop BB2_47 Depth=1
                                        ;     Parent Loop BB2_2047 Depth=2
                                        ;       Parent Loop BB2_2050 Depth=3
                                        ; =>      This Inner Loop Header: Depth=4
	s_sleep 1
	s_wait_loadcnt_dscnt 0x0
	flat_load_b64 v[28:29], v[20:21] scope:SCOPE_SYS
	s_or_b32 s75, s75, exec_lo
	s_or_b32 s74, s74, exec_lo
                                        ; implicit-def: $vgpr10
	s_wait_xcnt 0x0
	s_and_saveexec_b32 s77, vcc_lo
	s_cbranch_execz .LBB2_2057
; %bb.2059:                             ;   in Loop: Header=BB2_2058 Depth=4
	s_cmp_lt_i32 s76, 0x270f
	s_mov_b32 s78, -1
	s_cselect_b32 s88, -1, 0
	s_cmp_gt_i32 s76, 0x270e
	s_cbranch_scc0 .LBB2_2061
; %bb.2060:                             ;   in Loop: Header=BB2_2058 Depth=4
	s_trap 2
	ds_load_b64 v[10:11], v0
	s_and_not1_b32 s76, s88, exec_lo
	s_mov_b32 s79, 0
	s_wait_storecnt 0x0
	s_wait_loadcnt_dscnt 0x0
	flat_load_b32 v10, v[10:11] scope:SCOPE_SYS
	s_wait_loadcnt_dscnt 0x0
	global_inv scope:SCOPE_SYS
	v_cmp_eq_u32_e64 s13, 0, v10
	s_and_b32 s13, s13, exec_lo
	s_delay_alu instid0(SALU_CYCLE_1)
	s_or_b32 s88, s76, s13
	s_mov_b32 s76, 0
	s_and_saveexec_b32 s89, s88
	s_cbranch_execz .LBB2_2056
	s_branch .LBB2_2055
.LBB2_2061:                             ;   in Loop: Header=BB2_2058 Depth=4
	s_add_co_i32 s76, s76, 1
	s_mov_b32 s79, -1
                                        ; implicit-def: $vgpr10
	s_and_saveexec_b32 s89, s88
	s_cbranch_execz .LBB2_2056
	s_branch .LBB2_2055
.LBB2_2062:                             ;   in Loop: Header=BB2_2050 Depth=3
	s_or_b32 exec_lo, exec_lo, s72
	s_xor_b32 s13, s73, -1
	s_delay_alu instid0(SALU_CYCLE_1) | instskip(NEXT) | instid1(SALU_CYCLE_1)
	s_and_saveexec_b32 s72, s13
	s_xor_b32 s13, exec_lo, s72
	s_cbranch_execz .LBB2_2064
; %bb.2063:                             ;   in Loop: Header=BB2_2050 Depth=3
	v_or_b32_e32 v106, 64, v106
	s_wait_storecnt 0x0
	s_wait_loadcnt_dscnt 0x0
	ds_store_b32 v0, v10
	s_trap 2
.LBB2_2064:                             ;   in Loop: Header=BB2_2050 Depth=3
	s_or_b32 exec_lo, exec_lo, s13
.LBB2_2065:                             ;   in Loop: Header=BB2_2050 Depth=3
	s_delay_alu instid0(SALU_CYCLE_1) | instskip(SKIP_2) | instid1(VALU_DEP_1)
	s_or_b32 exec_lo, exec_lo, s15
	v_and_b32_e32 v10, 0x108, v106
	;;#ASMSTART
	s_wakeup
	;;#ASMEND
	v_cmp_ne_u32_e32 vcc_lo, 0x108, v10
                                        ; implicit-def: $vgpr10_vgpr11
	s_and_saveexec_b32 s13, vcc_lo
	s_delay_alu instid0(SALU_CYCLE_1)
	s_xor_b32 s13, exec_lo, s13
; %bb.2066:                             ;   in Loop: Header=BB2_2050 Depth=3
	v_dual_mov_b32 v11, v3 :: v_dual_bitop2_b32 v10, 7, v86 bitop3:0x40
                                        ; implicit-def: $vgpr86_vgpr87
; %bb.2067:                             ;   in Loop: Header=BB2_2050 Depth=3
	s_and_not1_saveexec_b32 s13, s13
	s_cbranch_execz .LBB2_2069
; %bb.2068:                             ;   in Loop: Header=BB2_2050 Depth=3
	v_dual_ashrrev_i32 v101, 31, v100 :: v_dual_bitop2_b32 v10, 7, v86 bitop3:0x40
	v_mov_b32_e32 v11, v3
	s_delay_alu instid0(VALU_DEP_2)
	v_mad_nc_u64_u32 v[16:17], v10, 24, v[6:7]
	flat_store_b64 v[16:17], v[100:101] offset:8
.LBB2_2069:                             ;   in Loop: Header=BB2_2050 Depth=3
	s_wait_xcnt 0x0
	s_or_b32 exec_lo, exec_lo, s13
	v_and_b32_e32 v16, 0x100, v106
	s_mov_b32 s13, -1
	s_mov_b32 s15, exec_lo
                                        ; implicit-def: $vgpr86_vgpr87
	s_delay_alu instid0(VALU_DEP_1)
	v_cmpx_ne_u32_e32 0, v16
	s_cbranch_execz .LBB2_2073
; %bb.2070:                             ;   in Loop: Header=BB2_2050 Depth=3
	v_mad_nc_u64_u32 v[114:115], v10, 24, v[6:7]
	s_mov_b32 s72, exec_lo
                                        ; implicit-def: $vgpr86_vgpr87
	s_delay_alu instid0(VALU_DEP_1)
	v_mad_u32 v115, v11, 24, v115
	flat_load_b32 v16, v[114:115]
	s_wait_loadcnt_dscnt 0x0
	v_cmp_ne_u32_e32 vcc_lo, 1, v16
	s_wait_xcnt 0x0
	v_cmpx_eq_u32_e32 1, v16
	s_cbranch_execz .LBB2_2072
; %bb.2071:                             ;   in Loop: Header=BB2_2050 Depth=3
	flat_load_b32 v86, v[114:115] offset:4 scope:SCOPE_SYS
	s_wait_loadcnt_dscnt 0x0
	v_ashrrev_i32_e32 v87, 31, v86
.LBB2_2072:                             ;   in Loop: Header=BB2_2050 Depth=3
	s_wait_xcnt 0x0
	s_or_b32 exec_lo, exec_lo, s72
	s_delay_alu instid0(SALU_CYCLE_1)
	s_or_not1_b32 s13, vcc_lo, exec_lo
.LBB2_2073:                             ;   in Loop: Header=BB2_2050 Depth=3
	s_or_b32 exec_lo, exec_lo, s15
	s_and_saveexec_b32 s15, s13
; %bb.2074:                             ;   in Loop: Header=BB2_2050 Depth=3
	v_mul_u64_e32 v[86:87], v[10:11], v[22:23]
; %bb.2075:                             ;   in Loop: Header=BB2_2050 Depth=3
	s_or_b32 exec_lo, exec_lo, s15
	v_cmp_eq_u32_e32 vcc_lo, 0, v2
	s_delay_alu instid0(VALU_DEP_2) | instskip(SKIP_3) | instid1(VALU_DEP_1)
	v_add_nc_u64_e32 v[10:11], v[24:25], v[86:87]
	v_and_b32_e32 v16, 0x2000, v106
	s_mov_b32 s13, exec_lo
	v_cndmask_b32_e32 v2, 0xc8, v121, vcc_lo
	v_add_nc_u32_e32 v2, v0, v2
	ds_store_b64 v2, v[10:11] offset:584
	v_cmpx_ne_u32_e32 0, v16
	s_cbranch_execz .LBB2_2077
; %bb.2076:                             ;   in Loop: Header=BB2_2050 Depth=3
	ds_load_b64 v[10:11], v0 offset:872
	s_wait_dscnt 0x0
	v_add_nc_u64_e32 v[10:11], 1, v[10:11]
	ds_store_b64 v0, v[10:11] offset:872
.LBB2_2077:                             ;   in Loop: Header=BB2_2050 Depth=3
	s_or_b32 exec_lo, exec_lo, s13
	v_mov_b64_e32 v[86:87], v[8:9]
.LBB2_2078:                             ;   in Loop: Header=BB2_2050 Depth=3
	s_or_b32 exec_lo, exec_lo, s14
	s_and_saveexec_b32 s13, s2
	s_cbranch_execz .LBB2_2097
; %bb.2079:                             ;   in Loop: Header=BB2_2050 Depth=3
	s_and_saveexec_b32 s14, s3
	s_delay_alu instid0(SALU_CYCLE_1)
	s_xor_b32 s14, exec_lo, s14
	s_cbranch_execz .LBB2_2094
; %bb.2080:                             ;   in Loop: Header=BB2_2050 Depth=3
	s_and_saveexec_b32 s15, s6
	s_cbranch_execz .LBB2_2093
; %bb.2081:                             ;   in Loop: Header=BB2_2050 Depth=3
	s_mov_b32 s73, exec_lo
	s_mov_b32 s72, exec_lo
	v_mbcnt_lo_u32_b32 v2, s73, 0
	global_wb scope:SCOPE_DEV
	s_wait_storecnt 0x0
	s_wait_loadcnt_dscnt 0x0
	global_inv scope:SCOPE_DEV
	v_cmpx_eq_u32_e32 0, v2
	s_cbranch_execz .LBB2_2083
; %bb.2082:                             ;   in Loop: Header=BB2_2050 Depth=3
	s_bcnt1_i32_b32 s73, s73
	s_delay_alu instid0(SALU_CYCLE_1)
	v_dual_mov_b32 v9, v3 :: v_dual_mov_b32 v8, s73
	s_wait_loadcnt 0x0
	ds_add_u64 v0, v[8:9]
	s_trap 2
.LBB2_2083:                             ;   in Loop: Header=BB2_2050 Depth=3
	s_or_b32 exec_lo, exec_lo, s72
	s_trap 2
	ds_load_b64 v[8:9], v0
	s_wait_dscnt 0x0
	v_add_nc_u64_e32 v[12:13], v[12:13], v[32:33]
	s_mov_b32 s72, exec_lo
	s_delay_alu instid0(VALU_DEP_1)
	v_cmpx_lt_u64_e64 v[8:9], v[12:13]
	s_cbranch_execz .LBB2_2092
; %bb.2084:                             ;   in Loop: Header=BB2_2050 Depth=3
	s_mov_b32 s73, 0
	s_mov_b32 s76, 0
                                        ; implicit-def: $sgpr74
                                        ; implicit-def: $sgpr75
	s_branch .LBB2_2086
.LBB2_2085:                             ;   in Loop: Header=BB2_2086 Depth=4
	s_or_b32 exec_lo, exec_lo, s78
	s_delay_alu instid0(SALU_CYCLE_1) | instskip(NEXT) | instid1(SALU_CYCLE_1)
	s_and_b32 s77, exec_lo, s79
	s_or_b32 s73, s77, s73
	s_and_not1_b32 s74, s74, exec_lo
	s_and_b32 s77, s75, exec_lo
	s_delay_alu instid0(SALU_CYCLE_1)
	s_or_b32 s74, s74, s77
	s_and_not1_b32 exec_lo, exec_lo, s73
	s_cbranch_execz .LBB2_2090
.LBB2_2086:                             ;   Parent Loop BB2_47 Depth=1
                                        ;     Parent Loop BB2_2047 Depth=2
                                        ;       Parent Loop BB2_2050 Depth=3
                                        ; =>      This Inner Loop Header: Depth=4
	s_add_co_i32 s76, s76, 1
	s_delay_alu instid0(SALU_CYCLE_1) | instskip(SKIP_1) | instid1(SALU_CYCLE_1)
	s_cmp_lg_u32 s76, 0x2710
	s_cselect_b32 s77, -1, 0
	s_and_b32 vcc_lo, exec_lo, s77
	s_cbranch_vccz .LBB2_2088
; %bb.2087:                             ;   in Loop: Header=BB2_2086 Depth=4
	s_mov_b32 s79, -1
	s_or_b32 s75, s75, exec_lo
	s_and_saveexec_b32 s78, s77
	s_cbranch_execz .LBB2_2085
	s_branch .LBB2_2089
.LBB2_2088:                             ;   in Loop: Header=BB2_2086 Depth=4
	s_trap 2
	ds_load_b64 v[8:9], v0
	s_and_not1_b32 s77, s77, exec_lo
	s_mov_b32 s76, 0
	s_wait_loadcnt_dscnt 0x0
	flat_load_b32 v2, v[8:9] scope:SCOPE_SYS
	s_wait_loadcnt_dscnt 0x0
	global_inv scope:SCOPE_SYS
	v_cmp_eq_u32_e32 vcc_lo, 0, v2
	s_and_b32 s78, vcc_lo, exec_lo
	s_delay_alu instid0(SALU_CYCLE_1)
	s_or_b32 s77, s77, s78
	s_mov_b32 s79, -1
	s_or_b32 s75, s75, exec_lo
	s_and_saveexec_b32 s78, s77
	s_cbranch_execz .LBB2_2085
.LBB2_2089:                             ;   in Loop: Header=BB2_2086 Depth=4
	s_sleep 1
	s_trap 2
	ds_load_b64 v[8:9], v0
	s_wait_dscnt 0x0
	s_and_not1_b32 s75, s75, exec_lo
	v_cmp_ge_u64_e32 vcc_lo, v[8:9], v[12:13]
	s_or_not1_b32 s79, vcc_lo, exec_lo
	s_branch .LBB2_2085
.LBB2_2090:                             ;   in Loop: Header=BB2_2050 Depth=3
	s_or_b32 exec_lo, exec_lo, s73
	s_and_saveexec_b32 s73, s74
	s_delay_alu instid0(SALU_CYCLE_1)
	s_xor_b32 s73, exec_lo, s73
	s_cbranch_execz .LBB2_2092
; %bb.2091:                             ;   in Loop: Header=BB2_2050 Depth=3
	ds_store_b32 v0, v110
	s_trap 2
.LBB2_2092:                             ;   in Loop: Header=BB2_2050 Depth=3
	s_or_b32 exec_lo, exec_lo, s72
	;;#ASMSTART
	s_wakeup
	;;#ASMEND
.LBB2_2093:                             ;   in Loop: Header=BB2_2050 Depth=3
	s_or_b32 exec_lo, exec_lo, s15
.LBB2_2094:                             ;   in Loop: Header=BB2_2050 Depth=3
	s_and_not1_saveexec_b32 s14, s14
	s_cbranch_execz .LBB2_2096
; %bb.2095:                             ;   in Loop: Header=BB2_2050 Depth=3
	global_wb scope:SCOPE_DEV
	s_wait_storecnt 0x0
	s_wait_loadcnt_dscnt 0x0
	global_inv scope:SCOPE_DEV
	s_barrier_signal -1
	s_barrier_wait -1
.LBB2_2096:                             ;   in Loop: Header=BB2_2050 Depth=3
	s_or_b32 exec_lo, exec_lo, s14
.LBB2_2097:                             ;   in Loop: Header=BB2_2050 Depth=3
	s_delay_alu instid0(SALU_CYCLE_1) | instskip(SKIP_4) | instid1(VALU_DEP_1)
	s_or_b32 exec_lo, exec_lo, s13
	s_trap 2
	ds_load_b32 v2, v0
	v_and_b32_e32 v8, 0x4000, v106
	s_xor_b32 s13, s1, -1
	v_cmp_ne_u32_e32 vcc_lo, 0, v8
	s_and_b32 s14, s13, vcc_lo
	s_delay_alu instid0(SALU_CYCLE_1)
	s_and_saveexec_b32 s13, s14
	s_cbranch_execz .LBB2_2116
; %bb.2098:                             ;   in Loop: Header=BB2_2050 Depth=3
	s_and_saveexec_b32 s14, s3
	s_delay_alu instid0(SALU_CYCLE_1)
	s_xor_b32 s14, exec_lo, s14
	s_cbranch_execz .LBB2_2113
; %bb.2099:                             ;   in Loop: Header=BB2_2050 Depth=3
	s_and_saveexec_b32 s15, s6
	s_cbranch_execz .LBB2_2112
; %bb.2100:                             ;   in Loop: Header=BB2_2050 Depth=3
	s_mov_b32 s73, exec_lo
	s_mov_b32 s72, exec_lo
	v_mbcnt_lo_u32_b32 v8, s73, 0
	global_wb scope:SCOPE_DEV
	s_wait_storecnt 0x0
	s_wait_loadcnt_dscnt 0x0
	global_inv scope:SCOPE_DEV
	v_cmpx_eq_u32_e32 0, v8
	s_cbranch_execz .LBB2_2102
; %bb.2101:                             ;   in Loop: Header=BB2_2050 Depth=3
	s_bcnt1_i32_b32 s73, s73
	s_delay_alu instid0(SALU_CYCLE_1)
	v_dual_mov_b32 v9, v3 :: v_dual_mov_b32 v8, s73
	s_wait_loadcnt 0x0
	ds_add_u64 v0, v[8:9]
	s_trap 2
.LBB2_2102:                             ;   in Loop: Header=BB2_2050 Depth=3
	s_or_b32 exec_lo, exec_lo, s72
	s_trap 2
	ds_load_b64 v[8:9], v0
	s_wait_dscnt 0x0
	v_add_nc_u64_e32 v[12:13], v[12:13], v[32:33]
	s_mov_b32 s72, exec_lo
	s_delay_alu instid0(VALU_DEP_1)
	v_cmpx_lt_u64_e64 v[8:9], v[12:13]
	s_cbranch_execz .LBB2_2111
; %bb.2103:                             ;   in Loop: Header=BB2_2050 Depth=3
	s_mov_b32 s73, 0
	s_mov_b32 s76, 0
                                        ; implicit-def: $sgpr74
                                        ; implicit-def: $sgpr75
	s_branch .LBB2_2105
.LBB2_2104:                             ;   in Loop: Header=BB2_2105 Depth=4
	s_or_b32 exec_lo, exec_lo, s78
	s_delay_alu instid0(SALU_CYCLE_1) | instskip(NEXT) | instid1(SALU_CYCLE_1)
	s_and_b32 s77, exec_lo, s79
	s_or_b32 s73, s77, s73
	s_and_not1_b32 s74, s74, exec_lo
	s_and_b32 s77, s75, exec_lo
	s_delay_alu instid0(SALU_CYCLE_1)
	s_or_b32 s74, s74, s77
	s_and_not1_b32 exec_lo, exec_lo, s73
	s_cbranch_execz .LBB2_2109
.LBB2_2105:                             ;   Parent Loop BB2_47 Depth=1
                                        ;     Parent Loop BB2_2047 Depth=2
                                        ;       Parent Loop BB2_2050 Depth=3
                                        ; =>      This Inner Loop Header: Depth=4
	s_add_co_i32 s76, s76, 1
	s_delay_alu instid0(SALU_CYCLE_1) | instskip(SKIP_1) | instid1(SALU_CYCLE_1)
	s_cmp_lg_u32 s76, 0x2710
	s_cselect_b32 s77, -1, 0
	s_and_b32 vcc_lo, exec_lo, s77
	s_cbranch_vccz .LBB2_2107
; %bb.2106:                             ;   in Loop: Header=BB2_2105 Depth=4
	s_mov_b32 s79, -1
	s_or_b32 s75, s75, exec_lo
	s_and_saveexec_b32 s78, s77
	s_cbranch_execz .LBB2_2104
	s_branch .LBB2_2108
.LBB2_2107:                             ;   in Loop: Header=BB2_2105 Depth=4
	s_trap 2
	ds_load_b64 v[8:9], v0
	s_and_not1_b32 s77, s77, exec_lo
	s_mov_b32 s76, 0
	s_wait_loadcnt_dscnt 0x0
	flat_load_b32 v8, v[8:9] scope:SCOPE_SYS
	s_wait_loadcnt_dscnt 0x0
	global_inv scope:SCOPE_SYS
	v_cmp_eq_u32_e32 vcc_lo, 0, v8
	s_and_b32 s78, vcc_lo, exec_lo
	s_delay_alu instid0(SALU_CYCLE_1)
	s_or_b32 s77, s77, s78
	s_mov_b32 s79, -1
	s_or_b32 s75, s75, exec_lo
	s_and_saveexec_b32 s78, s77
	s_cbranch_execz .LBB2_2104
.LBB2_2108:                             ;   in Loop: Header=BB2_2105 Depth=4
	s_sleep 1
	s_trap 2
	ds_load_b64 v[8:9], v0
	s_wait_dscnt 0x0
	s_and_not1_b32 s75, s75, exec_lo
	v_cmp_ge_u64_e32 vcc_lo, v[8:9], v[12:13]
	s_or_not1_b32 s79, vcc_lo, exec_lo
	s_branch .LBB2_2104
.LBB2_2109:                             ;   in Loop: Header=BB2_2050 Depth=3
	s_or_b32 exec_lo, exec_lo, s73
	s_and_saveexec_b32 s73, s74
	s_delay_alu instid0(SALU_CYCLE_1)
	s_xor_b32 s73, exec_lo, s73
	s_cbranch_execz .LBB2_2111
; %bb.2110:                             ;   in Loop: Header=BB2_2050 Depth=3
	ds_store_b32 v0, v110
	s_trap 2
.LBB2_2111:                             ;   in Loop: Header=BB2_2050 Depth=3
	s_or_b32 exec_lo, exec_lo, s72
	;;#ASMSTART
	s_wakeup
	;;#ASMEND
.LBB2_2112:                             ;   in Loop: Header=BB2_2050 Depth=3
	s_or_b32 exec_lo, exec_lo, s15
.LBB2_2113:                             ;   in Loop: Header=BB2_2050 Depth=3
	s_and_not1_saveexec_b32 s14, s14
	s_cbranch_execz .LBB2_2115
; %bb.2114:                             ;   in Loop: Header=BB2_2050 Depth=3
	global_wb scope:SCOPE_DEV
	s_wait_storecnt 0x0
	s_wait_loadcnt_dscnt 0x0
	global_inv scope:SCOPE_DEV
	s_barrier_signal -1
	s_barrier_wait -1
.LBB2_2115:                             ;   in Loop: Header=BB2_2050 Depth=3
	s_or_b32 exec_lo, exec_lo, s14
.LBB2_2116:                             ;   in Loop: Header=BB2_2050 Depth=3
	s_delay_alu instid0(SALU_CYCLE_1)
	s_or_b32 exec_lo, exec_lo, s13
	s_trap 2
	ds_load_b64 v[114:115], v0
	s_wait_dscnt 0x0
	v_cmp_eq_u64_e32 vcc_lo, 0, v[114:115]
	s_cbranch_vccnz .LBB2_2124
; %bb.2117:                             ;   in Loop: Header=BB2_2050 Depth=3
	s_trap 2
	ds_load_b64 v[116:117], v0
	s_wait_dscnt 0x0
	v_cmp_eq_u64_e32 vcc_lo, 0, v[116:117]
	s_cbranch_vccnz .LBB2_2124
; %bb.2118:                             ;   in Loop: Header=BB2_2050 Depth=3
	s_mov_b32 s13, -1
	s_and_saveexec_b32 s14, s11
	s_cbranch_execz .LBB2_2120
; %bb.2119:                             ;   in Loop: Header=BB2_2050 Depth=3
	ds_load_b32 v8, v0 offset:720
	s_wait_dscnt 0x0
	v_and_b32_e32 v8, 15, v8
	s_delay_alu instid0(VALU_DEP_1)
	v_cmp_eq_u32_e32 vcc_lo, 0, v8
	s_or_not1_b32 s13, vcc_lo, exec_lo
.LBB2_2120:                             ;   in Loop: Header=BB2_2050 Depth=3
	s_or_b32 exec_lo, exec_lo, s14
	s_and_saveexec_b32 s14, s10
	s_cbranch_execz .LBB2_2122
; %bb.2121:                             ;   in Loop: Header=BB2_2050 Depth=3
	ds_load_b32 v8, v0 offset:784
	s_wait_dscnt 0x0
	v_and_b32_e32 v8, 15, v8
	s_delay_alu instid0(VALU_DEP_1) | instskip(SKIP_3) | instid1(SALU_CYCLE_1)
	v_cmp_eq_u32_e32 vcc_lo, 0, v8
	s_and_b32 s15, s13, vcc_lo
	s_and_not1_b32 s13, s13, exec_lo
	s_and_b32 s15, s15, exec_lo
	s_or_b32 s13, s13, s15
.LBB2_2122:                             ;   in Loop: Header=BB2_2050 Depth=3
	s_or_b32 exec_lo, exec_lo, s14
	v_cmp_eq_u32_e32 vcc_lo, 0, v2
	s_xor_b32 s13, s13, -1
	s_mov_b32 s14, -1
	v_cndmask_b32_e64 v8, 0, 1, s13
	v_dual_mov_b32 v30, 0 :: v_dual_cndmask_b32 v101, 0, v100
	v_mov_b32_e32 v16, v0
	s_delay_alu instid0(VALU_DEP_3) | instskip(NEXT) | instid1(VALU_DEP_3)
	v_cmp_ne_u32_e32 vcc_lo, 0, v8
	v_mov_b32_e32 v93, v101
	s_cbranch_vccz .LBB2_2125
; %bb.2123:                             ;   in Loop: Header=BB2_2050 Depth=3
	s_and_saveexec_b32 s72, s14
	s_cbranch_execnz .LBB2_4264
	s_branch .LBB2_4990
.LBB2_2124:                             ;   in Loop: Header=BB2_2050 Depth=3
	s_mov_b32 s13, 0
	s_and_saveexec_b32 s14, s2
	s_cbranch_execnz .LBB2_4991
	s_branch .LBB2_5009
.LBB2_2125:                             ;   in Loop: Header=BB2_2050 Depth=3
	v_ashrrev_i32_e32 v2, 31, v101
	s_mov_b32 s15, exec_lo
	v_sub_nc_u32_e32 v58, v101, v38
	s_delay_alu instid0(VALU_DEP_2) | instskip(NEXT) | instid1(VALU_DEP_1)
	v_lshrrev_b32_e32 v2, 23, v2
	v_add_nc_u32_e32 v2, v101, v2
	s_delay_alu instid0(VALU_DEP_1) | instskip(NEXT) | instid1(VALU_DEP_1)
	v_and_b32_e32 v103, 0xfffffe00, v2
	v_dual_ashrrev_i32 v2, 9, v2 :: v_dual_sub_nc_u32 v59, v101, v103
	s_delay_alu instid0(VALU_DEP_1) | instskip(NEXT) | instid1(VALU_DEP_2)
	v_sub_nc_u32_e32 v2, v2, v109
	v_cmp_lt_i32_e64 s13, 15, v59
	s_delay_alu instid0(VALU_DEP_1)
	v_add_co_ci_u32_e64 v60, null, 0, v2, s13
	v_cmpx_lt_i32_e32 15, v58
	s_cbranch_execz .LBB2_3193
; %bb.2126:                             ;   in Loop: Header=BB2_2050 Depth=3
	s_trap 2
	ds_load_b64 v[8:9], v0
	v_add_nc_u64_e32 v[118:119], v[114:115], v[38:39]
	v_add_nc_u64_e32 v[40:41], v[116:117], v[38:39]
	s_wait_dscnt 0x0
	v_readfirstlane_b32 s72, v8
	v_readfirstlane_b32 s73, v9
	v_add_nc_u64_e32 v[42:43], v[8:9], v[38:39]
	s_and_b32 s74, s72, 3
	s_bfe_i32 s14, s72, 0x80000
	s_clz_i32_u32 s77, s74
	s_bfe_u32 s75, s72, 0x50002
	s_min_u32 s77, s77, 32
	s_and_b32 s76, s72, 0x7c
	s_sub_co_i32 s88, s77, 29
	s_lshl_b32 s78, s72, 24
	s_sext_i32_i8 s79, s72
	s_lshl_b64 s[72:73], s[72:73], s88
	s_and_b32 s78, s78, 0x80000000
	s_sub_co_i32 s73, 30, s77
	s_and_b32 s72, s72, 3
	s_cmp_gt_i32 s79, -1
	s_cselect_b32 s77, s47, 0xff800000
	s_cmp_eq_u32 s74, 0
	s_cselect_b32 s77, s77, 0x7f800001
	s_cmp_eq_u32 s75, 0
	s_cselect_b32 s73, s73, s75
	s_cselect_b32 s72, s72, s74
	s_lshl_b32 s73, s73, 23
	s_lshl_b32 s72, s72, 21
	s_add_co_i32 s73, s73, s78
	s_delay_alu instid0(SALU_CYCLE_1) | instskip(NEXT) | instid1(SALU_CYCLE_1)
	s_or_b32 s72, s73, s72
	s_add_co_i32 s73, s72, 0x38000000
	s_cmp_eq_u32 s76, 0x7c
	s_mov_b32 s72, 0
	s_cselect_b32 s73, s77, s73
	s_and_b32 s74, s14, 0xff
	s_branch .LBB2_2129
.LBB2_2127:                             ;   in Loop: Header=BB2_2129 Depth=4
	s_or_b32 exec_lo, exec_lo, s75
.LBB2_2128:                             ;   in Loop: Header=BB2_2129 Depth=4
	s_delay_alu instid0(SALU_CYCLE_1)
	s_or_b32 exec_lo, exec_lo, s14
	v_lshl_or_b32 v2, v57, 8, v56
	v_dual_lshlrev_b32 v9, 16, v79 :: v_dual_lshlrev_b32 v10, 24, v30
	v_lshl_or_b32 v11, v61, 8, v16
	v_dual_lshlrev_b32 v16, 16, v72 :: v_dual_lshlrev_b32 v18, 24, v75
	;; [unrolled: 2-line block ×3, first 2 shown]
	v_lshlrev_b32_e32 v47, 24, v8
	v_lshlrev_b32_e32 v44, 16, v44
	v_lshl_or_b32 v17, v46, 8, v17
	v_or3_b32 v9, v2, v9, v10
	v_or3_b32 v8, v11, v16, v18
	;; [unrolled: 1-line block ×3, first 2 shown]
	v_sub_nc_u32_e32 v58, v58, v52
	v_or3_b32 v11, v17, v44, v47
	v_add_nc_u64_e32 v[118:119], v[118:119], v[52:53]
	v_add_nc_u64_e32 v[42:43], v[42:43], v[52:53]
	v_sub_nc_u32_e32 v60, v60, v32
	v_cmp_gt_i32_e32 vcc_lo, 16, v58
	global_store_b128 v[40:41], v[8:11], off th:TH_STORE_NT
	s_wait_xcnt 0x0
	v_add_nc_u64_e32 v[40:41], v[40:41], v[52:53]
	s_or_b32 s72, vcc_lo, s72
	s_delay_alu instid0(SALU_CYCLE_1)
	s_and_not1_b32 exec_lo, exec_lo, s72
	s_cbranch_execz .LBB2_3192
.LBB2_2129:                             ;   Parent Loop BB2_47 Depth=1
                                        ;     Parent Loop BB2_2047 Depth=2
                                        ;       Parent Loop BB2_2050 Depth=3
                                        ; =>      This Inner Loop Header: Depth=4
	s_cmp_lt_i32 s74, 0x80
	s_cbranch_scc1 .LBB2_2133
; %bb.2130:                             ;   in Loop: Header=BB2_2129 Depth=4
	s_and_b32 s14, 0xffff, s74
	s_delay_alu instid0(SALU_CYCLE_1)
	s_cmp_eq_u32 s14, 0x80
	s_mov_b32 s14, -1
	s_cbranch_scc0 .LBB2_2132
; %bb.2131:                             ;   in Loop: Header=BB2_2129 Depth=4
	s_mov_b32 s14, 0
.LBB2_2132:                             ;   in Loop: Header=BB2_2129 Depth=4
	s_brev_b32 s75, 1
	s_branch .LBB2_2135
.LBB2_2133:                             ;   in Loop: Header=BB2_2129 Depth=4
	s_mov_b32 s14, 0
	s_brev_b32 s75, 1
	s_cbranch_execz .LBB2_2135
; %bb.2134:                             ;   in Loop: Header=BB2_2129 Depth=4
	s_and_b32 s14, 0xffff, s74
	s_mov_b32 s75, 0
	s_cmp_lg_u32 s14, 0
	s_cselect_b32 s14, -1, 0
.LBB2_2135:                             ;   in Loop: Header=BB2_2129 Depth=4
	s_delay_alu instid0(SALU_CYCLE_1)
	s_and_not1_b32 vcc_lo, exec_lo, s14
	s_cbranch_vccnz .LBB2_2137
; %bb.2136:                             ;   in Loop: Header=BB2_2129 Depth=4
	s_mov_b32 s75, s73
.LBB2_2137:                             ;   in Loop: Header=BB2_2129 Depth=4
	global_load_b128 v[8:11], v[118:119], off th:TH_LOAD_NT
	s_wait_loadcnt 0x0
	v_and_b32_e32 v2, 0xff, v8
	s_delay_alu instid0(VALU_DEP_1)
	v_cmp_ne_u16_e32 vcc_lo, 0, v2
	v_mov_b32_e32 v2, 0
	s_wait_xcnt 0x0
	s_and_saveexec_b32 s14, vcc_lo
	s_cbranch_execz .LBB2_2147
; %bb.2138:                             ;   in Loop: Header=BB2_2129 Depth=4
	v_bfe_i32 v17, v8, 0, 8
	v_bfrev_b32_e32 v2, 1
	s_mov_b32 s76, exec_lo
	s_delay_alu instid0(VALU_DEP_2)
	v_cmpx_ne_u16_e32 0xff80, v17
	s_cbranch_execz .LBB2_2146
; %bb.2139:                             ;   in Loop: Header=BB2_2129 Depth=4
	v_and_b32_e32 v2, 0x7c, v8
	v_and_b32_e32 v16, 3, v8
	s_delay_alu instid0(VALU_DEP_2) | instskip(SKIP_1) | instid1(SALU_CYCLE_1)
	v_cmp_ne_u32_e32 vcc_lo, 0x7c, v2
                                        ; implicit-def: $vgpr2
	s_and_saveexec_b32 s77, vcc_lo
	s_xor_b32 s77, exec_lo, s77
	s_cbranch_execz .LBB2_2143
; %bb.2140:                             ;   in Loop: Header=BB2_2129 Depth=4
	v_bfe_u32 v2, v8, 2, 5
	s_mov_b32 s78, exec_lo
	s_delay_alu instid0(VALU_DEP_1)
	v_cmpx_eq_u32_e32 0, v2
; %bb.2141:                             ;   in Loop: Header=BB2_2129 Depth=4
	v_clz_i32_u32_e32 v2, v16
	s_delay_alu instid0(VALU_DEP_1) | instskip(NEXT) | instid1(VALU_DEP_1)
	v_min_u32_e32 v2, 32, v2
	v_subrev_nc_u32_e32 v16, 29, v2
	s_delay_alu instid0(VALU_DEP_1) | instskip(NEXT) | instid1(VALU_DEP_1)
	v_lshlrev_b64_e32 v[16:17], v16, v[8:9]
	v_dual_sub_nc_u32 v2, 30, v2 :: v_dual_bitop2_b32 v16, 3, v16 bitop3:0x40
; %bb.2142:                             ;   in Loop: Header=BB2_2129 Depth=4
	s_or_b32 exec_lo, exec_lo, s78
	v_lshlrev_b32_e32 v17, 24, v8
	s_delay_alu instid0(VALU_DEP_1) | instskip(NEXT) | instid1(VALU_DEP_1)
	v_and_b32_e32 v17, 0x80000000, v17
	v_lshl_add_u32 v2, v2, 23, v17
                                        ; implicit-def: $vgpr17
	s_delay_alu instid0(VALU_DEP_1) | instskip(NEXT) | instid1(VALU_DEP_1)
	v_lshl_or_b32 v2, v16, 21, v2
                                        ; implicit-def: $vgpr16
	v_add_nc_u32_e32 v2, 0x38000000, v2
.LBB2_2143:                             ;   in Loop: Header=BB2_2129 Depth=4
	s_and_not1_saveexec_b32 s77, s77
; %bb.2144:                             ;   in Loop: Header=BB2_2129 Depth=4
	v_cmp_lt_i16_e32 vcc_lo, -1, v17
	v_cndmask_b32_e32 v2, 0xff800000, v111, vcc_lo
	v_cmp_eq_u32_e32 vcc_lo, 0, v16
	s_delay_alu instid0(VALU_DEP_2)
	v_cndmask_b32_e32 v2, 0x7f800001, v2, vcc_lo
; %bb.2145:                             ;   in Loop: Header=BB2_2129 Depth=4
	s_or_b32 exec_lo, exec_lo, s77
.LBB2_2146:                             ;   in Loop: Header=BB2_2129 Depth=4
	s_delay_alu instid0(SALU_CYCLE_1)
	s_or_b32 exec_lo, exec_lo, s76
.LBB2_2147:                             ;   in Loop: Header=BB2_2129 Depth=4
	s_delay_alu instid0(SALU_CYCLE_1) | instskip(NEXT) | instid1(VALU_DEP_1)
	s_or_b32 exec_lo, exec_lo, s14
	v_dual_mul_f32 v30, s75, v2 :: v_dual_mov_b32 v17, v3
	s_delay_alu instid0(VALU_DEP_1) | instskip(SKIP_1) | instid1(VALU_DEP_2)
	v_and_b32_e32 v16, 0x7f800000, v30
	v_and_b32_e32 v2, 0x7fffff, v30
	v_cmp_ne_u64_e32 vcc_lo, 0x7f800000, v[16:17]
	v_lshrrev_b32_e32 v17, 24, v30
                                        ; implicit-def: $vgpr16
	s_and_saveexec_b32 s14, vcc_lo
	s_delay_alu instid0(SALU_CYCLE_1)
	s_xor_b32 s76, exec_lo, s14
	s_cbranch_execz .LBB2_2161
; %bb.2148:                             ;   in Loop: Header=BB2_2129 Depth=4
	v_and_b32_e32 v18, 0x7fffffff, v30
	v_mov_b32_e32 v19, v3
	v_and_b32_e32 v17, 0x80, v17
                                        ; implicit-def: $vgpr16
	s_mov_b32 s14, exec_lo
	s_delay_alu instid0(VALU_DEP_2)
	v_cmpx_gt_u64_e32 0x47600001, v[18:19]
	s_xor_b32 s77, exec_lo, s14
	s_cbranch_execz .LBB2_2158
; %bb.2149:                             ;   in Loop: Header=BB2_2129 Depth=4
	v_mov_b32_e32 v16, 0
	s_mov_b32 s78, exec_lo
	v_cmpx_ne_u32_e32 0, v30
	s_cbranch_execz .LBB2_2157
; %bb.2150:                             ;   in Loop: Header=BB2_2129 Depth=4
	v_bfe_u32 v16, v30, 23, 8
	v_or_b32_e32 v44, 0x800000, v2
	s_delay_alu instid0(VALU_DEP_2) | instskip(SKIP_1) | instid1(VALU_DEP_2)
	v_sub_nc_u32_e32 v18, 0x71, v16
	v_cmp_gt_u32_e32 vcc_lo, 0x72, v16
	v_cndmask_b32_e32 v18, 0, v18, vcc_lo
	v_cmp_eq_u32_e32 vcc_lo, 0, v16
	s_delay_alu instid0(VALU_DEP_2) | instskip(SKIP_1) | instid1(VALU_DEP_2)
	v_cndmask_b32_e64 v30, v18, 0x70, vcc_lo
	v_cndmask_b32_e32 v2, v44, v2, vcc_lo
	v_dual_add_nc_u32 v18, 21, v30 :: v_dual_add_nc_u32 v45, 20, v30
	s_delay_alu instid0(VALU_DEP_1) | instskip(NEXT) | instid1(VALU_DEP_2)
	v_lshlrev_b64_e64 v[18:19], v18, -1
	v_lshlrev_b64_e64 v[46:47], v45, 1
	s_delay_alu instid0(VALU_DEP_4) | instskip(NEXT) | instid1(VALU_DEP_3)
	v_lshrrev_b64 v[44:45], v30, v[2:3]
	v_bfi_b32 v19, v19, 0, 0
	s_delay_alu instid0(VALU_DEP_4) | instskip(NEXT) | instid1(VALU_DEP_1)
	v_bfi_b32 v18, v18, 0, v2
	v_cmp_eq_u64_e64 s14, v[18:19], v[46:47]
	s_delay_alu instid0(VALU_DEP_4)
	v_mov_b64_e32 v[46:47], v[44:45]
	s_and_saveexec_b32 s79, s14
; %bb.2151:                             ;   in Loop: Header=BB2_2129 Depth=4
	v_bfe_u32 v2, v44, 21, 1
	s_delay_alu instid0(VALU_DEP_1) | instskip(NEXT) | instid1(VALU_DEP_1)
	v_add_nc_u64_e32 v[18:19], v[44:45], v[2:3]
	v_add_nc_u64_e32 v[46:47], -1, v[18:19]
; %bb.2152:                             ;   in Loop: Header=BB2_2129 Depth=4
	s_or_b32 exec_lo, exec_lo, s79
	v_add_nc_u32_e32 v2, 0xffffff81, v16
	v_lshrrev_b32_e32 v16, 23, v44
	s_mov_b32 s14, exec_lo
	s_delay_alu instid0(VALU_DEP_2) | instskip(NEXT) | instid1(VALU_DEP_1)
	v_cndmask_b32_e64 v2, v2, 0xffffff82, vcc_lo
	v_add3_u32 v30, v30, v2, v16
	v_and_b32_e32 v2, 0x1fffff, v46
                                        ; implicit-def: $vgpr16
	s_delay_alu instid0(VALU_DEP_1) | instskip(NEXT) | instid1(VALU_DEP_1)
	v_dual_add_nc_u32 v46, 14, v30 :: v_dual_add_nc_u32 v2, v2, v44
                                        ; implicit-def: $vgpr44_vgpr45
	v_cmpx_ne_u32_e32 0, v46
	s_xor_b32 s14, exec_lo, s14
; %bb.2153:                             ;   in Loop: Header=BB2_2129 Depth=4
	s_delay_alu instid0(VALU_DEP_2) | instskip(SKIP_2) | instid1(VALU_DEP_2)
	v_cmp_lt_u64_e32 vcc_lo, 0xffffff, v[2:3]
	v_add_nc_u32_e32 v16, 15, v30
	v_cndmask_b32_e64 v18, 0, 1, vcc_lo
	v_cndmask_b32_e32 v16, v46, v16, vcc_lo
	s_delay_alu instid0(VALU_DEP_2)
	v_lshrrev_b64 v[44:45], v18, v[2:3]
; %bb.2154:                             ;   in Loop: Header=BB2_2129 Depth=4
	s_and_not1_saveexec_b32 s14, s14
; %bb.2155:                             ;   in Loop: Header=BB2_2129 Depth=4
	v_mov_b64_e32 v[44:45], v[2:3]
	v_bfe_u32 v16, v2, 23, 1
; %bb.2156:                             ;   in Loop: Header=BB2_2129 Depth=4
	s_or_b32 exec_lo, exec_lo, s14
	s_delay_alu instid0(VALU_DEP_2) | instskip(NEXT) | instid1(VALU_DEP_2)
	v_lshrrev_b64 v[18:19], 21, v[44:45]
	v_cmp_gt_i32_e32 vcc_lo, 32, v16
	v_min_i32_e32 v2, 31, v16
	v_cmp_eq_u32_e64 s14, 0, v16
	s_delay_alu instid0(VALU_DEP_2) | instskip(SKIP_1) | instid1(VALU_DEP_2)
	v_dual_cndmask_b32 v19, 0, v19 :: v_dual_lshlrev_b32 v2, 2, v2
	v_cndmask_b32_e32 v18, 3, v18, vcc_lo
	v_and_b32_e32 v2, 0xfc, v2
	s_delay_alu instid0(VALU_DEP_2) | instskip(NEXT) | instid1(VALU_DEP_2)
	v_cmp_eq_u64_e32 vcc_lo, 0, v[18:19]
	v_and_or_b32 v2, v18, 3, v2
	s_and_b32 s14, s14, vcc_lo
	s_delay_alu instid0(VALU_DEP_1) | instid1(SALU_CYCLE_1)
	v_cndmask_b32_e64 v2, v2, 0, s14
	s_delay_alu instid0(VALU_DEP_1)
	v_or_b32_e32 v16, v2, v17
.LBB2_2157:                             ;   in Loop: Header=BB2_2129 Depth=4
	s_or_b32 exec_lo, exec_lo, s78
                                        ; implicit-def: $vgpr17
.LBB2_2158:                             ;   in Loop: Header=BB2_2129 Depth=4
	s_and_not1_saveexec_b32 s14, s77
; %bb.2159:                             ;   in Loop: Header=BB2_2129 Depth=4
	v_or_b32_e32 v16, 0x7b, v17
; %bb.2160:                             ;   in Loop: Header=BB2_2129 Depth=4
	s_or_b32 exec_lo, exec_lo, s14
                                        ; implicit-def: $vgpr30
                                        ; implicit-def: $vgpr17
.LBB2_2161:                             ;   in Loop: Header=BB2_2129 Depth=4
	s_and_not1_saveexec_b32 s14, s76
	s_cbranch_execz .LBB2_2167
; %bb.2162:                             ;   in Loop: Header=BB2_2129 Depth=4
	s_mov_b32 s76, exec_lo
                                        ; implicit-def: $vgpr16
	v_cmpx_ne_u64_e32 0, v[2:3]
	s_xor_b32 s76, exec_lo, s76
; %bb.2163:                             ;   in Loop: Header=BB2_2129 Depth=4
	v_or_b32_e32 v16, 0x7f, v17
                                        ; implicit-def: $vgpr30
; %bb.2164:                             ;   in Loop: Header=BB2_2129 Depth=4
	s_and_not1_saveexec_b32 s76, s76
; %bb.2165:                             ;   in Loop: Header=BB2_2129 Depth=4
	v_cmp_lt_i32_e32 vcc_lo, -1, v30
	v_cndmask_b32_e32 v16, 0xfc, v120, vcc_lo
; %bb.2166:                             ;   in Loop: Header=BB2_2129 Depth=4
	s_or_b32 exec_lo, exec_lo, s76
.LBB2_2167:                             ;   in Loop: Header=BB2_2129 Depth=4
	s_delay_alu instid0(SALU_CYCLE_1) | instskip(SKIP_3) | instid1(VALU_DEP_2)
	s_or_b32 exec_lo, exec_lo, s14
	v_lshrrev_b16 v2, 8, v8
	v_mov_b32_e32 v30, 0
	s_mov_b32 s14, exec_lo
	v_cmpx_ne_u16_e32 0, v2
	s_cbranch_execz .LBB2_2177
; %bb.2168:                             ;   in Loop: Header=BB2_2129 Depth=4
	v_bfrev_b32_e32 v30, 1
	s_mov_b32 s76, exec_lo
	v_cmpx_ne_u16_e32 0x80, v2
	s_cbranch_execz .LBB2_2176
; %bb.2169:                             ;   in Loop: Header=BB2_2129 Depth=4
	v_and_b32_e32 v44, 0xffff, v2
	s_mov_b32 s77, exec_lo
                                        ; implicit-def: $vgpr30
	s_delay_alu instid0(VALU_DEP_1) | instskip(SKIP_1) | instid1(VALU_DEP_2)
	v_and_b32_e32 v18, 0x7c, v44
	v_and_b32_e32 v17, 3, v44
	v_cmpx_ne_u32_e32 0x7c, v18
	s_xor_b32 s77, exec_lo, s77
	s_cbranch_execz .LBB2_2173
; %bb.2170:                             ;   in Loop: Header=BB2_2129 Depth=4
	v_bfe_u32 v30, v44, 2, 5
	s_mov_b32 s78, exec_lo
	s_delay_alu instid0(VALU_DEP_1)
	v_cmpx_eq_u32_e32 0, v30
; %bb.2171:                             ;   in Loop: Header=BB2_2129 Depth=4
	v_clz_i32_u32_e32 v17, v17
	s_delay_alu instid0(VALU_DEP_1) | instskip(NEXT) | instid1(VALU_DEP_1)
	v_min_u32_e32 v17, 32, v17
	v_subrev_nc_u32_e32 v18, 29, v17
	s_delay_alu instid0(VALU_DEP_1) | instskip(NEXT) | instid1(VALU_DEP_1)
	v_lshlrev_b64_e32 v[18:19], v18, v[2:3]
	v_dual_sub_nc_u32 v30, 30, v17 :: v_dual_bitop2_b32 v17, 3, v18 bitop3:0x40
; %bb.2172:                             ;   in Loop: Header=BB2_2129 Depth=4
	s_or_b32 exec_lo, exec_lo, s78
	v_lshlrev_b32_e32 v2, 16, v8
	s_delay_alu instid0(VALU_DEP_1) | instskip(NEXT) | instid1(VALU_DEP_1)
	v_and_b32_e32 v2, 0x80000000, v2
	v_lshl_add_u32 v2, v30, 23, v2
	s_delay_alu instid0(VALU_DEP_1) | instskip(NEXT) | instid1(VALU_DEP_1)
	v_lshl_or_b32 v2, v17, 21, v2
                                        ; implicit-def: $vgpr17
	v_add_nc_u32_e32 v30, 0x38000000, v2
.LBB2_2173:                             ;   in Loop: Header=BB2_2129 Depth=4
	s_and_not1_saveexec_b32 s77, s77
; %bb.2174:                             ;   in Loop: Header=BB2_2129 Depth=4
	v_cmp_lt_i16_e32 vcc_lo, -1, v8
	v_cndmask_b32_e32 v2, 0xff800000, v111, vcc_lo
	v_cmp_eq_u32_e32 vcc_lo, 0, v17
	s_delay_alu instid0(VALU_DEP_2)
	v_cndmask_b32_e32 v30, 0x7f800001, v2, vcc_lo
; %bb.2175:                             ;   in Loop: Header=BB2_2129 Depth=4
	s_or_b32 exec_lo, exec_lo, s77
.LBB2_2176:                             ;   in Loop: Header=BB2_2129 Depth=4
	s_delay_alu instid0(SALU_CYCLE_1)
	s_or_b32 exec_lo, exec_lo, s76
.LBB2_2177:                             ;   in Loop: Header=BB2_2129 Depth=4
	s_delay_alu instid0(SALU_CYCLE_1) | instskip(NEXT) | instid1(VALU_DEP_1)
	s_or_b32 exec_lo, exec_lo, s14
	v_dual_mul_f32 v44, s75, v30 :: v_dual_mov_b32 v19, v3
                                        ; implicit-def: $vgpr30
	s_mov_b32 s14, exec_lo
	s_delay_alu instid0(VALU_DEP_1) | instskip(SKIP_2) | instid1(VALU_DEP_3)
	v_and_b32_e32 v18, 0x7f800000, v44
	v_and_b32_e32 v2, 0x7fffff, v44
	v_lshrrev_b32_e32 v17, 24, v44
	v_cmpx_ne_u64_e32 0x7f800000, v[18:19]
	s_xor_b32 s76, exec_lo, s14
	s_cbranch_execz .LBB2_2191
; %bb.2178:                             ;   in Loop: Header=BB2_2129 Depth=4
	v_and_b32_e32 v18, 0x7fffffff, v44
	v_mov_b32_e32 v19, v3
	v_and_b32_e32 v17, 0x80, v17
                                        ; implicit-def: $vgpr30
	s_mov_b32 s14, exec_lo
	s_delay_alu instid0(VALU_DEP_2)
	v_cmpx_gt_u64_e32 0x47600001, v[18:19]
	s_xor_b32 s77, exec_lo, s14
	s_cbranch_execz .LBB2_2188
; %bb.2179:                             ;   in Loop: Header=BB2_2129 Depth=4
	v_mov_b32_e32 v30, 0
	s_mov_b32 s78, exec_lo
	v_cmpx_ne_u32_e32 0, v44
	s_cbranch_execz .LBB2_2187
; %bb.2180:                             ;   in Loop: Header=BB2_2129 Depth=4
	v_bfe_u32 v30, v44, 23, 8
	v_or_b32_e32 v44, 0x800000, v2
	s_delay_alu instid0(VALU_DEP_2) | instskip(SKIP_1) | instid1(VALU_DEP_2)
	v_sub_nc_u32_e32 v18, 0x71, v30
	v_cmp_gt_u32_e32 vcc_lo, 0x72, v30
	v_cndmask_b32_e32 v18, 0, v18, vcc_lo
	v_cmp_eq_u32_e32 vcc_lo, 0, v30
	s_delay_alu instid0(VALU_DEP_2) | instskip(NEXT) | instid1(VALU_DEP_1)
	v_cndmask_b32_e64 v56, v18, 0x70, vcc_lo
	v_dual_cndmask_b32 v2, v44, v2, vcc_lo :: v_dual_add_nc_u32 v18, 21, v56
	v_add_nc_u32_e32 v45, 20, v56
	s_delay_alu instid0(VALU_DEP_2) | instskip(NEXT) | instid1(VALU_DEP_2)
	v_lshlrev_b64_e64 v[18:19], v18, -1
	v_lshlrev_b64_e64 v[46:47], v45, 1
	s_delay_alu instid0(VALU_DEP_4) | instskip(NEXT) | instid1(VALU_DEP_3)
	v_lshrrev_b64 v[44:45], v56, v[2:3]
	v_bfi_b32 v19, v19, 0, 0
	s_delay_alu instid0(VALU_DEP_4) | instskip(NEXT) | instid1(VALU_DEP_1)
	v_bfi_b32 v18, v18, 0, v2
	v_cmp_eq_u64_e64 s14, v[18:19], v[46:47]
	s_delay_alu instid0(VALU_DEP_4)
	v_mov_b64_e32 v[46:47], v[44:45]
	s_and_saveexec_b32 s79, s14
; %bb.2181:                             ;   in Loop: Header=BB2_2129 Depth=4
	v_bfe_u32 v2, v44, 21, 1
	s_delay_alu instid0(VALU_DEP_1) | instskip(NEXT) | instid1(VALU_DEP_1)
	v_add_nc_u64_e32 v[18:19], v[44:45], v[2:3]
	v_add_nc_u64_e32 v[46:47], -1, v[18:19]
; %bb.2182:                             ;   in Loop: Header=BB2_2129 Depth=4
	s_or_b32 exec_lo, exec_lo, s79
	v_add_nc_u32_e32 v2, 0xffffff81, v30
	v_lshrrev_b32_e32 v18, 23, v44
	s_mov_b32 s14, exec_lo
                                        ; implicit-def: $vgpr30
	s_delay_alu instid0(VALU_DEP_2) | instskip(NEXT) | instid1(VALU_DEP_1)
	v_cndmask_b32_e64 v2, v2, 0xffffff82, vcc_lo
	v_add3_u32 v47, v56, v2, v18
	v_and_b32_e32 v2, 0x1fffff, v46
	s_delay_alu instid0(VALU_DEP_1) | instskip(NEXT) | instid1(VALU_DEP_1)
	v_dual_add_nc_u32 v46, 14, v47 :: v_dual_add_nc_u32 v2, v2, v44
                                        ; implicit-def: $vgpr44_vgpr45
	v_cmpx_ne_u32_e32 0, v46
	s_xor_b32 s14, exec_lo, s14
; %bb.2183:                             ;   in Loop: Header=BB2_2129 Depth=4
	s_delay_alu instid0(VALU_DEP_2) | instskip(SKIP_1) | instid1(VALU_DEP_1)
	v_cmp_lt_u64_e32 vcc_lo, 0xffffff, v[2:3]
	v_add_nc_u32_e32 v18, 15, v47
	v_cndmask_b32_e32 v30, v46, v18, vcc_lo
	v_cndmask_b32_e64 v18, 0, 1, vcc_lo
	s_delay_alu instid0(VALU_DEP_1)
	v_lshrrev_b64 v[44:45], v18, v[2:3]
; %bb.2184:                             ;   in Loop: Header=BB2_2129 Depth=4
	s_and_not1_saveexec_b32 s14, s14
; %bb.2185:                             ;   in Loop: Header=BB2_2129 Depth=4
	v_mov_b64_e32 v[44:45], v[2:3]
	v_bfe_u32 v30, v2, 23, 1
; %bb.2186:                             ;   in Loop: Header=BB2_2129 Depth=4
	s_or_b32 exec_lo, exec_lo, s14
	s_delay_alu instid0(VALU_DEP_2) | instskip(NEXT) | instid1(VALU_DEP_2)
	v_lshrrev_b64 v[18:19], 21, v[44:45]
	v_cmp_gt_i32_e32 vcc_lo, 32, v30
	v_min_i32_e32 v2, 31, v30
	v_cmp_eq_u32_e64 s14, 0, v30
	s_delay_alu instid0(VALU_DEP_2) | instskip(SKIP_1) | instid1(VALU_DEP_2)
	v_dual_cndmask_b32 v19, 0, v19 :: v_dual_lshlrev_b32 v2, 2, v2
	v_cndmask_b32_e32 v18, 3, v18, vcc_lo
	v_and_b32_e32 v2, 0xfc, v2
	s_delay_alu instid0(VALU_DEP_2) | instskip(NEXT) | instid1(VALU_DEP_2)
	v_cmp_eq_u64_e32 vcc_lo, 0, v[18:19]
	v_and_or_b32 v2, v18, 3, v2
	s_and_b32 s14, s14, vcc_lo
	s_delay_alu instid0(VALU_DEP_1) | instid1(SALU_CYCLE_1)
	v_cndmask_b32_e64 v2, v2, 0, s14
	s_delay_alu instid0(VALU_DEP_1)
	v_or_b32_e32 v30, v2, v17
.LBB2_2187:                             ;   in Loop: Header=BB2_2129 Depth=4
	s_or_b32 exec_lo, exec_lo, s78
                                        ; implicit-def: $vgpr17
.LBB2_2188:                             ;   in Loop: Header=BB2_2129 Depth=4
	s_and_not1_saveexec_b32 s14, s77
; %bb.2189:                             ;   in Loop: Header=BB2_2129 Depth=4
	v_or_b32_e32 v30, 0x7b, v17
; %bb.2190:                             ;   in Loop: Header=BB2_2129 Depth=4
	s_or_b32 exec_lo, exec_lo, s14
                                        ; implicit-def: $vgpr44
                                        ; implicit-def: $vgpr17
.LBB2_2191:                             ;   in Loop: Header=BB2_2129 Depth=4
	s_and_not1_saveexec_b32 s14, s76
	s_cbranch_execz .LBB2_2197
; %bb.2192:                             ;   in Loop: Header=BB2_2129 Depth=4
	s_mov_b32 s76, exec_lo
                                        ; implicit-def: $vgpr30
	v_cmpx_ne_u64_e32 0, v[2:3]
	s_xor_b32 s76, exec_lo, s76
; %bb.2193:                             ;   in Loop: Header=BB2_2129 Depth=4
	v_or_b32_e32 v30, 0x7f, v17
                                        ; implicit-def: $vgpr44
; %bb.2194:                             ;   in Loop: Header=BB2_2129 Depth=4
	s_and_not1_saveexec_b32 s76, s76
; %bb.2195:                             ;   in Loop: Header=BB2_2129 Depth=4
	v_cmp_lt_i32_e32 vcc_lo, -1, v44
	v_cndmask_b32_e32 v30, 0xfc, v120, vcc_lo
; %bb.2196:                             ;   in Loop: Header=BB2_2129 Depth=4
	s_or_b32 exec_lo, exec_lo, s76
.LBB2_2197:                             ;   in Loop: Header=BB2_2129 Depth=4
	s_delay_alu instid0(SALU_CYCLE_1) | instskip(SKIP_2) | instid1(VALU_DEP_1)
	s_or_b32 exec_lo, exec_lo, s14
	v_dual_mov_b32 v17, 0 :: v_dual_lshrrev_b32 v2, 16, v8
	s_mov_b32 s14, exec_lo
	v_and_b32_e32 v44, 0xff, v2
	s_delay_alu instid0(VALU_DEP_1)
	v_cmpx_ne_u16_e32 0, v44
	s_cbranch_execz .LBB2_2207
; %bb.2198:                             ;   in Loop: Header=BB2_2129 Depth=4
	v_bfrev_b32_e32 v17, 1
	s_mov_b32 s76, exec_lo
	v_cmpx_ne_u16_e32 0x80, v44
	s_cbranch_execz .LBB2_2206
; %bb.2199:                             ;   in Loop: Header=BB2_2129 Depth=4
	v_and_b32_e32 v17, 0x7c0000, v8
	v_bfe_u32 v44, v8, 16, 2
	s_delay_alu instid0(VALU_DEP_2) | instskip(SKIP_1) | instid1(SALU_CYCLE_1)
	v_cmp_ne_u32_e32 vcc_lo, 0x7c0000, v17
                                        ; implicit-def: $vgpr17
	s_and_saveexec_b32 s77, vcc_lo
	s_xor_b32 s77, exec_lo, s77
	s_cbranch_execz .LBB2_2203
; %bb.2200:                             ;   in Loop: Header=BB2_2129 Depth=4
	v_bfe_u32 v17, v8, 18, 5
	s_mov_b32 s78, exec_lo
	s_delay_alu instid0(VALU_DEP_1)
	v_cmpx_eq_u32_e32 0, v17
; %bb.2201:                             ;   in Loop: Header=BB2_2129 Depth=4
	v_clz_i32_u32_e32 v17, v44
	s_delay_alu instid0(VALU_DEP_1) | instskip(NEXT) | instid1(VALU_DEP_1)
	v_min_u32_e32 v17, 32, v17
	v_subrev_nc_u32_e32 v18, 29, v17
	s_delay_alu instid0(VALU_DEP_1) | instskip(NEXT) | instid1(VALU_DEP_1)
	v_lshlrev_b64_e32 v[18:19], v18, v[2:3]
	v_dual_sub_nc_u32 v17, 30, v17 :: v_dual_bitop2_b32 v44, 3, v18 bitop3:0x40
; %bb.2202:                             ;   in Loop: Header=BB2_2129 Depth=4
	s_or_b32 exec_lo, exec_lo, s78
	v_lshlrev_b32_e32 v2, 24, v2
	s_delay_alu instid0(VALU_DEP_1) | instskip(NEXT) | instid1(VALU_DEP_1)
	v_and_b32_e32 v2, 0x80000000, v2
	v_lshl_add_u32 v2, v17, 23, v2
	s_delay_alu instid0(VALU_DEP_1) | instskip(NEXT) | instid1(VALU_DEP_1)
	v_lshl_or_b32 v2, v44, 21, v2
                                        ; implicit-def: $vgpr44
	v_add_nc_u32_e32 v17, 0x38000000, v2
                                        ; implicit-def: $vgpr2
.LBB2_2203:                             ;   in Loop: Header=BB2_2129 Depth=4
	s_and_not1_saveexec_b32 s77, s77
; %bb.2204:                             ;   in Loop: Header=BB2_2129 Depth=4
	v_bfe_i32 v2, v2, 0, 8
	s_delay_alu instid0(VALU_DEP_1) | instskip(SKIP_2) | instid1(VALU_DEP_2)
	v_cmp_lt_i16_e32 vcc_lo, -1, v2
	v_cndmask_b32_e32 v2, 0xff800000, v111, vcc_lo
	v_cmp_eq_u32_e32 vcc_lo, 0, v44
	v_cndmask_b32_e32 v17, 0x7f800001, v2, vcc_lo
; %bb.2205:                             ;   in Loop: Header=BB2_2129 Depth=4
	s_or_b32 exec_lo, exec_lo, s77
.LBB2_2206:                             ;   in Loop: Header=BB2_2129 Depth=4
	s_delay_alu instid0(SALU_CYCLE_1)
	s_or_b32 exec_lo, exec_lo, s76
.LBB2_2207:                             ;   in Loop: Header=BB2_2129 Depth=4
	s_delay_alu instid0(SALU_CYCLE_1) | instskip(NEXT) | instid1(VALU_DEP_1)
	s_or_b32 exec_lo, exec_lo, s14
	v_dual_mul_f32 v44, s75, v17 :: v_dual_mov_b32 v19, v3
                                        ; implicit-def: $vgpr61
	s_mov_b32 s14, exec_lo
	s_delay_alu instid0(VALU_DEP_1) | instskip(SKIP_2) | instid1(VALU_DEP_3)
	v_and_b32_e32 v18, 0x7f800000, v44
	v_and_b32_e32 v2, 0x7fffff, v44
	v_lshrrev_b32_e32 v17, 24, v44
	v_cmpx_ne_u64_e32 0x7f800000, v[18:19]
	s_xor_b32 s76, exec_lo, s14
	s_cbranch_execz .LBB2_2221
; %bb.2208:                             ;   in Loop: Header=BB2_2129 Depth=4
	v_and_b32_e32 v18, 0x7fffffff, v44
	v_mov_b32_e32 v19, v3
	v_and_b32_e32 v17, 0x80, v17
                                        ; implicit-def: $vgpr61
	s_mov_b32 s14, exec_lo
	s_delay_alu instid0(VALU_DEP_2)
	v_cmpx_gt_u64_e32 0x47600001, v[18:19]
	s_xor_b32 s77, exec_lo, s14
	s_cbranch_execz .LBB2_2218
; %bb.2209:                             ;   in Loop: Header=BB2_2129 Depth=4
	v_mov_b32_e32 v61, 0
	s_mov_b32 s78, exec_lo
	v_cmpx_ne_u32_e32 0, v44
	s_cbranch_execz .LBB2_2217
; %bb.2210:                             ;   in Loop: Header=BB2_2129 Depth=4
	v_bfe_u32 v56, v44, 23, 8
	v_or_b32_e32 v44, 0x800000, v2
	s_delay_alu instid0(VALU_DEP_2) | instskip(SKIP_1) | instid1(VALU_DEP_2)
	v_sub_nc_u32_e32 v18, 0x71, v56
	v_cmp_gt_u32_e32 vcc_lo, 0x72, v56
	v_cndmask_b32_e32 v18, 0, v18, vcc_lo
	v_cmp_eq_u32_e32 vcc_lo, 0, v56
	s_delay_alu instid0(VALU_DEP_2) | instskip(NEXT) | instid1(VALU_DEP_1)
	v_cndmask_b32_e64 v57, v18, 0x70, vcc_lo
	v_dual_cndmask_b32 v2, v44, v2, vcc_lo :: v_dual_add_nc_u32 v18, 21, v57
	v_add_nc_u32_e32 v45, 20, v57
	s_delay_alu instid0(VALU_DEP_2) | instskip(NEXT) | instid1(VALU_DEP_2)
	v_lshlrev_b64_e64 v[18:19], v18, -1
	v_lshlrev_b64_e64 v[46:47], v45, 1
	s_delay_alu instid0(VALU_DEP_4) | instskip(NEXT) | instid1(VALU_DEP_3)
	v_lshrrev_b64 v[44:45], v57, v[2:3]
	v_bfi_b32 v19, v19, 0, 0
	s_delay_alu instid0(VALU_DEP_4) | instskip(NEXT) | instid1(VALU_DEP_1)
	v_bfi_b32 v18, v18, 0, v2
	v_cmp_eq_u64_e64 s14, v[18:19], v[46:47]
	s_delay_alu instid0(VALU_DEP_4)
	v_mov_b64_e32 v[46:47], v[44:45]
	s_and_saveexec_b32 s79, s14
; %bb.2211:                             ;   in Loop: Header=BB2_2129 Depth=4
	v_bfe_u32 v2, v44, 21, 1
	s_delay_alu instid0(VALU_DEP_1) | instskip(NEXT) | instid1(VALU_DEP_1)
	v_add_nc_u64_e32 v[18:19], v[44:45], v[2:3]
	v_add_nc_u64_e32 v[46:47], -1, v[18:19]
; %bb.2212:                             ;   in Loop: Header=BB2_2129 Depth=4
	s_or_b32 exec_lo, exec_lo, s79
	v_add_nc_u32_e32 v2, 0xffffff81, v56
	v_lshrrev_b32_e32 v18, 23, v44
	s_mov_b32 s14, exec_lo
	s_delay_alu instid0(VALU_DEP_2) | instskip(NEXT) | instid1(VALU_DEP_1)
	v_cndmask_b32_e64 v2, v2, 0xffffff82, vcc_lo
	v_add3_u32 v47, v57, v2, v18
	v_and_b32_e32 v2, 0x1fffff, v46
                                        ; implicit-def: $vgpr46
	s_delay_alu instid0(VALU_DEP_1) | instskip(NEXT) | instid1(VALU_DEP_1)
	v_dual_add_nc_u32 v56, 14, v47 :: v_dual_add_nc_u32 v2, v2, v44
                                        ; implicit-def: $vgpr44_vgpr45
	v_cmpx_ne_u32_e32 0, v56
	s_xor_b32 s14, exec_lo, s14
; %bb.2213:                             ;   in Loop: Header=BB2_2129 Depth=4
	s_delay_alu instid0(VALU_DEP_2) | instskip(SKIP_1) | instid1(VALU_DEP_1)
	v_cmp_lt_u64_e32 vcc_lo, 0xffffff, v[2:3]
	v_add_nc_u32_e32 v18, 15, v47
	v_cndmask_b32_e32 v46, v56, v18, vcc_lo
	v_cndmask_b32_e64 v18, 0, 1, vcc_lo
	s_delay_alu instid0(VALU_DEP_1)
	v_lshrrev_b64 v[44:45], v18, v[2:3]
; %bb.2214:                             ;   in Loop: Header=BB2_2129 Depth=4
	s_and_not1_saveexec_b32 s14, s14
; %bb.2215:                             ;   in Loop: Header=BB2_2129 Depth=4
	v_mov_b64_e32 v[44:45], v[2:3]
	v_bfe_u32 v46, v2, 23, 1
; %bb.2216:                             ;   in Loop: Header=BB2_2129 Depth=4
	s_or_b32 exec_lo, exec_lo, s14
	s_delay_alu instid0(VALU_DEP_2) | instskip(NEXT) | instid1(VALU_DEP_2)
	v_lshrrev_b64 v[18:19], 21, v[44:45]
	v_cmp_gt_i32_e32 vcc_lo, 32, v46
	v_min_i32_e32 v2, 31, v46
	v_cmp_eq_u32_e64 s14, 0, v46
	s_delay_alu instid0(VALU_DEP_2) | instskip(SKIP_1) | instid1(VALU_DEP_2)
	v_dual_cndmask_b32 v19, 0, v19 :: v_dual_lshlrev_b32 v2, 2, v2
	v_cndmask_b32_e32 v18, 3, v18, vcc_lo
	v_and_b32_e32 v2, 0xfc, v2
	s_delay_alu instid0(VALU_DEP_2) | instskip(NEXT) | instid1(VALU_DEP_2)
	v_cmp_eq_u64_e32 vcc_lo, 0, v[18:19]
	v_and_or_b32 v2, v18, 3, v2
	s_and_b32 s14, s14, vcc_lo
	s_delay_alu instid0(VALU_DEP_1) | instid1(SALU_CYCLE_1)
	v_cndmask_b32_e64 v2, v2, 0, s14
	s_delay_alu instid0(VALU_DEP_1)
	v_or_b32_e32 v61, v2, v17
.LBB2_2217:                             ;   in Loop: Header=BB2_2129 Depth=4
	s_or_b32 exec_lo, exec_lo, s78
                                        ; implicit-def: $vgpr17
.LBB2_2218:                             ;   in Loop: Header=BB2_2129 Depth=4
	s_and_not1_saveexec_b32 s14, s77
; %bb.2219:                             ;   in Loop: Header=BB2_2129 Depth=4
	v_or_b32_e32 v61, 0x7b, v17
; %bb.2220:                             ;   in Loop: Header=BB2_2129 Depth=4
	s_or_b32 exec_lo, exec_lo, s14
                                        ; implicit-def: $vgpr44
                                        ; implicit-def: $vgpr17
.LBB2_2221:                             ;   in Loop: Header=BB2_2129 Depth=4
	s_and_not1_saveexec_b32 s14, s76
	s_cbranch_execz .LBB2_2227
; %bb.2222:                             ;   in Loop: Header=BB2_2129 Depth=4
	s_mov_b32 s76, exec_lo
                                        ; implicit-def: $vgpr61
	v_cmpx_ne_u64_e32 0, v[2:3]
	s_xor_b32 s76, exec_lo, s76
; %bb.2223:                             ;   in Loop: Header=BB2_2129 Depth=4
	v_or_b32_e32 v61, 0x7f, v17
                                        ; implicit-def: $vgpr44
; %bb.2224:                             ;   in Loop: Header=BB2_2129 Depth=4
	s_and_not1_saveexec_b32 s76, s76
; %bb.2225:                             ;   in Loop: Header=BB2_2129 Depth=4
	v_cmp_lt_i32_e32 vcc_lo, -1, v44
	v_cndmask_b32_e32 v61, 0xfc, v120, vcc_lo
; %bb.2226:                             ;   in Loop: Header=BB2_2129 Depth=4
	s_or_b32 exec_lo, exec_lo, s76
.LBB2_2227:                             ;   in Loop: Header=BB2_2129 Depth=4
	s_delay_alu instid0(SALU_CYCLE_1)
	s_or_b32 exec_lo, exec_lo, s14
	v_mov_b32_e32 v17, 0
	s_mov_b32 s14, exec_lo
	v_cmpx_lt_u32_e32 0xffffff, v8
	s_cbranch_execz .LBB2_2237
; %bb.2228:                             ;   in Loop: Header=BB2_2129 Depth=4
	v_lshrrev_b32_e32 v2, 24, v8
	v_bfrev_b32_e32 v17, 1
	s_mov_b32 s76, exec_lo
	s_delay_alu instid0(VALU_DEP_2)
	v_cmpx_ne_u32_e32 0x80, v2
	s_cbranch_execz .LBB2_2236
; %bb.2229:                             ;   in Loop: Header=BB2_2129 Depth=4
	v_and_b32_e32 v17, 0x7c000000, v8
	v_bfe_u32 v44, v8, 24, 2
	s_delay_alu instid0(VALU_DEP_2) | instskip(SKIP_1) | instid1(SALU_CYCLE_1)
	v_cmp_ne_u32_e32 vcc_lo, 0x7c000000, v17
                                        ; implicit-def: $vgpr17
	s_and_saveexec_b32 s77, vcc_lo
	s_xor_b32 s77, exec_lo, s77
	s_cbranch_execz .LBB2_2233
; %bb.2230:                             ;   in Loop: Header=BB2_2129 Depth=4
	v_bfe_u32 v17, v8, 26, 5
	s_mov_b32 s78, exec_lo
	s_delay_alu instid0(VALU_DEP_1)
	v_cmpx_eq_u32_e32 0, v17
; %bb.2231:                             ;   in Loop: Header=BB2_2129 Depth=4
	v_clz_i32_u32_e32 v17, v44
	s_delay_alu instid0(VALU_DEP_1) | instskip(NEXT) | instid1(VALU_DEP_1)
	v_min_u32_e32 v17, 32, v17
	v_subrev_nc_u32_e32 v18, 29, v17
	s_delay_alu instid0(VALU_DEP_1) | instskip(NEXT) | instid1(VALU_DEP_1)
	v_lshlrev_b64_e32 v[18:19], v18, v[2:3]
	v_dual_sub_nc_u32 v17, 30, v17 :: v_dual_bitop2_b32 v44, 3, v18 bitop3:0x40
; %bb.2232:                             ;   in Loop: Header=BB2_2129 Depth=4
	s_or_b32 exec_lo, exec_lo, s78
	v_and_b32_e32 v2, 0x80000000, v8
	s_delay_alu instid0(VALU_DEP_1) | instskip(NEXT) | instid1(VALU_DEP_1)
	v_lshl_add_u32 v2, v17, 23, v2
	v_lshl_or_b32 v2, v44, 21, v2
                                        ; implicit-def: $vgpr44
	s_delay_alu instid0(VALU_DEP_1)
	v_add_nc_u32_e32 v17, 0x38000000, v2
.LBB2_2233:                             ;   in Loop: Header=BB2_2129 Depth=4
	s_and_not1_saveexec_b32 s77, s77
; %bb.2234:                             ;   in Loop: Header=BB2_2129 Depth=4
	v_cmp_lt_i32_e32 vcc_lo, -1, v8
	v_cndmask_b32_e32 v2, 0xff800000, v111, vcc_lo
	v_cmp_eq_u32_e32 vcc_lo, 0, v44
	s_delay_alu instid0(VALU_DEP_2)
	v_cndmask_b32_e32 v17, 0x7f800001, v2, vcc_lo
; %bb.2235:                             ;   in Loop: Header=BB2_2129 Depth=4
	s_or_b32 exec_lo, exec_lo, s77
.LBB2_2236:                             ;   in Loop: Header=BB2_2129 Depth=4
	s_delay_alu instid0(SALU_CYCLE_1)
	s_or_b32 exec_lo, exec_lo, s76
.LBB2_2237:                             ;   in Loop: Header=BB2_2129 Depth=4
	s_delay_alu instid0(SALU_CYCLE_1) | instskip(NEXT) | instid1(VALU_DEP_1)
	s_or_b32 exec_lo, exec_lo, s14
	v_dual_mul_f32 v44, s75, v17 :: v_dual_mov_b32 v19, v3
                                        ; implicit-def: $vgpr72
	s_mov_b32 s14, exec_lo
	s_delay_alu instid0(VALU_DEP_1) | instskip(SKIP_2) | instid1(VALU_DEP_3)
	v_and_b32_e32 v18, 0x7f800000, v44
	v_and_b32_e32 v2, 0x7fffff, v44
	v_lshrrev_b32_e32 v17, 24, v44
	v_cmpx_ne_u64_e32 0x7f800000, v[18:19]
	s_xor_b32 s76, exec_lo, s14
	s_cbranch_execz .LBB2_2251
; %bb.2238:                             ;   in Loop: Header=BB2_2129 Depth=4
	v_and_b32_e32 v18, 0x7fffffff, v44
	v_mov_b32_e32 v19, v3
	v_and_b32_e32 v17, 0x80, v17
                                        ; implicit-def: $vgpr72
	s_mov_b32 s14, exec_lo
	s_delay_alu instid0(VALU_DEP_2)
	v_cmpx_gt_u64_e32 0x47600001, v[18:19]
	s_xor_b32 s77, exec_lo, s14
	s_cbranch_execz .LBB2_2248
; %bb.2239:                             ;   in Loop: Header=BB2_2129 Depth=4
	v_mov_b32_e32 v72, 0
	s_mov_b32 s78, exec_lo
	v_cmpx_ne_u32_e32 0, v44
	s_cbranch_execz .LBB2_2247
; %bb.2240:                             ;   in Loop: Header=BB2_2129 Depth=4
	v_bfe_u32 v56, v44, 23, 8
	v_or_b32_e32 v44, 0x800000, v2
	s_delay_alu instid0(VALU_DEP_2) | instskip(SKIP_1) | instid1(VALU_DEP_2)
	v_sub_nc_u32_e32 v18, 0x71, v56
	v_cmp_gt_u32_e32 vcc_lo, 0x72, v56
	v_cndmask_b32_e32 v18, 0, v18, vcc_lo
	v_cmp_eq_u32_e32 vcc_lo, 0, v56
	s_delay_alu instid0(VALU_DEP_2) | instskip(NEXT) | instid1(VALU_DEP_1)
	v_cndmask_b32_e64 v57, v18, 0x70, vcc_lo
	v_dual_cndmask_b32 v2, v44, v2, vcc_lo :: v_dual_add_nc_u32 v18, 21, v57
	v_add_nc_u32_e32 v45, 20, v57
	s_delay_alu instid0(VALU_DEP_2) | instskip(NEXT) | instid1(VALU_DEP_2)
	v_lshlrev_b64_e64 v[18:19], v18, -1
	v_lshlrev_b64_e64 v[46:47], v45, 1
	s_delay_alu instid0(VALU_DEP_4) | instskip(NEXT) | instid1(VALU_DEP_3)
	v_lshrrev_b64 v[44:45], v57, v[2:3]
	v_bfi_b32 v19, v19, 0, 0
	s_delay_alu instid0(VALU_DEP_4) | instskip(NEXT) | instid1(VALU_DEP_1)
	v_bfi_b32 v18, v18, 0, v2
	v_cmp_eq_u64_e64 s14, v[18:19], v[46:47]
	s_delay_alu instid0(VALU_DEP_4)
	v_mov_b64_e32 v[46:47], v[44:45]
	s_and_saveexec_b32 s79, s14
; %bb.2241:                             ;   in Loop: Header=BB2_2129 Depth=4
	v_bfe_u32 v2, v44, 21, 1
	s_delay_alu instid0(VALU_DEP_1) | instskip(NEXT) | instid1(VALU_DEP_1)
	v_add_nc_u64_e32 v[18:19], v[44:45], v[2:3]
	v_add_nc_u64_e32 v[46:47], -1, v[18:19]
; %bb.2242:                             ;   in Loop: Header=BB2_2129 Depth=4
	s_or_b32 exec_lo, exec_lo, s79
	v_add_nc_u32_e32 v2, 0xffffff81, v56
	v_lshrrev_b32_e32 v18, 23, v44
	s_mov_b32 s14, exec_lo
	s_delay_alu instid0(VALU_DEP_2) | instskip(NEXT) | instid1(VALU_DEP_1)
	v_cndmask_b32_e64 v2, v2, 0xffffff82, vcc_lo
	v_add3_u32 v47, v57, v2, v18
	v_and_b32_e32 v2, 0x1fffff, v46
                                        ; implicit-def: $vgpr46
	s_delay_alu instid0(VALU_DEP_1) | instskip(NEXT) | instid1(VALU_DEP_1)
	v_dual_add_nc_u32 v56, 14, v47 :: v_dual_add_nc_u32 v2, v2, v44
                                        ; implicit-def: $vgpr44_vgpr45
	v_cmpx_ne_u32_e32 0, v56
	s_xor_b32 s14, exec_lo, s14
; %bb.2243:                             ;   in Loop: Header=BB2_2129 Depth=4
	s_delay_alu instid0(VALU_DEP_2) | instskip(SKIP_1) | instid1(VALU_DEP_1)
	v_cmp_lt_u64_e32 vcc_lo, 0xffffff, v[2:3]
	v_add_nc_u32_e32 v18, 15, v47
	v_cndmask_b32_e32 v46, v56, v18, vcc_lo
	v_cndmask_b32_e64 v18, 0, 1, vcc_lo
	s_delay_alu instid0(VALU_DEP_1)
	v_lshrrev_b64 v[44:45], v18, v[2:3]
; %bb.2244:                             ;   in Loop: Header=BB2_2129 Depth=4
	s_and_not1_saveexec_b32 s14, s14
; %bb.2245:                             ;   in Loop: Header=BB2_2129 Depth=4
	v_mov_b64_e32 v[44:45], v[2:3]
	v_bfe_u32 v46, v2, 23, 1
; %bb.2246:                             ;   in Loop: Header=BB2_2129 Depth=4
	s_or_b32 exec_lo, exec_lo, s14
	s_delay_alu instid0(VALU_DEP_2) | instskip(NEXT) | instid1(VALU_DEP_2)
	v_lshrrev_b64 v[18:19], 21, v[44:45]
	v_cmp_gt_i32_e32 vcc_lo, 32, v46
	v_min_i32_e32 v2, 31, v46
	v_cmp_eq_u32_e64 s14, 0, v46
	s_delay_alu instid0(VALU_DEP_2) | instskip(SKIP_1) | instid1(VALU_DEP_2)
	v_dual_cndmask_b32 v19, 0, v19 :: v_dual_lshlrev_b32 v2, 2, v2
	v_cndmask_b32_e32 v18, 3, v18, vcc_lo
	v_and_b32_e32 v2, 0xfc, v2
	s_delay_alu instid0(VALU_DEP_2) | instskip(NEXT) | instid1(VALU_DEP_2)
	v_cmp_eq_u64_e32 vcc_lo, 0, v[18:19]
	v_and_or_b32 v2, v18, 3, v2
	s_and_b32 s14, s14, vcc_lo
	s_delay_alu instid0(VALU_DEP_1) | instid1(SALU_CYCLE_1)
	v_cndmask_b32_e64 v2, v2, 0, s14
	s_delay_alu instid0(VALU_DEP_1)
	v_or_b32_e32 v72, v2, v17
.LBB2_2247:                             ;   in Loop: Header=BB2_2129 Depth=4
	s_or_b32 exec_lo, exec_lo, s78
                                        ; implicit-def: $vgpr17
.LBB2_2248:                             ;   in Loop: Header=BB2_2129 Depth=4
	s_and_not1_saveexec_b32 s14, s77
; %bb.2249:                             ;   in Loop: Header=BB2_2129 Depth=4
	v_or_b32_e32 v72, 0x7b, v17
; %bb.2250:                             ;   in Loop: Header=BB2_2129 Depth=4
	s_or_b32 exec_lo, exec_lo, s14
                                        ; implicit-def: $vgpr44
                                        ; implicit-def: $vgpr17
.LBB2_2251:                             ;   in Loop: Header=BB2_2129 Depth=4
	s_and_not1_saveexec_b32 s14, s76
	s_cbranch_execz .LBB2_2257
; %bb.2252:                             ;   in Loop: Header=BB2_2129 Depth=4
	s_mov_b32 s76, exec_lo
                                        ; implicit-def: $vgpr72
	v_cmpx_ne_u64_e32 0, v[2:3]
	s_xor_b32 s76, exec_lo, s76
; %bb.2253:                             ;   in Loop: Header=BB2_2129 Depth=4
	v_or_b32_e32 v72, 0x7f, v17
                                        ; implicit-def: $vgpr44
; %bb.2254:                             ;   in Loop: Header=BB2_2129 Depth=4
	s_and_not1_saveexec_b32 s76, s76
; %bb.2255:                             ;   in Loop: Header=BB2_2129 Depth=4
	v_cmp_lt_i32_e32 vcc_lo, -1, v44
	v_cndmask_b32_e32 v72, 0xfc, v120, vcc_lo
; %bb.2256:                             ;   in Loop: Header=BB2_2129 Depth=4
	s_or_b32 exec_lo, exec_lo, s76
.LBB2_2257:                             ;   in Loop: Header=BB2_2129 Depth=4
	s_delay_alu instid0(SALU_CYCLE_1) | instskip(SKIP_3) | instid1(VALU_DEP_2)
	s_or_b32 exec_lo, exec_lo, s14
	v_and_b32_e32 v44, 0xff, v9
	v_dual_mov_b32 v2, v9 :: v_dual_mov_b32 v17, 0
	s_mov_b32 s14, exec_lo
	v_cmpx_ne_u16_e32 0, v44
	s_cbranch_execz .LBB2_2267
; %bb.2258:                             ;   in Loop: Header=BB2_2129 Depth=4
	v_bfrev_b32_e32 v17, 1
	s_mov_b32 s76, exec_lo
	v_cmpx_ne_u16_e32 0x80, v44
	s_cbranch_execz .LBB2_2266
; %bb.2259:                             ;   in Loop: Header=BB2_2129 Depth=4
	v_and_b32_e32 v17, 0x7c, v9
	v_and_b32_e32 v44, 3, v9
	s_delay_alu instid0(VALU_DEP_2) | instskip(SKIP_1) | instid1(SALU_CYCLE_1)
	v_cmp_ne_u32_e32 vcc_lo, 0x7c, v17
                                        ; implicit-def: $vgpr17
	s_and_saveexec_b32 s77, vcc_lo
	s_xor_b32 s77, exec_lo, s77
	s_cbranch_execz .LBB2_2263
; %bb.2260:                             ;   in Loop: Header=BB2_2129 Depth=4
	v_bfe_u32 v17, v9, 2, 5
	s_mov_b32 s78, exec_lo
	s_delay_alu instid0(VALU_DEP_1)
	v_cmpx_eq_u32_e32 0, v17
; %bb.2261:                             ;   in Loop: Header=BB2_2129 Depth=4
	v_clz_i32_u32_e32 v17, v44
	s_delay_alu instid0(VALU_DEP_1) | instskip(NEXT) | instid1(VALU_DEP_1)
	v_min_u32_e32 v17, 32, v17
	v_subrev_nc_u32_e32 v18, 29, v17
	s_delay_alu instid0(VALU_DEP_1) | instskip(NEXT) | instid1(VALU_DEP_1)
	v_lshlrev_b64_e32 v[18:19], v18, v[2:3]
	v_dual_sub_nc_u32 v17, 30, v17 :: v_dual_bitop2_b32 v44, 3, v18 bitop3:0x40
; %bb.2262:                             ;   in Loop: Header=BB2_2129 Depth=4
	s_or_b32 exec_lo, exec_lo, s78
	v_lshlrev_b32_e32 v18, 24, v9
	s_delay_alu instid0(VALU_DEP_1) | instskip(NEXT) | instid1(VALU_DEP_1)
	v_and_b32_e32 v18, 0x80000000, v18
	v_lshl_add_u32 v17, v17, 23, v18
	s_delay_alu instid0(VALU_DEP_1) | instskip(NEXT) | instid1(VALU_DEP_1)
	v_lshl_or_b32 v17, v44, 21, v17
                                        ; implicit-def: $vgpr44
	v_add_nc_u32_e32 v17, 0x38000000, v17
.LBB2_2263:                             ;   in Loop: Header=BB2_2129 Depth=4
	s_and_not1_saveexec_b32 s77, s77
; %bb.2264:                             ;   in Loop: Header=BB2_2129 Depth=4
	v_bfe_i32 v17, v9, 0, 8
	s_delay_alu instid0(VALU_DEP_1) | instskip(SKIP_2) | instid1(VALU_DEP_2)
	v_cmp_lt_i16_e32 vcc_lo, -1, v17
	v_cndmask_b32_e32 v17, 0xff800000, v111, vcc_lo
	v_cmp_eq_u32_e32 vcc_lo, 0, v44
	v_cndmask_b32_e32 v17, 0x7f800001, v17, vcc_lo
; %bb.2265:                             ;   in Loop: Header=BB2_2129 Depth=4
	s_or_b32 exec_lo, exec_lo, s77
.LBB2_2266:                             ;   in Loop: Header=BB2_2129 Depth=4
	s_delay_alu instid0(SALU_CYCLE_1)
	s_or_b32 exec_lo, exec_lo, s76
.LBB2_2267:                             ;   in Loop: Header=BB2_2129 Depth=4
	s_delay_alu instid0(SALU_CYCLE_1) | instskip(NEXT) | instid1(VALU_DEP_1)
	s_or_b32 exec_lo, exec_lo, s14
	v_dual_mul_f32 v46, s75, v17 :: v_dual_mov_b32 v19, v3
	v_mov_b32_e32 v45, v3
                                        ; implicit-def: $vgpr56
	s_mov_b32 s14, exec_lo
	s_delay_alu instid0(VALU_DEP_2) | instskip(SKIP_2) | instid1(VALU_DEP_3)
	v_and_b32_e32 v18, 0x7f800000, v46
	v_and_b32_e32 v44, 0x7fffff, v46
	v_lshrrev_b32_e32 v17, 24, v46
	v_cmpx_ne_u64_e32 0x7f800000, v[18:19]
	s_xor_b32 s76, exec_lo, s14
	s_cbranch_execz .LBB2_2281
; %bb.2268:                             ;   in Loop: Header=BB2_2129 Depth=4
	v_and_b32_e32 v18, 0x7fffffff, v46
	v_mov_b32_e32 v19, v3
	v_and_b32_e32 v17, 0x80, v17
                                        ; implicit-def: $vgpr56
	s_mov_b32 s14, exec_lo
	s_delay_alu instid0(VALU_DEP_2)
	v_cmpx_gt_u64_e32 0x47600001, v[18:19]
	s_xor_b32 s77, exec_lo, s14
	s_cbranch_execz .LBB2_2278
; %bb.2269:                             ;   in Loop: Header=BB2_2129 Depth=4
	v_mov_b32_e32 v56, 0
	s_mov_b32 s78, exec_lo
	v_cmpx_ne_u32_e32 0, v46
	s_cbranch_execz .LBB2_2277
; %bb.2270:                             ;   in Loop: Header=BB2_2129 Depth=4
	v_bfe_u32 v56, v46, 23, 8
	v_or_b32_e32 v46, 0x800000, v44
	s_delay_alu instid0(VALU_DEP_2) | instskip(SKIP_1) | instid1(VALU_DEP_2)
	v_sub_nc_u32_e32 v18, 0x71, v56
	v_cmp_gt_u32_e32 vcc_lo, 0x72, v56
	v_cndmask_b32_e32 v18, 0, v18, vcc_lo
	v_cmp_eq_u32_e32 vcc_lo, 0, v56
	s_delay_alu instid0(VALU_DEP_2) | instskip(NEXT) | instid1(VALU_DEP_1)
	v_cndmask_b32_e64 v57, v18, 0x70, vcc_lo
	v_dual_cndmask_b32 v44, v46, v44, vcc_lo :: v_dual_add_nc_u32 v18, 21, v57
	v_add_nc_u32_e32 v47, 20, v57
	s_delay_alu instid0(VALU_DEP_2) | instskip(NEXT) | instid1(VALU_DEP_2)
	v_lshlrev_b64_e64 v[18:19], v18, -1
	v_lshlrev_b64_e64 v[46:47], v47, 1
	s_delay_alu instid0(VALU_DEP_2) | instskip(SKIP_1) | instid1(VALU_DEP_4)
	v_bfi_b32 v18, v18, 0, v44
	v_lshrrev_b64 v[44:45], v57, v[44:45]
	v_bfi_b32 v19, v19, 0, 0
	s_delay_alu instid0(VALU_DEP_1) | instskip(NEXT) | instid1(VALU_DEP_3)
	v_cmp_eq_u64_e64 s14, v[18:19], v[46:47]
	v_mov_b64_e32 v[46:47], v[44:45]
	s_and_saveexec_b32 s79, s14
; %bb.2271:                             ;   in Loop: Header=BB2_2129 Depth=4
	v_bfe_u32 v18, v44, 21, 1
	v_mov_b32_e32 v19, v3
	s_delay_alu instid0(VALU_DEP_1) | instskip(NEXT) | instid1(VALU_DEP_1)
	v_add_nc_u64_e32 v[18:19], v[44:45], v[18:19]
	v_add_nc_u64_e32 v[46:47], -1, v[18:19]
; %bb.2272:                             ;   in Loop: Header=BB2_2129 Depth=4
	s_or_b32 exec_lo, exec_lo, s79
	v_dual_mov_b32 v45, v3 :: v_dual_add_nc_u32 v18, 0xffffff81, v56
	v_lshrrev_b32_e32 v19, 23, v44
	s_mov_b32 s14, exec_lo
	s_delay_alu instid0(VALU_DEP_2) | instskip(NEXT) | instid1(VALU_DEP_1)
	v_cndmask_b32_e64 v18, v18, 0xffffff82, vcc_lo
	v_add3_u32 v47, v57, v18, v19
	v_and_b32_e32 v18, 0x1fffff, v46
                                        ; implicit-def: $vgpr46
	s_delay_alu instid0(VALU_DEP_1) | instskip(NEXT) | instid1(VALU_DEP_1)
	v_dual_add_nc_u32 v56, 14, v47 :: v_dual_add_nc_u32 v44, v18, v44
	v_cmpx_ne_u32_e32 0, v56
	s_xor_b32 s14, exec_lo, s14
; %bb.2273:                             ;   in Loop: Header=BB2_2129 Depth=4
	s_delay_alu instid0(VALU_DEP_2) | instskip(SKIP_1) | instid1(VALU_DEP_1)
	v_cmp_lt_u64_e32 vcc_lo, 0xffffff, v[44:45]
	v_add_nc_u32_e32 v18, 15, v47
	v_cndmask_b32_e32 v46, v56, v18, vcc_lo
	v_cndmask_b32_e64 v18, 0, 1, vcc_lo
	s_delay_alu instid0(VALU_DEP_1)
	v_lshrrev_b64 v[44:45], v18, v[44:45]
; %bb.2274:                             ;   in Loop: Header=BB2_2129 Depth=4
	s_and_not1_saveexec_b32 s14, s14
; %bb.2275:                             ;   in Loop: Header=BB2_2129 Depth=4
	s_delay_alu instid0(VALU_DEP_1)
	v_bfe_u32 v46, v44, 23, 1
; %bb.2276:                             ;   in Loop: Header=BB2_2129 Depth=4
	s_or_b32 exec_lo, exec_lo, s14
	s_delay_alu instid0(VALU_DEP_2) | instskip(NEXT) | instid1(VALU_DEP_2)
	v_lshrrev_b64 v[18:19], 21, v[44:45]
	v_cmp_gt_i32_e32 vcc_lo, 32, v46
	v_min_i32_e32 v44, 31, v46
	v_cmp_eq_u32_e64 s14, 0, v46
	s_delay_alu instid0(VALU_DEP_2) | instskip(SKIP_1) | instid1(VALU_DEP_2)
	v_dual_cndmask_b32 v19, 0, v19 :: v_dual_lshlrev_b32 v44, 2, v44
	v_cndmask_b32_e32 v18, 3, v18, vcc_lo
	v_and_b32_e32 v44, 0xfc, v44
	s_delay_alu instid0(VALU_DEP_2) | instskip(NEXT) | instid1(VALU_DEP_2)
	v_cmp_eq_u64_e32 vcc_lo, 0, v[18:19]
	v_and_or_b32 v18, v18, 3, v44
	s_and_b32 s14, s14, vcc_lo
	s_delay_alu instid0(VALU_DEP_1) | instid1(SALU_CYCLE_1)
	v_cndmask_b32_e64 v18, v18, 0, s14
	s_delay_alu instid0(VALU_DEP_1)
	v_or_b32_e32 v56, v18, v17
.LBB2_2277:                             ;   in Loop: Header=BB2_2129 Depth=4
	s_or_b32 exec_lo, exec_lo, s78
                                        ; implicit-def: $vgpr17
.LBB2_2278:                             ;   in Loop: Header=BB2_2129 Depth=4
	s_and_not1_saveexec_b32 s14, s77
; %bb.2279:                             ;   in Loop: Header=BB2_2129 Depth=4
	v_or_b32_e32 v56, 0x7b, v17
; %bb.2280:                             ;   in Loop: Header=BB2_2129 Depth=4
	s_or_b32 exec_lo, exec_lo, s14
                                        ; implicit-def: $vgpr46
                                        ; implicit-def: $vgpr44_vgpr45
                                        ; implicit-def: $vgpr17
.LBB2_2281:                             ;   in Loop: Header=BB2_2129 Depth=4
	s_and_not1_saveexec_b32 s14, s76
	s_cbranch_execz .LBB2_2287
; %bb.2282:                             ;   in Loop: Header=BB2_2129 Depth=4
	s_mov_b32 s76, exec_lo
                                        ; implicit-def: $vgpr56
	v_cmpx_ne_u64_e32 0, v[44:45]
	s_xor_b32 s76, exec_lo, s76
; %bb.2283:                             ;   in Loop: Header=BB2_2129 Depth=4
	v_or_b32_e32 v56, 0x7f, v17
                                        ; implicit-def: $vgpr46
; %bb.2284:                             ;   in Loop: Header=BB2_2129 Depth=4
	s_and_not1_saveexec_b32 s76, s76
; %bb.2285:                             ;   in Loop: Header=BB2_2129 Depth=4
	v_cmp_lt_i32_e32 vcc_lo, -1, v46
	v_cndmask_b32_e32 v56, 0xfc, v120, vcc_lo
; %bb.2286:                             ;   in Loop: Header=BB2_2129 Depth=4
	s_or_b32 exec_lo, exec_lo, s76
.LBB2_2287:                             ;   in Loop: Header=BB2_2129 Depth=4
	s_delay_alu instid0(SALU_CYCLE_1) | instskip(SKIP_3) | instid1(VALU_DEP_2)
	s_or_b32 exec_lo, exec_lo, s14
	v_lshrrev_b16 v44, 8, v2
	v_mov_b32_e32 v45, 0
	s_mov_b32 s14, exec_lo
	v_cmpx_ne_u16_e32 0, v44
	s_cbranch_execz .LBB2_2297
; %bb.2288:                             ;   in Loop: Header=BB2_2129 Depth=4
	v_bfrev_b32_e32 v45, 1
	s_mov_b32 s76, exec_lo
	v_cmpx_ne_u16_e32 0x80, v44
	s_cbranch_execz .LBB2_2296
; %bb.2289:                             ;   in Loop: Header=BB2_2129 Depth=4
	v_and_b32_e32 v46, 0xffff, v44
	s_mov_b32 s77, exec_lo
                                        ; implicit-def: $vgpr45
	s_delay_alu instid0(VALU_DEP_1) | instskip(SKIP_1) | instid1(VALU_DEP_2)
	v_and_b32_e32 v18, 0x7c, v46
	v_and_b32_e32 v17, 3, v46
	v_cmpx_ne_u32_e32 0x7c, v18
	s_xor_b32 s77, exec_lo, s77
	s_cbranch_execz .LBB2_2293
; %bb.2290:                             ;   in Loop: Header=BB2_2129 Depth=4
	v_bfe_u32 v45, v46, 2, 5
	s_mov_b32 s78, exec_lo
	s_delay_alu instid0(VALU_DEP_1)
	v_cmpx_eq_u32_e32 0, v45
; %bb.2291:                             ;   in Loop: Header=BB2_2129 Depth=4
	v_clz_i32_u32_e32 v17, v17
	v_mov_b32_e32 v45, v3
	s_delay_alu instid0(VALU_DEP_2) | instskip(NEXT) | instid1(VALU_DEP_1)
	v_min_u32_e32 v17, 32, v17
	v_subrev_nc_u32_e32 v18, 29, v17
	s_delay_alu instid0(VALU_DEP_1) | instskip(NEXT) | instid1(VALU_DEP_1)
	v_lshlrev_b64_e32 v[18:19], v18, v[44:45]
	v_dual_sub_nc_u32 v45, 30, v17 :: v_dual_bitop2_b32 v17, 3, v18 bitop3:0x40
; %bb.2292:                             ;   in Loop: Header=BB2_2129 Depth=4
	s_or_b32 exec_lo, exec_lo, s78
	v_lshlrev_b32_e32 v2, 16, v2
	s_delay_alu instid0(VALU_DEP_1) | instskip(NEXT) | instid1(VALU_DEP_1)
	v_and_b32_e32 v2, 0x80000000, v2
	v_lshl_add_u32 v2, v45, 23, v2
	s_delay_alu instid0(VALU_DEP_1) | instskip(NEXT) | instid1(VALU_DEP_1)
	v_lshl_or_b32 v2, v17, 21, v2
                                        ; implicit-def: $vgpr17
	v_add_nc_u32_e32 v45, 0x38000000, v2
.LBB2_2293:                             ;   in Loop: Header=BB2_2129 Depth=4
	s_and_not1_saveexec_b32 s77, s77
; %bb.2294:                             ;   in Loop: Header=BB2_2129 Depth=4
	v_cmp_lt_i16_e32 vcc_lo, -1, v2
	v_cndmask_b32_e32 v2, 0xff800000, v111, vcc_lo
	v_cmp_eq_u32_e32 vcc_lo, 0, v17
	s_delay_alu instid0(VALU_DEP_2)
	v_cndmask_b32_e32 v45, 0x7f800001, v2, vcc_lo
; %bb.2295:                             ;   in Loop: Header=BB2_2129 Depth=4
	s_or_b32 exec_lo, exec_lo, s77
.LBB2_2296:                             ;   in Loop: Header=BB2_2129 Depth=4
	s_delay_alu instid0(SALU_CYCLE_1)
	s_or_b32 exec_lo, exec_lo, s76
.LBB2_2297:                             ;   in Loop: Header=BB2_2129 Depth=4
	s_delay_alu instid0(SALU_CYCLE_1) | instskip(NEXT) | instid1(VALU_DEP_1)
	s_or_b32 exec_lo, exec_lo, s14
	v_dual_mul_f32 v44, s75, v45 :: v_dual_mov_b32 v19, v3
                                        ; implicit-def: $vgpr57
	s_mov_b32 s14, exec_lo
	s_delay_alu instid0(VALU_DEP_1) | instskip(SKIP_2) | instid1(VALU_DEP_3)
	v_and_b32_e32 v18, 0x7f800000, v44
	v_and_b32_e32 v2, 0x7fffff, v44
	v_lshrrev_b32_e32 v17, 24, v44
	v_cmpx_ne_u64_e32 0x7f800000, v[18:19]
	s_xor_b32 s76, exec_lo, s14
	s_cbranch_execz .LBB2_2311
; %bb.2298:                             ;   in Loop: Header=BB2_2129 Depth=4
	v_and_b32_e32 v18, 0x7fffffff, v44
	v_mov_b32_e32 v19, v3
	v_and_b32_e32 v17, 0x80, v17
                                        ; implicit-def: $vgpr57
	s_mov_b32 s14, exec_lo
	s_delay_alu instid0(VALU_DEP_2)
	v_cmpx_gt_u64_e32 0x47600001, v[18:19]
	s_xor_b32 s77, exec_lo, s14
	s_cbranch_execz .LBB2_2308
; %bb.2299:                             ;   in Loop: Header=BB2_2129 Depth=4
	v_mov_b32_e32 v57, 0
	s_mov_b32 s78, exec_lo
	v_cmpx_ne_u32_e32 0, v44
	s_cbranch_execz .LBB2_2307
; %bb.2300:                             ;   in Loop: Header=BB2_2129 Depth=4
	v_bfe_u32 v57, v44, 23, 8
	v_or_b32_e32 v44, 0x800000, v2
	s_delay_alu instid0(VALU_DEP_2) | instskip(SKIP_1) | instid1(VALU_DEP_2)
	v_sub_nc_u32_e32 v18, 0x71, v57
	v_cmp_gt_u32_e32 vcc_lo, 0x72, v57
	v_cndmask_b32_e32 v18, 0, v18, vcc_lo
	v_cmp_eq_u32_e32 vcc_lo, 0, v57
	s_delay_alu instid0(VALU_DEP_2) | instskip(SKIP_1) | instid1(VALU_DEP_2)
	v_cndmask_b32_e64 v62, v18, 0x70, vcc_lo
	v_cndmask_b32_e32 v2, v44, v2, vcc_lo
	v_dual_add_nc_u32 v18, 21, v62 :: v_dual_add_nc_u32 v45, 20, v62
	s_delay_alu instid0(VALU_DEP_1) | instskip(NEXT) | instid1(VALU_DEP_2)
	v_lshlrev_b64_e64 v[18:19], v18, -1
	v_lshlrev_b64_e64 v[46:47], v45, 1
	s_delay_alu instid0(VALU_DEP_4) | instskip(NEXT) | instid1(VALU_DEP_3)
	v_lshrrev_b64 v[44:45], v62, v[2:3]
	v_bfi_b32 v19, v19, 0, 0
	s_delay_alu instid0(VALU_DEP_4) | instskip(NEXT) | instid1(VALU_DEP_1)
	v_bfi_b32 v18, v18, 0, v2
	v_cmp_eq_u64_e64 s14, v[18:19], v[46:47]
	s_delay_alu instid0(VALU_DEP_4)
	v_mov_b64_e32 v[46:47], v[44:45]
	s_and_saveexec_b32 s79, s14
; %bb.2301:                             ;   in Loop: Header=BB2_2129 Depth=4
	v_bfe_u32 v2, v44, 21, 1
	s_delay_alu instid0(VALU_DEP_1) | instskip(NEXT) | instid1(VALU_DEP_1)
	v_add_nc_u64_e32 v[18:19], v[44:45], v[2:3]
	v_add_nc_u64_e32 v[46:47], -1, v[18:19]
; %bb.2302:                             ;   in Loop: Header=BB2_2129 Depth=4
	s_or_b32 exec_lo, exec_lo, s79
	v_add_nc_u32_e32 v2, 0xffffff81, v57
	v_lshrrev_b32_e32 v18, 23, v44
	s_mov_b32 s14, exec_lo
	s_delay_alu instid0(VALU_DEP_2) | instskip(NEXT) | instid1(VALU_DEP_1)
	v_cndmask_b32_e64 v2, v2, 0xffffff82, vcc_lo
	v_add3_u32 v47, v62, v2, v18
	v_and_b32_e32 v2, 0x1fffff, v46
                                        ; implicit-def: $vgpr46
	s_delay_alu instid0(VALU_DEP_1) | instskip(NEXT) | instid1(VALU_DEP_1)
	v_dual_add_nc_u32 v57, 14, v47 :: v_dual_add_nc_u32 v2, v2, v44
                                        ; implicit-def: $vgpr44_vgpr45
	v_cmpx_ne_u32_e32 0, v57
	s_xor_b32 s14, exec_lo, s14
; %bb.2303:                             ;   in Loop: Header=BB2_2129 Depth=4
	s_delay_alu instid0(VALU_DEP_2) | instskip(SKIP_1) | instid1(VALU_DEP_1)
	v_cmp_lt_u64_e32 vcc_lo, 0xffffff, v[2:3]
	v_add_nc_u32_e32 v18, 15, v47
	v_cndmask_b32_e32 v46, v57, v18, vcc_lo
	v_cndmask_b32_e64 v18, 0, 1, vcc_lo
	s_delay_alu instid0(VALU_DEP_1)
	v_lshrrev_b64 v[44:45], v18, v[2:3]
; %bb.2304:                             ;   in Loop: Header=BB2_2129 Depth=4
	s_and_not1_saveexec_b32 s14, s14
; %bb.2305:                             ;   in Loop: Header=BB2_2129 Depth=4
	v_mov_b64_e32 v[44:45], v[2:3]
	v_bfe_u32 v46, v2, 23, 1
; %bb.2306:                             ;   in Loop: Header=BB2_2129 Depth=4
	s_or_b32 exec_lo, exec_lo, s14
	s_delay_alu instid0(VALU_DEP_2) | instskip(NEXT) | instid1(VALU_DEP_2)
	v_lshrrev_b64 v[18:19], 21, v[44:45]
	v_cmp_gt_i32_e32 vcc_lo, 32, v46
	v_min_i32_e32 v2, 31, v46
	v_cmp_eq_u32_e64 s14, 0, v46
	s_delay_alu instid0(VALU_DEP_2) | instskip(SKIP_1) | instid1(VALU_DEP_2)
	v_dual_cndmask_b32 v19, 0, v19 :: v_dual_lshlrev_b32 v2, 2, v2
	v_cndmask_b32_e32 v18, 3, v18, vcc_lo
	v_and_b32_e32 v2, 0xfc, v2
	s_delay_alu instid0(VALU_DEP_2) | instskip(NEXT) | instid1(VALU_DEP_2)
	v_cmp_eq_u64_e32 vcc_lo, 0, v[18:19]
	v_and_or_b32 v2, v18, 3, v2
	s_and_b32 s14, s14, vcc_lo
	s_delay_alu instid0(VALU_DEP_1) | instid1(SALU_CYCLE_1)
	v_cndmask_b32_e64 v2, v2, 0, s14
	s_delay_alu instid0(VALU_DEP_1)
	v_or_b32_e32 v57, v2, v17
.LBB2_2307:                             ;   in Loop: Header=BB2_2129 Depth=4
	s_or_b32 exec_lo, exec_lo, s78
                                        ; implicit-def: $vgpr17
.LBB2_2308:                             ;   in Loop: Header=BB2_2129 Depth=4
	s_and_not1_saveexec_b32 s14, s77
; %bb.2309:                             ;   in Loop: Header=BB2_2129 Depth=4
	v_or_b32_e32 v57, 0x7b, v17
; %bb.2310:                             ;   in Loop: Header=BB2_2129 Depth=4
	s_or_b32 exec_lo, exec_lo, s14
                                        ; implicit-def: $vgpr44
                                        ; implicit-def: $vgpr17
.LBB2_2311:                             ;   in Loop: Header=BB2_2129 Depth=4
	s_and_not1_saveexec_b32 s14, s76
	s_cbranch_execz .LBB2_2317
; %bb.2312:                             ;   in Loop: Header=BB2_2129 Depth=4
	s_mov_b32 s76, exec_lo
                                        ; implicit-def: $vgpr57
	v_cmpx_ne_u64_e32 0, v[2:3]
	s_xor_b32 s76, exec_lo, s76
; %bb.2313:                             ;   in Loop: Header=BB2_2129 Depth=4
	v_or_b32_e32 v57, 0x7f, v17
                                        ; implicit-def: $vgpr44
; %bb.2314:                             ;   in Loop: Header=BB2_2129 Depth=4
	s_and_not1_saveexec_b32 s76, s76
; %bb.2315:                             ;   in Loop: Header=BB2_2129 Depth=4
	v_cmp_lt_i32_e32 vcc_lo, -1, v44
	v_cndmask_b32_e32 v57, 0xfc, v120, vcc_lo
; %bb.2316:                             ;   in Loop: Header=BB2_2129 Depth=4
	s_or_b32 exec_lo, exec_lo, s76
.LBB2_2317:                             ;   in Loop: Header=BB2_2129 Depth=4
	s_delay_alu instid0(SALU_CYCLE_1) | instskip(SKIP_2) | instid1(VALU_DEP_1)
	s_or_b32 exec_lo, exec_lo, s14
	v_dual_mov_b32 v17, 0 :: v_dual_lshrrev_b32 v2, 16, v9
	s_mov_b32 s14, exec_lo
	v_and_b32_e32 v44, 0xff, v2
	s_delay_alu instid0(VALU_DEP_1)
	v_cmpx_ne_u16_e32 0, v44
	s_cbranch_execz .LBB2_2327
; %bb.2318:                             ;   in Loop: Header=BB2_2129 Depth=4
	v_bfrev_b32_e32 v17, 1
	s_mov_b32 s76, exec_lo
	v_cmpx_ne_u16_e32 0x80, v44
	s_cbranch_execz .LBB2_2326
; %bb.2319:                             ;   in Loop: Header=BB2_2129 Depth=4
	v_and_b32_e32 v17, 0x7c0000, v9
	v_bfe_u32 v44, v9, 16, 2
	s_delay_alu instid0(VALU_DEP_2) | instskip(SKIP_1) | instid1(SALU_CYCLE_1)
	v_cmp_ne_u32_e32 vcc_lo, 0x7c0000, v17
                                        ; implicit-def: $vgpr17
	s_and_saveexec_b32 s77, vcc_lo
	s_xor_b32 s77, exec_lo, s77
	s_cbranch_execz .LBB2_2323
; %bb.2320:                             ;   in Loop: Header=BB2_2129 Depth=4
	v_bfe_u32 v17, v9, 18, 5
	s_mov_b32 s78, exec_lo
	s_delay_alu instid0(VALU_DEP_1)
	v_cmpx_eq_u32_e32 0, v17
; %bb.2321:                             ;   in Loop: Header=BB2_2129 Depth=4
	v_clz_i32_u32_e32 v17, v44
	s_delay_alu instid0(VALU_DEP_1) | instskip(NEXT) | instid1(VALU_DEP_1)
	v_min_u32_e32 v17, 32, v17
	v_subrev_nc_u32_e32 v18, 29, v17
	s_delay_alu instid0(VALU_DEP_1) | instskip(NEXT) | instid1(VALU_DEP_1)
	v_lshlrev_b64_e32 v[18:19], v18, v[2:3]
	v_dual_sub_nc_u32 v17, 30, v17 :: v_dual_bitop2_b32 v44, 3, v18 bitop3:0x40
; %bb.2322:                             ;   in Loop: Header=BB2_2129 Depth=4
	s_or_b32 exec_lo, exec_lo, s78
	v_lshlrev_b32_e32 v2, 24, v2
	s_delay_alu instid0(VALU_DEP_1) | instskip(NEXT) | instid1(VALU_DEP_1)
	v_and_b32_e32 v2, 0x80000000, v2
	v_lshl_add_u32 v2, v17, 23, v2
	s_delay_alu instid0(VALU_DEP_1) | instskip(NEXT) | instid1(VALU_DEP_1)
	v_lshl_or_b32 v2, v44, 21, v2
                                        ; implicit-def: $vgpr44
	v_add_nc_u32_e32 v17, 0x38000000, v2
                                        ; implicit-def: $vgpr2
.LBB2_2323:                             ;   in Loop: Header=BB2_2129 Depth=4
	s_and_not1_saveexec_b32 s77, s77
; %bb.2324:                             ;   in Loop: Header=BB2_2129 Depth=4
	v_bfe_i32 v2, v2, 0, 8
	s_delay_alu instid0(VALU_DEP_1) | instskip(SKIP_2) | instid1(VALU_DEP_2)
	v_cmp_lt_i16_e32 vcc_lo, -1, v2
	v_cndmask_b32_e32 v2, 0xff800000, v111, vcc_lo
	v_cmp_eq_u32_e32 vcc_lo, 0, v44
	v_cndmask_b32_e32 v17, 0x7f800001, v2, vcc_lo
; %bb.2325:                             ;   in Loop: Header=BB2_2129 Depth=4
	s_or_b32 exec_lo, exec_lo, s77
.LBB2_2326:                             ;   in Loop: Header=BB2_2129 Depth=4
	s_delay_alu instid0(SALU_CYCLE_1)
	s_or_b32 exec_lo, exec_lo, s76
.LBB2_2327:                             ;   in Loop: Header=BB2_2129 Depth=4
	s_delay_alu instid0(SALU_CYCLE_1) | instskip(NEXT) | instid1(VALU_DEP_1)
	s_or_b32 exec_lo, exec_lo, s14
	v_dual_mul_f32 v44, s75, v17 :: v_dual_mov_b32 v19, v3
                                        ; implicit-def: $vgpr79
	s_mov_b32 s14, exec_lo
	s_delay_alu instid0(VALU_DEP_1) | instskip(SKIP_2) | instid1(VALU_DEP_3)
	v_and_b32_e32 v18, 0x7f800000, v44
	v_and_b32_e32 v2, 0x7fffff, v44
	v_lshrrev_b32_e32 v17, 24, v44
	v_cmpx_ne_u64_e32 0x7f800000, v[18:19]
	s_xor_b32 s76, exec_lo, s14
	s_cbranch_execz .LBB2_2341
; %bb.2328:                             ;   in Loop: Header=BB2_2129 Depth=4
	v_and_b32_e32 v18, 0x7fffffff, v44
	v_mov_b32_e32 v19, v3
	v_and_b32_e32 v17, 0x80, v17
                                        ; implicit-def: $vgpr79
	s_mov_b32 s14, exec_lo
	s_delay_alu instid0(VALU_DEP_2)
	v_cmpx_gt_u64_e32 0x47600001, v[18:19]
	s_xor_b32 s77, exec_lo, s14
	s_cbranch_execz .LBB2_2338
; %bb.2329:                             ;   in Loop: Header=BB2_2129 Depth=4
	v_mov_b32_e32 v79, 0
	s_mov_b32 s78, exec_lo
	v_cmpx_ne_u32_e32 0, v44
	s_cbranch_execz .LBB2_2337
; %bb.2330:                             ;   in Loop: Header=BB2_2129 Depth=4
	v_bfe_u32 v62, v44, 23, 8
	v_or_b32_e32 v44, 0x800000, v2
	s_delay_alu instid0(VALU_DEP_2) | instskip(SKIP_1) | instid1(VALU_DEP_2)
	v_sub_nc_u32_e32 v18, 0x71, v62
	v_cmp_gt_u32_e32 vcc_lo, 0x72, v62
	v_cndmask_b32_e32 v18, 0, v18, vcc_lo
	v_cmp_eq_u32_e32 vcc_lo, 0, v62
	s_delay_alu instid0(VALU_DEP_2) | instskip(NEXT) | instid1(VALU_DEP_1)
	v_cndmask_b32_e64 v63, v18, 0x70, vcc_lo
	v_dual_cndmask_b32 v2, v44, v2, vcc_lo :: v_dual_add_nc_u32 v18, 21, v63
	v_add_nc_u32_e32 v45, 20, v63
	s_delay_alu instid0(VALU_DEP_2) | instskip(NEXT) | instid1(VALU_DEP_2)
	v_lshlrev_b64_e64 v[18:19], v18, -1
	v_lshlrev_b64_e64 v[46:47], v45, 1
	s_delay_alu instid0(VALU_DEP_4) | instskip(NEXT) | instid1(VALU_DEP_3)
	v_lshrrev_b64 v[44:45], v63, v[2:3]
	v_bfi_b32 v19, v19, 0, 0
	s_delay_alu instid0(VALU_DEP_4) | instskip(NEXT) | instid1(VALU_DEP_1)
	v_bfi_b32 v18, v18, 0, v2
	v_cmp_eq_u64_e64 s14, v[18:19], v[46:47]
	s_delay_alu instid0(VALU_DEP_4)
	v_mov_b64_e32 v[46:47], v[44:45]
	s_and_saveexec_b32 s79, s14
; %bb.2331:                             ;   in Loop: Header=BB2_2129 Depth=4
	v_bfe_u32 v2, v44, 21, 1
	s_delay_alu instid0(VALU_DEP_1) | instskip(NEXT) | instid1(VALU_DEP_1)
	v_add_nc_u64_e32 v[18:19], v[44:45], v[2:3]
	v_add_nc_u64_e32 v[46:47], -1, v[18:19]
; %bb.2332:                             ;   in Loop: Header=BB2_2129 Depth=4
	s_or_b32 exec_lo, exec_lo, s79
	v_add_nc_u32_e32 v2, 0xffffff81, v62
	v_lshrrev_b32_e32 v18, 23, v44
	s_mov_b32 s14, exec_lo
	s_delay_alu instid0(VALU_DEP_2) | instskip(NEXT) | instid1(VALU_DEP_1)
	v_cndmask_b32_e64 v2, v2, 0xffffff82, vcc_lo
	v_add3_u32 v47, v63, v2, v18
	v_and_b32_e32 v2, 0x1fffff, v46
                                        ; implicit-def: $vgpr46
	s_delay_alu instid0(VALU_DEP_1) | instskip(NEXT) | instid1(VALU_DEP_1)
	v_dual_add_nc_u32 v62, 14, v47 :: v_dual_add_nc_u32 v2, v2, v44
                                        ; implicit-def: $vgpr44_vgpr45
	v_cmpx_ne_u32_e32 0, v62
	s_xor_b32 s14, exec_lo, s14
; %bb.2333:                             ;   in Loop: Header=BB2_2129 Depth=4
	s_delay_alu instid0(VALU_DEP_2) | instskip(SKIP_1) | instid1(VALU_DEP_1)
	v_cmp_lt_u64_e32 vcc_lo, 0xffffff, v[2:3]
	v_add_nc_u32_e32 v18, 15, v47
	v_cndmask_b32_e32 v46, v62, v18, vcc_lo
	v_cndmask_b32_e64 v18, 0, 1, vcc_lo
	s_delay_alu instid0(VALU_DEP_1)
	v_lshrrev_b64 v[44:45], v18, v[2:3]
; %bb.2334:                             ;   in Loop: Header=BB2_2129 Depth=4
	s_and_not1_saveexec_b32 s14, s14
; %bb.2335:                             ;   in Loop: Header=BB2_2129 Depth=4
	v_mov_b64_e32 v[44:45], v[2:3]
	v_bfe_u32 v46, v2, 23, 1
; %bb.2336:                             ;   in Loop: Header=BB2_2129 Depth=4
	s_or_b32 exec_lo, exec_lo, s14
	s_delay_alu instid0(VALU_DEP_2) | instskip(NEXT) | instid1(VALU_DEP_2)
	v_lshrrev_b64 v[18:19], 21, v[44:45]
	v_cmp_gt_i32_e32 vcc_lo, 32, v46
	v_min_i32_e32 v2, 31, v46
	v_cmp_eq_u32_e64 s14, 0, v46
	s_delay_alu instid0(VALU_DEP_2) | instskip(SKIP_1) | instid1(VALU_DEP_2)
	v_dual_cndmask_b32 v19, 0, v19 :: v_dual_lshlrev_b32 v2, 2, v2
	v_cndmask_b32_e32 v18, 3, v18, vcc_lo
	v_and_b32_e32 v2, 0xfc, v2
	s_delay_alu instid0(VALU_DEP_2) | instskip(NEXT) | instid1(VALU_DEP_2)
	v_cmp_eq_u64_e32 vcc_lo, 0, v[18:19]
	v_and_or_b32 v2, v18, 3, v2
	s_and_b32 s14, s14, vcc_lo
	s_delay_alu instid0(VALU_DEP_1) | instid1(SALU_CYCLE_1)
	v_cndmask_b32_e64 v2, v2, 0, s14
	s_delay_alu instid0(VALU_DEP_1)
	v_or_b32_e32 v79, v2, v17
.LBB2_2337:                             ;   in Loop: Header=BB2_2129 Depth=4
	s_or_b32 exec_lo, exec_lo, s78
                                        ; implicit-def: $vgpr17
.LBB2_2338:                             ;   in Loop: Header=BB2_2129 Depth=4
	s_and_not1_saveexec_b32 s14, s77
; %bb.2339:                             ;   in Loop: Header=BB2_2129 Depth=4
	v_or_b32_e32 v79, 0x7b, v17
; %bb.2340:                             ;   in Loop: Header=BB2_2129 Depth=4
	s_or_b32 exec_lo, exec_lo, s14
                                        ; implicit-def: $vgpr44
                                        ; implicit-def: $vgpr17
.LBB2_2341:                             ;   in Loop: Header=BB2_2129 Depth=4
	s_and_not1_saveexec_b32 s14, s76
	s_cbranch_execz .LBB2_2347
; %bb.2342:                             ;   in Loop: Header=BB2_2129 Depth=4
	s_mov_b32 s76, exec_lo
                                        ; implicit-def: $vgpr79
	v_cmpx_ne_u64_e32 0, v[2:3]
	s_xor_b32 s76, exec_lo, s76
; %bb.2343:                             ;   in Loop: Header=BB2_2129 Depth=4
	v_or_b32_e32 v79, 0x7f, v17
                                        ; implicit-def: $vgpr44
; %bb.2344:                             ;   in Loop: Header=BB2_2129 Depth=4
	s_and_not1_saveexec_b32 s76, s76
; %bb.2345:                             ;   in Loop: Header=BB2_2129 Depth=4
	v_cmp_lt_i32_e32 vcc_lo, -1, v44
	v_cndmask_b32_e32 v79, 0xfc, v120, vcc_lo
; %bb.2346:                             ;   in Loop: Header=BB2_2129 Depth=4
	s_or_b32 exec_lo, exec_lo, s76
.LBB2_2347:                             ;   in Loop: Header=BB2_2129 Depth=4
	s_delay_alu instid0(SALU_CYCLE_1)
	s_or_b32 exec_lo, exec_lo, s14
	v_mov_b32_e32 v17, 0
	s_mov_b32 s14, exec_lo
	v_cmpx_lt_u64_e64 s[22:23], v[8:9]
	s_cbranch_execz .LBB2_2357
; %bb.2348:                             ;   in Loop: Header=BB2_2129 Depth=4
	v_lshrrev_b32_e32 v2, 24, v9
	v_bfrev_b32_e32 v17, 1
	s_mov_b32 s76, exec_lo
	s_delay_alu instid0(VALU_DEP_2)
	v_cmpx_ne_u32_e32 0x80, v2
	s_cbranch_execz .LBB2_2356
; %bb.2349:                             ;   in Loop: Header=BB2_2129 Depth=4
	v_and_b32_e32 v17, 0x7c000000, v9
	v_bfe_u32 v44, v9, 24, 2
	s_delay_alu instid0(VALU_DEP_2) | instskip(SKIP_1) | instid1(SALU_CYCLE_1)
	v_cmp_ne_u32_e32 vcc_lo, 0x7c000000, v17
                                        ; implicit-def: $vgpr17
	s_and_saveexec_b32 s77, vcc_lo
	s_xor_b32 s77, exec_lo, s77
	s_cbranch_execz .LBB2_2353
; %bb.2350:                             ;   in Loop: Header=BB2_2129 Depth=4
	v_bfe_u32 v17, v9, 26, 5
	s_mov_b32 s78, exec_lo
	s_delay_alu instid0(VALU_DEP_1)
	v_cmpx_eq_u32_e32 0, v17
; %bb.2351:                             ;   in Loop: Header=BB2_2129 Depth=4
	v_clz_i32_u32_e32 v17, v44
	s_delay_alu instid0(VALU_DEP_1) | instskip(NEXT) | instid1(VALU_DEP_1)
	v_min_u32_e32 v17, 32, v17
	v_subrev_nc_u32_e32 v18, 29, v17
	s_delay_alu instid0(VALU_DEP_1) | instskip(NEXT) | instid1(VALU_DEP_1)
	v_lshlrev_b64_e32 v[18:19], v18, v[2:3]
	v_dual_sub_nc_u32 v17, 30, v17 :: v_dual_bitop2_b32 v44, 3, v18 bitop3:0x40
; %bb.2352:                             ;   in Loop: Header=BB2_2129 Depth=4
	s_or_b32 exec_lo, exec_lo, s78
	v_and_b32_e32 v2, 0x80000000, v9
	s_delay_alu instid0(VALU_DEP_1) | instskip(NEXT) | instid1(VALU_DEP_1)
	v_lshl_add_u32 v2, v17, 23, v2
	v_lshl_or_b32 v2, v44, 21, v2
                                        ; implicit-def: $vgpr44
	s_delay_alu instid0(VALU_DEP_1)
	v_add_nc_u32_e32 v17, 0x38000000, v2
.LBB2_2353:                             ;   in Loop: Header=BB2_2129 Depth=4
	s_and_not1_saveexec_b32 s77, s77
; %bb.2354:                             ;   in Loop: Header=BB2_2129 Depth=4
	v_cmp_lt_i64_e32 vcc_lo, -1, v[8:9]
	v_cndmask_b32_e32 v2, 0xff800000, v111, vcc_lo
	v_cmp_eq_u32_e32 vcc_lo, 0, v44
	s_delay_alu instid0(VALU_DEP_2)
	v_cndmask_b32_e32 v17, 0x7f800001, v2, vcc_lo
; %bb.2355:                             ;   in Loop: Header=BB2_2129 Depth=4
	s_or_b32 exec_lo, exec_lo, s77
.LBB2_2356:                             ;   in Loop: Header=BB2_2129 Depth=4
	s_delay_alu instid0(SALU_CYCLE_1)
	s_or_b32 exec_lo, exec_lo, s76
.LBB2_2357:                             ;   in Loop: Header=BB2_2129 Depth=4
	s_delay_alu instid0(SALU_CYCLE_1) | instskip(NEXT) | instid1(VALU_DEP_1)
	s_or_b32 exec_lo, exec_lo, s14
	v_dual_mul_f32 v8, s75, v17 :: v_dual_mov_b32 v19, v3
                                        ; implicit-def: $vgpr88
	s_mov_b32 s14, exec_lo
	s_delay_alu instid0(VALU_DEP_1) | instskip(SKIP_2) | instid1(VALU_DEP_3)
	v_and_b32_e32 v18, 0x7f800000, v8
	v_and_b32_e32 v2, 0x7fffff, v8
	v_lshrrev_b32_e32 v9, 24, v8
	v_cmpx_ne_u64_e32 0x7f800000, v[18:19]
	s_xor_b32 s76, exec_lo, s14
	s_cbranch_execz .LBB2_2371
; %bb.2358:                             ;   in Loop: Header=BB2_2129 Depth=4
	v_and_b32_e32 v18, 0x7fffffff, v8
	v_mov_b32_e32 v19, v3
	v_and_b32_e32 v17, 0x80, v9
                                        ; implicit-def: $vgpr88
	s_mov_b32 s14, exec_lo
	s_delay_alu instid0(VALU_DEP_2)
	v_cmpx_gt_u64_e32 0x47600001, v[18:19]
	s_xor_b32 s77, exec_lo, s14
	s_cbranch_execz .LBB2_2368
; %bb.2359:                             ;   in Loop: Header=BB2_2129 Depth=4
	v_mov_b32_e32 v88, 0
	s_mov_b32 s78, exec_lo
	v_cmpx_ne_u32_e32 0, v8
	s_cbranch_execz .LBB2_2367
; %bb.2360:                             ;   in Loop: Header=BB2_2129 Depth=4
	v_bfe_u32 v46, v8, 23, 8
	v_or_b32_e32 v18, 0x800000, v2
	s_delay_alu instid0(VALU_DEP_2) | instskip(SKIP_1) | instid1(VALU_DEP_2)
	v_sub_nc_u32_e32 v8, 0x71, v46
	v_cmp_gt_u32_e32 vcc_lo, 0x72, v46
	v_cndmask_b32_e32 v8, 0, v8, vcc_lo
	v_cmp_eq_u32_e32 vcc_lo, 0, v46
	s_delay_alu instid0(VALU_DEP_2) | instskip(NEXT) | instid1(VALU_DEP_1)
	v_cndmask_b32_e64 v47, v8, 0x70, vcc_lo
	v_dual_cndmask_b32 v2, v18, v2, vcc_lo :: v_dual_add_nc_u32 v8, 21, v47
	v_add_nc_u32_e32 v19, 20, v47
	s_delay_alu instid0(VALU_DEP_2) | instskip(NEXT) | instid1(VALU_DEP_2)
	v_lshlrev_b64_e64 v[8:9], v8, -1
	v_lshlrev_b64_e64 v[18:19], v19, 1
	s_delay_alu instid0(VALU_DEP_2) | instskip(NEXT) | instid1(VALU_DEP_3)
	v_bfi_b32 v45, v9, 0, 0
	v_bfi_b32 v44, v8, 0, v2
	v_lshrrev_b64 v[8:9], v47, v[2:3]
	s_delay_alu instid0(VALU_DEP_2) | instskip(NEXT) | instid1(VALU_DEP_2)
	v_cmp_eq_u64_e64 s14, v[44:45], v[18:19]
	v_mov_b64_e32 v[44:45], v[8:9]
	s_and_saveexec_b32 s79, s14
; %bb.2361:                             ;   in Loop: Header=BB2_2129 Depth=4
	v_bfe_u32 v2, v8, 21, 1
	s_delay_alu instid0(VALU_DEP_1) | instskip(NEXT) | instid1(VALU_DEP_1)
	v_add_nc_u64_e32 v[18:19], v[8:9], v[2:3]
	v_add_nc_u64_e32 v[44:45], -1, v[18:19]
; %bb.2362:                             ;   in Loop: Header=BB2_2129 Depth=4
	s_or_b32 exec_lo, exec_lo, s79
	v_add_nc_u32_e32 v2, 0xffffff81, v46
	v_lshrrev_b32_e32 v9, 23, v8
	s_mov_b32 s14, exec_lo
	s_delay_alu instid0(VALU_DEP_2) | instskip(NEXT) | instid1(VALU_DEP_1)
	v_cndmask_b32_e64 v2, v2, 0xffffff82, vcc_lo
	v_add3_u32 v45, v47, v2, v9
	v_and_b32_e32 v2, 0x1fffff, v44
                                        ; implicit-def: $vgpr44
	s_delay_alu instid0(VALU_DEP_1) | instskip(NEXT) | instid1(VALU_DEP_1)
	v_dual_add_nc_u32 v46, 14, v45 :: v_dual_add_nc_u32 v2, v2, v8
                                        ; implicit-def: $vgpr8_vgpr9
	v_cmpx_ne_u32_e32 0, v46
	s_xor_b32 s14, exec_lo, s14
; %bb.2363:                             ;   in Loop: Header=BB2_2129 Depth=4
	s_delay_alu instid0(VALU_DEP_2) | instskip(SKIP_1) | instid1(VALU_DEP_1)
	v_cmp_lt_u64_e32 vcc_lo, 0xffffff, v[2:3]
	v_add_nc_u32_e32 v8, 15, v45
	v_cndmask_b32_e32 v44, v46, v8, vcc_lo
	v_cndmask_b32_e64 v8, 0, 1, vcc_lo
	s_delay_alu instid0(VALU_DEP_1)
	v_lshrrev_b64 v[8:9], v8, v[2:3]
; %bb.2364:                             ;   in Loop: Header=BB2_2129 Depth=4
	s_and_not1_saveexec_b32 s14, s14
; %bb.2365:                             ;   in Loop: Header=BB2_2129 Depth=4
	v_mov_b64_e32 v[8:9], v[2:3]
	v_bfe_u32 v44, v2, 23, 1
; %bb.2366:                             ;   in Loop: Header=BB2_2129 Depth=4
	s_or_b32 exec_lo, exec_lo, s14
	s_delay_alu instid0(VALU_DEP_2) | instskip(NEXT) | instid1(VALU_DEP_2)
	v_lshrrev_b64 v[8:9], 21, v[8:9]
	v_cmp_gt_i32_e32 vcc_lo, 32, v44
	v_min_i32_e32 v2, 31, v44
	v_cmp_eq_u32_e64 s14, 0, v44
	s_delay_alu instid0(VALU_DEP_2) | instskip(SKIP_1) | instid1(VALU_DEP_2)
	v_dual_cndmask_b32 v9, 0, v9 :: v_dual_lshlrev_b32 v2, 2, v2
	v_cndmask_b32_e32 v8, 3, v8, vcc_lo
	v_and_b32_e32 v2, 0xfc, v2
	s_delay_alu instid0(VALU_DEP_2) | instskip(NEXT) | instid1(VALU_DEP_2)
	v_cmp_eq_u64_e32 vcc_lo, 0, v[8:9]
	v_and_or_b32 v2, v8, 3, v2
	s_and_b32 s14, s14, vcc_lo
	s_delay_alu instid0(VALU_DEP_1) | instid1(SALU_CYCLE_1)
	v_cndmask_b32_e64 v2, v2, 0, s14
	s_delay_alu instid0(VALU_DEP_1)
	v_or_b32_e32 v88, v2, v17
.LBB2_2367:                             ;   in Loop: Header=BB2_2129 Depth=4
	s_or_b32 exec_lo, exec_lo, s78
                                        ; implicit-def: $vgpr17
.LBB2_2368:                             ;   in Loop: Header=BB2_2129 Depth=4
	s_and_not1_saveexec_b32 s14, s77
; %bb.2369:                             ;   in Loop: Header=BB2_2129 Depth=4
	v_or_b32_e32 v88, 0x7b, v17
; %bb.2370:                             ;   in Loop: Header=BB2_2129 Depth=4
	s_or_b32 exec_lo, exec_lo, s14
                                        ; implicit-def: $vgpr8
                                        ; implicit-def: $vgpr9
.LBB2_2371:                             ;   in Loop: Header=BB2_2129 Depth=4
	s_and_not1_saveexec_b32 s14, s76
	s_cbranch_execz .LBB2_2377
; %bb.2372:                             ;   in Loop: Header=BB2_2129 Depth=4
	s_mov_b32 s76, exec_lo
                                        ; implicit-def: $vgpr88
	v_cmpx_ne_u64_e32 0, v[2:3]
	s_xor_b32 s76, exec_lo, s76
; %bb.2373:                             ;   in Loop: Header=BB2_2129 Depth=4
	v_or_b32_e32 v88, 0x7f, v9
                                        ; implicit-def: $vgpr8
; %bb.2374:                             ;   in Loop: Header=BB2_2129 Depth=4
	s_and_not1_saveexec_b32 s76, s76
; %bb.2375:                             ;   in Loop: Header=BB2_2129 Depth=4
	v_cmp_lt_i32_e32 vcc_lo, -1, v8
	v_cndmask_b32_e32 v88, 0xfc, v120, vcc_lo
; %bb.2376:                             ;   in Loop: Header=BB2_2129 Depth=4
	s_or_b32 exec_lo, exec_lo, s76
.LBB2_2377:                             ;   in Loop: Header=BB2_2129 Depth=4
	s_delay_alu instid0(SALU_CYCLE_1) | instskip(SKIP_1) | instid1(VALU_DEP_1)
	s_or_b32 exec_lo, exec_lo, s14
	v_and_b32_e32 v2, 0xff, v10
	v_cmp_ne_u16_e32 vcc_lo, 0, v2
	v_mov_b32_e32 v2, 0
	s_and_saveexec_b32 s14, vcc_lo
	s_cbranch_execz .LBB2_2387
; %bb.2378:                             ;   in Loop: Header=BB2_2129 Depth=4
	v_bfe_i32 v9, v10, 0, 8
	v_bfrev_b32_e32 v2, 1
	s_mov_b32 s76, exec_lo
	s_delay_alu instid0(VALU_DEP_2)
	v_cmpx_ne_u16_e32 0xff80, v9
	s_cbranch_execz .LBB2_2386
; %bb.2379:                             ;   in Loop: Header=BB2_2129 Depth=4
	v_and_b32_e32 v2, 0x7c, v10
	v_and_b32_e32 v8, 3, v10
	s_delay_alu instid0(VALU_DEP_2) | instskip(SKIP_1) | instid1(SALU_CYCLE_1)
	v_cmp_ne_u32_e32 vcc_lo, 0x7c, v2
                                        ; implicit-def: $vgpr2
	s_and_saveexec_b32 s77, vcc_lo
	s_xor_b32 s77, exec_lo, s77
	s_cbranch_execz .LBB2_2383
; %bb.2380:                             ;   in Loop: Header=BB2_2129 Depth=4
	v_bfe_u32 v2, v10, 2, 5
	s_mov_b32 s78, exec_lo
	s_delay_alu instid0(VALU_DEP_1)
	v_cmpx_eq_u32_e32 0, v2
; %bb.2381:                             ;   in Loop: Header=BB2_2129 Depth=4
	v_clz_i32_u32_e32 v2, v8
	s_delay_alu instid0(VALU_DEP_1) | instskip(NEXT) | instid1(VALU_DEP_1)
	v_min_u32_e32 v2, 32, v2
	v_subrev_nc_u32_e32 v8, 29, v2
	s_delay_alu instid0(VALU_DEP_1) | instskip(NEXT) | instid1(VALU_DEP_1)
	v_lshlrev_b64_e32 v[8:9], v8, v[10:11]
	v_dual_sub_nc_u32 v2, 30, v2 :: v_dual_bitop2_b32 v8, 3, v8 bitop3:0x40
; %bb.2382:                             ;   in Loop: Header=BB2_2129 Depth=4
	s_or_b32 exec_lo, exec_lo, s78
	v_lshlrev_b32_e32 v9, 24, v10
	s_delay_alu instid0(VALU_DEP_1) | instskip(NEXT) | instid1(VALU_DEP_1)
	v_and_b32_e32 v9, 0x80000000, v9
	v_lshl_add_u32 v2, v2, 23, v9
                                        ; implicit-def: $vgpr9
	s_delay_alu instid0(VALU_DEP_1) | instskip(NEXT) | instid1(VALU_DEP_1)
	v_lshl_or_b32 v2, v8, 21, v2
                                        ; implicit-def: $vgpr8
	v_add_nc_u32_e32 v2, 0x38000000, v2
.LBB2_2383:                             ;   in Loop: Header=BB2_2129 Depth=4
	s_and_not1_saveexec_b32 s77, s77
; %bb.2384:                             ;   in Loop: Header=BB2_2129 Depth=4
	v_cmp_lt_i16_e32 vcc_lo, -1, v9
	v_cndmask_b32_e32 v2, 0xff800000, v111, vcc_lo
	v_cmp_eq_u32_e32 vcc_lo, 0, v8
	s_delay_alu instid0(VALU_DEP_2)
	v_cndmask_b32_e32 v2, 0x7f800001, v2, vcc_lo
; %bb.2385:                             ;   in Loop: Header=BB2_2129 Depth=4
	s_or_b32 exec_lo, exec_lo, s77
.LBB2_2386:                             ;   in Loop: Header=BB2_2129 Depth=4
	s_delay_alu instid0(SALU_CYCLE_1)
	s_or_b32 exec_lo, exec_lo, s76
.LBB2_2387:                             ;   in Loop: Header=BB2_2129 Depth=4
	s_delay_alu instid0(SALU_CYCLE_1) | instskip(NEXT) | instid1(VALU_DEP_1)
	s_or_b32 exec_lo, exec_lo, s14
	v_dual_mul_f32 v8, s75, v2 :: v_dual_mov_b32 v19, v3
                                        ; implicit-def: $vgpr62
	s_mov_b32 s14, exec_lo
	s_delay_alu instid0(VALU_DEP_1) | instskip(SKIP_2) | instid1(VALU_DEP_3)
	v_and_b32_e32 v18, 0x7f800000, v8
	v_and_b32_e32 v2, 0x7fffff, v8
	v_lshrrev_b32_e32 v9, 24, v8
	v_cmpx_ne_u64_e32 0x7f800000, v[18:19]
	s_xor_b32 s76, exec_lo, s14
	s_cbranch_execz .LBB2_2401
; %bb.2388:                             ;   in Loop: Header=BB2_2129 Depth=4
	v_and_b32_e32 v18, 0x7fffffff, v8
	v_mov_b32_e32 v19, v3
	v_and_b32_e32 v17, 0x80, v9
                                        ; implicit-def: $vgpr62
	s_mov_b32 s14, exec_lo
	s_delay_alu instid0(VALU_DEP_2)
	v_cmpx_gt_u64_e32 0x47600001, v[18:19]
	s_xor_b32 s77, exec_lo, s14
	s_cbranch_execz .LBB2_2398
; %bb.2389:                             ;   in Loop: Header=BB2_2129 Depth=4
	v_mov_b32_e32 v62, 0
	s_mov_b32 s78, exec_lo
	v_cmpx_ne_u32_e32 0, v8
	s_cbranch_execz .LBB2_2397
; %bb.2390:                             ;   in Loop: Header=BB2_2129 Depth=4
	v_bfe_u32 v46, v8, 23, 8
	v_or_b32_e32 v18, 0x800000, v2
	s_delay_alu instid0(VALU_DEP_2) | instskip(SKIP_1) | instid1(VALU_DEP_2)
	v_sub_nc_u32_e32 v8, 0x71, v46
	v_cmp_gt_u32_e32 vcc_lo, 0x72, v46
	v_cndmask_b32_e32 v8, 0, v8, vcc_lo
	v_cmp_eq_u32_e32 vcc_lo, 0, v46
	s_delay_alu instid0(VALU_DEP_2) | instskip(NEXT) | instid1(VALU_DEP_1)
	v_cndmask_b32_e64 v47, v8, 0x70, vcc_lo
	v_dual_cndmask_b32 v2, v18, v2, vcc_lo :: v_dual_add_nc_u32 v8, 21, v47
	v_add_nc_u32_e32 v19, 20, v47
	s_delay_alu instid0(VALU_DEP_2) | instskip(NEXT) | instid1(VALU_DEP_2)
	v_lshlrev_b64_e64 v[8:9], v8, -1
	v_lshlrev_b64_e64 v[18:19], v19, 1
	s_delay_alu instid0(VALU_DEP_2) | instskip(NEXT) | instid1(VALU_DEP_3)
	v_bfi_b32 v45, v9, 0, 0
	v_bfi_b32 v44, v8, 0, v2
	v_lshrrev_b64 v[8:9], v47, v[2:3]
	s_delay_alu instid0(VALU_DEP_2) | instskip(NEXT) | instid1(VALU_DEP_2)
	v_cmp_eq_u64_e64 s14, v[44:45], v[18:19]
	v_mov_b64_e32 v[44:45], v[8:9]
	s_and_saveexec_b32 s79, s14
; %bb.2391:                             ;   in Loop: Header=BB2_2129 Depth=4
	v_bfe_u32 v2, v8, 21, 1
	s_delay_alu instid0(VALU_DEP_1) | instskip(NEXT) | instid1(VALU_DEP_1)
	v_add_nc_u64_e32 v[18:19], v[8:9], v[2:3]
	v_add_nc_u64_e32 v[44:45], -1, v[18:19]
; %bb.2392:                             ;   in Loop: Header=BB2_2129 Depth=4
	s_or_b32 exec_lo, exec_lo, s79
	v_add_nc_u32_e32 v2, 0xffffff81, v46
	v_lshrrev_b32_e32 v9, 23, v8
	s_mov_b32 s14, exec_lo
	s_delay_alu instid0(VALU_DEP_2) | instskip(NEXT) | instid1(VALU_DEP_1)
	v_cndmask_b32_e64 v2, v2, 0xffffff82, vcc_lo
	v_add3_u32 v45, v47, v2, v9
	v_and_b32_e32 v2, 0x1fffff, v44
                                        ; implicit-def: $vgpr44
	s_delay_alu instid0(VALU_DEP_1) | instskip(NEXT) | instid1(VALU_DEP_1)
	v_dual_add_nc_u32 v46, 14, v45 :: v_dual_add_nc_u32 v2, v2, v8
                                        ; implicit-def: $vgpr8_vgpr9
	v_cmpx_ne_u32_e32 0, v46
	s_xor_b32 s14, exec_lo, s14
; %bb.2393:                             ;   in Loop: Header=BB2_2129 Depth=4
	s_delay_alu instid0(VALU_DEP_2) | instskip(SKIP_1) | instid1(VALU_DEP_1)
	v_cmp_lt_u64_e32 vcc_lo, 0xffffff, v[2:3]
	v_add_nc_u32_e32 v8, 15, v45
	v_cndmask_b32_e32 v44, v46, v8, vcc_lo
	v_cndmask_b32_e64 v8, 0, 1, vcc_lo
	s_delay_alu instid0(VALU_DEP_1)
	v_lshrrev_b64 v[8:9], v8, v[2:3]
; %bb.2394:                             ;   in Loop: Header=BB2_2129 Depth=4
	s_and_not1_saveexec_b32 s14, s14
; %bb.2395:                             ;   in Loop: Header=BB2_2129 Depth=4
	v_mov_b64_e32 v[8:9], v[2:3]
	v_bfe_u32 v44, v2, 23, 1
; %bb.2396:                             ;   in Loop: Header=BB2_2129 Depth=4
	s_or_b32 exec_lo, exec_lo, s14
	s_delay_alu instid0(VALU_DEP_2) | instskip(NEXT) | instid1(VALU_DEP_2)
	v_lshrrev_b64 v[8:9], 21, v[8:9]
	v_cmp_gt_i32_e32 vcc_lo, 32, v44
	v_min_i32_e32 v2, 31, v44
	v_cmp_eq_u32_e64 s14, 0, v44
	s_delay_alu instid0(VALU_DEP_2) | instskip(SKIP_1) | instid1(VALU_DEP_2)
	v_dual_cndmask_b32 v9, 0, v9 :: v_dual_lshlrev_b32 v2, 2, v2
	v_cndmask_b32_e32 v8, 3, v8, vcc_lo
	v_and_b32_e32 v2, 0xfc, v2
	s_delay_alu instid0(VALU_DEP_2) | instskip(NEXT) | instid1(VALU_DEP_2)
	v_cmp_eq_u64_e32 vcc_lo, 0, v[8:9]
	v_and_or_b32 v2, v8, 3, v2
	s_and_b32 s14, s14, vcc_lo
	s_delay_alu instid0(VALU_DEP_1) | instid1(SALU_CYCLE_1)
	v_cndmask_b32_e64 v2, v2, 0, s14
	s_delay_alu instid0(VALU_DEP_1)
	v_or_b32_e32 v62, v2, v17
.LBB2_2397:                             ;   in Loop: Header=BB2_2129 Depth=4
	s_or_b32 exec_lo, exec_lo, s78
                                        ; implicit-def: $vgpr17
.LBB2_2398:                             ;   in Loop: Header=BB2_2129 Depth=4
	s_and_not1_saveexec_b32 s14, s77
; %bb.2399:                             ;   in Loop: Header=BB2_2129 Depth=4
	v_or_b32_e32 v62, 0x7b, v17
; %bb.2400:                             ;   in Loop: Header=BB2_2129 Depth=4
	s_or_b32 exec_lo, exec_lo, s14
                                        ; implicit-def: $vgpr8
                                        ; implicit-def: $vgpr9
.LBB2_2401:                             ;   in Loop: Header=BB2_2129 Depth=4
	s_and_not1_saveexec_b32 s14, s76
	s_cbranch_execz .LBB2_2407
; %bb.2402:                             ;   in Loop: Header=BB2_2129 Depth=4
	s_mov_b32 s76, exec_lo
                                        ; implicit-def: $vgpr62
	v_cmpx_ne_u64_e32 0, v[2:3]
	s_xor_b32 s76, exec_lo, s76
; %bb.2403:                             ;   in Loop: Header=BB2_2129 Depth=4
	v_or_b32_e32 v62, 0x7f, v9
                                        ; implicit-def: $vgpr8
; %bb.2404:                             ;   in Loop: Header=BB2_2129 Depth=4
	s_and_not1_saveexec_b32 s76, s76
; %bb.2405:                             ;   in Loop: Header=BB2_2129 Depth=4
	v_cmp_lt_i32_e32 vcc_lo, -1, v8
	v_cndmask_b32_e32 v62, 0xfc, v120, vcc_lo
; %bb.2406:                             ;   in Loop: Header=BB2_2129 Depth=4
	s_or_b32 exec_lo, exec_lo, s76
.LBB2_2407:                             ;   in Loop: Header=BB2_2129 Depth=4
	s_delay_alu instid0(SALU_CYCLE_1) | instskip(SKIP_3) | instid1(VALU_DEP_2)
	s_or_b32 exec_lo, exec_lo, s14
	v_lshrrev_b16 v2, 8, v10
	v_mov_b32_e32 v9, 0
	s_mov_b32 s14, exec_lo
	v_cmpx_ne_u16_e32 0, v2
	s_cbranch_execz .LBB2_2417
; %bb.2408:                             ;   in Loop: Header=BB2_2129 Depth=4
	v_bfrev_b32_e32 v9, 1
	s_mov_b32 s76, exec_lo
	v_cmpx_ne_u16_e32 0x80, v2
	s_cbranch_execz .LBB2_2416
; %bb.2409:                             ;   in Loop: Header=BB2_2129 Depth=4
	v_and_b32_e32 v17, 0xffff, v2
	s_delay_alu instid0(VALU_DEP_1) | instskip(SKIP_1) | instid1(VALU_DEP_2)
	v_and_b32_e32 v9, 0x7c, v17
	v_and_b32_e32 v8, 3, v17
	v_cmp_ne_u32_e32 vcc_lo, 0x7c, v9
                                        ; implicit-def: $vgpr9
	s_and_saveexec_b32 s77, vcc_lo
	s_delay_alu instid0(SALU_CYCLE_1)
	s_xor_b32 s77, exec_lo, s77
	s_cbranch_execz .LBB2_2413
; %bb.2410:                             ;   in Loop: Header=BB2_2129 Depth=4
	v_bfe_u32 v9, v17, 2, 5
	s_mov_b32 s78, exec_lo
	s_delay_alu instid0(VALU_DEP_1)
	v_cmpx_eq_u32_e32 0, v9
; %bb.2411:                             ;   in Loop: Header=BB2_2129 Depth=4
	v_clz_i32_u32_e32 v8, v8
	s_delay_alu instid0(VALU_DEP_1) | instskip(NEXT) | instid1(VALU_DEP_1)
	v_min_u32_e32 v17, 32, v8
	v_subrev_nc_u32_e32 v8, 29, v17
	s_delay_alu instid0(VALU_DEP_1) | instskip(NEXT) | instid1(VALU_DEP_1)
	v_lshlrev_b64_e32 v[8:9], v8, v[2:3]
	v_dual_sub_nc_u32 v9, 30, v17 :: v_dual_bitop2_b32 v8, 3, v8 bitop3:0x40
; %bb.2412:                             ;   in Loop: Header=BB2_2129 Depth=4
	s_or_b32 exec_lo, exec_lo, s78
	v_lshlrev_b32_e32 v2, 16, v10
	s_delay_alu instid0(VALU_DEP_1) | instskip(NEXT) | instid1(VALU_DEP_1)
	v_and_b32_e32 v2, 0x80000000, v2
	v_lshl_add_u32 v2, v9, 23, v2
	s_delay_alu instid0(VALU_DEP_1) | instskip(NEXT) | instid1(VALU_DEP_1)
	v_lshl_or_b32 v2, v8, 21, v2
                                        ; implicit-def: $vgpr8
	v_add_nc_u32_e32 v9, 0x38000000, v2
.LBB2_2413:                             ;   in Loop: Header=BB2_2129 Depth=4
	s_and_not1_saveexec_b32 s77, s77
; %bb.2414:                             ;   in Loop: Header=BB2_2129 Depth=4
	v_cmp_lt_i16_e32 vcc_lo, -1, v10
	v_cndmask_b32_e32 v2, 0xff800000, v111, vcc_lo
	v_cmp_eq_u32_e32 vcc_lo, 0, v8
	s_delay_alu instid0(VALU_DEP_2)
	v_cndmask_b32_e32 v9, 0x7f800001, v2, vcc_lo
; %bb.2415:                             ;   in Loop: Header=BB2_2129 Depth=4
	s_or_b32 exec_lo, exec_lo, s77
.LBB2_2416:                             ;   in Loop: Header=BB2_2129 Depth=4
	s_delay_alu instid0(SALU_CYCLE_1)
	s_or_b32 exec_lo, exec_lo, s76
.LBB2_2417:                             ;   in Loop: Header=BB2_2129 Depth=4
	s_delay_alu instid0(SALU_CYCLE_1) | instskip(NEXT) | instid1(VALU_DEP_1)
	s_or_b32 exec_lo, exec_lo, s14
	v_dual_mul_f32 v8, s75, v9 :: v_dual_mov_b32 v19, v3
                                        ; implicit-def: $vgpr74
	s_mov_b32 s14, exec_lo
	s_delay_alu instid0(VALU_DEP_1) | instskip(SKIP_2) | instid1(VALU_DEP_3)
	v_and_b32_e32 v18, 0x7f800000, v8
	v_and_b32_e32 v2, 0x7fffff, v8
	v_lshrrev_b32_e32 v9, 24, v8
	v_cmpx_ne_u64_e32 0x7f800000, v[18:19]
	s_xor_b32 s76, exec_lo, s14
	s_cbranch_execz .LBB2_2431
; %bb.2418:                             ;   in Loop: Header=BB2_2129 Depth=4
	v_and_b32_e32 v18, 0x7fffffff, v8
	v_mov_b32_e32 v19, v3
	v_and_b32_e32 v17, 0x80, v9
                                        ; implicit-def: $vgpr74
	s_mov_b32 s14, exec_lo
	s_delay_alu instid0(VALU_DEP_2)
	v_cmpx_gt_u64_e32 0x47600001, v[18:19]
	s_xor_b32 s77, exec_lo, s14
	s_cbranch_execz .LBB2_2428
; %bb.2419:                             ;   in Loop: Header=BB2_2129 Depth=4
	v_mov_b32_e32 v74, 0
	s_mov_b32 s78, exec_lo
	v_cmpx_ne_u32_e32 0, v8
	s_cbranch_execz .LBB2_2427
; %bb.2420:                             ;   in Loop: Header=BB2_2129 Depth=4
	v_bfe_u32 v46, v8, 23, 8
	v_or_b32_e32 v18, 0x800000, v2
	s_delay_alu instid0(VALU_DEP_2) | instskip(SKIP_1) | instid1(VALU_DEP_2)
	v_sub_nc_u32_e32 v8, 0x71, v46
	v_cmp_gt_u32_e32 vcc_lo, 0x72, v46
	v_cndmask_b32_e32 v8, 0, v8, vcc_lo
	v_cmp_eq_u32_e32 vcc_lo, 0, v46
	s_delay_alu instid0(VALU_DEP_2) | instskip(NEXT) | instid1(VALU_DEP_1)
	v_cndmask_b32_e64 v47, v8, 0x70, vcc_lo
	v_dual_cndmask_b32 v2, v18, v2, vcc_lo :: v_dual_add_nc_u32 v8, 21, v47
	v_add_nc_u32_e32 v19, 20, v47
	s_delay_alu instid0(VALU_DEP_2) | instskip(NEXT) | instid1(VALU_DEP_2)
	v_lshlrev_b64_e64 v[8:9], v8, -1
	v_lshlrev_b64_e64 v[18:19], v19, 1
	s_delay_alu instid0(VALU_DEP_2) | instskip(NEXT) | instid1(VALU_DEP_3)
	v_bfi_b32 v45, v9, 0, 0
	v_bfi_b32 v44, v8, 0, v2
	v_lshrrev_b64 v[8:9], v47, v[2:3]
	s_delay_alu instid0(VALU_DEP_2) | instskip(NEXT) | instid1(VALU_DEP_2)
	v_cmp_eq_u64_e64 s14, v[44:45], v[18:19]
	v_mov_b64_e32 v[44:45], v[8:9]
	s_and_saveexec_b32 s79, s14
; %bb.2421:                             ;   in Loop: Header=BB2_2129 Depth=4
	v_bfe_u32 v2, v8, 21, 1
	s_delay_alu instid0(VALU_DEP_1) | instskip(NEXT) | instid1(VALU_DEP_1)
	v_add_nc_u64_e32 v[18:19], v[8:9], v[2:3]
	v_add_nc_u64_e32 v[44:45], -1, v[18:19]
; %bb.2422:                             ;   in Loop: Header=BB2_2129 Depth=4
	s_or_b32 exec_lo, exec_lo, s79
	v_add_nc_u32_e32 v2, 0xffffff81, v46
	v_lshrrev_b32_e32 v9, 23, v8
	s_mov_b32 s14, exec_lo
	s_delay_alu instid0(VALU_DEP_2) | instskip(NEXT) | instid1(VALU_DEP_1)
	v_cndmask_b32_e64 v2, v2, 0xffffff82, vcc_lo
	v_add3_u32 v45, v47, v2, v9
	v_and_b32_e32 v2, 0x1fffff, v44
                                        ; implicit-def: $vgpr44
	s_delay_alu instid0(VALU_DEP_1) | instskip(NEXT) | instid1(VALU_DEP_1)
	v_dual_add_nc_u32 v46, 14, v45 :: v_dual_add_nc_u32 v2, v2, v8
                                        ; implicit-def: $vgpr8_vgpr9
	v_cmpx_ne_u32_e32 0, v46
	s_xor_b32 s14, exec_lo, s14
; %bb.2423:                             ;   in Loop: Header=BB2_2129 Depth=4
	s_delay_alu instid0(VALU_DEP_2) | instskip(SKIP_1) | instid1(VALU_DEP_1)
	v_cmp_lt_u64_e32 vcc_lo, 0xffffff, v[2:3]
	v_add_nc_u32_e32 v8, 15, v45
	v_cndmask_b32_e32 v44, v46, v8, vcc_lo
	v_cndmask_b32_e64 v8, 0, 1, vcc_lo
	s_delay_alu instid0(VALU_DEP_1)
	v_lshrrev_b64 v[8:9], v8, v[2:3]
; %bb.2424:                             ;   in Loop: Header=BB2_2129 Depth=4
	s_and_not1_saveexec_b32 s14, s14
; %bb.2425:                             ;   in Loop: Header=BB2_2129 Depth=4
	v_mov_b64_e32 v[8:9], v[2:3]
	v_bfe_u32 v44, v2, 23, 1
; %bb.2426:                             ;   in Loop: Header=BB2_2129 Depth=4
	s_or_b32 exec_lo, exec_lo, s14
	s_delay_alu instid0(VALU_DEP_2) | instskip(NEXT) | instid1(VALU_DEP_2)
	v_lshrrev_b64 v[8:9], 21, v[8:9]
	v_cmp_gt_i32_e32 vcc_lo, 32, v44
	v_min_i32_e32 v2, 31, v44
	v_cmp_eq_u32_e64 s14, 0, v44
	s_delay_alu instid0(VALU_DEP_2) | instskip(SKIP_1) | instid1(VALU_DEP_2)
	v_dual_cndmask_b32 v9, 0, v9 :: v_dual_lshlrev_b32 v2, 2, v2
	v_cndmask_b32_e32 v8, 3, v8, vcc_lo
	v_and_b32_e32 v2, 0xfc, v2
	s_delay_alu instid0(VALU_DEP_2) | instskip(NEXT) | instid1(VALU_DEP_2)
	v_cmp_eq_u64_e32 vcc_lo, 0, v[8:9]
	v_and_or_b32 v2, v8, 3, v2
	s_and_b32 s14, s14, vcc_lo
	s_delay_alu instid0(VALU_DEP_1) | instid1(SALU_CYCLE_1)
	v_cndmask_b32_e64 v2, v2, 0, s14
	s_delay_alu instid0(VALU_DEP_1)
	v_or_b32_e32 v74, v2, v17
.LBB2_2427:                             ;   in Loop: Header=BB2_2129 Depth=4
	s_or_b32 exec_lo, exec_lo, s78
                                        ; implicit-def: $vgpr17
.LBB2_2428:                             ;   in Loop: Header=BB2_2129 Depth=4
	s_and_not1_saveexec_b32 s14, s77
; %bb.2429:                             ;   in Loop: Header=BB2_2129 Depth=4
	v_or_b32_e32 v74, 0x7b, v17
; %bb.2430:                             ;   in Loop: Header=BB2_2129 Depth=4
	s_or_b32 exec_lo, exec_lo, s14
                                        ; implicit-def: $vgpr8
                                        ; implicit-def: $vgpr9
.LBB2_2431:                             ;   in Loop: Header=BB2_2129 Depth=4
	s_and_not1_saveexec_b32 s14, s76
	s_cbranch_execz .LBB2_2437
; %bb.2432:                             ;   in Loop: Header=BB2_2129 Depth=4
	s_mov_b32 s76, exec_lo
                                        ; implicit-def: $vgpr74
	v_cmpx_ne_u64_e32 0, v[2:3]
	s_xor_b32 s76, exec_lo, s76
; %bb.2433:                             ;   in Loop: Header=BB2_2129 Depth=4
	v_or_b32_e32 v74, 0x7f, v9
                                        ; implicit-def: $vgpr8
; %bb.2434:                             ;   in Loop: Header=BB2_2129 Depth=4
	s_and_not1_saveexec_b32 s76, s76
; %bb.2435:                             ;   in Loop: Header=BB2_2129 Depth=4
	v_cmp_lt_i32_e32 vcc_lo, -1, v8
	v_cndmask_b32_e32 v74, 0xfc, v120, vcc_lo
; %bb.2436:                             ;   in Loop: Header=BB2_2129 Depth=4
	s_or_b32 exec_lo, exec_lo, s76
.LBB2_2437:                             ;   in Loop: Header=BB2_2129 Depth=4
	s_delay_alu instid0(SALU_CYCLE_1) | instskip(SKIP_2) | instid1(VALU_DEP_1)
	s_or_b32 exec_lo, exec_lo, s14
	v_dual_lshrrev_b32 v2, 16, v10 :: v_dual_mov_b32 v8, 0
	s_mov_b32 s14, exec_lo
	v_and_b32_e32 v9, 0xff, v2
	s_delay_alu instid0(VALU_DEP_1)
	v_cmpx_ne_u16_e32 0, v9
	s_cbranch_execz .LBB2_2447
; %bb.2438:                             ;   in Loop: Header=BB2_2129 Depth=4
	v_bfrev_b32_e32 v8, 1
	s_mov_b32 s76, exec_lo
	v_cmpx_ne_u16_e32 0x80, v9
	s_cbranch_execz .LBB2_2446
; %bb.2439:                             ;   in Loop: Header=BB2_2129 Depth=4
	v_and_b32_e32 v8, 0x7c0000, v10
	v_bfe_u32 v9, v10, 16, 2
	s_delay_alu instid0(VALU_DEP_2) | instskip(SKIP_1) | instid1(SALU_CYCLE_1)
	v_cmp_ne_u32_e32 vcc_lo, 0x7c0000, v8
                                        ; implicit-def: $vgpr8
	s_and_saveexec_b32 s77, vcc_lo
	s_xor_b32 s77, exec_lo, s77
	s_cbranch_execz .LBB2_2443
; %bb.2440:                             ;   in Loop: Header=BB2_2129 Depth=4
	v_bfe_u32 v8, v10, 18, 5
	s_mov_b32 s78, exec_lo
	s_delay_alu instid0(VALU_DEP_1)
	v_cmpx_eq_u32_e32 0, v8
; %bb.2441:                             ;   in Loop: Header=BB2_2129 Depth=4
	v_clz_i32_u32_e32 v8, v9
	s_delay_alu instid0(VALU_DEP_1) | instskip(NEXT) | instid1(VALU_DEP_1)
	v_min_u32_e32 v8, 32, v8
	v_subrev_nc_u32_e32 v9, 29, v8
	s_delay_alu instid0(VALU_DEP_1) | instskip(NEXT) | instid1(VALU_DEP_1)
	v_lshlrev_b64_e32 v[18:19], v9, v[2:3]
	v_dual_sub_nc_u32 v8, 30, v8 :: v_dual_bitop2_b32 v9, 3, v18 bitop3:0x40
; %bb.2442:                             ;   in Loop: Header=BB2_2129 Depth=4
	s_or_b32 exec_lo, exec_lo, s78
	v_lshlrev_b32_e32 v2, 24, v2
	s_delay_alu instid0(VALU_DEP_1) | instskip(NEXT) | instid1(VALU_DEP_1)
	v_and_b32_e32 v2, 0x80000000, v2
	v_lshl_add_u32 v2, v8, 23, v2
	s_delay_alu instid0(VALU_DEP_1) | instskip(NEXT) | instid1(VALU_DEP_1)
	v_lshl_or_b32 v2, v9, 21, v2
                                        ; implicit-def: $vgpr9
	v_add_nc_u32_e32 v8, 0x38000000, v2
                                        ; implicit-def: $vgpr2
.LBB2_2443:                             ;   in Loop: Header=BB2_2129 Depth=4
	s_and_not1_saveexec_b32 s77, s77
; %bb.2444:                             ;   in Loop: Header=BB2_2129 Depth=4
	v_bfe_i32 v2, v2, 0, 8
	s_delay_alu instid0(VALU_DEP_1) | instskip(SKIP_2) | instid1(VALU_DEP_2)
	v_cmp_lt_i16_e32 vcc_lo, -1, v2
	v_cndmask_b32_e32 v2, 0xff800000, v111, vcc_lo
	v_cmp_eq_u32_e32 vcc_lo, 0, v9
	v_cndmask_b32_e32 v8, 0x7f800001, v2, vcc_lo
; %bb.2445:                             ;   in Loop: Header=BB2_2129 Depth=4
	s_or_b32 exec_lo, exec_lo, s77
.LBB2_2446:                             ;   in Loop: Header=BB2_2129 Depth=4
	s_delay_alu instid0(SALU_CYCLE_1)
	s_or_b32 exec_lo, exec_lo, s76
.LBB2_2447:                             ;   in Loop: Header=BB2_2129 Depth=4
	s_delay_alu instid0(SALU_CYCLE_1) | instskip(NEXT) | instid1(VALU_DEP_1)
	s_or_b32 exec_lo, exec_lo, s14
	v_dual_mul_f32 v8, s75, v8 :: v_dual_mov_b32 v19, v3
                                        ; implicit-def: $vgpr77
	s_mov_b32 s14, exec_lo
	s_delay_alu instid0(VALU_DEP_1) | instskip(SKIP_2) | instid1(VALU_DEP_3)
	v_and_b32_e32 v18, 0x7f800000, v8
	v_and_b32_e32 v2, 0x7fffff, v8
	v_lshrrev_b32_e32 v9, 24, v8
	v_cmpx_ne_u64_e32 0x7f800000, v[18:19]
	s_xor_b32 s76, exec_lo, s14
	s_cbranch_execz .LBB2_2461
; %bb.2448:                             ;   in Loop: Header=BB2_2129 Depth=4
	v_and_b32_e32 v18, 0x7fffffff, v8
	v_mov_b32_e32 v19, v3
	v_and_b32_e32 v17, 0x80, v9
                                        ; implicit-def: $vgpr77
	s_mov_b32 s14, exec_lo
	s_delay_alu instid0(VALU_DEP_2)
	v_cmpx_gt_u64_e32 0x47600001, v[18:19]
	s_xor_b32 s77, exec_lo, s14
	s_cbranch_execz .LBB2_2458
; %bb.2449:                             ;   in Loop: Header=BB2_2129 Depth=4
	v_mov_b32_e32 v77, 0
	s_mov_b32 s78, exec_lo
	v_cmpx_ne_u32_e32 0, v8
	s_cbranch_execz .LBB2_2457
; %bb.2450:                             ;   in Loop: Header=BB2_2129 Depth=4
	v_bfe_u32 v46, v8, 23, 8
	v_or_b32_e32 v18, 0x800000, v2
	s_delay_alu instid0(VALU_DEP_2) | instskip(SKIP_1) | instid1(VALU_DEP_2)
	v_sub_nc_u32_e32 v8, 0x71, v46
	v_cmp_gt_u32_e32 vcc_lo, 0x72, v46
	v_cndmask_b32_e32 v8, 0, v8, vcc_lo
	v_cmp_eq_u32_e32 vcc_lo, 0, v46
	s_delay_alu instid0(VALU_DEP_2) | instskip(NEXT) | instid1(VALU_DEP_1)
	v_cndmask_b32_e64 v47, v8, 0x70, vcc_lo
	v_dual_cndmask_b32 v2, v18, v2, vcc_lo :: v_dual_add_nc_u32 v8, 21, v47
	v_add_nc_u32_e32 v19, 20, v47
	s_delay_alu instid0(VALU_DEP_2) | instskip(NEXT) | instid1(VALU_DEP_2)
	v_lshlrev_b64_e64 v[8:9], v8, -1
	v_lshlrev_b64_e64 v[18:19], v19, 1
	s_delay_alu instid0(VALU_DEP_2) | instskip(NEXT) | instid1(VALU_DEP_3)
	v_bfi_b32 v45, v9, 0, 0
	v_bfi_b32 v44, v8, 0, v2
	v_lshrrev_b64 v[8:9], v47, v[2:3]
	s_delay_alu instid0(VALU_DEP_2) | instskip(NEXT) | instid1(VALU_DEP_2)
	v_cmp_eq_u64_e64 s14, v[44:45], v[18:19]
	v_mov_b64_e32 v[44:45], v[8:9]
	s_and_saveexec_b32 s79, s14
; %bb.2451:                             ;   in Loop: Header=BB2_2129 Depth=4
	v_bfe_u32 v2, v8, 21, 1
	s_delay_alu instid0(VALU_DEP_1) | instskip(NEXT) | instid1(VALU_DEP_1)
	v_add_nc_u64_e32 v[18:19], v[8:9], v[2:3]
	v_add_nc_u64_e32 v[44:45], -1, v[18:19]
; %bb.2452:                             ;   in Loop: Header=BB2_2129 Depth=4
	s_or_b32 exec_lo, exec_lo, s79
	v_add_nc_u32_e32 v2, 0xffffff81, v46
	v_lshrrev_b32_e32 v9, 23, v8
	s_mov_b32 s14, exec_lo
	s_delay_alu instid0(VALU_DEP_2) | instskip(NEXT) | instid1(VALU_DEP_1)
	v_cndmask_b32_e64 v2, v2, 0xffffff82, vcc_lo
	v_add3_u32 v45, v47, v2, v9
	v_and_b32_e32 v2, 0x1fffff, v44
                                        ; implicit-def: $vgpr44
	s_delay_alu instid0(VALU_DEP_1) | instskip(NEXT) | instid1(VALU_DEP_1)
	v_dual_add_nc_u32 v46, 14, v45 :: v_dual_add_nc_u32 v2, v2, v8
                                        ; implicit-def: $vgpr8_vgpr9
	v_cmpx_ne_u32_e32 0, v46
	s_xor_b32 s14, exec_lo, s14
; %bb.2453:                             ;   in Loop: Header=BB2_2129 Depth=4
	s_delay_alu instid0(VALU_DEP_2) | instskip(SKIP_1) | instid1(VALU_DEP_1)
	v_cmp_lt_u64_e32 vcc_lo, 0xffffff, v[2:3]
	v_add_nc_u32_e32 v8, 15, v45
	v_cndmask_b32_e32 v44, v46, v8, vcc_lo
	v_cndmask_b32_e64 v8, 0, 1, vcc_lo
	s_delay_alu instid0(VALU_DEP_1)
	v_lshrrev_b64 v[8:9], v8, v[2:3]
; %bb.2454:                             ;   in Loop: Header=BB2_2129 Depth=4
	s_and_not1_saveexec_b32 s14, s14
; %bb.2455:                             ;   in Loop: Header=BB2_2129 Depth=4
	v_mov_b64_e32 v[8:9], v[2:3]
	v_bfe_u32 v44, v2, 23, 1
; %bb.2456:                             ;   in Loop: Header=BB2_2129 Depth=4
	s_or_b32 exec_lo, exec_lo, s14
	s_delay_alu instid0(VALU_DEP_2) | instskip(NEXT) | instid1(VALU_DEP_2)
	v_lshrrev_b64 v[8:9], 21, v[8:9]
	v_cmp_gt_i32_e32 vcc_lo, 32, v44
	v_min_i32_e32 v2, 31, v44
	v_cmp_eq_u32_e64 s14, 0, v44
	s_delay_alu instid0(VALU_DEP_2) | instskip(SKIP_1) | instid1(VALU_DEP_2)
	v_dual_cndmask_b32 v9, 0, v9 :: v_dual_lshlrev_b32 v2, 2, v2
	v_cndmask_b32_e32 v8, 3, v8, vcc_lo
	v_and_b32_e32 v2, 0xfc, v2
	s_delay_alu instid0(VALU_DEP_2) | instskip(NEXT) | instid1(VALU_DEP_2)
	v_cmp_eq_u64_e32 vcc_lo, 0, v[8:9]
	v_and_or_b32 v2, v8, 3, v2
	s_and_b32 s14, s14, vcc_lo
	s_delay_alu instid0(VALU_DEP_1) | instid1(SALU_CYCLE_1)
	v_cndmask_b32_e64 v2, v2, 0, s14
	s_delay_alu instid0(VALU_DEP_1)
	v_or_b32_e32 v77, v2, v17
.LBB2_2457:                             ;   in Loop: Header=BB2_2129 Depth=4
	s_or_b32 exec_lo, exec_lo, s78
                                        ; implicit-def: $vgpr17
.LBB2_2458:                             ;   in Loop: Header=BB2_2129 Depth=4
	s_and_not1_saveexec_b32 s14, s77
; %bb.2459:                             ;   in Loop: Header=BB2_2129 Depth=4
	v_or_b32_e32 v77, 0x7b, v17
; %bb.2460:                             ;   in Loop: Header=BB2_2129 Depth=4
	s_or_b32 exec_lo, exec_lo, s14
                                        ; implicit-def: $vgpr8
                                        ; implicit-def: $vgpr9
.LBB2_2461:                             ;   in Loop: Header=BB2_2129 Depth=4
	s_and_not1_saveexec_b32 s14, s76
	s_cbranch_execz .LBB2_2467
; %bb.2462:                             ;   in Loop: Header=BB2_2129 Depth=4
	s_mov_b32 s76, exec_lo
                                        ; implicit-def: $vgpr77
	v_cmpx_ne_u64_e32 0, v[2:3]
	s_xor_b32 s76, exec_lo, s76
; %bb.2463:                             ;   in Loop: Header=BB2_2129 Depth=4
	v_or_b32_e32 v77, 0x7f, v9
                                        ; implicit-def: $vgpr8
; %bb.2464:                             ;   in Loop: Header=BB2_2129 Depth=4
	s_and_not1_saveexec_b32 s76, s76
; %bb.2465:                             ;   in Loop: Header=BB2_2129 Depth=4
	v_cmp_lt_i32_e32 vcc_lo, -1, v8
	v_cndmask_b32_e32 v77, 0xfc, v120, vcc_lo
; %bb.2466:                             ;   in Loop: Header=BB2_2129 Depth=4
	s_or_b32 exec_lo, exec_lo, s76
.LBB2_2467:                             ;   in Loop: Header=BB2_2129 Depth=4
	s_delay_alu instid0(SALU_CYCLE_1)
	s_or_b32 exec_lo, exec_lo, s14
	v_mov_b32_e32 v8, 0
	s_mov_b32 s14, exec_lo
	v_cmpx_lt_u32_e32 0xffffff, v10
	s_cbranch_execz .LBB2_2477
; %bb.2468:                             ;   in Loop: Header=BB2_2129 Depth=4
	v_lshrrev_b32_e32 v2, 24, v10
	v_bfrev_b32_e32 v8, 1
	s_mov_b32 s76, exec_lo
	s_delay_alu instid0(VALU_DEP_2)
	v_cmpx_ne_u32_e32 0x80, v2
	s_cbranch_execz .LBB2_2476
; %bb.2469:                             ;   in Loop: Header=BB2_2129 Depth=4
	v_and_b32_e32 v8, 0x7c000000, v10
	v_bfe_u32 v9, v10, 24, 2
	s_delay_alu instid0(VALU_DEP_2) | instskip(SKIP_1) | instid1(SALU_CYCLE_1)
	v_cmp_ne_u32_e32 vcc_lo, 0x7c000000, v8
                                        ; implicit-def: $vgpr8
	s_and_saveexec_b32 s77, vcc_lo
	s_xor_b32 s77, exec_lo, s77
	s_cbranch_execz .LBB2_2473
; %bb.2470:                             ;   in Loop: Header=BB2_2129 Depth=4
	v_bfe_u32 v8, v10, 26, 5
	s_mov_b32 s78, exec_lo
	s_delay_alu instid0(VALU_DEP_1)
	v_cmpx_eq_u32_e32 0, v8
; %bb.2471:                             ;   in Loop: Header=BB2_2129 Depth=4
	v_clz_i32_u32_e32 v8, v9
	s_delay_alu instid0(VALU_DEP_1) | instskip(NEXT) | instid1(VALU_DEP_1)
	v_min_u32_e32 v8, 32, v8
	v_subrev_nc_u32_e32 v9, 29, v8
	s_delay_alu instid0(VALU_DEP_1) | instskip(NEXT) | instid1(VALU_DEP_1)
	v_lshlrev_b64_e32 v[18:19], v9, v[2:3]
	v_dual_sub_nc_u32 v8, 30, v8 :: v_dual_bitop2_b32 v9, 3, v18 bitop3:0x40
; %bb.2472:                             ;   in Loop: Header=BB2_2129 Depth=4
	s_or_b32 exec_lo, exec_lo, s78
	v_and_b32_e32 v2, 0x80000000, v10
	s_delay_alu instid0(VALU_DEP_1) | instskip(NEXT) | instid1(VALU_DEP_1)
	v_lshl_add_u32 v2, v8, 23, v2
	v_lshl_or_b32 v2, v9, 21, v2
                                        ; implicit-def: $vgpr9
	s_delay_alu instid0(VALU_DEP_1)
	v_add_nc_u32_e32 v8, 0x38000000, v2
.LBB2_2473:                             ;   in Loop: Header=BB2_2129 Depth=4
	s_and_not1_saveexec_b32 s77, s77
; %bb.2474:                             ;   in Loop: Header=BB2_2129 Depth=4
	v_cmp_lt_i32_e32 vcc_lo, -1, v10
	v_cndmask_b32_e32 v2, 0xff800000, v111, vcc_lo
	v_cmp_eq_u32_e32 vcc_lo, 0, v9
	s_delay_alu instid0(VALU_DEP_2)
	v_cndmask_b32_e32 v8, 0x7f800001, v2, vcc_lo
; %bb.2475:                             ;   in Loop: Header=BB2_2129 Depth=4
	s_or_b32 exec_lo, exec_lo, s77
.LBB2_2476:                             ;   in Loop: Header=BB2_2129 Depth=4
	s_delay_alu instid0(SALU_CYCLE_1)
	s_or_b32 exec_lo, exec_lo, s76
.LBB2_2477:                             ;   in Loop: Header=BB2_2129 Depth=4
	s_delay_alu instid0(SALU_CYCLE_1) | instskip(NEXT) | instid1(VALU_DEP_1)
	s_or_b32 exec_lo, exec_lo, s14
	v_dual_mul_f32 v8, s75, v8 :: v_dual_mov_b32 v19, v3
                                        ; implicit-def: $vgpr78
	s_mov_b32 s14, exec_lo
	s_delay_alu instid0(VALU_DEP_1) | instskip(SKIP_2) | instid1(VALU_DEP_3)
	v_and_b32_e32 v18, 0x7f800000, v8
	v_and_b32_e32 v2, 0x7fffff, v8
	v_lshrrev_b32_e32 v9, 24, v8
	v_cmpx_ne_u64_e32 0x7f800000, v[18:19]
	s_xor_b32 s76, exec_lo, s14
	s_cbranch_execz .LBB2_2491
; %bb.2478:                             ;   in Loop: Header=BB2_2129 Depth=4
	v_and_b32_e32 v18, 0x7fffffff, v8
	v_mov_b32_e32 v19, v3
	v_and_b32_e32 v17, 0x80, v9
                                        ; implicit-def: $vgpr78
	s_mov_b32 s14, exec_lo
	s_delay_alu instid0(VALU_DEP_2)
	v_cmpx_gt_u64_e32 0x47600001, v[18:19]
	s_xor_b32 s77, exec_lo, s14
	s_cbranch_execz .LBB2_2488
; %bb.2479:                             ;   in Loop: Header=BB2_2129 Depth=4
	v_mov_b32_e32 v78, 0
	s_mov_b32 s78, exec_lo
	v_cmpx_ne_u32_e32 0, v8
	s_cbranch_execz .LBB2_2487
; %bb.2480:                             ;   in Loop: Header=BB2_2129 Depth=4
	v_bfe_u32 v46, v8, 23, 8
	v_or_b32_e32 v18, 0x800000, v2
	s_delay_alu instid0(VALU_DEP_2) | instskip(SKIP_1) | instid1(VALU_DEP_2)
	v_sub_nc_u32_e32 v8, 0x71, v46
	v_cmp_gt_u32_e32 vcc_lo, 0x72, v46
	v_cndmask_b32_e32 v8, 0, v8, vcc_lo
	v_cmp_eq_u32_e32 vcc_lo, 0, v46
	s_delay_alu instid0(VALU_DEP_2) | instskip(NEXT) | instid1(VALU_DEP_1)
	v_cndmask_b32_e64 v47, v8, 0x70, vcc_lo
	v_dual_cndmask_b32 v2, v18, v2, vcc_lo :: v_dual_add_nc_u32 v8, 21, v47
	v_add_nc_u32_e32 v19, 20, v47
	s_delay_alu instid0(VALU_DEP_2) | instskip(NEXT) | instid1(VALU_DEP_2)
	v_lshlrev_b64_e64 v[8:9], v8, -1
	v_lshlrev_b64_e64 v[18:19], v19, 1
	s_delay_alu instid0(VALU_DEP_2) | instskip(NEXT) | instid1(VALU_DEP_3)
	v_bfi_b32 v45, v9, 0, 0
	v_bfi_b32 v44, v8, 0, v2
	v_lshrrev_b64 v[8:9], v47, v[2:3]
	s_delay_alu instid0(VALU_DEP_2) | instskip(NEXT) | instid1(VALU_DEP_2)
	v_cmp_eq_u64_e64 s14, v[44:45], v[18:19]
	v_mov_b64_e32 v[44:45], v[8:9]
	s_and_saveexec_b32 s79, s14
; %bb.2481:                             ;   in Loop: Header=BB2_2129 Depth=4
	v_bfe_u32 v2, v8, 21, 1
	s_delay_alu instid0(VALU_DEP_1) | instskip(NEXT) | instid1(VALU_DEP_1)
	v_add_nc_u64_e32 v[18:19], v[8:9], v[2:3]
	v_add_nc_u64_e32 v[44:45], -1, v[18:19]
; %bb.2482:                             ;   in Loop: Header=BB2_2129 Depth=4
	s_or_b32 exec_lo, exec_lo, s79
	v_add_nc_u32_e32 v2, 0xffffff81, v46
	v_lshrrev_b32_e32 v9, 23, v8
	s_mov_b32 s14, exec_lo
	s_delay_alu instid0(VALU_DEP_2) | instskip(NEXT) | instid1(VALU_DEP_1)
	v_cndmask_b32_e64 v2, v2, 0xffffff82, vcc_lo
	v_add3_u32 v45, v47, v2, v9
	v_and_b32_e32 v2, 0x1fffff, v44
                                        ; implicit-def: $vgpr44
	s_delay_alu instid0(VALU_DEP_1) | instskip(NEXT) | instid1(VALU_DEP_1)
	v_dual_add_nc_u32 v46, 14, v45 :: v_dual_add_nc_u32 v2, v2, v8
                                        ; implicit-def: $vgpr8_vgpr9
	v_cmpx_ne_u32_e32 0, v46
	s_xor_b32 s14, exec_lo, s14
; %bb.2483:                             ;   in Loop: Header=BB2_2129 Depth=4
	s_delay_alu instid0(VALU_DEP_2) | instskip(SKIP_1) | instid1(VALU_DEP_1)
	v_cmp_lt_u64_e32 vcc_lo, 0xffffff, v[2:3]
	v_add_nc_u32_e32 v8, 15, v45
	v_cndmask_b32_e32 v44, v46, v8, vcc_lo
	v_cndmask_b32_e64 v8, 0, 1, vcc_lo
	s_delay_alu instid0(VALU_DEP_1)
	v_lshrrev_b64 v[8:9], v8, v[2:3]
; %bb.2484:                             ;   in Loop: Header=BB2_2129 Depth=4
	s_and_not1_saveexec_b32 s14, s14
; %bb.2485:                             ;   in Loop: Header=BB2_2129 Depth=4
	v_mov_b64_e32 v[8:9], v[2:3]
	v_bfe_u32 v44, v2, 23, 1
; %bb.2486:                             ;   in Loop: Header=BB2_2129 Depth=4
	s_or_b32 exec_lo, exec_lo, s14
	s_delay_alu instid0(VALU_DEP_2) | instskip(NEXT) | instid1(VALU_DEP_2)
	v_lshrrev_b64 v[8:9], 21, v[8:9]
	v_cmp_gt_i32_e32 vcc_lo, 32, v44
	v_min_i32_e32 v2, 31, v44
	v_cmp_eq_u32_e64 s14, 0, v44
	s_delay_alu instid0(VALU_DEP_2) | instskip(SKIP_1) | instid1(VALU_DEP_2)
	v_dual_cndmask_b32 v9, 0, v9 :: v_dual_lshlrev_b32 v2, 2, v2
	v_cndmask_b32_e32 v8, 3, v8, vcc_lo
	v_and_b32_e32 v2, 0xfc, v2
	s_delay_alu instid0(VALU_DEP_2) | instskip(NEXT) | instid1(VALU_DEP_2)
	v_cmp_eq_u64_e32 vcc_lo, 0, v[8:9]
	v_and_or_b32 v2, v8, 3, v2
	s_and_b32 s14, s14, vcc_lo
	s_delay_alu instid0(VALU_DEP_1) | instid1(SALU_CYCLE_1)
	v_cndmask_b32_e64 v2, v2, 0, s14
	s_delay_alu instid0(VALU_DEP_1)
	v_or_b32_e32 v78, v2, v17
.LBB2_2487:                             ;   in Loop: Header=BB2_2129 Depth=4
	s_or_b32 exec_lo, exec_lo, s78
                                        ; implicit-def: $vgpr17
.LBB2_2488:                             ;   in Loop: Header=BB2_2129 Depth=4
	s_and_not1_saveexec_b32 s14, s77
; %bb.2489:                             ;   in Loop: Header=BB2_2129 Depth=4
	v_or_b32_e32 v78, 0x7b, v17
; %bb.2490:                             ;   in Loop: Header=BB2_2129 Depth=4
	s_or_b32 exec_lo, exec_lo, s14
                                        ; implicit-def: $vgpr8
                                        ; implicit-def: $vgpr9
.LBB2_2491:                             ;   in Loop: Header=BB2_2129 Depth=4
	s_and_not1_saveexec_b32 s14, s76
	s_cbranch_execz .LBB2_2497
; %bb.2492:                             ;   in Loop: Header=BB2_2129 Depth=4
	s_mov_b32 s76, exec_lo
                                        ; implicit-def: $vgpr78
	v_cmpx_ne_u64_e32 0, v[2:3]
	s_xor_b32 s76, exec_lo, s76
; %bb.2493:                             ;   in Loop: Header=BB2_2129 Depth=4
	v_or_b32_e32 v78, 0x7f, v9
                                        ; implicit-def: $vgpr8
; %bb.2494:                             ;   in Loop: Header=BB2_2129 Depth=4
	s_and_not1_saveexec_b32 s76, s76
; %bb.2495:                             ;   in Loop: Header=BB2_2129 Depth=4
	v_cmp_lt_i32_e32 vcc_lo, -1, v8
	v_cndmask_b32_e32 v78, 0xfc, v120, vcc_lo
; %bb.2496:                             ;   in Loop: Header=BB2_2129 Depth=4
	s_or_b32 exec_lo, exec_lo, s76
.LBB2_2497:                             ;   in Loop: Header=BB2_2129 Depth=4
	s_delay_alu instid0(SALU_CYCLE_1) | instskip(SKIP_3) | instid1(VALU_DEP_2)
	s_or_b32 exec_lo, exec_lo, s14
	v_and_b32_e32 v9, 0xff, v11
	v_dual_mov_b32 v2, v11 :: v_dual_mov_b32 v8, 0
	s_mov_b32 s14, exec_lo
	v_cmpx_ne_u16_e32 0, v9
	s_cbranch_execz .LBB2_2507
; %bb.2498:                             ;   in Loop: Header=BB2_2129 Depth=4
	v_bfrev_b32_e32 v8, 1
	s_mov_b32 s76, exec_lo
	v_cmpx_ne_u16_e32 0x80, v9
	s_cbranch_execz .LBB2_2506
; %bb.2499:                             ;   in Loop: Header=BB2_2129 Depth=4
	v_and_b32_e32 v8, 0x7c, v11
	v_and_b32_e32 v9, 3, v11
	s_delay_alu instid0(VALU_DEP_2) | instskip(SKIP_1) | instid1(SALU_CYCLE_1)
	v_cmp_ne_u32_e32 vcc_lo, 0x7c, v8
                                        ; implicit-def: $vgpr8
	s_and_saveexec_b32 s77, vcc_lo
	s_xor_b32 s77, exec_lo, s77
	s_cbranch_execz .LBB2_2503
; %bb.2500:                             ;   in Loop: Header=BB2_2129 Depth=4
	v_bfe_u32 v8, v11, 2, 5
	s_mov_b32 s78, exec_lo
	s_delay_alu instid0(VALU_DEP_1)
	v_cmpx_eq_u32_e32 0, v8
; %bb.2501:                             ;   in Loop: Header=BB2_2129 Depth=4
	v_clz_i32_u32_e32 v8, v9
	s_delay_alu instid0(VALU_DEP_1) | instskip(NEXT) | instid1(VALU_DEP_1)
	v_min_u32_e32 v8, 32, v8
	v_subrev_nc_u32_e32 v9, 29, v8
	s_delay_alu instid0(VALU_DEP_1) | instskip(NEXT) | instid1(VALU_DEP_1)
	v_lshlrev_b64_e32 v[18:19], v9, v[2:3]
	v_dual_sub_nc_u32 v8, 30, v8 :: v_dual_bitop2_b32 v9, 3, v18 bitop3:0x40
; %bb.2502:                             ;   in Loop: Header=BB2_2129 Depth=4
	s_or_b32 exec_lo, exec_lo, s78
	v_lshlrev_b32_e32 v17, 24, v11
	s_delay_alu instid0(VALU_DEP_1) | instskip(NEXT) | instid1(VALU_DEP_1)
	v_and_b32_e32 v17, 0x80000000, v17
	v_lshl_add_u32 v8, v8, 23, v17
	s_delay_alu instid0(VALU_DEP_1) | instskip(NEXT) | instid1(VALU_DEP_1)
	v_lshl_or_b32 v8, v9, 21, v8
                                        ; implicit-def: $vgpr9
	v_add_nc_u32_e32 v8, 0x38000000, v8
.LBB2_2503:                             ;   in Loop: Header=BB2_2129 Depth=4
	s_and_not1_saveexec_b32 s77, s77
; %bb.2504:                             ;   in Loop: Header=BB2_2129 Depth=4
	v_bfe_i32 v8, v11, 0, 8
	s_delay_alu instid0(VALU_DEP_1) | instskip(SKIP_2) | instid1(VALU_DEP_2)
	v_cmp_lt_i16_e32 vcc_lo, -1, v8
	v_cndmask_b32_e32 v8, 0xff800000, v111, vcc_lo
	v_cmp_eq_u32_e32 vcc_lo, 0, v9
	v_cndmask_b32_e32 v8, 0x7f800001, v8, vcc_lo
; %bb.2505:                             ;   in Loop: Header=BB2_2129 Depth=4
	s_or_b32 exec_lo, exec_lo, s77
.LBB2_2506:                             ;   in Loop: Header=BB2_2129 Depth=4
	s_delay_alu instid0(SALU_CYCLE_1)
	s_or_b32 exec_lo, exec_lo, s76
.LBB2_2507:                             ;   in Loop: Header=BB2_2129 Depth=4
	s_delay_alu instid0(SALU_CYCLE_1) | instskip(NEXT) | instid1(VALU_DEP_1)
	s_or_b32 exec_lo, exec_lo, s14
	v_dual_mul_f32 v44, s75, v8 :: v_dual_mov_b32 v19, v3
	v_mov_b32_e32 v9, v3
                                        ; implicit-def: $vgpr17
	s_mov_b32 s14, exec_lo
	s_delay_alu instid0(VALU_DEP_2) | instskip(SKIP_2) | instid1(VALU_DEP_3)
	v_and_b32_e32 v18, 0x7f800000, v44
	v_and_b32_e32 v8, 0x7fffff, v44
	v_lshrrev_b32_e32 v45, 24, v44
	v_cmpx_ne_u64_e32 0x7f800000, v[18:19]
	s_xor_b32 s76, exec_lo, s14
	s_cbranch_execz .LBB2_2521
; %bb.2508:                             ;   in Loop: Header=BB2_2129 Depth=4
	v_and_b32_e32 v18, 0x7fffffff, v44
	v_mov_b32_e32 v19, v3
	v_and_b32_e32 v46, 0x80, v45
                                        ; implicit-def: $vgpr17
	s_mov_b32 s14, exec_lo
	s_delay_alu instid0(VALU_DEP_2)
	v_cmpx_gt_u64_e32 0x47600001, v[18:19]
	s_xor_b32 s77, exec_lo, s14
	s_cbranch_execz .LBB2_2518
; %bb.2509:                             ;   in Loop: Header=BB2_2129 Depth=4
	v_mov_b32_e32 v17, 0
	s_mov_b32 s78, exec_lo
	v_cmpx_ne_u32_e32 0, v44
	s_cbranch_execz .LBB2_2517
; %bb.2510:                             ;   in Loop: Header=BB2_2129 Depth=4
	v_bfe_u32 v17, v44, 23, 8
	v_or_b32_e32 v44, 0x800000, v8
	s_delay_alu instid0(VALU_DEP_2) | instskip(SKIP_1) | instid1(VALU_DEP_2)
	v_sub_nc_u32_e32 v18, 0x71, v17
	v_cmp_gt_u32_e32 vcc_lo, 0x72, v17
	v_cndmask_b32_e32 v18, 0, v18, vcc_lo
	v_cmp_eq_u32_e32 vcc_lo, 0, v17
	s_delay_alu instid0(VALU_DEP_2) | instskip(NEXT) | instid1(VALU_DEP_1)
	v_cndmask_b32_e64 v47, v18, 0x70, vcc_lo
	v_dual_cndmask_b32 v8, v44, v8, vcc_lo :: v_dual_add_nc_u32 v18, 21, v47
	v_add_nc_u32_e32 v45, 20, v47
	s_delay_alu instid0(VALU_DEP_2) | instskip(NEXT) | instid1(VALU_DEP_2)
	v_lshlrev_b64_e64 v[18:19], v18, -1
	v_lshlrev_b64_e64 v[44:45], v45, 1
	s_delay_alu instid0(VALU_DEP_2) | instskip(SKIP_1) | instid1(VALU_DEP_4)
	v_bfi_b32 v18, v18, 0, v8
	v_lshrrev_b64 v[8:9], v47, v[8:9]
	v_bfi_b32 v19, v19, 0, 0
	s_delay_alu instid0(VALU_DEP_1) | instskip(NEXT) | instid1(VALU_DEP_3)
	v_cmp_eq_u64_e64 s14, v[18:19], v[44:45]
	v_mov_b64_e32 v[44:45], v[8:9]
	s_and_saveexec_b32 s79, s14
; %bb.2511:                             ;   in Loop: Header=BB2_2129 Depth=4
	v_bfe_u32 v18, v8, 21, 1
	v_mov_b32_e32 v19, v3
	s_delay_alu instid0(VALU_DEP_1) | instskip(NEXT) | instid1(VALU_DEP_1)
	v_add_nc_u64_e32 v[18:19], v[8:9], v[18:19]
	v_add_nc_u64_e32 v[44:45], -1, v[18:19]
; %bb.2512:                             ;   in Loop: Header=BB2_2129 Depth=4
	s_or_b32 exec_lo, exec_lo, s79
	v_add_nc_u32_e32 v9, 0xffffff81, v17
	v_lshrrev_b32_e32 v17, 23, v8
	s_mov_b32 s14, exec_lo
	s_delay_alu instid0(VALU_DEP_2) | instskip(NEXT) | instid1(VALU_DEP_1)
	v_cndmask_b32_e64 v9, v9, 0xffffff82, vcc_lo
	v_add3_u32 v45, v47, v9, v17
	v_and_b32_e32 v9, 0x1fffff, v44
                                        ; implicit-def: $vgpr17
	s_delay_alu instid0(VALU_DEP_1) | instskip(SKIP_1) | instid1(VALU_DEP_2)
	v_dual_add_nc_u32 v44, 14, v45 :: v_dual_add_nc_u32 v8, v9, v8
	v_mov_b32_e32 v9, v3
	v_cmpx_ne_u32_e32 0, v44
	s_xor_b32 s14, exec_lo, s14
; %bb.2513:                             ;   in Loop: Header=BB2_2129 Depth=4
	s_delay_alu instid0(VALU_DEP_2) | instskip(SKIP_2) | instid1(VALU_DEP_2)
	v_cmp_lt_u64_e32 vcc_lo, 0xffffff, v[8:9]
	v_add_nc_u32_e32 v17, 15, v45
	v_cndmask_b32_e64 v18, 0, 1, vcc_lo
	v_cndmask_b32_e32 v17, v44, v17, vcc_lo
	s_delay_alu instid0(VALU_DEP_2)
	v_lshrrev_b64 v[8:9], v18, v[8:9]
; %bb.2514:                             ;   in Loop: Header=BB2_2129 Depth=4
	s_and_not1_saveexec_b32 s14, s14
; %bb.2515:                             ;   in Loop: Header=BB2_2129 Depth=4
	s_delay_alu instid0(VALU_DEP_1)
	v_bfe_u32 v17, v8, 23, 1
; %bb.2516:                             ;   in Loop: Header=BB2_2129 Depth=4
	s_or_b32 exec_lo, exec_lo, s14
	s_delay_alu instid0(VALU_DEP_2) | instskip(NEXT) | instid1(VALU_DEP_2)
	v_lshrrev_b64 v[8:9], 21, v[8:9]
	v_cmp_gt_i32_e32 vcc_lo, 32, v17
	v_min_i32_e32 v18, 31, v17
	v_cmp_eq_u32_e64 s14, 0, v17
	s_delay_alu instid0(VALU_DEP_2) | instskip(SKIP_1) | instid1(VALU_DEP_2)
	v_dual_cndmask_b32 v8, 3, v8, vcc_lo :: v_dual_lshlrev_b32 v18, 2, v18
	v_cndmask_b32_e32 v9, 0, v9, vcc_lo
	v_and_b32_e32 v18, 0xfc, v18
	s_delay_alu instid0(VALU_DEP_2) | instskip(NEXT) | instid1(VALU_DEP_2)
	v_cmp_eq_u64_e32 vcc_lo, 0, v[8:9]
	v_and_or_b32 v8, v8, 3, v18
	s_and_b32 s14, s14, vcc_lo
	s_delay_alu instid0(VALU_DEP_1) | instid1(SALU_CYCLE_1)
	v_cndmask_b32_e64 v8, v8, 0, s14
	s_delay_alu instid0(VALU_DEP_1)
	v_or_b32_e32 v17, v8, v46
.LBB2_2517:                             ;   in Loop: Header=BB2_2129 Depth=4
	s_or_b32 exec_lo, exec_lo, s78
                                        ; implicit-def: $vgpr46
.LBB2_2518:                             ;   in Loop: Header=BB2_2129 Depth=4
	s_and_not1_saveexec_b32 s14, s77
; %bb.2519:                             ;   in Loop: Header=BB2_2129 Depth=4
	v_or_b32_e32 v17, 0x7b, v46
; %bb.2520:                             ;   in Loop: Header=BB2_2129 Depth=4
	s_or_b32 exec_lo, exec_lo, s14
                                        ; implicit-def: $vgpr44
                                        ; implicit-def: $vgpr8_vgpr9
                                        ; implicit-def: $vgpr45
.LBB2_2521:                             ;   in Loop: Header=BB2_2129 Depth=4
	s_and_not1_saveexec_b32 s14, s76
	s_cbranch_execz .LBB2_2527
; %bb.2522:                             ;   in Loop: Header=BB2_2129 Depth=4
	s_mov_b32 s76, exec_lo
                                        ; implicit-def: $vgpr17
	v_cmpx_ne_u64_e32 0, v[8:9]
	s_xor_b32 s76, exec_lo, s76
; %bb.2523:                             ;   in Loop: Header=BB2_2129 Depth=4
	v_or_b32_e32 v17, 0x7f, v45
                                        ; implicit-def: $vgpr44
; %bb.2524:                             ;   in Loop: Header=BB2_2129 Depth=4
	s_and_not1_saveexec_b32 s76, s76
; %bb.2525:                             ;   in Loop: Header=BB2_2129 Depth=4
	v_cmp_lt_i32_e32 vcc_lo, -1, v44
	v_cndmask_b32_e32 v17, 0xfc, v120, vcc_lo
; %bb.2526:                             ;   in Loop: Header=BB2_2129 Depth=4
	s_or_b32 exec_lo, exec_lo, s76
.LBB2_2527:                             ;   in Loop: Header=BB2_2129 Depth=4
	s_delay_alu instid0(SALU_CYCLE_1) | instskip(SKIP_3) | instid1(VALU_DEP_2)
	s_or_b32 exec_lo, exec_lo, s14
	v_lshrrev_b16 v8, 8, v2
	v_mov_b32_e32 v44, 0
	s_mov_b32 s14, exec_lo
	v_cmpx_ne_u16_e32 0, v8
	s_cbranch_execz .LBB2_2537
; %bb.2528:                             ;   in Loop: Header=BB2_2129 Depth=4
	v_bfrev_b32_e32 v44, 1
	s_mov_b32 s76, exec_lo
	v_cmpx_ne_u16_e32 0x80, v8
	s_cbranch_execz .LBB2_2536
; %bb.2529:                             ;   in Loop: Header=BB2_2129 Depth=4
	v_and_b32_e32 v45, 0xffff, v8
	s_mov_b32 s77, exec_lo
                                        ; implicit-def: $vgpr44
	s_delay_alu instid0(VALU_DEP_1) | instskip(SKIP_1) | instid1(VALU_DEP_2)
	v_and_b32_e32 v18, 0x7c, v45
	v_and_b32_e32 v9, 3, v45
	v_cmpx_ne_u32_e32 0x7c, v18
	s_xor_b32 s77, exec_lo, s77
	s_cbranch_execz .LBB2_2533
; %bb.2530:                             ;   in Loop: Header=BB2_2129 Depth=4
	v_bfe_u32 v44, v45, 2, 5
	s_mov_b32 s78, exec_lo
	s_delay_alu instid0(VALU_DEP_1)
	v_cmpx_eq_u32_e32 0, v44
; %bb.2531:                             ;   in Loop: Header=BB2_2129 Depth=4
	v_clz_i32_u32_e32 v9, v9
	s_delay_alu instid0(VALU_DEP_1) | instskip(NEXT) | instid1(VALU_DEP_1)
	v_min_u32_e32 v18, 32, v9
	v_dual_mov_b32 v9, v3 :: v_dual_sub_nc_u32 v44, 30, v18
	v_subrev_nc_u32_e32 v19, 29, v18
	s_delay_alu instid0(VALU_DEP_1) | instskip(NEXT) | instid1(VALU_DEP_1)
	v_lshlrev_b64_e32 v[8:9], v19, v[8:9]
	v_and_b32_e32 v9, 3, v8
; %bb.2532:                             ;   in Loop: Header=BB2_2129 Depth=4
	s_or_b32 exec_lo, exec_lo, s78
	v_lshlrev_b32_e32 v2, 16, v2
	s_delay_alu instid0(VALU_DEP_1) | instskip(NEXT) | instid1(VALU_DEP_1)
	v_and_b32_e32 v2, 0x80000000, v2
	v_lshl_add_u32 v2, v44, 23, v2
	s_delay_alu instid0(VALU_DEP_1) | instskip(NEXT) | instid1(VALU_DEP_1)
	v_lshl_or_b32 v2, v9, 21, v2
                                        ; implicit-def: $vgpr9
	v_add_nc_u32_e32 v44, 0x38000000, v2
.LBB2_2533:                             ;   in Loop: Header=BB2_2129 Depth=4
	s_and_not1_saveexec_b32 s77, s77
; %bb.2534:                             ;   in Loop: Header=BB2_2129 Depth=4
	v_cmp_lt_i16_e32 vcc_lo, -1, v2
	v_cndmask_b32_e32 v2, 0xff800000, v111, vcc_lo
	v_cmp_eq_u32_e32 vcc_lo, 0, v9
	s_delay_alu instid0(VALU_DEP_2)
	v_cndmask_b32_e32 v44, 0x7f800001, v2, vcc_lo
; %bb.2535:                             ;   in Loop: Header=BB2_2129 Depth=4
	s_or_b32 exec_lo, exec_lo, s77
.LBB2_2536:                             ;   in Loop: Header=BB2_2129 Depth=4
	s_delay_alu instid0(SALU_CYCLE_1)
	s_or_b32 exec_lo, exec_lo, s76
.LBB2_2537:                             ;   in Loop: Header=BB2_2129 Depth=4
	s_delay_alu instid0(SALU_CYCLE_1) | instskip(NEXT) | instid1(VALU_DEP_1)
	s_or_b32 exec_lo, exec_lo, s14
	v_dual_mul_f32 v8, s75, v44 :: v_dual_mov_b32 v19, v3
                                        ; implicit-def: $vgpr63
	s_mov_b32 s14, exec_lo
	s_delay_alu instid0(VALU_DEP_1) | instskip(SKIP_2) | instid1(VALU_DEP_3)
	v_and_b32_e32 v18, 0x7f800000, v8
	v_and_b32_e32 v2, 0x7fffff, v8
	v_lshrrev_b32_e32 v9, 24, v8
	v_cmpx_ne_u64_e32 0x7f800000, v[18:19]
	s_xor_b32 s76, exec_lo, s14
	s_cbranch_execz .LBB2_2551
; %bb.2538:                             ;   in Loop: Header=BB2_2129 Depth=4
	v_and_b32_e32 v18, 0x7fffffff, v8
	v_mov_b32_e32 v19, v3
	v_and_b32_e32 v46, 0x80, v9
                                        ; implicit-def: $vgpr63
	s_mov_b32 s14, exec_lo
	s_delay_alu instid0(VALU_DEP_2)
	v_cmpx_gt_u64_e32 0x47600001, v[18:19]
	s_xor_b32 s77, exec_lo, s14
	s_cbranch_execz .LBB2_2548
; %bb.2539:                             ;   in Loop: Header=BB2_2129 Depth=4
	v_mov_b32_e32 v63, 0
	s_mov_b32 s78, exec_lo
	v_cmpx_ne_u32_e32 0, v8
	s_cbranch_execz .LBB2_2547
; %bb.2540:                             ;   in Loop: Header=BB2_2129 Depth=4
	v_bfe_u32 v47, v8, 23, 8
	v_or_b32_e32 v18, 0x800000, v2
	s_delay_alu instid0(VALU_DEP_2) | instskip(SKIP_1) | instid1(VALU_DEP_2)
	v_sub_nc_u32_e32 v8, 0x71, v47
	v_cmp_gt_u32_e32 vcc_lo, 0x72, v47
	v_cndmask_b32_e32 v8, 0, v8, vcc_lo
	v_cmp_eq_u32_e32 vcc_lo, 0, v47
	s_delay_alu instid0(VALU_DEP_2) | instskip(NEXT) | instid1(VALU_DEP_1)
	v_cndmask_b32_e64 v63, v8, 0x70, vcc_lo
	v_dual_cndmask_b32 v2, v18, v2, vcc_lo :: v_dual_add_nc_u32 v8, 21, v63
	v_add_nc_u32_e32 v19, 20, v63
	s_delay_alu instid0(VALU_DEP_2) | instskip(NEXT) | instid1(VALU_DEP_2)
	v_lshlrev_b64_e64 v[8:9], v8, -1
	v_lshlrev_b64_e64 v[18:19], v19, 1
	s_delay_alu instid0(VALU_DEP_2) | instskip(NEXT) | instid1(VALU_DEP_3)
	v_bfi_b32 v45, v9, 0, 0
	v_bfi_b32 v44, v8, 0, v2
	v_lshrrev_b64 v[8:9], v63, v[2:3]
	s_delay_alu instid0(VALU_DEP_2) | instskip(NEXT) | instid1(VALU_DEP_2)
	v_cmp_eq_u64_e64 s14, v[44:45], v[18:19]
	v_mov_b64_e32 v[44:45], v[8:9]
	s_and_saveexec_b32 s79, s14
; %bb.2541:                             ;   in Loop: Header=BB2_2129 Depth=4
	v_bfe_u32 v2, v8, 21, 1
	s_delay_alu instid0(VALU_DEP_1) | instskip(NEXT) | instid1(VALU_DEP_1)
	v_add_nc_u64_e32 v[18:19], v[8:9], v[2:3]
	v_add_nc_u64_e32 v[44:45], -1, v[18:19]
; %bb.2542:                             ;   in Loop: Header=BB2_2129 Depth=4
	s_or_b32 exec_lo, exec_lo, s79
	v_add_nc_u32_e32 v2, 0xffffff81, v47
	v_lshrrev_b32_e32 v9, 23, v8
	s_mov_b32 s14, exec_lo
	s_delay_alu instid0(VALU_DEP_2) | instskip(NEXT) | instid1(VALU_DEP_1)
	v_cndmask_b32_e64 v2, v2, 0xffffff82, vcc_lo
	v_add3_u32 v45, v63, v2, v9
	v_and_b32_e32 v2, 0x1fffff, v44
                                        ; implicit-def: $vgpr44
	s_delay_alu instid0(VALU_DEP_1) | instskip(NEXT) | instid1(VALU_DEP_1)
	v_dual_add_nc_u32 v47, 14, v45 :: v_dual_add_nc_u32 v2, v2, v8
                                        ; implicit-def: $vgpr8_vgpr9
	v_cmpx_ne_u32_e32 0, v47
	s_xor_b32 s14, exec_lo, s14
; %bb.2543:                             ;   in Loop: Header=BB2_2129 Depth=4
	s_delay_alu instid0(VALU_DEP_2) | instskip(SKIP_1) | instid1(VALU_DEP_1)
	v_cmp_lt_u64_e32 vcc_lo, 0xffffff, v[2:3]
	v_add_nc_u32_e32 v8, 15, v45
	v_cndmask_b32_e32 v44, v47, v8, vcc_lo
	v_cndmask_b32_e64 v8, 0, 1, vcc_lo
	s_delay_alu instid0(VALU_DEP_1)
	v_lshrrev_b64 v[8:9], v8, v[2:3]
; %bb.2544:                             ;   in Loop: Header=BB2_2129 Depth=4
	s_and_not1_saveexec_b32 s14, s14
; %bb.2545:                             ;   in Loop: Header=BB2_2129 Depth=4
	v_mov_b64_e32 v[8:9], v[2:3]
	v_bfe_u32 v44, v2, 23, 1
; %bb.2546:                             ;   in Loop: Header=BB2_2129 Depth=4
	s_or_b32 exec_lo, exec_lo, s14
	s_delay_alu instid0(VALU_DEP_2) | instskip(NEXT) | instid1(VALU_DEP_2)
	v_lshrrev_b64 v[8:9], 21, v[8:9]
	v_cmp_gt_i32_e32 vcc_lo, 32, v44
	v_min_i32_e32 v2, 31, v44
	v_cmp_eq_u32_e64 s14, 0, v44
	s_delay_alu instid0(VALU_DEP_2) | instskip(SKIP_1) | instid1(VALU_DEP_2)
	v_dual_cndmask_b32 v9, 0, v9 :: v_dual_lshlrev_b32 v2, 2, v2
	v_cndmask_b32_e32 v8, 3, v8, vcc_lo
	v_and_b32_e32 v2, 0xfc, v2
	s_delay_alu instid0(VALU_DEP_2) | instskip(NEXT) | instid1(VALU_DEP_2)
	v_cmp_eq_u64_e32 vcc_lo, 0, v[8:9]
	v_and_or_b32 v2, v8, 3, v2
	s_and_b32 s14, s14, vcc_lo
	s_delay_alu instid0(VALU_DEP_1) | instid1(SALU_CYCLE_1)
	v_cndmask_b32_e64 v2, v2, 0, s14
	s_delay_alu instid0(VALU_DEP_1)
	v_or_b32_e32 v63, v2, v46
.LBB2_2547:                             ;   in Loop: Header=BB2_2129 Depth=4
	s_or_b32 exec_lo, exec_lo, s78
                                        ; implicit-def: $vgpr46
.LBB2_2548:                             ;   in Loop: Header=BB2_2129 Depth=4
	s_and_not1_saveexec_b32 s14, s77
; %bb.2549:                             ;   in Loop: Header=BB2_2129 Depth=4
	v_or_b32_e32 v63, 0x7b, v46
; %bb.2550:                             ;   in Loop: Header=BB2_2129 Depth=4
	s_or_b32 exec_lo, exec_lo, s14
                                        ; implicit-def: $vgpr8
                                        ; implicit-def: $vgpr9
.LBB2_2551:                             ;   in Loop: Header=BB2_2129 Depth=4
	s_and_not1_saveexec_b32 s14, s76
	s_cbranch_execz .LBB2_2557
; %bb.2552:                             ;   in Loop: Header=BB2_2129 Depth=4
	s_mov_b32 s76, exec_lo
                                        ; implicit-def: $vgpr63
	v_cmpx_ne_u64_e32 0, v[2:3]
	s_xor_b32 s76, exec_lo, s76
; %bb.2553:                             ;   in Loop: Header=BB2_2129 Depth=4
	v_or_b32_e32 v63, 0x7f, v9
                                        ; implicit-def: $vgpr8
; %bb.2554:                             ;   in Loop: Header=BB2_2129 Depth=4
	s_and_not1_saveexec_b32 s76, s76
; %bb.2555:                             ;   in Loop: Header=BB2_2129 Depth=4
	v_cmp_lt_i32_e32 vcc_lo, -1, v8
	v_cndmask_b32_e32 v63, 0xfc, v120, vcc_lo
; %bb.2556:                             ;   in Loop: Header=BB2_2129 Depth=4
	s_or_b32 exec_lo, exec_lo, s76
.LBB2_2557:                             ;   in Loop: Header=BB2_2129 Depth=4
	s_delay_alu instid0(SALU_CYCLE_1) | instskip(SKIP_2) | instid1(VALU_DEP_1)
	s_or_b32 exec_lo, exec_lo, s14
	v_dual_lshrrev_b32 v2, 16, v11 :: v_dual_mov_b32 v8, 0
	s_mov_b32 s14, exec_lo
	v_and_b32_e32 v9, 0xff, v2
	s_delay_alu instid0(VALU_DEP_1)
	v_cmpx_ne_u16_e32 0, v9
	s_cbranch_execz .LBB2_2567
; %bb.2558:                             ;   in Loop: Header=BB2_2129 Depth=4
	v_bfrev_b32_e32 v8, 1
	s_mov_b32 s76, exec_lo
	v_cmpx_ne_u16_e32 0x80, v9
	s_cbranch_execz .LBB2_2566
; %bb.2559:                             ;   in Loop: Header=BB2_2129 Depth=4
	v_and_b32_e32 v8, 0x7c0000, v11
	v_bfe_u32 v9, v11, 16, 2
	s_delay_alu instid0(VALU_DEP_2) | instskip(SKIP_1) | instid1(SALU_CYCLE_1)
	v_cmp_ne_u32_e32 vcc_lo, 0x7c0000, v8
                                        ; implicit-def: $vgpr8
	s_and_saveexec_b32 s77, vcc_lo
	s_xor_b32 s77, exec_lo, s77
	s_cbranch_execz .LBB2_2563
; %bb.2560:                             ;   in Loop: Header=BB2_2129 Depth=4
	v_bfe_u32 v8, v11, 18, 5
	s_mov_b32 s78, exec_lo
	s_delay_alu instid0(VALU_DEP_1)
	v_cmpx_eq_u32_e32 0, v8
; %bb.2561:                             ;   in Loop: Header=BB2_2129 Depth=4
	v_clz_i32_u32_e32 v8, v9
	s_delay_alu instid0(VALU_DEP_1) | instskip(NEXT) | instid1(VALU_DEP_1)
	v_min_u32_e32 v8, 32, v8
	v_subrev_nc_u32_e32 v9, 29, v8
	s_delay_alu instid0(VALU_DEP_1) | instskip(NEXT) | instid1(VALU_DEP_1)
	v_lshlrev_b64_e32 v[18:19], v9, v[2:3]
	v_dual_sub_nc_u32 v8, 30, v8 :: v_dual_bitop2_b32 v9, 3, v18 bitop3:0x40
; %bb.2562:                             ;   in Loop: Header=BB2_2129 Depth=4
	s_or_b32 exec_lo, exec_lo, s78
	v_lshlrev_b32_e32 v2, 24, v2
	s_delay_alu instid0(VALU_DEP_1) | instskip(NEXT) | instid1(VALU_DEP_1)
	v_and_b32_e32 v2, 0x80000000, v2
	v_lshl_add_u32 v2, v8, 23, v2
	s_delay_alu instid0(VALU_DEP_1) | instskip(NEXT) | instid1(VALU_DEP_1)
	v_lshl_or_b32 v2, v9, 21, v2
                                        ; implicit-def: $vgpr9
	v_add_nc_u32_e32 v8, 0x38000000, v2
                                        ; implicit-def: $vgpr2
.LBB2_2563:                             ;   in Loop: Header=BB2_2129 Depth=4
	s_and_not1_saveexec_b32 s77, s77
; %bb.2564:                             ;   in Loop: Header=BB2_2129 Depth=4
	v_bfe_i32 v2, v2, 0, 8
	s_delay_alu instid0(VALU_DEP_1) | instskip(SKIP_2) | instid1(VALU_DEP_2)
	v_cmp_lt_i16_e32 vcc_lo, -1, v2
	v_cndmask_b32_e32 v2, 0xff800000, v111, vcc_lo
	v_cmp_eq_u32_e32 vcc_lo, 0, v9
	v_cndmask_b32_e32 v8, 0x7f800001, v2, vcc_lo
; %bb.2565:                             ;   in Loop: Header=BB2_2129 Depth=4
	s_or_b32 exec_lo, exec_lo, s77
.LBB2_2566:                             ;   in Loop: Header=BB2_2129 Depth=4
	s_delay_alu instid0(SALU_CYCLE_1)
	s_or_b32 exec_lo, exec_lo, s76
.LBB2_2567:                             ;   in Loop: Header=BB2_2129 Depth=4
	s_delay_alu instid0(SALU_CYCLE_1) | instskip(NEXT) | instid1(VALU_DEP_1)
	s_or_b32 exec_lo, exec_lo, s14
	v_dual_mul_f32 v8, s75, v8 :: v_dual_mov_b32 v19, v3
                                        ; implicit-def: $vgpr73
	s_mov_b32 s14, exec_lo
	s_delay_alu instid0(VALU_DEP_1) | instskip(SKIP_2) | instid1(VALU_DEP_3)
	v_and_b32_e32 v18, 0x7f800000, v8
	v_and_b32_e32 v2, 0x7fffff, v8
	v_lshrrev_b32_e32 v9, 24, v8
	v_cmpx_ne_u64_e32 0x7f800000, v[18:19]
	s_xor_b32 s76, exec_lo, s14
	s_cbranch_execz .LBB2_2581
; %bb.2568:                             ;   in Loop: Header=BB2_2129 Depth=4
	v_and_b32_e32 v18, 0x7fffffff, v8
	v_mov_b32_e32 v19, v3
	v_and_b32_e32 v46, 0x80, v9
                                        ; implicit-def: $vgpr73
	s_mov_b32 s14, exec_lo
	s_delay_alu instid0(VALU_DEP_2)
	v_cmpx_gt_u64_e32 0x47600001, v[18:19]
	s_xor_b32 s77, exec_lo, s14
	s_cbranch_execz .LBB2_2578
; %bb.2569:                             ;   in Loop: Header=BB2_2129 Depth=4
	v_mov_b32_e32 v73, 0
	s_mov_b32 s78, exec_lo
	v_cmpx_ne_u32_e32 0, v8
	s_cbranch_execz .LBB2_2577
; %bb.2570:                             ;   in Loop: Header=BB2_2129 Depth=4
	v_bfe_u32 v47, v8, 23, 8
	v_or_b32_e32 v18, 0x800000, v2
	s_delay_alu instid0(VALU_DEP_2) | instskip(SKIP_1) | instid1(VALU_DEP_2)
	v_sub_nc_u32_e32 v8, 0x71, v47
	v_cmp_gt_u32_e32 vcc_lo, 0x72, v47
	v_cndmask_b32_e32 v8, 0, v8, vcc_lo
	v_cmp_eq_u32_e32 vcc_lo, 0, v47
	s_delay_alu instid0(VALU_DEP_2) | instskip(NEXT) | instid1(VALU_DEP_1)
	v_cndmask_b32_e64 v73, v8, 0x70, vcc_lo
	v_dual_cndmask_b32 v2, v18, v2, vcc_lo :: v_dual_add_nc_u32 v8, 21, v73
	v_add_nc_u32_e32 v19, 20, v73
	s_delay_alu instid0(VALU_DEP_2) | instskip(NEXT) | instid1(VALU_DEP_2)
	v_lshlrev_b64_e64 v[8:9], v8, -1
	v_lshlrev_b64_e64 v[18:19], v19, 1
	s_delay_alu instid0(VALU_DEP_2) | instskip(NEXT) | instid1(VALU_DEP_3)
	v_bfi_b32 v45, v9, 0, 0
	v_bfi_b32 v44, v8, 0, v2
	v_lshrrev_b64 v[8:9], v73, v[2:3]
	s_delay_alu instid0(VALU_DEP_2) | instskip(NEXT) | instid1(VALU_DEP_2)
	v_cmp_eq_u64_e64 s14, v[44:45], v[18:19]
	v_mov_b64_e32 v[44:45], v[8:9]
	s_and_saveexec_b32 s79, s14
; %bb.2571:                             ;   in Loop: Header=BB2_2129 Depth=4
	v_bfe_u32 v2, v8, 21, 1
	s_delay_alu instid0(VALU_DEP_1) | instskip(NEXT) | instid1(VALU_DEP_1)
	v_add_nc_u64_e32 v[18:19], v[8:9], v[2:3]
	v_add_nc_u64_e32 v[44:45], -1, v[18:19]
; %bb.2572:                             ;   in Loop: Header=BB2_2129 Depth=4
	s_or_b32 exec_lo, exec_lo, s79
	v_add_nc_u32_e32 v2, 0xffffff81, v47
	v_lshrrev_b32_e32 v9, 23, v8
	s_mov_b32 s14, exec_lo
	s_delay_alu instid0(VALU_DEP_2) | instskip(NEXT) | instid1(VALU_DEP_1)
	v_cndmask_b32_e64 v2, v2, 0xffffff82, vcc_lo
	v_add3_u32 v45, v73, v2, v9
	v_and_b32_e32 v2, 0x1fffff, v44
                                        ; implicit-def: $vgpr44
	s_delay_alu instid0(VALU_DEP_1) | instskip(NEXT) | instid1(VALU_DEP_1)
	v_dual_add_nc_u32 v47, 14, v45 :: v_dual_add_nc_u32 v2, v2, v8
                                        ; implicit-def: $vgpr8_vgpr9
	v_cmpx_ne_u32_e32 0, v47
	s_xor_b32 s14, exec_lo, s14
; %bb.2573:                             ;   in Loop: Header=BB2_2129 Depth=4
	s_delay_alu instid0(VALU_DEP_2) | instskip(SKIP_1) | instid1(VALU_DEP_1)
	v_cmp_lt_u64_e32 vcc_lo, 0xffffff, v[2:3]
	v_add_nc_u32_e32 v8, 15, v45
	v_cndmask_b32_e32 v44, v47, v8, vcc_lo
	v_cndmask_b32_e64 v8, 0, 1, vcc_lo
	s_delay_alu instid0(VALU_DEP_1)
	v_lshrrev_b64 v[8:9], v8, v[2:3]
; %bb.2574:                             ;   in Loop: Header=BB2_2129 Depth=4
	s_and_not1_saveexec_b32 s14, s14
; %bb.2575:                             ;   in Loop: Header=BB2_2129 Depth=4
	v_mov_b64_e32 v[8:9], v[2:3]
	v_bfe_u32 v44, v2, 23, 1
; %bb.2576:                             ;   in Loop: Header=BB2_2129 Depth=4
	s_or_b32 exec_lo, exec_lo, s14
	s_delay_alu instid0(VALU_DEP_2) | instskip(NEXT) | instid1(VALU_DEP_2)
	v_lshrrev_b64 v[8:9], 21, v[8:9]
	v_cmp_gt_i32_e32 vcc_lo, 32, v44
	v_min_i32_e32 v2, 31, v44
	v_cmp_eq_u32_e64 s14, 0, v44
	s_delay_alu instid0(VALU_DEP_2) | instskip(SKIP_1) | instid1(VALU_DEP_2)
	v_dual_cndmask_b32 v9, 0, v9 :: v_dual_lshlrev_b32 v2, 2, v2
	v_cndmask_b32_e32 v8, 3, v8, vcc_lo
	v_and_b32_e32 v2, 0xfc, v2
	s_delay_alu instid0(VALU_DEP_2) | instskip(NEXT) | instid1(VALU_DEP_2)
	v_cmp_eq_u64_e32 vcc_lo, 0, v[8:9]
	v_and_or_b32 v2, v8, 3, v2
	s_and_b32 s14, s14, vcc_lo
	s_delay_alu instid0(VALU_DEP_1) | instid1(SALU_CYCLE_1)
	v_cndmask_b32_e64 v2, v2, 0, s14
	s_delay_alu instid0(VALU_DEP_1)
	v_or_b32_e32 v73, v2, v46
.LBB2_2577:                             ;   in Loop: Header=BB2_2129 Depth=4
	s_or_b32 exec_lo, exec_lo, s78
                                        ; implicit-def: $vgpr46
.LBB2_2578:                             ;   in Loop: Header=BB2_2129 Depth=4
	s_and_not1_saveexec_b32 s14, s77
; %bb.2579:                             ;   in Loop: Header=BB2_2129 Depth=4
	v_or_b32_e32 v73, 0x7b, v46
; %bb.2580:                             ;   in Loop: Header=BB2_2129 Depth=4
	s_or_b32 exec_lo, exec_lo, s14
                                        ; implicit-def: $vgpr8
                                        ; implicit-def: $vgpr9
.LBB2_2581:                             ;   in Loop: Header=BB2_2129 Depth=4
	s_and_not1_saveexec_b32 s14, s76
	s_cbranch_execz .LBB2_2587
; %bb.2582:                             ;   in Loop: Header=BB2_2129 Depth=4
	s_mov_b32 s76, exec_lo
                                        ; implicit-def: $vgpr73
	v_cmpx_ne_u64_e32 0, v[2:3]
	s_xor_b32 s76, exec_lo, s76
; %bb.2583:                             ;   in Loop: Header=BB2_2129 Depth=4
	v_or_b32_e32 v73, 0x7f, v9
                                        ; implicit-def: $vgpr8
; %bb.2584:                             ;   in Loop: Header=BB2_2129 Depth=4
	s_and_not1_saveexec_b32 s76, s76
; %bb.2585:                             ;   in Loop: Header=BB2_2129 Depth=4
	v_cmp_lt_i32_e32 vcc_lo, -1, v8
	v_cndmask_b32_e32 v73, 0xfc, v120, vcc_lo
; %bb.2586:                             ;   in Loop: Header=BB2_2129 Depth=4
	s_or_b32 exec_lo, exec_lo, s76
.LBB2_2587:                             ;   in Loop: Header=BB2_2129 Depth=4
	s_delay_alu instid0(SALU_CYCLE_1)
	s_or_b32 exec_lo, exec_lo, s14
	v_mov_b32_e32 v8, 0
	s_mov_b32 s14, exec_lo
	v_cmpx_lt_u64_e64 s[22:23], v[10:11]
	s_cbranch_execz .LBB2_2597
; %bb.2588:                             ;   in Loop: Header=BB2_2129 Depth=4
	v_lshrrev_b32_e32 v2, 24, v11
	v_bfrev_b32_e32 v8, 1
	s_mov_b32 s76, exec_lo
	s_delay_alu instid0(VALU_DEP_2)
	v_cmpx_ne_u32_e32 0x80, v2
	s_cbranch_execz .LBB2_2596
; %bb.2589:                             ;   in Loop: Header=BB2_2129 Depth=4
	v_and_b32_e32 v8, 0x7c000000, v11
	v_bfe_u32 v9, v11, 24, 2
	s_delay_alu instid0(VALU_DEP_2) | instskip(SKIP_1) | instid1(SALU_CYCLE_1)
	v_cmp_ne_u32_e32 vcc_lo, 0x7c000000, v8
                                        ; implicit-def: $vgpr8
	s_and_saveexec_b32 s77, vcc_lo
	s_xor_b32 s77, exec_lo, s77
	s_cbranch_execz .LBB2_2593
; %bb.2590:                             ;   in Loop: Header=BB2_2129 Depth=4
	v_bfe_u32 v8, v11, 26, 5
	s_mov_b32 s78, exec_lo
	s_delay_alu instid0(VALU_DEP_1)
	v_cmpx_eq_u32_e32 0, v8
; %bb.2591:                             ;   in Loop: Header=BB2_2129 Depth=4
	v_clz_i32_u32_e32 v8, v9
	s_delay_alu instid0(VALU_DEP_1) | instskip(NEXT) | instid1(VALU_DEP_1)
	v_min_u32_e32 v8, 32, v8
	v_subrev_nc_u32_e32 v9, 29, v8
	s_delay_alu instid0(VALU_DEP_1) | instskip(NEXT) | instid1(VALU_DEP_1)
	v_lshlrev_b64_e32 v[18:19], v9, v[2:3]
	v_dual_sub_nc_u32 v8, 30, v8 :: v_dual_bitop2_b32 v9, 3, v18 bitop3:0x40
; %bb.2592:                             ;   in Loop: Header=BB2_2129 Depth=4
	s_or_b32 exec_lo, exec_lo, s78
	v_and_b32_e32 v2, 0x80000000, v11
                                        ; implicit-def: $vgpr10_vgpr11
	s_delay_alu instid0(VALU_DEP_1) | instskip(NEXT) | instid1(VALU_DEP_1)
	v_lshl_add_u32 v2, v8, 23, v2
	v_lshl_or_b32 v2, v9, 21, v2
                                        ; implicit-def: $vgpr9
	s_delay_alu instid0(VALU_DEP_1)
	v_add_nc_u32_e32 v8, 0x38000000, v2
.LBB2_2593:                             ;   in Loop: Header=BB2_2129 Depth=4
	s_and_not1_saveexec_b32 s77, s77
; %bb.2594:                             ;   in Loop: Header=BB2_2129 Depth=4
	v_cmp_lt_i64_e32 vcc_lo, -1, v[10:11]
	v_cndmask_b32_e32 v2, 0xff800000, v111, vcc_lo
	v_cmp_eq_u32_e32 vcc_lo, 0, v9
	s_delay_alu instid0(VALU_DEP_2)
	v_cndmask_b32_e32 v8, 0x7f800001, v2, vcc_lo
; %bb.2595:                             ;   in Loop: Header=BB2_2129 Depth=4
	s_or_b32 exec_lo, exec_lo, s77
.LBB2_2596:                             ;   in Loop: Header=BB2_2129 Depth=4
	s_delay_alu instid0(SALU_CYCLE_1)
	s_or_b32 exec_lo, exec_lo, s76
.LBB2_2597:                             ;   in Loop: Header=BB2_2129 Depth=4
	s_delay_alu instid0(SALU_CYCLE_1) | instskip(NEXT) | instid1(VALU_DEP_1)
	s_or_b32 exec_lo, exec_lo, s14
	v_dual_mul_f32 v8, s75, v8 :: v_dual_mov_b32 v11, v3
                                        ; implicit-def: $vgpr76
	s_mov_b32 s14, exec_lo
	s_delay_alu instid0(VALU_DEP_1) | instskip(SKIP_2) | instid1(VALU_DEP_3)
	v_and_b32_e32 v10, 0x7f800000, v8
	v_and_b32_e32 v2, 0x7fffff, v8
	v_lshrrev_b32_e32 v9, 24, v8
	v_cmpx_ne_u64_e32 0x7f800000, v[10:11]
	s_xor_b32 s75, exec_lo, s14
	s_cbranch_execz .LBB2_2611
; %bb.2598:                             ;   in Loop: Header=BB2_2129 Depth=4
	v_and_b32_e32 v10, 0x7fffffff, v8
	v_mov_b32_e32 v11, v3
	v_and_b32_e32 v44, 0x80, v9
                                        ; implicit-def: $vgpr76
	s_mov_b32 s14, exec_lo
	s_delay_alu instid0(VALU_DEP_2)
	v_cmpx_gt_u64_e32 0x47600001, v[10:11]
	s_xor_b32 s76, exec_lo, s14
	s_cbranch_execz .LBB2_2608
; %bb.2599:                             ;   in Loop: Header=BB2_2129 Depth=4
	v_mov_b32_e32 v76, 0
	s_mov_b32 s77, exec_lo
	v_cmpx_ne_u32_e32 0, v8
	s_cbranch_execz .LBB2_2607
; %bb.2600:                             ;   in Loop: Header=BB2_2129 Depth=4
	v_bfe_u32 v45, v8, 23, 8
	v_or_b32_e32 v10, 0x800000, v2
	s_delay_alu instid0(VALU_DEP_2) | instskip(SKIP_1) | instid1(VALU_DEP_2)
	v_sub_nc_u32_e32 v8, 0x71, v45
	v_cmp_gt_u32_e32 vcc_lo, 0x72, v45
	v_cndmask_b32_e32 v8, 0, v8, vcc_lo
	v_cmp_eq_u32_e32 vcc_lo, 0, v45
	s_delay_alu instid0(VALU_DEP_2) | instskip(SKIP_1) | instid1(VALU_DEP_2)
	v_cndmask_b32_e64 v46, v8, 0x70, vcc_lo
	v_cndmask_b32_e32 v2, v10, v2, vcc_lo
	v_dual_add_nc_u32 v8, 21, v46 :: v_dual_add_nc_u32 v11, 20, v46
	s_delay_alu instid0(VALU_DEP_1) | instskip(NEXT) | instid1(VALU_DEP_2)
	v_lshlrev_b64_e64 v[8:9], v8, -1
	v_lshlrev_b64_e64 v[10:11], v11, 1
	s_delay_alu instid0(VALU_DEP_2) | instskip(NEXT) | instid1(VALU_DEP_3)
	v_bfi_b32 v19, v9, 0, 0
	v_bfi_b32 v18, v8, 0, v2
	v_lshrrev_b64 v[8:9], v46, v[2:3]
	s_delay_alu instid0(VALU_DEP_2) | instskip(NEXT) | instid1(VALU_DEP_2)
	v_cmp_eq_u64_e64 s14, v[18:19], v[10:11]
	v_mov_b64_e32 v[10:11], v[8:9]
	s_and_saveexec_b32 s78, s14
; %bb.2601:                             ;   in Loop: Header=BB2_2129 Depth=4
	v_bfe_u32 v2, v8, 21, 1
	s_delay_alu instid0(VALU_DEP_1) | instskip(NEXT) | instid1(VALU_DEP_1)
	v_add_nc_u64_e32 v[10:11], v[8:9], v[2:3]
	v_add_nc_u64_e32 v[10:11], -1, v[10:11]
; %bb.2602:                             ;   in Loop: Header=BB2_2129 Depth=4
	s_or_b32 exec_lo, exec_lo, s78
	v_add_nc_u32_e32 v2, 0xffffff81, v45
	v_lshrrev_b32_e32 v9, 23, v8
	s_mov_b32 s14, exec_lo
	s_delay_alu instid0(VALU_DEP_2) | instskip(NEXT) | instid1(VALU_DEP_1)
	v_cndmask_b32_e64 v2, v2, 0xffffff82, vcc_lo
	v_add3_u32 v11, v46, v2, v9
	v_and_b32_e32 v2, 0x1fffff, v10
                                        ; implicit-def: $vgpr10
	s_delay_alu instid0(VALU_DEP_1) | instskip(NEXT) | instid1(VALU_DEP_1)
	v_dual_add_nc_u32 v45, 14, v11 :: v_dual_add_nc_u32 v2, v2, v8
                                        ; implicit-def: $vgpr8_vgpr9
	v_cmpx_ne_u32_e32 0, v45
	s_xor_b32 s14, exec_lo, s14
; %bb.2603:                             ;   in Loop: Header=BB2_2129 Depth=4
	s_delay_alu instid0(VALU_DEP_2) | instskip(SKIP_1) | instid1(VALU_DEP_1)
	v_cmp_lt_u64_e32 vcc_lo, 0xffffff, v[2:3]
	v_add_nc_u32_e32 v8, 15, v11
	v_cndmask_b32_e32 v10, v45, v8, vcc_lo
	v_cndmask_b32_e64 v8, 0, 1, vcc_lo
	s_delay_alu instid0(VALU_DEP_1)
	v_lshrrev_b64 v[8:9], v8, v[2:3]
; %bb.2604:                             ;   in Loop: Header=BB2_2129 Depth=4
	s_and_not1_saveexec_b32 s14, s14
; %bb.2605:                             ;   in Loop: Header=BB2_2129 Depth=4
	v_mov_b64_e32 v[8:9], v[2:3]
	v_bfe_u32 v10, v2, 23, 1
; %bb.2606:                             ;   in Loop: Header=BB2_2129 Depth=4
	s_or_b32 exec_lo, exec_lo, s14
	s_delay_alu instid0(VALU_DEP_2) | instskip(NEXT) | instid1(VALU_DEP_2)
	v_lshrrev_b64 v[8:9], 21, v[8:9]
	v_cmp_gt_i32_e32 vcc_lo, 32, v10
	v_min_i32_e32 v2, 31, v10
	v_cmp_eq_u32_e64 s14, 0, v10
	s_delay_alu instid0(VALU_DEP_2) | instskip(SKIP_1) | instid1(VALU_DEP_2)
	v_dual_cndmask_b32 v9, 0, v9 :: v_dual_lshlrev_b32 v2, 2, v2
	v_cndmask_b32_e32 v8, 3, v8, vcc_lo
	v_and_b32_e32 v2, 0xfc, v2
	s_delay_alu instid0(VALU_DEP_2) | instskip(NEXT) | instid1(VALU_DEP_2)
	v_cmp_eq_u64_e32 vcc_lo, 0, v[8:9]
	v_and_or_b32 v2, v8, 3, v2
	s_and_b32 s14, s14, vcc_lo
	s_delay_alu instid0(VALU_DEP_1) | instid1(SALU_CYCLE_1)
	v_cndmask_b32_e64 v2, v2, 0, s14
	s_delay_alu instid0(VALU_DEP_1)
	v_or_b32_e32 v76, v2, v44
.LBB2_2607:                             ;   in Loop: Header=BB2_2129 Depth=4
	s_or_b32 exec_lo, exec_lo, s77
                                        ; implicit-def: $vgpr44
.LBB2_2608:                             ;   in Loop: Header=BB2_2129 Depth=4
	s_and_not1_saveexec_b32 s14, s76
; %bb.2609:                             ;   in Loop: Header=BB2_2129 Depth=4
	v_or_b32_e32 v76, 0x7b, v44
; %bb.2610:                             ;   in Loop: Header=BB2_2129 Depth=4
	s_or_b32 exec_lo, exec_lo, s14
                                        ; implicit-def: $vgpr8
                                        ; implicit-def: $vgpr9
.LBB2_2611:                             ;   in Loop: Header=BB2_2129 Depth=4
	s_and_not1_saveexec_b32 s14, s75
	s_cbranch_execz .LBB2_2617
; %bb.2612:                             ;   in Loop: Header=BB2_2129 Depth=4
	s_mov_b32 s75, exec_lo
                                        ; implicit-def: $vgpr76
	v_cmpx_ne_u64_e32 0, v[2:3]
	s_xor_b32 s75, exec_lo, s75
; %bb.2613:                             ;   in Loop: Header=BB2_2129 Depth=4
	v_or_b32_e32 v76, 0x7f, v9
                                        ; implicit-def: $vgpr8
; %bb.2614:                             ;   in Loop: Header=BB2_2129 Depth=4
	s_and_not1_saveexec_b32 s75, s75
; %bb.2615:                             ;   in Loop: Header=BB2_2129 Depth=4
	v_cmp_lt_i32_e32 vcc_lo, -1, v8
	v_cndmask_b32_e32 v76, 0xfc, v120, vcc_lo
; %bb.2616:                             ;   in Loop: Header=BB2_2129 Depth=4
	s_or_b32 exec_lo, exec_lo, s75
.LBB2_2617:                             ;   in Loop: Header=BB2_2129 Depth=4
	s_delay_alu instid0(SALU_CYCLE_1)
	s_or_b32 exec_lo, exec_lo, s14
	global_load_b128 v[8:11], v[42:43], off th:TH_LOAD_NT
	v_lshl_or_b32 v30, v30, 8, v16
	v_dual_lshlrev_b32 v2, 16, v61 :: v_dual_lshlrev_b32 v18, 24, v72
	v_mov_b32_e32 v44, 0
	s_mov_b32 s14, exec_lo
	s_delay_alu instid0(VALU_DEP_2)
	v_or3_b32 v2, v2, v18, v30
	s_wait_xcnt 0x0
	v_cmpx_ne_u32_e32 0, v16
	s_cbranch_execz .LBB2_2627
; %bb.2618:                             ;   in Loop: Header=BB2_2129 Depth=4
	v_bfrev_b32_e32 v44, 1
	s_mov_b32 s75, exec_lo
	v_cmpx_ne_u32_e32 0x80, v16
	s_cbranch_execz .LBB2_2626
; %bb.2619:                             ;   in Loop: Header=BB2_2129 Depth=4
	v_and_b32_e32 v18, 0x7c, v16
	v_and_b32_e32 v45, 3, v16
	s_mov_b32 s76, exec_lo
                                        ; implicit-def: $vgpr44
	s_delay_alu instid0(VALU_DEP_2)
	v_cmpx_ne_u32_e32 0x7c, v18
	s_xor_b32 s76, exec_lo, s76
	s_cbranch_execz .LBB2_2623
; %bb.2620:                             ;   in Loop: Header=BB2_2129 Depth=4
	v_bfe_u32 v44, v16, 2, 5
	s_mov_b32 s77, exec_lo
	s_delay_alu instid0(VALU_DEP_1)
	v_cmpx_eq_u32_e32 0, v44
; %bb.2621:                             ;   in Loop: Header=BB2_2129 Depth=4
	v_clz_i32_u32_e32 v18, v45
	s_delay_alu instid0(VALU_DEP_1) | instskip(NEXT) | instid1(VALU_DEP_1)
	v_min_u32_e32 v44, 32, v18
	v_subrev_nc_u32_e32 v18, 29, v44
	s_delay_alu instid0(VALU_DEP_1) | instskip(NEXT) | instid1(VALU_DEP_1)
	v_lshlrev_b64_e32 v[18:19], v18, v[2:3]
	v_dual_sub_nc_u32 v44, 30, v44 :: v_dual_bitop2_b32 v45, 3, v18 bitop3:0x40
; %bb.2622:                             ;   in Loop: Header=BB2_2129 Depth=4
	s_or_b32 exec_lo, exec_lo, s77
	v_lshlrev_b32_e32 v16, 24, v16
	s_delay_alu instid0(VALU_DEP_1) | instskip(NEXT) | instid1(VALU_DEP_1)
	v_and_b32_e32 v16, 0x80000000, v16
	v_lshl_add_u32 v16, v44, 23, v16
	s_delay_alu instid0(VALU_DEP_1) | instskip(NEXT) | instid1(VALU_DEP_1)
	v_lshl_or_b32 v16, v45, 21, v16
                                        ; implicit-def: $vgpr45
	v_add_nc_u32_e32 v44, 0x38000000, v16
                                        ; implicit-def: $vgpr16
.LBB2_2623:                             ;   in Loop: Header=BB2_2129 Depth=4
	s_and_not1_saveexec_b32 s76, s76
; %bb.2624:                             ;   in Loop: Header=BB2_2129 Depth=4
	v_and_b32_e32 v16, 0x80, v16
	s_delay_alu instid0(VALU_DEP_1) | instskip(SKIP_2) | instid1(VALU_DEP_2)
	v_cmp_eq_u32_e32 vcc_lo, 0, v16
	v_cndmask_b32_e32 v16, 0xff800000, v111, vcc_lo
	v_cmp_eq_u32_e32 vcc_lo, 0, v45
	v_cndmask_b32_e32 v44, 0x7f800001, v16, vcc_lo
; %bb.2625:                             ;   in Loop: Header=BB2_2129 Depth=4
	s_or_b32 exec_lo, exec_lo, s76
.LBB2_2626:                             ;   in Loop: Header=BB2_2129 Depth=4
	s_delay_alu instid0(SALU_CYCLE_1)
	s_or_b32 exec_lo, exec_lo, s75
.LBB2_2627:                             ;   in Loop: Header=BB2_2129 Depth=4
	s_delay_alu instid0(SALU_CYCLE_1) | instskip(SKIP_4) | instid1(VALU_DEP_1)
	s_or_b32 exec_lo, exec_lo, s14
	s_wait_loadcnt 0x0
	v_and_b32_e32 v45, 0xff, v8
	s_mov_b32 s75, 0
	s_mov_b32 s14, exec_lo
	v_cmpx_lt_i16_e32 0x7f, v45
	s_xor_b32 s14, exec_lo, s14
	s_cbranch_execz .LBB2_3168
; %bb.2628:                             ;   in Loop: Header=BB2_2129 Depth=4
	s_mov_b32 s75, -1
	s_mov_b32 s76, exec_lo
	v_cmpx_eq_u16_e32 0x80, v45
; %bb.2629:                             ;   in Loop: Header=BB2_2129 Depth=4
	s_xor_b32 s75, exec_lo, -1
; %bb.2630:                             ;   in Loop: Header=BB2_2129 Depth=4
	s_or_b32 exec_lo, exec_lo, s76
	s_delay_alu instid0(SALU_CYCLE_1)
	s_and_b32 s75, s75, exec_lo
                                        ; implicit-def: $vgpr45
	s_or_saveexec_b32 s14, s14
	v_bfrev_b32_e32 v16, 1
	s_xor_b32 exec_lo, exec_lo, s14
	s_cbranch_execnz .LBB2_3169
.LBB2_2631:                             ;   in Loop: Header=BB2_2129 Depth=4
	s_or_b32 exec_lo, exec_lo, s14
	s_and_saveexec_b32 s14, s75
	s_cbranch_execz .LBB2_2633
.LBB2_2632:                             ;   in Loop: Header=BB2_2129 Depth=4
	v_and_b32_e32 v16, 3, v8
	v_bfe_u32 v46, v8, 2, 5
	s_delay_alu instid0(VALU_DEP_2) | instskip(NEXT) | instid1(VALU_DEP_2)
	v_clz_i32_u32_e32 v18, v16
	v_cmp_eq_u32_e32 vcc_lo, 0, v46
	s_delay_alu instid0(VALU_DEP_2) | instskip(NEXT) | instid1(VALU_DEP_1)
	v_min_u32_e32 v45, 32, v18
	v_subrev_nc_u32_e32 v18, 29, v45
	s_delay_alu instid0(VALU_DEP_1) | instskip(SKIP_1) | instid1(VALU_DEP_1)
	v_lshlrev_b64_e32 v[18:19], v18, v[8:9]
	v_dual_lshlrev_b32 v19, 24, v8 :: v_dual_sub_nc_u32 v45, 30, v45
	v_and_b32_e32 v19, 0x80000000, v19
	s_delay_alu instid0(VALU_DEP_2) | instskip(SKIP_1) | instid1(VALU_DEP_2)
	v_dual_cndmask_b32 v45, v46, v45, vcc_lo :: v_dual_bitop2_b32 v18, 3, v18 bitop3:0x40
	v_bfe_i32 v46, v8, 0, 8
	v_cndmask_b32_e32 v18, v16, v18, vcc_lo
	s_delay_alu instid0(VALU_DEP_3) | instskip(NEXT) | instid1(VALU_DEP_3)
	v_lshl_add_u32 v19, v45, 23, v19
	v_cmp_lt_i16_e32 vcc_lo, -1, v46
	s_delay_alu instid0(VALU_DEP_2) | instskip(SKIP_3) | instid1(VALU_DEP_4)
	v_lshl_or_b32 v18, v18, 21, v19
	v_cndmask_b32_e32 v45, 0xff800000, v111, vcc_lo
	v_and_b32_e32 v19, 0x7c, v8
	v_cmp_eq_u32_e32 vcc_lo, 0, v16
	v_add_nc_u32_e32 v18, 0x38000000, v18
	s_delay_alu instid0(VALU_DEP_4) | instskip(NEXT) | instid1(VALU_DEP_4)
	v_cndmask_b32_e32 v16, 0x7f800001, v45, vcc_lo
	v_cmp_eq_u32_e32 vcc_lo, 0x7c, v19
	s_delay_alu instid0(VALU_DEP_2)
	v_cndmask_b32_e32 v16, v18, v16, vcc_lo
.LBB2_2633:                             ;   in Loop: Header=BB2_2129 Depth=4
	s_or_b32 exec_lo, exec_lo, s14
	s_delay_alu instid0(VALU_DEP_1) | instskip(SKIP_2) | instid1(VALU_DEP_2)
	v_dual_add_f32 v46, v44, v16 :: v_dual_mov_b32 v19, v3
	v_mov_b32_e32 v45, v3
                                        ; implicit-def: $vgpr16
	s_mov_b32 s14, exec_lo
	v_and_b32_e32 v18, 0x7f800000, v46
	v_and_b32_e32 v44, 0x7fffff, v46
	v_lshrrev_b32_e32 v47, 24, v46
	s_delay_alu instid0(VALU_DEP_3)
	v_cmpx_ne_u64_e32 0x7f800000, v[18:19]
	s_xor_b32 s75, exec_lo, s14
	s_cbranch_execz .LBB2_2647
; %bb.2634:                             ;   in Loop: Header=BB2_2129 Depth=4
	v_and_b32_e32 v18, 0x7fffffff, v46
	v_mov_b32_e32 v19, v3
	v_and_b32_e32 v61, 0x80, v47
                                        ; implicit-def: $vgpr16
	s_mov_b32 s14, exec_lo
	s_delay_alu instid0(VALU_DEP_2)
	v_cmpx_gt_u64_e32 0x47600001, v[18:19]
	s_xor_b32 s76, exec_lo, s14
	s_cbranch_execz .LBB2_2644
; %bb.2635:                             ;   in Loop: Header=BB2_2129 Depth=4
	v_mov_b32_e32 v16, 0
	s_mov_b32 s77, exec_lo
	v_cmpx_ne_u32_e32 0, v46
	s_cbranch_execz .LBB2_2643
; %bb.2636:                             ;   in Loop: Header=BB2_2129 Depth=4
	v_bfe_u32 v16, v46, 23, 8
	v_or_b32_e32 v46, 0x800000, v44
	s_delay_alu instid0(VALU_DEP_2) | instskip(SKIP_1) | instid1(VALU_DEP_2)
	v_sub_nc_u32_e32 v18, 0x71, v16
	v_cmp_gt_u32_e32 vcc_lo, 0x72, v16
	v_cndmask_b32_e32 v18, 0, v18, vcc_lo
	v_cmp_eq_u32_e32 vcc_lo, 0, v16
	s_delay_alu instid0(VALU_DEP_2) | instskip(SKIP_1) | instid1(VALU_DEP_2)
	v_cndmask_b32_e64 v72, v18, 0x70, vcc_lo
	v_cndmask_b32_e32 v44, v46, v44, vcc_lo
	v_dual_add_nc_u32 v18, 21, v72 :: v_dual_add_nc_u32 v47, 20, v72
	s_delay_alu instid0(VALU_DEP_1) | instskip(NEXT) | instid1(VALU_DEP_2)
	v_lshlrev_b64_e64 v[18:19], v18, -1
	v_lshlrev_b64_e64 v[46:47], v47, 1
	s_delay_alu instid0(VALU_DEP_2) | instskip(SKIP_1) | instid1(VALU_DEP_4)
	v_bfi_b32 v18, v18, 0, v44
	v_lshrrev_b64 v[44:45], v72, v[44:45]
	v_bfi_b32 v19, v19, 0, 0
	s_delay_alu instid0(VALU_DEP_1) | instskip(NEXT) | instid1(VALU_DEP_3)
	v_cmp_eq_u64_e64 s14, v[18:19], v[46:47]
	v_mov_b64_e32 v[46:47], v[44:45]
	s_and_saveexec_b32 s78, s14
; %bb.2637:                             ;   in Loop: Header=BB2_2129 Depth=4
	v_bfe_u32 v18, v44, 21, 1
	v_mov_b32_e32 v19, v3
	s_delay_alu instid0(VALU_DEP_1) | instskip(NEXT) | instid1(VALU_DEP_1)
	v_add_nc_u64_e32 v[18:19], v[44:45], v[18:19]
	v_add_nc_u64_e32 v[46:47], -1, v[18:19]
; %bb.2638:                             ;   in Loop: Header=BB2_2129 Depth=4
	s_or_b32 exec_lo, exec_lo, s78
	v_dual_mov_b32 v45, v3 :: v_dual_add_nc_u32 v16, 0xffffff81, v16
	v_lshrrev_b32_e32 v18, 23, v44
	s_mov_b32 s14, exec_lo
	s_delay_alu instid0(VALU_DEP_2) | instskip(NEXT) | instid1(VALU_DEP_1)
	v_cndmask_b32_e64 v16, v16, 0xffffff82, vcc_lo
	v_add3_u32 v47, v72, v16, v18
	v_and_b32_e32 v16, 0x1fffff, v46
	s_delay_alu instid0(VALU_DEP_1) | instskip(NEXT) | instid1(VALU_DEP_1)
	v_dual_add_nc_u32 v46, 14, v47 :: v_dual_add_nc_u32 v44, v16, v44
                                        ; implicit-def: $vgpr16
	v_cmpx_ne_u32_e32 0, v46
	s_xor_b32 s14, exec_lo, s14
; %bb.2639:                             ;   in Loop: Header=BB2_2129 Depth=4
	s_delay_alu instid0(VALU_DEP_2) | instskip(SKIP_2) | instid1(VALU_DEP_2)
	v_cmp_lt_u64_e32 vcc_lo, 0xffffff, v[44:45]
	v_add_nc_u32_e32 v16, 15, v47
	v_cndmask_b32_e64 v18, 0, 1, vcc_lo
	v_cndmask_b32_e32 v16, v46, v16, vcc_lo
	s_delay_alu instid0(VALU_DEP_2)
	v_lshrrev_b64 v[44:45], v18, v[44:45]
; %bb.2640:                             ;   in Loop: Header=BB2_2129 Depth=4
	s_and_not1_saveexec_b32 s14, s14
; %bb.2641:                             ;   in Loop: Header=BB2_2129 Depth=4
	s_delay_alu instid0(VALU_DEP_1)
	v_bfe_u32 v16, v44, 23, 1
; %bb.2642:                             ;   in Loop: Header=BB2_2129 Depth=4
	s_or_b32 exec_lo, exec_lo, s14
	s_delay_alu instid0(VALU_DEP_2) | instskip(NEXT) | instid1(VALU_DEP_2)
	v_lshrrev_b64 v[18:19], 21, v[44:45]
	v_cmp_gt_i32_e32 vcc_lo, 32, v16
	v_min_i32_e32 v44, 31, v16
	v_cmp_eq_u32_e64 s14, 0, v16
	s_delay_alu instid0(VALU_DEP_2) | instskip(SKIP_1) | instid1(VALU_DEP_2)
	v_dual_cndmask_b32 v19, 0, v19 :: v_dual_lshlrev_b32 v44, 2, v44
	v_cndmask_b32_e32 v18, 3, v18, vcc_lo
	v_and_b32_e32 v44, 0xfc, v44
	s_delay_alu instid0(VALU_DEP_2) | instskip(NEXT) | instid1(VALU_DEP_2)
	v_cmp_eq_u64_e32 vcc_lo, 0, v[18:19]
	v_and_or_b32 v16, v18, 3, v44
	s_and_b32 s14, s14, vcc_lo
	s_delay_alu instid0(VALU_DEP_1) | instid1(SALU_CYCLE_1)
	v_cndmask_b32_e64 v16, v16, 0, s14
	s_delay_alu instid0(VALU_DEP_1)
	v_or_b32_e32 v16, v16, v61
.LBB2_2643:                             ;   in Loop: Header=BB2_2129 Depth=4
	s_or_b32 exec_lo, exec_lo, s77
                                        ; implicit-def: $vgpr61
.LBB2_2644:                             ;   in Loop: Header=BB2_2129 Depth=4
	s_and_not1_saveexec_b32 s14, s76
; %bb.2645:                             ;   in Loop: Header=BB2_2129 Depth=4
	v_or_b32_e32 v16, 0x7b, v61
; %bb.2646:                             ;   in Loop: Header=BB2_2129 Depth=4
	s_or_b32 exec_lo, exec_lo, s14
                                        ; implicit-def: $vgpr46
                                        ; implicit-def: $vgpr44_vgpr45
                                        ; implicit-def: $vgpr47
.LBB2_2647:                             ;   in Loop: Header=BB2_2129 Depth=4
	s_and_not1_saveexec_b32 s14, s75
	s_cbranch_execz .LBB2_2653
; %bb.2648:                             ;   in Loop: Header=BB2_2129 Depth=4
	s_mov_b32 s75, exec_lo
                                        ; implicit-def: $vgpr16
	v_cmpx_ne_u64_e32 0, v[44:45]
	s_xor_b32 s75, exec_lo, s75
; %bb.2649:                             ;   in Loop: Header=BB2_2129 Depth=4
	v_or_b32_e32 v16, 0x7f, v47
                                        ; implicit-def: $vgpr46
; %bb.2650:                             ;   in Loop: Header=BB2_2129 Depth=4
	s_and_not1_saveexec_b32 s75, s75
; %bb.2651:                             ;   in Loop: Header=BB2_2129 Depth=4
	v_cmp_lt_i32_e32 vcc_lo, -1, v46
	v_cndmask_b32_e32 v16, 0xfc, v120, vcc_lo
; %bb.2652:                             ;   in Loop: Header=BB2_2129 Depth=4
	s_or_b32 exec_lo, exec_lo, s75
.LBB2_2653:                             ;   in Loop: Header=BB2_2129 Depth=4
	s_delay_alu instid0(SALU_CYCLE_1) | instskip(SKIP_3) | instid1(VALU_DEP_2)
	s_or_b32 exec_lo, exec_lo, s14
	v_lshrrev_b16 v44, 8, v30
	v_mov_b32_e32 v46, 0
	s_mov_b32 s14, exec_lo
	v_cmpx_ne_u16_e32 0, v44
	s_cbranch_execz .LBB2_2663
; %bb.2654:                             ;   in Loop: Header=BB2_2129 Depth=4
	v_bfrev_b32_e32 v46, 1
	s_mov_b32 s75, exec_lo
	v_cmpx_ne_u16_e32 0x80, v44
	s_cbranch_execz .LBB2_2662
; %bb.2655:                             ;   in Loop: Header=BB2_2129 Depth=4
	v_and_b32_e32 v47, 0xffff, v44
	s_mov_b32 s76, exec_lo
                                        ; implicit-def: $vgpr46
	s_delay_alu instid0(VALU_DEP_1) | instskip(SKIP_1) | instid1(VALU_DEP_2)
	v_and_b32_e32 v18, 0x7c, v47
	v_and_b32_e32 v45, 3, v47
	v_cmpx_ne_u32_e32 0x7c, v18
	s_xor_b32 s76, exec_lo, s76
	s_cbranch_execz .LBB2_2659
; %bb.2656:                             ;   in Loop: Header=BB2_2129 Depth=4
	v_bfe_u32 v46, v47, 2, 5
	s_mov_b32 s77, exec_lo
	s_delay_alu instid0(VALU_DEP_1)
	v_cmpx_eq_u32_e32 0, v46
	s_cbranch_execz .LBB2_2658
; %bb.2657:                             ;   in Loop: Header=BB2_2129 Depth=4
	v_clz_i32_u32_e32 v18, v45
	s_delay_alu instid0(VALU_DEP_1) | instskip(SKIP_1) | instid1(VALU_DEP_2)
	v_min_u32_e32 v46, 32, v18
	v_mov_b32_e32 v45, v3
	v_subrev_nc_u32_e32 v18, 29, v46
	v_sub_nc_u32_e32 v46, 30, v46
	s_delay_alu instid0(VALU_DEP_2) | instskip(NEXT) | instid1(VALU_DEP_1)
	v_lshlrev_b64_e32 v[18:19], v18, v[44:45]
	v_and_b32_e32 v45, 3, v18
.LBB2_2658:                             ;   in Loop: Header=BB2_2129 Depth=4
	s_or_b32 exec_lo, exec_lo, s77
	v_lshlrev_b32_e32 v18, 16, v30
                                        ; implicit-def: $vgpr30
	s_delay_alu instid0(VALU_DEP_1) | instskip(NEXT) | instid1(VALU_DEP_1)
	v_and_b32_e32 v18, 0x80000000, v18
	v_lshl_add_u32 v18, v46, 23, v18
	s_delay_alu instid0(VALU_DEP_1) | instskip(NEXT) | instid1(VALU_DEP_1)
	v_lshl_or_b32 v18, v45, 21, v18
                                        ; implicit-def: $vgpr45
	v_add_nc_u32_e32 v46, 0x38000000, v18
.LBB2_2659:                             ;   in Loop: Header=BB2_2129 Depth=4
	s_and_not1_saveexec_b32 s76, s76
; %bb.2660:                             ;   in Loop: Header=BB2_2129 Depth=4
	v_cmp_lt_i16_e32 vcc_lo, -1, v30
	v_cndmask_b32_e32 v18, 0xff800000, v111, vcc_lo
	v_cmp_eq_u32_e32 vcc_lo, 0, v45
	s_delay_alu instid0(VALU_DEP_2)
	v_cndmask_b32_e32 v46, 0x7f800001, v18, vcc_lo
; %bb.2661:                             ;   in Loop: Header=BB2_2129 Depth=4
	s_or_b32 exec_lo, exec_lo, s76
.LBB2_2662:                             ;   in Loop: Header=BB2_2129 Depth=4
	s_delay_alu instid0(SALU_CYCLE_1)
	s_or_b32 exec_lo, exec_lo, s75
.LBB2_2663:                             ;   in Loop: Header=BB2_2129 Depth=4
	s_delay_alu instid0(SALU_CYCLE_1) | instskip(SKIP_3) | instid1(VALU_DEP_1)
	s_or_b32 exec_lo, exec_lo, s14
	v_lshrrev_b16 v44, 8, v8
	s_mov_b32 s75, 0
	s_mov_b32 s14, exec_lo
	v_cmpx_lt_i16_e32 0x7f, v44
	s_xor_b32 s14, exec_lo, s14
	s_cbranch_execz .LBB2_3170
; %bb.2664:                             ;   in Loop: Header=BB2_2129 Depth=4
	s_mov_b32 s75, -1
	s_mov_b32 s76, exec_lo
	v_cmpx_eq_u16_e32 0x80, v44
; %bb.2665:                             ;   in Loop: Header=BB2_2129 Depth=4
	s_xor_b32 s75, exec_lo, -1
; %bb.2666:                             ;   in Loop: Header=BB2_2129 Depth=4
	s_or_b32 exec_lo, exec_lo, s76
	s_delay_alu instid0(SALU_CYCLE_1)
	s_and_b32 s75, s75, exec_lo
	s_or_saveexec_b32 s14, s14
	v_bfrev_b32_e32 v30, 1
	s_xor_b32 exec_lo, exec_lo, s14
	s_cbranch_execnz .LBB2_3171
.LBB2_2667:                             ;   in Loop: Header=BB2_2129 Depth=4
	s_or_b32 exec_lo, exec_lo, s14
	s_and_saveexec_b32 s14, s75
	s_cbranch_execz .LBB2_2669
.LBB2_2668:                             ;   in Loop: Header=BB2_2129 Depth=4
	v_and_b32_e32 v30, 0xffff, v44
	s_delay_alu instid0(VALU_DEP_1) | instskip(NEXT) | instid1(VALU_DEP_1)
	v_dual_mov_b32 v45, v3 :: v_dual_bitop2_b32 v47, 3, v30 bitop3:0x40
	v_clz_i32_u32_e32 v18, v47
	s_delay_alu instid0(VALU_DEP_1) | instskip(NEXT) | instid1(VALU_DEP_1)
	v_min_u32_e32 v61, 32, v18
	v_subrev_nc_u32_e32 v18, 29, v61
	s_delay_alu instid0(VALU_DEP_1) | instskip(SKIP_2) | instid1(VALU_DEP_2)
	v_lshlrev_b64_e32 v[18:19], v18, v[44:45]
	v_dual_lshlrev_b32 v19, 24, v44 :: v_dual_sub_nc_u32 v45, 30, v61
	v_bfe_u32 v44, v30, 2, 5
	v_and_b32_e32 v19, 0x80000000, v19
	s_delay_alu instid0(VALU_DEP_2) | instskip(NEXT) | instid1(VALU_DEP_4)
	v_cmp_eq_u32_e32 vcc_lo, 0, v44
	v_dual_cndmask_b32 v44, v44, v45, vcc_lo :: v_dual_bitop2_b32 v18, 3, v18 bitop3:0x40
	s_delay_alu instid0(VALU_DEP_1) | instskip(SKIP_1) | instid1(VALU_DEP_3)
	v_cndmask_b32_e32 v18, v47, v18, vcc_lo
	v_cmp_lt_i16_e32 vcc_lo, -1, v8
	v_lshl_add_u32 v19, v44, 23, v19
	v_cndmask_b32_e32 v44, 0xff800000, v111, vcc_lo
	v_cmp_eq_u32_e32 vcc_lo, 0, v47
	s_delay_alu instid0(VALU_DEP_3) | instskip(SKIP_1) | instid1(VALU_DEP_4)
	v_lshl_or_b32 v18, v18, 21, v19
	v_and_b32_e32 v19, 0x7c, v30
	v_cndmask_b32_e32 v30, 0x7f800001, v44, vcc_lo
	s_delay_alu instid0(VALU_DEP_3) | instskip(NEXT) | instid1(VALU_DEP_3)
	v_add_nc_u32_e32 v18, 0x38000000, v18
	v_cmp_eq_u32_e32 vcc_lo, 0x7c, v19
	s_delay_alu instid0(VALU_DEP_2)
	v_cndmask_b32_e32 v30, v18, v30, vcc_lo
.LBB2_2669:                             ;   in Loop: Header=BB2_2129 Depth=4
	s_or_b32 exec_lo, exec_lo, s14
	s_delay_alu instid0(VALU_DEP_1) | instskip(SKIP_2) | instid1(VALU_DEP_2)
	v_dual_add_f32 v46, v46, v30 :: v_dual_mov_b32 v19, v3
	v_mov_b32_e32 v45, v3
                                        ; implicit-def: $vgpr61
	s_mov_b32 s14, exec_lo
	v_and_b32_e32 v18, 0x7f800000, v46
	v_and_b32_e32 v44, 0x7fffff, v46
	v_lshrrev_b32_e32 v30, 24, v46
	s_delay_alu instid0(VALU_DEP_3)
	v_cmpx_ne_u64_e32 0x7f800000, v[18:19]
	s_xor_b32 s75, exec_lo, s14
	s_cbranch_execz .LBB2_2683
; %bb.2670:                             ;   in Loop: Header=BB2_2129 Depth=4
	v_and_b32_e32 v18, 0x7fffffff, v46
	v_mov_b32_e32 v19, v3
	v_and_b32_e32 v30, 0x80, v30
                                        ; implicit-def: $vgpr61
	s_mov_b32 s14, exec_lo
	s_delay_alu instid0(VALU_DEP_2)
	v_cmpx_gt_u64_e32 0x47600001, v[18:19]
	s_xor_b32 s76, exec_lo, s14
	s_cbranch_execz .LBB2_2680
; %bb.2671:                             ;   in Loop: Header=BB2_2129 Depth=4
	v_mov_b32_e32 v61, 0
	s_mov_b32 s77, exec_lo
	v_cmpx_ne_u32_e32 0, v46
	s_cbranch_execz .LBB2_2679
; %bb.2672:                             ;   in Loop: Header=BB2_2129 Depth=4
	v_bfe_u32 v61, v46, 23, 8
	v_or_b32_e32 v46, 0x800000, v44
	s_delay_alu instid0(VALU_DEP_2) | instskip(SKIP_1) | instid1(VALU_DEP_2)
	v_sub_nc_u32_e32 v18, 0x71, v61
	v_cmp_gt_u32_e32 vcc_lo, 0x72, v61
	v_cndmask_b32_e32 v18, 0, v18, vcc_lo
	v_cmp_eq_u32_e32 vcc_lo, 0, v61
	s_delay_alu instid0(VALU_DEP_2) | instskip(SKIP_1) | instid1(VALU_DEP_2)
	v_cndmask_b32_e64 v72, v18, 0x70, vcc_lo
	v_cndmask_b32_e32 v44, v46, v44, vcc_lo
	v_dual_add_nc_u32 v18, 21, v72 :: v_dual_add_nc_u32 v47, 20, v72
	s_delay_alu instid0(VALU_DEP_1) | instskip(NEXT) | instid1(VALU_DEP_2)
	v_lshlrev_b64_e64 v[18:19], v18, -1
	v_lshlrev_b64_e64 v[46:47], v47, 1
	s_delay_alu instid0(VALU_DEP_2) | instskip(SKIP_1) | instid1(VALU_DEP_4)
	v_bfi_b32 v18, v18, 0, v44
	v_lshrrev_b64 v[44:45], v72, v[44:45]
	v_bfi_b32 v19, v19, 0, 0
	s_delay_alu instid0(VALU_DEP_1) | instskip(NEXT) | instid1(VALU_DEP_3)
	v_cmp_eq_u64_e64 s14, v[18:19], v[46:47]
	v_mov_b64_e32 v[46:47], v[44:45]
	s_and_saveexec_b32 s78, s14
; %bb.2673:                             ;   in Loop: Header=BB2_2129 Depth=4
	v_bfe_u32 v18, v44, 21, 1
	v_mov_b32_e32 v19, v3
	s_delay_alu instid0(VALU_DEP_1) | instskip(NEXT) | instid1(VALU_DEP_1)
	v_add_nc_u64_e32 v[18:19], v[44:45], v[18:19]
	v_add_nc_u64_e32 v[46:47], -1, v[18:19]
; %bb.2674:                             ;   in Loop: Header=BB2_2129 Depth=4
	s_or_b32 exec_lo, exec_lo, s78
	v_dual_mov_b32 v45, v3 :: v_dual_add_nc_u32 v18, 0xffffff81, v61
	v_lshrrev_b32_e32 v19, 23, v44
	s_mov_b32 s14, exec_lo
	s_delay_alu instid0(VALU_DEP_2) | instskip(NEXT) | instid1(VALU_DEP_1)
	v_cndmask_b32_e64 v18, v18, 0xffffff82, vcc_lo
	v_add3_u32 v47, v72, v18, v19
	v_and_b32_e32 v18, 0x1fffff, v46
                                        ; implicit-def: $vgpr46
	s_delay_alu instid0(VALU_DEP_1) | instskip(NEXT) | instid1(VALU_DEP_1)
	v_dual_add_nc_u32 v61, 14, v47 :: v_dual_add_nc_u32 v44, v18, v44
	v_cmpx_ne_u32_e32 0, v61
	s_xor_b32 s14, exec_lo, s14
; %bb.2675:                             ;   in Loop: Header=BB2_2129 Depth=4
	s_delay_alu instid0(VALU_DEP_2) | instskip(SKIP_1) | instid1(VALU_DEP_1)
	v_cmp_lt_u64_e32 vcc_lo, 0xffffff, v[44:45]
	v_add_nc_u32_e32 v18, 15, v47
	v_cndmask_b32_e32 v46, v61, v18, vcc_lo
	v_cndmask_b32_e64 v18, 0, 1, vcc_lo
	s_delay_alu instid0(VALU_DEP_1)
	v_lshrrev_b64 v[44:45], v18, v[44:45]
; %bb.2676:                             ;   in Loop: Header=BB2_2129 Depth=4
	s_and_not1_saveexec_b32 s14, s14
; %bb.2677:                             ;   in Loop: Header=BB2_2129 Depth=4
	s_delay_alu instid0(VALU_DEP_1)
	v_bfe_u32 v46, v44, 23, 1
; %bb.2678:                             ;   in Loop: Header=BB2_2129 Depth=4
	s_or_b32 exec_lo, exec_lo, s14
	s_delay_alu instid0(VALU_DEP_2) | instskip(NEXT) | instid1(VALU_DEP_2)
	v_lshrrev_b64 v[18:19], 21, v[44:45]
	v_cmp_gt_i32_e32 vcc_lo, 32, v46
	v_min_i32_e32 v44, 31, v46
	v_cmp_eq_u32_e64 s14, 0, v46
	s_delay_alu instid0(VALU_DEP_2) | instskip(SKIP_1) | instid1(VALU_DEP_2)
	v_dual_cndmask_b32 v19, 0, v19 :: v_dual_lshlrev_b32 v44, 2, v44
	v_cndmask_b32_e32 v18, 3, v18, vcc_lo
	v_and_b32_e32 v44, 0xfc, v44
	s_delay_alu instid0(VALU_DEP_2) | instskip(NEXT) | instid1(VALU_DEP_2)
	v_cmp_eq_u64_e32 vcc_lo, 0, v[18:19]
	v_and_or_b32 v18, v18, 3, v44
	s_and_b32 s14, s14, vcc_lo
	s_delay_alu instid0(VALU_DEP_1) | instid1(SALU_CYCLE_1)
	v_cndmask_b32_e64 v18, v18, 0, s14
	s_delay_alu instid0(VALU_DEP_1)
	v_or_b32_e32 v61, v18, v30
.LBB2_2679:                             ;   in Loop: Header=BB2_2129 Depth=4
	s_or_b32 exec_lo, exec_lo, s77
                                        ; implicit-def: $vgpr30
.LBB2_2680:                             ;   in Loop: Header=BB2_2129 Depth=4
	s_and_not1_saveexec_b32 s14, s76
; %bb.2681:                             ;   in Loop: Header=BB2_2129 Depth=4
	v_or_b32_e32 v61, 0x7b, v30
; %bb.2682:                             ;   in Loop: Header=BB2_2129 Depth=4
	s_or_b32 exec_lo, exec_lo, s14
                                        ; implicit-def: $vgpr46
                                        ; implicit-def: $vgpr44_vgpr45
                                        ; implicit-def: $vgpr30
.LBB2_2683:                             ;   in Loop: Header=BB2_2129 Depth=4
	s_and_not1_saveexec_b32 s14, s75
	s_cbranch_execz .LBB2_2689
; %bb.2684:                             ;   in Loop: Header=BB2_2129 Depth=4
	s_mov_b32 s75, exec_lo
                                        ; implicit-def: $vgpr61
	v_cmpx_ne_u64_e32 0, v[44:45]
	s_xor_b32 s75, exec_lo, s75
; %bb.2685:                             ;   in Loop: Header=BB2_2129 Depth=4
	v_or_b32_e32 v61, 0x7f, v30
                                        ; implicit-def: $vgpr46
; %bb.2686:                             ;   in Loop: Header=BB2_2129 Depth=4
	s_and_not1_saveexec_b32 s75, s75
; %bb.2687:                             ;   in Loop: Header=BB2_2129 Depth=4
	v_cmp_lt_i32_e32 vcc_lo, -1, v46
	v_cndmask_b32_e32 v61, 0xfc, v120, vcc_lo
; %bb.2688:                             ;   in Loop: Header=BB2_2129 Depth=4
	s_or_b32 exec_lo, exec_lo, s75
.LBB2_2689:                             ;   in Loop: Header=BB2_2129 Depth=4
	s_delay_alu instid0(SALU_CYCLE_1) | instskip(SKIP_2) | instid1(VALU_DEP_1)
	s_or_b32 exec_lo, exec_lo, s14
	v_dual_lshrrev_b32 v30, 16, v2 :: v_dual_mov_b32 v44, 0
	s_mov_b32 s14, exec_lo
	v_and_b32_e32 v45, 0xff, v30
	s_delay_alu instid0(VALU_DEP_1)
	v_cmpx_ne_u16_e32 0, v45
	s_cbranch_execz .LBB2_2699
; %bb.2690:                             ;   in Loop: Header=BB2_2129 Depth=4
	v_bfrev_b32_e32 v44, 1
	s_mov_b32 s75, exec_lo
	v_cmpx_ne_u16_e32 0x80, v45
	s_cbranch_execz .LBB2_2698
; %bb.2691:                             ;   in Loop: Header=BB2_2129 Depth=4
	v_and_b32_e32 v18, 0x7c0000, v2
	v_bfe_u32 v45, v2, 16, 2
	s_mov_b32 s76, exec_lo
                                        ; implicit-def: $vgpr44
	s_delay_alu instid0(VALU_DEP_2)
	v_cmpx_ne_u32_e32 0x7c0000, v18
	s_xor_b32 s76, exec_lo, s76
	s_cbranch_execz .LBB2_2695
; %bb.2692:                             ;   in Loop: Header=BB2_2129 Depth=4
	v_bfe_u32 v44, v2, 18, 5
	v_lshrrev_b32_e32 v30, 16, v2
	s_mov_b32 s77, exec_lo
	s_delay_alu instid0(VALU_DEP_2)
	v_cmpx_eq_u32_e32 0, v44
; %bb.2693:                             ;   in Loop: Header=BB2_2129 Depth=4
	v_clz_i32_u32_e32 v18, v45
	s_delay_alu instid0(VALU_DEP_1) | instskip(NEXT) | instid1(VALU_DEP_1)
	v_min_u32_e32 v44, 32, v18
	v_subrev_nc_u32_e32 v18, 29, v44
	s_delay_alu instid0(VALU_DEP_1) | instskip(NEXT) | instid1(VALU_DEP_1)
	v_lshlrev_b64_e32 v[18:19], v18, v[30:31]
	v_dual_sub_nc_u32 v44, 30, v44 :: v_dual_bitop2_b32 v45, 3, v18 bitop3:0x40
; %bb.2694:                             ;   in Loop: Header=BB2_2129 Depth=4
	s_or_b32 exec_lo, exec_lo, s77
	v_lshlrev_b32_e32 v18, 24, v30
                                        ; implicit-def: $vgpr30
	s_delay_alu instid0(VALU_DEP_1) | instskip(NEXT) | instid1(VALU_DEP_1)
	v_and_b32_e32 v18, 0x80000000, v18
	v_lshl_add_u32 v18, v44, 23, v18
	s_delay_alu instid0(VALU_DEP_1) | instskip(NEXT) | instid1(VALU_DEP_1)
	v_lshl_or_b32 v18, v45, 21, v18
                                        ; implicit-def: $vgpr45
	v_add_nc_u32_e32 v44, 0x38000000, v18
.LBB2_2695:                             ;   in Loop: Header=BB2_2129 Depth=4
	s_and_not1_saveexec_b32 s76, s76
; %bb.2696:                             ;   in Loop: Header=BB2_2129 Depth=4
	v_bfe_i32 v18, v30, 0, 8
	s_delay_alu instid0(VALU_DEP_1) | instskip(SKIP_2) | instid1(VALU_DEP_2)
	v_cmp_lt_i16_e32 vcc_lo, -1, v18
	v_cndmask_b32_e32 v18, 0xff800000, v111, vcc_lo
	v_cmp_eq_u32_e32 vcc_lo, 0, v45
	v_cndmask_b32_e32 v44, 0x7f800001, v18, vcc_lo
; %bb.2697:                             ;   in Loop: Header=BB2_2129 Depth=4
	s_or_b32 exec_lo, exec_lo, s76
.LBB2_2698:                             ;   in Loop: Header=BB2_2129 Depth=4
	s_delay_alu instid0(SALU_CYCLE_1)
	s_or_b32 exec_lo, exec_lo, s75
.LBB2_2699:                             ;   in Loop: Header=BB2_2129 Depth=4
	s_delay_alu instid0(SALU_CYCLE_1) | instskip(SKIP_3) | instid1(VALU_DEP_1)
	s_or_b32 exec_lo, exec_lo, s14
	v_lshrrev_b32_e32 v30, 16, v8
	s_mov_b32 s75, 0
	s_mov_b32 s14, exec_lo
	v_and_b32_e32 v46, 0xff, v30
	s_delay_alu instid0(VALU_DEP_1)
	v_cmpx_lt_i16_e32 0x7f, v46
	s_xor_b32 s14, exec_lo, s14
	s_cbranch_execz .LBB2_3172
; %bb.2700:                             ;   in Loop: Header=BB2_2129 Depth=4
	s_mov_b32 s75, -1
	s_mov_b32 s76, exec_lo
	v_cmpx_eq_u16_e32 0x80, v46
; %bb.2701:                             ;   in Loop: Header=BB2_2129 Depth=4
	s_xor_b32 s75, exec_lo, -1
; %bb.2702:                             ;   in Loop: Header=BB2_2129 Depth=4
	s_or_b32 exec_lo, exec_lo, s76
	s_delay_alu instid0(SALU_CYCLE_1)
	s_and_b32 s75, s75, exec_lo
                                        ; implicit-def: $vgpr46
	s_or_saveexec_b32 s14, s14
	v_bfrev_b32_e32 v45, 1
	s_xor_b32 exec_lo, exec_lo, s14
	s_cbranch_execnz .LBB2_3173
.LBB2_2703:                             ;   in Loop: Header=BB2_2129 Depth=4
	s_or_b32 exec_lo, exec_lo, s14
	s_and_saveexec_b32 s14, s75
	s_cbranch_execz .LBB2_2705
.LBB2_2704:                             ;   in Loop: Header=BB2_2129 Depth=4
	v_and_b32_e32 v45, 3, v30
	v_bfe_u32 v47, v8, 18, 5
	s_delay_alu instid0(VALU_DEP_2) | instskip(NEXT) | instid1(VALU_DEP_2)
	v_clz_i32_u32_e32 v18, v45
	v_cmp_eq_u32_e32 vcc_lo, 0, v47
	s_delay_alu instid0(VALU_DEP_2) | instskip(NEXT) | instid1(VALU_DEP_1)
	v_min_u32_e32 v46, 32, v18
	v_subrev_nc_u32_e32 v18, 29, v46
	v_sub_nc_u32_e32 v46, 30, v46
	s_delay_alu instid0(VALU_DEP_2) | instskip(SKIP_1) | instid1(VALU_DEP_3)
	v_lshlrev_b64_e32 v[18:19], v18, v[30:31]
	v_lshlrev_b32_e32 v19, 24, v30
	v_cndmask_b32_e32 v46, v47, v46, vcc_lo
	v_bfe_i32 v30, v30, 0, 8
	s_delay_alu instid0(VALU_DEP_3) | instskip(SKIP_1) | instid1(VALU_DEP_2)
	v_and_b32_e32 v19, 0x80000000, v19
	v_and_b32_e32 v18, 3, v18
	v_lshl_add_u32 v19, v46, 23, v19
	s_delay_alu instid0(VALU_DEP_2) | instskip(SKIP_1) | instid1(VALU_DEP_2)
	v_cndmask_b32_e32 v18, v45, v18, vcc_lo
	v_cmp_lt_i16_e32 vcc_lo, -1, v30
	v_lshl_or_b32 v18, v18, 21, v19
	v_cndmask_b32_e32 v30, 0xff800000, v111, vcc_lo
	v_and_b32_e32 v19, 0x7c0000, v8
	v_cmp_eq_u32_e32 vcc_lo, 0, v45
	s_delay_alu instid0(VALU_DEP_4) | instskip(NEXT) | instid1(VALU_DEP_4)
	v_add_nc_u32_e32 v18, 0x38000000, v18
	v_cndmask_b32_e32 v30, 0x7f800001, v30, vcc_lo
	s_delay_alu instid0(VALU_DEP_4) | instskip(NEXT) | instid1(VALU_DEP_2)
	v_cmp_eq_u32_e32 vcc_lo, 0x7c0000, v19
	v_cndmask_b32_e32 v45, v18, v30, vcc_lo
.LBB2_2705:                             ;   in Loop: Header=BB2_2129 Depth=4
	s_or_b32 exec_lo, exec_lo, s14
	s_delay_alu instid0(VALU_DEP_1) | instskip(SKIP_2) | instid1(VALU_DEP_2)
	v_dual_add_f32 v46, v44, v45 :: v_dual_mov_b32 v19, v3
	v_mov_b32_e32 v45, v3
                                        ; implicit-def: $vgpr72
	s_mov_b32 s14, exec_lo
	v_and_b32_e32 v18, 0x7f800000, v46
	v_and_b32_e32 v44, 0x7fffff, v46
	v_lshrrev_b32_e32 v30, 24, v46
	s_delay_alu instid0(VALU_DEP_3)
	v_cmpx_ne_u64_e32 0x7f800000, v[18:19]
	s_xor_b32 s75, exec_lo, s14
	s_cbranch_execz .LBB2_2719
; %bb.2706:                             ;   in Loop: Header=BB2_2129 Depth=4
	v_and_b32_e32 v18, 0x7fffffff, v46
	v_mov_b32_e32 v19, v3
	v_and_b32_e32 v30, 0x80, v30
                                        ; implicit-def: $vgpr72
	s_mov_b32 s14, exec_lo
	s_delay_alu instid0(VALU_DEP_2)
	v_cmpx_gt_u64_e32 0x47600001, v[18:19]
	s_xor_b32 s76, exec_lo, s14
	s_cbranch_execz .LBB2_2716
; %bb.2707:                             ;   in Loop: Header=BB2_2129 Depth=4
	v_mov_b32_e32 v72, 0
	s_mov_b32 s77, exec_lo
	v_cmpx_ne_u32_e32 0, v46
	s_cbranch_execz .LBB2_2715
; %bb.2708:                             ;   in Loop: Header=BB2_2129 Depth=4
	v_bfe_u32 v72, v46, 23, 8
	v_or_b32_e32 v46, 0x800000, v44
	s_delay_alu instid0(VALU_DEP_2) | instskip(SKIP_1) | instid1(VALU_DEP_2)
	v_sub_nc_u32_e32 v18, 0x71, v72
	v_cmp_gt_u32_e32 vcc_lo, 0x72, v72
	v_cndmask_b32_e32 v18, 0, v18, vcc_lo
	v_cmp_eq_u32_e32 vcc_lo, 0, v72
	s_delay_alu instid0(VALU_DEP_2) | instskip(NEXT) | instid1(VALU_DEP_1)
	v_cndmask_b32_e64 v75, v18, 0x70, vcc_lo
	v_dual_cndmask_b32 v44, v46, v44, vcc_lo :: v_dual_add_nc_u32 v18, 21, v75
	v_add_nc_u32_e32 v47, 20, v75
	s_delay_alu instid0(VALU_DEP_2) | instskip(NEXT) | instid1(VALU_DEP_2)
	v_lshlrev_b64_e64 v[18:19], v18, -1
	v_lshlrev_b64_e64 v[46:47], v47, 1
	s_delay_alu instid0(VALU_DEP_2) | instskip(SKIP_1) | instid1(VALU_DEP_4)
	v_bfi_b32 v18, v18, 0, v44
	v_lshrrev_b64 v[44:45], v75, v[44:45]
	v_bfi_b32 v19, v19, 0, 0
	s_delay_alu instid0(VALU_DEP_1) | instskip(NEXT) | instid1(VALU_DEP_3)
	v_cmp_eq_u64_e64 s14, v[18:19], v[46:47]
	v_mov_b64_e32 v[46:47], v[44:45]
	s_and_saveexec_b32 s78, s14
; %bb.2709:                             ;   in Loop: Header=BB2_2129 Depth=4
	v_bfe_u32 v18, v44, 21, 1
	v_mov_b32_e32 v19, v3
	s_delay_alu instid0(VALU_DEP_1) | instskip(NEXT) | instid1(VALU_DEP_1)
	v_add_nc_u64_e32 v[18:19], v[44:45], v[18:19]
	v_add_nc_u64_e32 v[46:47], -1, v[18:19]
; %bb.2710:                             ;   in Loop: Header=BB2_2129 Depth=4
	s_or_b32 exec_lo, exec_lo, s78
	v_dual_mov_b32 v45, v3 :: v_dual_add_nc_u32 v18, 0xffffff81, v72
	v_lshrrev_b32_e32 v19, 23, v44
	s_mov_b32 s14, exec_lo
	s_delay_alu instid0(VALU_DEP_2) | instskip(NEXT) | instid1(VALU_DEP_1)
	v_cndmask_b32_e64 v18, v18, 0xffffff82, vcc_lo
	v_add3_u32 v47, v75, v18, v19
	v_and_b32_e32 v18, 0x1fffff, v46
                                        ; implicit-def: $vgpr46
	s_delay_alu instid0(VALU_DEP_1) | instskip(NEXT) | instid1(VALU_DEP_1)
	v_dual_add_nc_u32 v72, 14, v47 :: v_dual_add_nc_u32 v44, v18, v44
	v_cmpx_ne_u32_e32 0, v72
	s_xor_b32 s14, exec_lo, s14
; %bb.2711:                             ;   in Loop: Header=BB2_2129 Depth=4
	s_delay_alu instid0(VALU_DEP_2) | instskip(SKIP_1) | instid1(VALU_DEP_1)
	v_cmp_lt_u64_e32 vcc_lo, 0xffffff, v[44:45]
	v_add_nc_u32_e32 v18, 15, v47
	v_cndmask_b32_e32 v46, v72, v18, vcc_lo
	v_cndmask_b32_e64 v18, 0, 1, vcc_lo
	s_delay_alu instid0(VALU_DEP_1)
	v_lshrrev_b64 v[44:45], v18, v[44:45]
; %bb.2712:                             ;   in Loop: Header=BB2_2129 Depth=4
	s_and_not1_saveexec_b32 s14, s14
; %bb.2713:                             ;   in Loop: Header=BB2_2129 Depth=4
	s_delay_alu instid0(VALU_DEP_1)
	v_bfe_u32 v46, v44, 23, 1
; %bb.2714:                             ;   in Loop: Header=BB2_2129 Depth=4
	s_or_b32 exec_lo, exec_lo, s14
	s_delay_alu instid0(VALU_DEP_2) | instskip(NEXT) | instid1(VALU_DEP_2)
	v_lshrrev_b64 v[18:19], 21, v[44:45]
	v_cmp_gt_i32_e32 vcc_lo, 32, v46
	v_min_i32_e32 v44, 31, v46
	v_cmp_eq_u32_e64 s14, 0, v46
	s_delay_alu instid0(VALU_DEP_2) | instskip(SKIP_1) | instid1(VALU_DEP_2)
	v_dual_cndmask_b32 v19, 0, v19 :: v_dual_lshlrev_b32 v44, 2, v44
	v_cndmask_b32_e32 v18, 3, v18, vcc_lo
	v_and_b32_e32 v44, 0xfc, v44
	s_delay_alu instid0(VALU_DEP_2) | instskip(NEXT) | instid1(VALU_DEP_2)
	v_cmp_eq_u64_e32 vcc_lo, 0, v[18:19]
	v_and_or_b32 v18, v18, 3, v44
	s_and_b32 s14, s14, vcc_lo
	s_delay_alu instid0(VALU_DEP_1) | instid1(SALU_CYCLE_1)
	v_cndmask_b32_e64 v18, v18, 0, s14
	s_delay_alu instid0(VALU_DEP_1)
	v_or_b32_e32 v72, v18, v30
.LBB2_2715:                             ;   in Loop: Header=BB2_2129 Depth=4
	s_or_b32 exec_lo, exec_lo, s77
                                        ; implicit-def: $vgpr30
.LBB2_2716:                             ;   in Loop: Header=BB2_2129 Depth=4
	s_and_not1_saveexec_b32 s14, s76
; %bb.2717:                             ;   in Loop: Header=BB2_2129 Depth=4
	v_or_b32_e32 v72, 0x7b, v30
; %bb.2718:                             ;   in Loop: Header=BB2_2129 Depth=4
	s_or_b32 exec_lo, exec_lo, s14
                                        ; implicit-def: $vgpr46
                                        ; implicit-def: $vgpr44_vgpr45
                                        ; implicit-def: $vgpr30
.LBB2_2719:                             ;   in Loop: Header=BB2_2129 Depth=4
	s_and_not1_saveexec_b32 s14, s75
	s_cbranch_execz .LBB2_2725
; %bb.2720:                             ;   in Loop: Header=BB2_2129 Depth=4
	s_mov_b32 s75, exec_lo
                                        ; implicit-def: $vgpr72
	v_cmpx_ne_u64_e32 0, v[44:45]
	s_xor_b32 s75, exec_lo, s75
; %bb.2721:                             ;   in Loop: Header=BB2_2129 Depth=4
	v_or_b32_e32 v72, 0x7f, v30
                                        ; implicit-def: $vgpr46
; %bb.2722:                             ;   in Loop: Header=BB2_2129 Depth=4
	s_and_not1_saveexec_b32 s75, s75
; %bb.2723:                             ;   in Loop: Header=BB2_2129 Depth=4
	v_cmp_lt_i32_e32 vcc_lo, -1, v46
	v_cndmask_b32_e32 v72, 0xfc, v120, vcc_lo
; %bb.2724:                             ;   in Loop: Header=BB2_2129 Depth=4
	s_or_b32 exec_lo, exec_lo, s75
.LBB2_2725:                             ;   in Loop: Header=BB2_2129 Depth=4
	s_delay_alu instid0(SALU_CYCLE_1)
	s_or_b32 exec_lo, exec_lo, s14
	v_mov_b32_e32 v44, 0
	s_mov_b32 s14, exec_lo
	v_cmpx_lt_u32_e32 0xffffff, v2
	s_cbranch_execz .LBB2_2735
; %bb.2726:                             ;   in Loop: Header=BB2_2129 Depth=4
	v_lshrrev_b32_e32 v30, 24, v2
	v_bfrev_b32_e32 v44, 1
	s_mov_b32 s75, exec_lo
	s_delay_alu instid0(VALU_DEP_2)
	v_cmpx_ne_u32_e32 0x80, v30
	s_cbranch_execz .LBB2_2734
; %bb.2727:                             ;   in Loop: Header=BB2_2129 Depth=4
	v_and_b32_e32 v18, 0x7c000000, v2
	v_bfe_u32 v45, v2, 24, 2
	s_mov_b32 s76, exec_lo
                                        ; implicit-def: $vgpr44
	s_delay_alu instid0(VALU_DEP_2)
	v_cmpx_ne_u32_e32 0x7c000000, v18
	s_xor_b32 s76, exec_lo, s76
	s_cbranch_execz .LBB2_2731
; %bb.2728:                             ;   in Loop: Header=BB2_2129 Depth=4
	v_bfe_u32 v44, v2, 26, 5
	s_mov_b32 s77, exec_lo
	s_delay_alu instid0(VALU_DEP_1)
	v_cmpx_eq_u32_e32 0, v44
; %bb.2729:                             ;   in Loop: Header=BB2_2129 Depth=4
	v_clz_i32_u32_e32 v18, v45
	s_delay_alu instid0(VALU_DEP_1) | instskip(NEXT) | instid1(VALU_DEP_1)
	v_min_u32_e32 v44, 32, v18
	v_subrev_nc_u32_e32 v18, 29, v44
	s_delay_alu instid0(VALU_DEP_1) | instskip(NEXT) | instid1(VALU_DEP_1)
	v_lshlrev_b64_e32 v[18:19], v18, v[30:31]
	v_dual_sub_nc_u32 v44, 30, v44 :: v_dual_bitop2_b32 v45, 3, v18 bitop3:0x40
; %bb.2730:                             ;   in Loop: Header=BB2_2129 Depth=4
	s_or_b32 exec_lo, exec_lo, s77
	v_and_b32_e32 v2, 0x80000000, v2
	s_delay_alu instid0(VALU_DEP_1) | instskip(NEXT) | instid1(VALU_DEP_1)
	v_lshl_add_u32 v2, v44, 23, v2
	v_lshl_or_b32 v2, v45, 21, v2
                                        ; implicit-def: $vgpr45
	s_delay_alu instid0(VALU_DEP_1)
	v_add_nc_u32_e32 v44, 0x38000000, v2
.LBB2_2731:                             ;   in Loop: Header=BB2_2129 Depth=4
	s_and_not1_saveexec_b32 s76, s76
; %bb.2732:                             ;   in Loop: Header=BB2_2129 Depth=4
	v_cmp_lt_i32_e32 vcc_lo, -1, v2
	v_cndmask_b32_e32 v2, 0xff800000, v111, vcc_lo
	v_cmp_eq_u32_e32 vcc_lo, 0, v45
	s_delay_alu instid0(VALU_DEP_2)
	v_cndmask_b32_e32 v44, 0x7f800001, v2, vcc_lo
; %bb.2733:                             ;   in Loop: Header=BB2_2129 Depth=4
	s_or_b32 exec_lo, exec_lo, s76
.LBB2_2734:                             ;   in Loop: Header=BB2_2129 Depth=4
	s_delay_alu instid0(SALU_CYCLE_1)
	s_or_b32 exec_lo, exec_lo, s75
.LBB2_2735:                             ;   in Loop: Header=BB2_2129 Depth=4
	s_delay_alu instid0(SALU_CYCLE_1) | instskip(SKIP_3) | instid1(VALU_DEP_2)
	s_or_b32 exec_lo, exec_lo, s14
	v_bfe_u32 v30, v8, 24, 2
	v_bfe_u32 v46, v8, 26, 5
                                        ; implicit-def: $vgpr75
	s_mov_b32 s14, exec_lo
	v_clz_i32_u32_e32 v2, v30
	s_delay_alu instid0(VALU_DEP_2) | instskip(NEXT) | instid1(VALU_DEP_2)
	v_cmp_eq_u32_e32 vcc_lo, 0, v46
	v_min_u32_e32 v45, 32, v2
	v_lshrrev_b32_e32 v2, 24, v8
	s_delay_alu instid0(VALU_DEP_2) | instskip(NEXT) | instid1(VALU_DEP_1)
	v_subrev_nc_u32_e32 v18, 29, v45
	v_lshlrev_b64_e32 v[18:19], v18, v[2:3]
	v_sub_nc_u32_e32 v19, 30, v45
	v_and_b32_e32 v45, 0x80000000, v8
	s_delay_alu instid0(VALU_DEP_2) | instskip(NEXT) | instid1(VALU_DEP_1)
	v_dual_cndmask_b32 v19, v46, v19, vcc_lo :: v_dual_bitop2_b32 v18, 3, v18 bitop3:0x40
	v_lshl_add_u32 v19, v19, 23, v45
	s_delay_alu instid0(VALU_DEP_2) | instskip(SKIP_1) | instid1(VALU_DEP_2)
	v_cndmask_b32_e32 v18, v30, v18, vcc_lo
	v_cmp_lt_i32_e32 vcc_lo, -1, v8
	v_lshl_or_b32 v18, v18, 21, v19
	v_cndmask_b32_e32 v45, 0xff800000, v111, vcc_lo
	v_and_b32_e32 v19, 0x7c000000, v8
	v_cmp_eq_u32_e32 vcc_lo, 0, v30
	s_delay_alu instid0(VALU_DEP_4) | instskip(NEXT) | instid1(VALU_DEP_4)
	v_add_nc_u32_e32 v18, 0x38000000, v18
	v_cndmask_b32_e32 v30, 0x7f800001, v45, vcc_lo
	s_delay_alu instid0(VALU_DEP_4) | instskip(NEXT) | instid1(VALU_DEP_2)
	v_cmp_eq_u32_e32 vcc_lo, 0x7c000000, v19
	v_dual_mov_b32 v19, v3 :: v_dual_cndmask_b32 v18, v18, v30
	v_cmp_ne_u32_e32 vcc_lo, 0x80, v2
	s_delay_alu instid0(VALU_DEP_2) | instskip(SKIP_1) | instid1(VALU_DEP_2)
	v_cndmask_b32_e32 v2, 0x80000000, v18, vcc_lo
	v_cmp_lt_u32_e32 vcc_lo, 0xffffff, v8
	v_cndmask_b32_e32 v2, 0, v2, vcc_lo
	s_delay_alu instid0(VALU_DEP_1) | instskip(NEXT) | instid1(VALU_DEP_1)
	v_add_f32_e32 v44, v2, v44
	v_and_b32_e32 v18, 0x7f800000, v44
	v_and_b32_e32 v2, 0x7fffff, v44
	v_lshrrev_b32_e32 v30, 24, v44
	s_delay_alu instid0(VALU_DEP_3)
	v_cmpx_ne_u64_e32 0x7f800000, v[18:19]
	s_xor_b32 s75, exec_lo, s14
	s_cbranch_execz .LBB2_2749
; %bb.2736:                             ;   in Loop: Header=BB2_2129 Depth=4
	v_and_b32_e32 v18, 0x7fffffff, v44
	v_mov_b32_e32 v19, v3
	v_and_b32_e32 v30, 0x80, v30
                                        ; implicit-def: $vgpr75
	s_mov_b32 s14, exec_lo
	s_delay_alu instid0(VALU_DEP_2)
	v_cmpx_gt_u64_e32 0x47600001, v[18:19]
	s_xor_b32 s76, exec_lo, s14
	s_cbranch_execz .LBB2_2746
; %bb.2737:                             ;   in Loop: Header=BB2_2129 Depth=4
	v_mov_b32_e32 v75, 0
	s_mov_b32 s77, exec_lo
	v_cmpx_ne_u32_e32 0, v44
	s_cbranch_execz .LBB2_2745
; %bb.2738:                             ;   in Loop: Header=BB2_2129 Depth=4
	v_bfe_u32 v75, v44, 23, 8
	v_or_b32_e32 v44, 0x800000, v2
	s_delay_alu instid0(VALU_DEP_2) | instskip(SKIP_1) | instid1(VALU_DEP_2)
	v_sub_nc_u32_e32 v18, 0x71, v75
	v_cmp_gt_u32_e32 vcc_lo, 0x72, v75
	v_cndmask_b32_e32 v18, 0, v18, vcc_lo
	v_cmp_eq_u32_e32 vcc_lo, 0, v75
	s_delay_alu instid0(VALU_DEP_2) | instskip(NEXT) | instid1(VALU_DEP_1)
	v_cndmask_b32_e64 v89, v18, 0x70, vcc_lo
	v_dual_cndmask_b32 v2, v44, v2, vcc_lo :: v_dual_add_nc_u32 v18, 21, v89
	v_add_nc_u32_e32 v45, 20, v89
	s_delay_alu instid0(VALU_DEP_2) | instskip(NEXT) | instid1(VALU_DEP_2)
	v_lshlrev_b64_e64 v[18:19], v18, -1
	v_lshlrev_b64_e64 v[46:47], v45, 1
	s_delay_alu instid0(VALU_DEP_4) | instskip(NEXT) | instid1(VALU_DEP_3)
	v_lshrrev_b64 v[44:45], v89, v[2:3]
	v_bfi_b32 v19, v19, 0, 0
	s_delay_alu instid0(VALU_DEP_4) | instskip(NEXT) | instid1(VALU_DEP_1)
	v_bfi_b32 v18, v18, 0, v2
	v_cmp_eq_u64_e64 s14, v[18:19], v[46:47]
	s_delay_alu instid0(VALU_DEP_4)
	v_mov_b64_e32 v[46:47], v[44:45]
	s_and_saveexec_b32 s78, s14
; %bb.2739:                             ;   in Loop: Header=BB2_2129 Depth=4
	v_bfe_u32 v2, v44, 21, 1
	s_delay_alu instid0(VALU_DEP_1) | instskip(NEXT) | instid1(VALU_DEP_1)
	v_add_nc_u64_e32 v[18:19], v[44:45], v[2:3]
	v_add_nc_u64_e32 v[46:47], -1, v[18:19]
; %bb.2740:                             ;   in Loop: Header=BB2_2129 Depth=4
	s_or_b32 exec_lo, exec_lo, s78
	v_add_nc_u32_e32 v2, 0xffffff81, v75
	v_lshrrev_b32_e32 v18, 23, v44
	s_mov_b32 s14, exec_lo
	s_delay_alu instid0(VALU_DEP_2) | instskip(NEXT) | instid1(VALU_DEP_1)
	v_cndmask_b32_e64 v2, v2, 0xffffff82, vcc_lo
	v_add3_u32 v47, v89, v2, v18
	v_and_b32_e32 v2, 0x1fffff, v46
                                        ; implicit-def: $vgpr46
	s_delay_alu instid0(VALU_DEP_1) | instskip(NEXT) | instid1(VALU_DEP_1)
	v_dual_add_nc_u32 v75, 14, v47 :: v_dual_add_nc_u32 v2, v2, v44
                                        ; implicit-def: $vgpr44_vgpr45
	v_cmpx_ne_u32_e32 0, v75
	s_xor_b32 s14, exec_lo, s14
; %bb.2741:                             ;   in Loop: Header=BB2_2129 Depth=4
	s_delay_alu instid0(VALU_DEP_2) | instskip(SKIP_1) | instid1(VALU_DEP_1)
	v_cmp_lt_u64_e32 vcc_lo, 0xffffff, v[2:3]
	v_add_nc_u32_e32 v18, 15, v47
	v_cndmask_b32_e32 v46, v75, v18, vcc_lo
	v_cndmask_b32_e64 v18, 0, 1, vcc_lo
	s_delay_alu instid0(VALU_DEP_1)
	v_lshrrev_b64 v[44:45], v18, v[2:3]
; %bb.2742:                             ;   in Loop: Header=BB2_2129 Depth=4
	s_and_not1_saveexec_b32 s14, s14
; %bb.2743:                             ;   in Loop: Header=BB2_2129 Depth=4
	v_mov_b64_e32 v[44:45], v[2:3]
	v_bfe_u32 v46, v2, 23, 1
; %bb.2744:                             ;   in Loop: Header=BB2_2129 Depth=4
	s_or_b32 exec_lo, exec_lo, s14
	s_delay_alu instid0(VALU_DEP_2) | instskip(NEXT) | instid1(VALU_DEP_2)
	v_lshrrev_b64 v[18:19], 21, v[44:45]
	v_cmp_gt_i32_e32 vcc_lo, 32, v46
	v_min_i32_e32 v2, 31, v46
	v_cmp_eq_u32_e64 s14, 0, v46
	s_delay_alu instid0(VALU_DEP_2) | instskip(SKIP_1) | instid1(VALU_DEP_2)
	v_dual_cndmask_b32 v19, 0, v19 :: v_dual_lshlrev_b32 v2, 2, v2
	v_cndmask_b32_e32 v18, 3, v18, vcc_lo
	v_and_b32_e32 v2, 0xfc, v2
	s_delay_alu instid0(VALU_DEP_2) | instskip(NEXT) | instid1(VALU_DEP_2)
	v_cmp_eq_u64_e32 vcc_lo, 0, v[18:19]
	v_and_or_b32 v2, v18, 3, v2
	s_and_b32 s14, s14, vcc_lo
	s_delay_alu instid0(VALU_DEP_1) | instid1(SALU_CYCLE_1)
	v_cndmask_b32_e64 v2, v2, 0, s14
	s_delay_alu instid0(VALU_DEP_1)
	v_or_b32_e32 v75, v2, v30
.LBB2_2745:                             ;   in Loop: Header=BB2_2129 Depth=4
	s_or_b32 exec_lo, exec_lo, s77
                                        ; implicit-def: $vgpr30
.LBB2_2746:                             ;   in Loop: Header=BB2_2129 Depth=4
	s_and_not1_saveexec_b32 s14, s76
; %bb.2747:                             ;   in Loop: Header=BB2_2129 Depth=4
	v_or_b32_e32 v75, 0x7b, v30
; %bb.2748:                             ;   in Loop: Header=BB2_2129 Depth=4
	s_or_b32 exec_lo, exec_lo, s14
                                        ; implicit-def: $vgpr44
                                        ; implicit-def: $vgpr30
.LBB2_2749:                             ;   in Loop: Header=BB2_2129 Depth=4
	s_and_not1_saveexec_b32 s14, s75
	s_cbranch_execz .LBB2_2755
; %bb.2750:                             ;   in Loop: Header=BB2_2129 Depth=4
	s_mov_b32 s75, exec_lo
                                        ; implicit-def: $vgpr75
	v_cmpx_ne_u64_e32 0, v[2:3]
	s_xor_b32 s75, exec_lo, s75
; %bb.2751:                             ;   in Loop: Header=BB2_2129 Depth=4
	v_or_b32_e32 v75, 0x7f, v30
                                        ; implicit-def: $vgpr44
; %bb.2752:                             ;   in Loop: Header=BB2_2129 Depth=4
	s_and_not1_saveexec_b32 s75, s75
; %bb.2753:                             ;   in Loop: Header=BB2_2129 Depth=4
	v_cmp_lt_i32_e32 vcc_lo, -1, v44
	v_cndmask_b32_e32 v75, 0xfc, v120, vcc_lo
; %bb.2754:                             ;   in Loop: Header=BB2_2129 Depth=4
	s_or_b32 exec_lo, exec_lo, s75
.LBB2_2755:                             ;   in Loop: Header=BB2_2129 Depth=4
	s_delay_alu instid0(SALU_CYCLE_1) | instskip(SKIP_4) | instid1(VALU_DEP_2)
	s_or_b32 exec_lo, exec_lo, s14
	v_lshl_or_b32 v30, v57, 8, v56
	v_dual_lshlrev_b32 v2, 16, v79 :: v_dual_lshlrev_b32 v18, 24, v88
	v_mov_b32_e32 v46, 0
	s_mov_b32 s14, exec_lo
	v_or3_b32 v2, v2, v18, v30
	v_cmpx_ne_u32_e32 0, v56
	s_cbranch_execz .LBB2_2765
; %bb.2756:                             ;   in Loop: Header=BB2_2129 Depth=4
	v_bfrev_b32_e32 v46, 1
	s_mov_b32 s75, exec_lo
	v_cmpx_ne_u32_e32 0x80, v56
	s_cbranch_execz .LBB2_2764
; %bb.2757:                             ;   in Loop: Header=BB2_2129 Depth=4
	v_and_b32_e32 v18, 0x7c, v56
	v_and_b32_e32 v44, 3, v56
	s_mov_b32 s76, exec_lo
                                        ; implicit-def: $vgpr46
	s_delay_alu instid0(VALU_DEP_2)
	v_cmpx_ne_u32_e32 0x7c, v18
	s_xor_b32 s76, exec_lo, s76
	s_cbranch_execz .LBB2_2761
; %bb.2758:                             ;   in Loop: Header=BB2_2129 Depth=4
	v_bfe_u32 v45, v56, 2, 5
	s_mov_b32 s77, exec_lo
	s_delay_alu instid0(VALU_DEP_1)
	v_cmpx_eq_u32_e32 0, v45
; %bb.2759:                             ;   in Loop: Header=BB2_2129 Depth=4
	v_clz_i32_u32_e32 v18, v44
	s_delay_alu instid0(VALU_DEP_1) | instskip(NEXT) | instid1(VALU_DEP_1)
	v_min_u32_e32 v44, 32, v18
	v_subrev_nc_u32_e32 v18, 29, v44
	s_delay_alu instid0(VALU_DEP_1) | instskip(NEXT) | instid1(VALU_DEP_1)
	v_lshlrev_b64_e32 v[18:19], v18, v[2:3]
	v_dual_sub_nc_u32 v45, 30, v44 :: v_dual_bitop2_b32 v44, 3, v18 bitop3:0x40
; %bb.2760:                             ;   in Loop: Header=BB2_2129 Depth=4
	s_or_b32 exec_lo, exec_lo, s77
	v_lshlrev_b32_e32 v18, 24, v56
                                        ; implicit-def: $vgpr56
	s_delay_alu instid0(VALU_DEP_1) | instskip(NEXT) | instid1(VALU_DEP_1)
	v_and_b32_e32 v18, 0x80000000, v18
	v_lshl_add_u32 v18, v45, 23, v18
	s_delay_alu instid0(VALU_DEP_1) | instskip(NEXT) | instid1(VALU_DEP_1)
	v_lshl_or_b32 v18, v44, 21, v18
                                        ; implicit-def: $vgpr44
	v_add_nc_u32_e32 v46, 0x38000000, v18
.LBB2_2761:                             ;   in Loop: Header=BB2_2129 Depth=4
	s_and_not1_saveexec_b32 s76, s76
; %bb.2762:                             ;   in Loop: Header=BB2_2129 Depth=4
	v_and_b32_e32 v18, 0x80, v56
	s_delay_alu instid0(VALU_DEP_1) | instskip(SKIP_2) | instid1(VALU_DEP_2)
	v_cmp_eq_u32_e32 vcc_lo, 0, v18
	v_cndmask_b32_e32 v18, 0xff800000, v111, vcc_lo
	v_cmp_eq_u32_e32 vcc_lo, 0, v44
	v_cndmask_b32_e32 v46, 0x7f800001, v18, vcc_lo
; %bb.2763:                             ;   in Loop: Header=BB2_2129 Depth=4
	s_or_b32 exec_lo, exec_lo, s76
.LBB2_2764:                             ;   in Loop: Header=BB2_2129 Depth=4
	s_delay_alu instid0(SALU_CYCLE_1)
	s_or_b32 exec_lo, exec_lo, s75
.LBB2_2765:                             ;   in Loop: Header=BB2_2129 Depth=4
	s_delay_alu instid0(SALU_CYCLE_1) | instskip(SKIP_4) | instid1(VALU_DEP_2)
	s_or_b32 exec_lo, exec_lo, s14
	v_and_b32_e32 v45, 0xff, v9
	v_mov_b32_e32 v44, v9
	s_mov_b32 s75, 0
	s_mov_b32 s14, exec_lo
	v_cmpx_lt_i16_e32 0x7f, v45
	s_xor_b32 s14, exec_lo, s14
	s_cbranch_execz .LBB2_3174
; %bb.2766:                             ;   in Loop: Header=BB2_2129 Depth=4
	s_mov_b32 s75, -1
	s_mov_b32 s76, exec_lo
	v_cmpx_eq_u16_e32 0x80, v45
; %bb.2767:                             ;   in Loop: Header=BB2_2129 Depth=4
	s_xor_b32 s75, exec_lo, -1
; %bb.2768:                             ;   in Loop: Header=BB2_2129 Depth=4
	s_or_b32 exec_lo, exec_lo, s76
	s_delay_alu instid0(SALU_CYCLE_1)
	s_and_b32 s75, s75, exec_lo
                                        ; implicit-def: $vgpr45
	s_or_saveexec_b32 s14, s14
	v_bfrev_b32_e32 v47, 1
	s_xor_b32 exec_lo, exec_lo, s14
	s_cbranch_execnz .LBB2_3175
.LBB2_2769:                             ;   in Loop: Header=BB2_2129 Depth=4
	s_or_b32 exec_lo, exec_lo, s14
	v_mov_b32_e32 v45, v3
	s_and_saveexec_b32 s14, s75
	s_cbranch_execz .LBB2_2771
.LBB2_2770:                             ;   in Loop: Header=BB2_2129 Depth=4
	v_and_b32_e32 v47, 3, v9
	s_delay_alu instid0(VALU_DEP_1) | instskip(NEXT) | instid1(VALU_DEP_1)
	v_clz_i32_u32_e32 v18, v47
	v_min_u32_e32 v56, 32, v18
	s_delay_alu instid0(VALU_DEP_1) | instskip(NEXT) | instid1(VALU_DEP_1)
	v_subrev_nc_u32_e32 v18, 29, v56
	v_lshlrev_b64_e32 v[18:19], v18, v[44:45]
	v_bfe_u32 v45, v9, 2, 5
	v_dual_lshlrev_b32 v19, 24, v9 :: v_dual_sub_nc_u32 v56, 30, v56
	s_delay_alu instid0(VALU_DEP_2) | instskip(NEXT) | instid1(VALU_DEP_2)
	v_cmp_eq_u32_e32 vcc_lo, 0, v45
	v_and_b32_e32 v19, 0x80000000, v19
	s_delay_alu instid0(VALU_DEP_3) | instskip(SKIP_1) | instid1(VALU_DEP_2)
	v_dual_cndmask_b32 v45, v45, v56, vcc_lo :: v_dual_bitop2_b32 v18, 3, v18 bitop3:0x40
	v_bfe_i32 v56, v9, 0, 8
	v_cndmask_b32_e32 v18, v47, v18, vcc_lo
	s_delay_alu instid0(VALU_DEP_3) | instskip(NEXT) | instid1(VALU_DEP_3)
	v_lshl_add_u32 v19, v45, 23, v19
	v_cmp_lt_i16_e32 vcc_lo, -1, v56
	s_delay_alu instid0(VALU_DEP_2) | instskip(SKIP_3) | instid1(VALU_DEP_4)
	v_lshl_or_b32 v18, v18, 21, v19
	v_cndmask_b32_e32 v45, 0xff800000, v111, vcc_lo
	v_and_b32_e32 v19, 0x7c, v9
	v_cmp_eq_u32_e32 vcc_lo, 0, v47
	v_add_nc_u32_e32 v18, 0x38000000, v18
	s_delay_alu instid0(VALU_DEP_4) | instskip(NEXT) | instid1(VALU_DEP_4)
	v_cndmask_b32_e32 v45, 0x7f800001, v45, vcc_lo
	v_cmp_eq_u32_e32 vcc_lo, 0x7c, v19
	s_delay_alu instid0(VALU_DEP_2)
	v_cndmask_b32_e32 v47, v18, v45, vcc_lo
.LBB2_2771:                             ;   in Loop: Header=BB2_2129 Depth=4
	s_or_b32 exec_lo, exec_lo, s14
	s_delay_alu instid0(VALU_DEP_1) | instskip(SKIP_2) | instid1(VALU_DEP_2)
	v_dual_add_f32 v57, v46, v47 :: v_dual_mov_b32 v19, v3
	v_mov_b32_e32 v47, v3
                                        ; implicit-def: $vgpr56
	s_mov_b32 s14, exec_lo
	v_and_b32_e32 v18, 0x7f800000, v57
	v_and_b32_e32 v46, 0x7fffff, v57
	v_lshrrev_b32_e32 v45, 24, v57
	s_delay_alu instid0(VALU_DEP_3)
	v_cmpx_ne_u64_e32 0x7f800000, v[18:19]
	s_xor_b32 s75, exec_lo, s14
	s_cbranch_execz .LBB2_2785
; %bb.2772:                             ;   in Loop: Header=BB2_2129 Depth=4
	v_and_b32_e32 v18, 0x7fffffff, v57
	v_mov_b32_e32 v19, v3
	v_and_b32_e32 v45, 0x80, v45
                                        ; implicit-def: $vgpr56
	s_mov_b32 s14, exec_lo
	s_delay_alu instid0(VALU_DEP_2)
	v_cmpx_gt_u64_e32 0x47600001, v[18:19]
	s_xor_b32 s76, exec_lo, s14
	s_cbranch_execz .LBB2_2782
; %bb.2773:                             ;   in Loop: Header=BB2_2129 Depth=4
	v_mov_b32_e32 v56, 0
	s_mov_b32 s77, exec_lo
	v_cmpx_ne_u32_e32 0, v57
	s_cbranch_execz .LBB2_2781
; %bb.2774:                             ;   in Loop: Header=BB2_2129 Depth=4
	v_bfe_u32 v79, v57, 23, 8
	v_or_b32_e32 v56, 0x800000, v46
	s_delay_alu instid0(VALU_DEP_2) | instskip(SKIP_1) | instid1(VALU_DEP_2)
	v_sub_nc_u32_e32 v18, 0x71, v79
	v_cmp_gt_u32_e32 vcc_lo, 0x72, v79
	v_cndmask_b32_e32 v18, 0, v18, vcc_lo
	v_cmp_eq_u32_e32 vcc_lo, 0, v79
	s_delay_alu instid0(VALU_DEP_2) | instskip(NEXT) | instid1(VALU_DEP_1)
	v_cndmask_b32_e64 v88, v18, 0x70, vcc_lo
	v_dual_cndmask_b32 v46, v56, v46, vcc_lo :: v_dual_add_nc_u32 v18, 21, v88
	v_add_nc_u32_e32 v57, 20, v88
	s_delay_alu instid0(VALU_DEP_2) | instskip(NEXT) | instid1(VALU_DEP_2)
	v_lshlrev_b64_e64 v[18:19], v18, -1
	v_lshlrev_b64_e64 v[56:57], v57, 1
	s_delay_alu instid0(VALU_DEP_2) | instskip(SKIP_1) | instid1(VALU_DEP_4)
	v_bfi_b32 v18, v18, 0, v46
	v_lshrrev_b64 v[46:47], v88, v[46:47]
	v_bfi_b32 v19, v19, 0, 0
	s_delay_alu instid0(VALU_DEP_1) | instskip(NEXT) | instid1(VALU_DEP_3)
	v_cmp_eq_u64_e64 s14, v[18:19], v[56:57]
	v_mov_b64_e32 v[56:57], v[46:47]
	s_and_saveexec_b32 s78, s14
; %bb.2775:                             ;   in Loop: Header=BB2_2129 Depth=4
	v_bfe_u32 v18, v46, 21, 1
	v_mov_b32_e32 v19, v3
	s_delay_alu instid0(VALU_DEP_1) | instskip(NEXT) | instid1(VALU_DEP_1)
	v_add_nc_u64_e32 v[18:19], v[46:47], v[18:19]
	v_add_nc_u64_e32 v[56:57], -1, v[18:19]
; %bb.2776:                             ;   in Loop: Header=BB2_2129 Depth=4
	s_or_b32 exec_lo, exec_lo, s78
	v_dual_mov_b32 v47, v3 :: v_dual_add_nc_u32 v18, 0xffffff81, v79
	v_lshrrev_b32_e32 v19, 23, v46
	s_mov_b32 s14, exec_lo
	s_delay_alu instid0(VALU_DEP_2) | instskip(NEXT) | instid1(VALU_DEP_1)
	v_cndmask_b32_e64 v18, v18, 0xffffff82, vcc_lo
	v_add3_u32 v57, v88, v18, v19
	v_and_b32_e32 v18, 0x1fffff, v56
                                        ; implicit-def: $vgpr56
	s_delay_alu instid0(VALU_DEP_1) | instskip(NEXT) | instid1(VALU_DEP_1)
	v_dual_add_nc_u32 v79, 14, v57 :: v_dual_add_nc_u32 v46, v18, v46
	v_cmpx_ne_u32_e32 0, v79
	s_xor_b32 s14, exec_lo, s14
; %bb.2777:                             ;   in Loop: Header=BB2_2129 Depth=4
	s_delay_alu instid0(VALU_DEP_2) | instskip(SKIP_1) | instid1(VALU_DEP_1)
	v_cmp_lt_u64_e32 vcc_lo, 0xffffff, v[46:47]
	v_add_nc_u32_e32 v18, 15, v57
	v_cndmask_b32_e32 v56, v79, v18, vcc_lo
	v_cndmask_b32_e64 v18, 0, 1, vcc_lo
	s_delay_alu instid0(VALU_DEP_1)
	v_lshrrev_b64 v[46:47], v18, v[46:47]
; %bb.2778:                             ;   in Loop: Header=BB2_2129 Depth=4
	s_and_not1_saveexec_b32 s14, s14
; %bb.2779:                             ;   in Loop: Header=BB2_2129 Depth=4
	s_delay_alu instid0(VALU_DEP_1)
	v_bfe_u32 v56, v46, 23, 1
; %bb.2780:                             ;   in Loop: Header=BB2_2129 Depth=4
	s_or_b32 exec_lo, exec_lo, s14
	s_delay_alu instid0(VALU_DEP_2) | instskip(NEXT) | instid1(VALU_DEP_2)
	v_lshrrev_b64 v[18:19], 21, v[46:47]
	v_cmp_gt_i32_e32 vcc_lo, 32, v56
	v_min_i32_e32 v46, 31, v56
	v_cmp_eq_u32_e64 s14, 0, v56
	s_delay_alu instid0(VALU_DEP_2) | instskip(SKIP_1) | instid1(VALU_DEP_2)
	v_dual_cndmask_b32 v19, 0, v19 :: v_dual_lshlrev_b32 v46, 2, v46
	v_cndmask_b32_e32 v18, 3, v18, vcc_lo
	v_and_b32_e32 v46, 0xfc, v46
	s_delay_alu instid0(VALU_DEP_2) | instskip(NEXT) | instid1(VALU_DEP_2)
	v_cmp_eq_u64_e32 vcc_lo, 0, v[18:19]
	v_and_or_b32 v18, v18, 3, v46
	s_and_b32 s14, s14, vcc_lo
	s_delay_alu instid0(VALU_DEP_1) | instid1(SALU_CYCLE_1)
	v_cndmask_b32_e64 v18, v18, 0, s14
	s_delay_alu instid0(VALU_DEP_1)
	v_or_b32_e32 v56, v18, v45
.LBB2_2781:                             ;   in Loop: Header=BB2_2129 Depth=4
	s_or_b32 exec_lo, exec_lo, s77
                                        ; implicit-def: $vgpr45
.LBB2_2782:                             ;   in Loop: Header=BB2_2129 Depth=4
	s_and_not1_saveexec_b32 s14, s76
; %bb.2783:                             ;   in Loop: Header=BB2_2129 Depth=4
	v_or_b32_e32 v56, 0x7b, v45
; %bb.2784:                             ;   in Loop: Header=BB2_2129 Depth=4
	s_or_b32 exec_lo, exec_lo, s14
                                        ; implicit-def: $vgpr57
                                        ; implicit-def: $vgpr46_vgpr47
                                        ; implicit-def: $vgpr45
.LBB2_2785:                             ;   in Loop: Header=BB2_2129 Depth=4
	s_and_not1_saveexec_b32 s14, s75
	s_cbranch_execz .LBB2_2791
; %bb.2786:                             ;   in Loop: Header=BB2_2129 Depth=4
	s_mov_b32 s75, exec_lo
                                        ; implicit-def: $vgpr56
	v_cmpx_ne_u64_e32 0, v[46:47]
	s_xor_b32 s75, exec_lo, s75
; %bb.2787:                             ;   in Loop: Header=BB2_2129 Depth=4
	v_or_b32_e32 v56, 0x7f, v45
                                        ; implicit-def: $vgpr57
; %bb.2788:                             ;   in Loop: Header=BB2_2129 Depth=4
	s_and_not1_saveexec_b32 s75, s75
; %bb.2789:                             ;   in Loop: Header=BB2_2129 Depth=4
	v_cmp_lt_i32_e32 vcc_lo, -1, v57
	v_cndmask_b32_e32 v56, 0xfc, v120, vcc_lo
; %bb.2790:                             ;   in Loop: Header=BB2_2129 Depth=4
	s_or_b32 exec_lo, exec_lo, s75
.LBB2_2791:                             ;   in Loop: Header=BB2_2129 Depth=4
	s_delay_alu instid0(SALU_CYCLE_1) | instskip(SKIP_3) | instid1(VALU_DEP_2)
	s_or_b32 exec_lo, exec_lo, s14
	v_lshrrev_b16 v46, 8, v30
	v_mov_b32_e32 v45, 0
	s_mov_b32 s14, exec_lo
	v_cmpx_ne_u16_e32 0, v46
	s_cbranch_execz .LBB2_2801
; %bb.2792:                             ;   in Loop: Header=BB2_2129 Depth=4
	v_bfrev_b32_e32 v45, 1
	s_mov_b32 s75, exec_lo
	v_cmpx_ne_u16_e32 0x80, v46
	s_cbranch_execz .LBB2_2800
; %bb.2793:                             ;   in Loop: Header=BB2_2129 Depth=4
	v_and_b32_e32 v57, 0xffff, v46
	s_mov_b32 s76, exec_lo
                                        ; implicit-def: $vgpr45
	s_delay_alu instid0(VALU_DEP_1) | instskip(SKIP_1) | instid1(VALU_DEP_2)
	v_and_b32_e32 v18, 0x7c, v57
	v_and_b32_e32 v47, 3, v57
	v_cmpx_ne_u32_e32 0x7c, v18
	s_xor_b32 s76, exec_lo, s76
	s_cbranch_execz .LBB2_2797
; %bb.2794:                             ;   in Loop: Header=BB2_2129 Depth=4
	v_bfe_u32 v45, v57, 2, 5
	s_mov_b32 s77, exec_lo
	s_delay_alu instid0(VALU_DEP_1)
	v_cmpx_eq_u32_e32 0, v45
	s_cbranch_execz .LBB2_2796
; %bb.2795:                             ;   in Loop: Header=BB2_2129 Depth=4
	v_clz_i32_u32_e32 v18, v47
	s_delay_alu instid0(VALU_DEP_1) | instskip(SKIP_1) | instid1(VALU_DEP_2)
	v_min_u32_e32 v45, 32, v18
	v_mov_b32_e32 v47, v3
	v_subrev_nc_u32_e32 v18, 29, v45
	v_sub_nc_u32_e32 v45, 30, v45
	s_delay_alu instid0(VALU_DEP_2) | instskip(NEXT) | instid1(VALU_DEP_1)
	v_lshlrev_b64_e32 v[18:19], v18, v[46:47]
	v_and_b32_e32 v47, 3, v18
.LBB2_2796:                             ;   in Loop: Header=BB2_2129 Depth=4
	s_or_b32 exec_lo, exec_lo, s77
	v_lshlrev_b32_e32 v18, 16, v30
                                        ; implicit-def: $vgpr30
	s_delay_alu instid0(VALU_DEP_1) | instskip(NEXT) | instid1(VALU_DEP_1)
	v_and_b32_e32 v18, 0x80000000, v18
	v_lshl_add_u32 v18, v45, 23, v18
	s_delay_alu instid0(VALU_DEP_1) | instskip(NEXT) | instid1(VALU_DEP_1)
	v_lshl_or_b32 v18, v47, 21, v18
                                        ; implicit-def: $vgpr47
	v_add_nc_u32_e32 v45, 0x38000000, v18
.LBB2_2797:                             ;   in Loop: Header=BB2_2129 Depth=4
	s_and_not1_saveexec_b32 s76, s76
; %bb.2798:                             ;   in Loop: Header=BB2_2129 Depth=4
	v_cmp_lt_i16_e32 vcc_lo, -1, v30
	v_cndmask_b32_e32 v18, 0xff800000, v111, vcc_lo
	v_cmp_eq_u32_e32 vcc_lo, 0, v47
	s_delay_alu instid0(VALU_DEP_2)
	v_cndmask_b32_e32 v45, 0x7f800001, v18, vcc_lo
; %bb.2799:                             ;   in Loop: Header=BB2_2129 Depth=4
	s_or_b32 exec_lo, exec_lo, s76
.LBB2_2800:                             ;   in Loop: Header=BB2_2129 Depth=4
	s_delay_alu instid0(SALU_CYCLE_1)
	s_or_b32 exec_lo, exec_lo, s75
.LBB2_2801:                             ;   in Loop: Header=BB2_2129 Depth=4
	s_delay_alu instid0(SALU_CYCLE_1) | instskip(SKIP_3) | instid1(VALU_DEP_1)
	s_or_b32 exec_lo, exec_lo, s14
	v_lshrrev_b16 v46, 8, v44
	s_mov_b32 s75, 0
	s_mov_b32 s14, exec_lo
	v_cmpx_lt_i16_e32 0x7f, v46
	s_xor_b32 s14, exec_lo, s14
	s_cbranch_execz .LBB2_3176
; %bb.2802:                             ;   in Loop: Header=BB2_2129 Depth=4
	s_mov_b32 s75, -1
	s_mov_b32 s76, exec_lo
	v_cmpx_eq_u16_e32 0x80, v46
; %bb.2803:                             ;   in Loop: Header=BB2_2129 Depth=4
	s_xor_b32 s75, exec_lo, -1
; %bb.2804:                             ;   in Loop: Header=BB2_2129 Depth=4
	s_or_b32 exec_lo, exec_lo, s76
	s_delay_alu instid0(SALU_CYCLE_1)
	s_and_b32 s75, s75, exec_lo
	s_or_saveexec_b32 s14, s14
	v_bfrev_b32_e32 v30, 1
	s_xor_b32 exec_lo, exec_lo, s14
	s_cbranch_execnz .LBB2_3177
.LBB2_2805:                             ;   in Loop: Header=BB2_2129 Depth=4
	s_or_b32 exec_lo, exec_lo, s14
	s_and_saveexec_b32 s14, s75
	s_cbranch_execz .LBB2_2807
.LBB2_2806:                             ;   in Loop: Header=BB2_2129 Depth=4
	v_and_b32_e32 v30, 0xffff, v46
	s_delay_alu instid0(VALU_DEP_1) | instskip(NEXT) | instid1(VALU_DEP_1)
	v_dual_mov_b32 v47, v3 :: v_dual_bitop2_b32 v57, 3, v30 bitop3:0x40
	v_clz_i32_u32_e32 v18, v57
	s_delay_alu instid0(VALU_DEP_1) | instskip(NEXT) | instid1(VALU_DEP_1)
	v_min_u32_e32 v79, 32, v18
	v_subrev_nc_u32_e32 v18, 29, v79
	s_delay_alu instid0(VALU_DEP_1) | instskip(SKIP_2) | instid1(VALU_DEP_2)
	v_lshlrev_b64_e32 v[18:19], v18, v[46:47]
	v_dual_lshlrev_b32 v19, 24, v46 :: v_dual_sub_nc_u32 v47, 30, v79
	v_bfe_u32 v46, v30, 2, 5
	v_and_b32_e32 v19, 0x80000000, v19
	s_delay_alu instid0(VALU_DEP_2) | instskip(NEXT) | instid1(VALU_DEP_4)
	v_cmp_eq_u32_e32 vcc_lo, 0, v46
	v_dual_cndmask_b32 v46, v46, v47, vcc_lo :: v_dual_bitop2_b32 v18, 3, v18 bitop3:0x40
	s_delay_alu instid0(VALU_DEP_1) | instskip(SKIP_1) | instid1(VALU_DEP_3)
	v_cndmask_b32_e32 v18, v57, v18, vcc_lo
	v_cmp_lt_i16_e32 vcc_lo, -1, v44
	v_lshl_add_u32 v19, v46, 23, v19
	v_cndmask_b32_e32 v44, 0xff800000, v111, vcc_lo
	v_cmp_eq_u32_e32 vcc_lo, 0, v57
	s_delay_alu instid0(VALU_DEP_3) | instskip(SKIP_1) | instid1(VALU_DEP_4)
	v_lshl_or_b32 v18, v18, 21, v19
	v_and_b32_e32 v19, 0x7c, v30
	v_cndmask_b32_e32 v30, 0x7f800001, v44, vcc_lo
	s_delay_alu instid0(VALU_DEP_3) | instskip(NEXT) | instid1(VALU_DEP_3)
	v_add_nc_u32_e32 v18, 0x38000000, v18
	v_cmp_eq_u32_e32 vcc_lo, 0x7c, v19
	s_delay_alu instid0(VALU_DEP_2)
	v_cndmask_b32_e32 v30, v18, v30, vcc_lo
.LBB2_2807:                             ;   in Loop: Header=BB2_2129 Depth=4
	s_or_b32 exec_lo, exec_lo, s14
	s_delay_alu instid0(VALU_DEP_1) | instskip(SKIP_2) | instid1(VALU_DEP_2)
	v_dual_add_f32 v46, v45, v30 :: v_dual_mov_b32 v19, v3
	v_mov_b32_e32 v45, v3
                                        ; implicit-def: $vgpr57
	s_mov_b32 s14, exec_lo
	v_and_b32_e32 v18, 0x7f800000, v46
	v_and_b32_e32 v44, 0x7fffff, v46
	v_lshrrev_b32_e32 v30, 24, v46
	s_delay_alu instid0(VALU_DEP_3)
	v_cmpx_ne_u64_e32 0x7f800000, v[18:19]
	s_xor_b32 s75, exec_lo, s14
	s_cbranch_execz .LBB2_2821
; %bb.2808:                             ;   in Loop: Header=BB2_2129 Depth=4
	v_and_b32_e32 v18, 0x7fffffff, v46
	v_mov_b32_e32 v19, v3
	v_and_b32_e32 v30, 0x80, v30
                                        ; implicit-def: $vgpr57
	s_mov_b32 s14, exec_lo
	s_delay_alu instid0(VALU_DEP_2)
	v_cmpx_gt_u64_e32 0x47600001, v[18:19]
	s_xor_b32 s76, exec_lo, s14
	s_cbranch_execz .LBB2_2818
; %bb.2809:                             ;   in Loop: Header=BB2_2129 Depth=4
	v_mov_b32_e32 v57, 0
	s_mov_b32 s77, exec_lo
	v_cmpx_ne_u32_e32 0, v46
	s_cbranch_execz .LBB2_2817
; %bb.2810:                             ;   in Loop: Header=BB2_2129 Depth=4
	v_bfe_u32 v57, v46, 23, 8
	v_or_b32_e32 v46, 0x800000, v44
	s_delay_alu instid0(VALU_DEP_2) | instskip(SKIP_1) | instid1(VALU_DEP_2)
	v_sub_nc_u32_e32 v18, 0x71, v57
	v_cmp_gt_u32_e32 vcc_lo, 0x72, v57
	v_cndmask_b32_e32 v18, 0, v18, vcc_lo
	v_cmp_eq_u32_e32 vcc_lo, 0, v57
	s_delay_alu instid0(VALU_DEP_2) | instskip(NEXT) | instid1(VALU_DEP_1)
	v_cndmask_b32_e64 v79, v18, 0x70, vcc_lo
	v_dual_cndmask_b32 v44, v46, v44, vcc_lo :: v_dual_add_nc_u32 v18, 21, v79
	v_add_nc_u32_e32 v47, 20, v79
	s_delay_alu instid0(VALU_DEP_2) | instskip(NEXT) | instid1(VALU_DEP_2)
	v_lshlrev_b64_e64 v[18:19], v18, -1
	v_lshlrev_b64_e64 v[46:47], v47, 1
	s_delay_alu instid0(VALU_DEP_2) | instskip(SKIP_1) | instid1(VALU_DEP_4)
	v_bfi_b32 v18, v18, 0, v44
	v_lshrrev_b64 v[44:45], v79, v[44:45]
	v_bfi_b32 v19, v19, 0, 0
	s_delay_alu instid0(VALU_DEP_1) | instskip(NEXT) | instid1(VALU_DEP_3)
	v_cmp_eq_u64_e64 s14, v[18:19], v[46:47]
	v_mov_b64_e32 v[46:47], v[44:45]
	s_and_saveexec_b32 s78, s14
; %bb.2811:                             ;   in Loop: Header=BB2_2129 Depth=4
	v_bfe_u32 v18, v44, 21, 1
	v_mov_b32_e32 v19, v3
	s_delay_alu instid0(VALU_DEP_1) | instskip(NEXT) | instid1(VALU_DEP_1)
	v_add_nc_u64_e32 v[18:19], v[44:45], v[18:19]
	v_add_nc_u64_e32 v[46:47], -1, v[18:19]
; %bb.2812:                             ;   in Loop: Header=BB2_2129 Depth=4
	s_or_b32 exec_lo, exec_lo, s78
	v_dual_mov_b32 v45, v3 :: v_dual_add_nc_u32 v18, 0xffffff81, v57
	v_lshrrev_b32_e32 v19, 23, v44
	s_mov_b32 s14, exec_lo
	s_delay_alu instid0(VALU_DEP_2) | instskip(NEXT) | instid1(VALU_DEP_1)
	v_cndmask_b32_e64 v18, v18, 0xffffff82, vcc_lo
	v_add3_u32 v47, v79, v18, v19
	v_and_b32_e32 v18, 0x1fffff, v46
                                        ; implicit-def: $vgpr46
	s_delay_alu instid0(VALU_DEP_1) | instskip(NEXT) | instid1(VALU_DEP_1)
	v_dual_add_nc_u32 v57, 14, v47 :: v_dual_add_nc_u32 v44, v18, v44
	v_cmpx_ne_u32_e32 0, v57
	s_xor_b32 s14, exec_lo, s14
; %bb.2813:                             ;   in Loop: Header=BB2_2129 Depth=4
	s_delay_alu instid0(VALU_DEP_2) | instskip(SKIP_1) | instid1(VALU_DEP_1)
	v_cmp_lt_u64_e32 vcc_lo, 0xffffff, v[44:45]
	v_add_nc_u32_e32 v18, 15, v47
	v_cndmask_b32_e32 v46, v57, v18, vcc_lo
	v_cndmask_b32_e64 v18, 0, 1, vcc_lo
	s_delay_alu instid0(VALU_DEP_1)
	v_lshrrev_b64 v[44:45], v18, v[44:45]
; %bb.2814:                             ;   in Loop: Header=BB2_2129 Depth=4
	s_and_not1_saveexec_b32 s14, s14
; %bb.2815:                             ;   in Loop: Header=BB2_2129 Depth=4
	s_delay_alu instid0(VALU_DEP_1)
	v_bfe_u32 v46, v44, 23, 1
; %bb.2816:                             ;   in Loop: Header=BB2_2129 Depth=4
	s_or_b32 exec_lo, exec_lo, s14
	s_delay_alu instid0(VALU_DEP_2) | instskip(NEXT) | instid1(VALU_DEP_2)
	v_lshrrev_b64 v[18:19], 21, v[44:45]
	v_cmp_gt_i32_e32 vcc_lo, 32, v46
	v_min_i32_e32 v44, 31, v46
	v_cmp_eq_u32_e64 s14, 0, v46
	s_delay_alu instid0(VALU_DEP_2) | instskip(SKIP_1) | instid1(VALU_DEP_2)
	v_dual_cndmask_b32 v19, 0, v19 :: v_dual_lshlrev_b32 v44, 2, v44
	v_cndmask_b32_e32 v18, 3, v18, vcc_lo
	v_and_b32_e32 v44, 0xfc, v44
	s_delay_alu instid0(VALU_DEP_2) | instskip(NEXT) | instid1(VALU_DEP_2)
	v_cmp_eq_u64_e32 vcc_lo, 0, v[18:19]
	v_and_or_b32 v18, v18, 3, v44
	s_and_b32 s14, s14, vcc_lo
	s_delay_alu instid0(VALU_DEP_1) | instid1(SALU_CYCLE_1)
	v_cndmask_b32_e64 v18, v18, 0, s14
	s_delay_alu instid0(VALU_DEP_1)
	v_or_b32_e32 v57, v18, v30
.LBB2_2817:                             ;   in Loop: Header=BB2_2129 Depth=4
	s_or_b32 exec_lo, exec_lo, s77
                                        ; implicit-def: $vgpr30
.LBB2_2818:                             ;   in Loop: Header=BB2_2129 Depth=4
	s_and_not1_saveexec_b32 s14, s76
; %bb.2819:                             ;   in Loop: Header=BB2_2129 Depth=4
	v_or_b32_e32 v57, 0x7b, v30
; %bb.2820:                             ;   in Loop: Header=BB2_2129 Depth=4
	s_or_b32 exec_lo, exec_lo, s14
                                        ; implicit-def: $vgpr46
                                        ; implicit-def: $vgpr44_vgpr45
                                        ; implicit-def: $vgpr30
.LBB2_2821:                             ;   in Loop: Header=BB2_2129 Depth=4
	s_and_not1_saveexec_b32 s14, s75
	s_cbranch_execz .LBB2_2827
; %bb.2822:                             ;   in Loop: Header=BB2_2129 Depth=4
	s_mov_b32 s75, exec_lo
                                        ; implicit-def: $vgpr57
	v_cmpx_ne_u64_e32 0, v[44:45]
	s_xor_b32 s75, exec_lo, s75
; %bb.2823:                             ;   in Loop: Header=BB2_2129 Depth=4
	v_or_b32_e32 v57, 0x7f, v30
                                        ; implicit-def: $vgpr46
; %bb.2824:                             ;   in Loop: Header=BB2_2129 Depth=4
	s_and_not1_saveexec_b32 s75, s75
; %bb.2825:                             ;   in Loop: Header=BB2_2129 Depth=4
	v_cmp_lt_i32_e32 vcc_lo, -1, v46
	v_cndmask_b32_e32 v57, 0xfc, v120, vcc_lo
; %bb.2826:                             ;   in Loop: Header=BB2_2129 Depth=4
	s_or_b32 exec_lo, exec_lo, s75
.LBB2_2827:                             ;   in Loop: Header=BB2_2129 Depth=4
	s_delay_alu instid0(SALU_CYCLE_1) | instskip(SKIP_2) | instid1(VALU_DEP_1)
	s_or_b32 exec_lo, exec_lo, s14
	v_dual_lshrrev_b32 v30, 16, v2 :: v_dual_mov_b32 v44, 0
	s_mov_b32 s14, exec_lo
	v_and_b32_e32 v45, 0xff, v30
	s_delay_alu instid0(VALU_DEP_1)
	v_cmpx_ne_u16_e32 0, v45
	s_cbranch_execz .LBB2_2837
; %bb.2828:                             ;   in Loop: Header=BB2_2129 Depth=4
	v_bfrev_b32_e32 v44, 1
	s_mov_b32 s75, exec_lo
	v_cmpx_ne_u16_e32 0x80, v45
	s_cbranch_execz .LBB2_2836
; %bb.2829:                             ;   in Loop: Header=BB2_2129 Depth=4
	v_and_b32_e32 v18, 0x7c0000, v2
	v_bfe_u32 v45, v2, 16, 2
	s_mov_b32 s76, exec_lo
                                        ; implicit-def: $vgpr44
	s_delay_alu instid0(VALU_DEP_2)
	v_cmpx_ne_u32_e32 0x7c0000, v18
	s_xor_b32 s76, exec_lo, s76
	s_cbranch_execz .LBB2_2833
; %bb.2830:                             ;   in Loop: Header=BB2_2129 Depth=4
	v_bfe_u32 v44, v2, 18, 5
	s_mov_b32 s77, exec_lo
	s_delay_alu instid0(VALU_DEP_1)
	v_cmpx_eq_u32_e32 0, v44
; %bb.2831:                             ;   in Loop: Header=BB2_2129 Depth=4
	v_clz_i32_u32_e32 v18, v45
	s_delay_alu instid0(VALU_DEP_1) | instskip(NEXT) | instid1(VALU_DEP_1)
	v_min_u32_e32 v44, 32, v18
	v_subrev_nc_u32_e32 v18, 29, v44
	s_delay_alu instid0(VALU_DEP_1) | instskip(NEXT) | instid1(VALU_DEP_1)
	v_lshlrev_b64_e32 v[18:19], v18, v[30:31]
	v_dual_sub_nc_u32 v44, 30, v44 :: v_dual_bitop2_b32 v45, 3, v18 bitop3:0x40
; %bb.2832:                             ;   in Loop: Header=BB2_2129 Depth=4
	s_or_b32 exec_lo, exec_lo, s77
	v_lshlrev_b32_e32 v18, 24, v30
                                        ; implicit-def: $vgpr30
	s_delay_alu instid0(VALU_DEP_1) | instskip(NEXT) | instid1(VALU_DEP_1)
	v_and_b32_e32 v18, 0x80000000, v18
	v_lshl_add_u32 v18, v44, 23, v18
	s_delay_alu instid0(VALU_DEP_1) | instskip(NEXT) | instid1(VALU_DEP_1)
	v_lshl_or_b32 v18, v45, 21, v18
                                        ; implicit-def: $vgpr45
	v_add_nc_u32_e32 v44, 0x38000000, v18
.LBB2_2833:                             ;   in Loop: Header=BB2_2129 Depth=4
	s_and_not1_saveexec_b32 s76, s76
; %bb.2834:                             ;   in Loop: Header=BB2_2129 Depth=4
	v_bfe_i32 v18, v30, 0, 8
	s_delay_alu instid0(VALU_DEP_1) | instskip(SKIP_2) | instid1(VALU_DEP_2)
	v_cmp_lt_i16_e32 vcc_lo, -1, v18
	v_cndmask_b32_e32 v18, 0xff800000, v111, vcc_lo
	v_cmp_eq_u32_e32 vcc_lo, 0, v45
	v_cndmask_b32_e32 v44, 0x7f800001, v18, vcc_lo
; %bb.2835:                             ;   in Loop: Header=BB2_2129 Depth=4
	s_or_b32 exec_lo, exec_lo, s76
.LBB2_2836:                             ;   in Loop: Header=BB2_2129 Depth=4
	s_delay_alu instid0(SALU_CYCLE_1)
	s_or_b32 exec_lo, exec_lo, s75
.LBB2_2837:                             ;   in Loop: Header=BB2_2129 Depth=4
	s_delay_alu instid0(SALU_CYCLE_1) | instskip(SKIP_3) | instid1(VALU_DEP_1)
	s_or_b32 exec_lo, exec_lo, s14
	v_lshrrev_b32_e32 v30, 16, v9
	s_mov_b32 s75, 0
	s_mov_b32 s14, exec_lo
	v_and_b32_e32 v46, 0xff, v30
	s_delay_alu instid0(VALU_DEP_1)
	v_cmpx_lt_i16_e32 0x7f, v46
	s_xor_b32 s14, exec_lo, s14
	s_cbranch_execz .LBB2_3178
; %bb.2838:                             ;   in Loop: Header=BB2_2129 Depth=4
	s_mov_b32 s75, -1
	s_mov_b32 s76, exec_lo
	v_cmpx_eq_u16_e32 0x80, v46
; %bb.2839:                             ;   in Loop: Header=BB2_2129 Depth=4
	s_xor_b32 s75, exec_lo, -1
; %bb.2840:                             ;   in Loop: Header=BB2_2129 Depth=4
	s_or_b32 exec_lo, exec_lo, s76
	s_delay_alu instid0(SALU_CYCLE_1)
	s_and_b32 s75, s75, exec_lo
                                        ; implicit-def: $vgpr46
	s_or_saveexec_b32 s14, s14
	v_bfrev_b32_e32 v45, 1
	s_xor_b32 exec_lo, exec_lo, s14
	s_cbranch_execnz .LBB2_3179
.LBB2_2841:                             ;   in Loop: Header=BB2_2129 Depth=4
	s_or_b32 exec_lo, exec_lo, s14
	s_and_saveexec_b32 s14, s75
	s_cbranch_execz .LBB2_2843
.LBB2_2842:                             ;   in Loop: Header=BB2_2129 Depth=4
	v_and_b32_e32 v45, 3, v30
	v_bfe_u32 v47, v9, 18, 5
	s_delay_alu instid0(VALU_DEP_2) | instskip(NEXT) | instid1(VALU_DEP_2)
	v_clz_i32_u32_e32 v18, v45
	v_cmp_eq_u32_e32 vcc_lo, 0, v47
	s_delay_alu instid0(VALU_DEP_2) | instskip(NEXT) | instid1(VALU_DEP_1)
	v_min_u32_e32 v46, 32, v18
	v_subrev_nc_u32_e32 v18, 29, v46
	v_sub_nc_u32_e32 v46, 30, v46
	s_delay_alu instid0(VALU_DEP_2) | instskip(SKIP_1) | instid1(VALU_DEP_3)
	v_lshlrev_b64_e32 v[18:19], v18, v[30:31]
	v_lshlrev_b32_e32 v19, 24, v30
	v_cndmask_b32_e32 v46, v47, v46, vcc_lo
	v_bfe_i32 v30, v30, 0, 8
	s_delay_alu instid0(VALU_DEP_3) | instskip(SKIP_1) | instid1(VALU_DEP_2)
	v_and_b32_e32 v19, 0x80000000, v19
	v_and_b32_e32 v18, 3, v18
	v_lshl_add_u32 v19, v46, 23, v19
	s_delay_alu instid0(VALU_DEP_2) | instskip(SKIP_1) | instid1(VALU_DEP_2)
	v_cndmask_b32_e32 v18, v45, v18, vcc_lo
	v_cmp_lt_i16_e32 vcc_lo, -1, v30
	v_lshl_or_b32 v18, v18, 21, v19
	v_cndmask_b32_e32 v30, 0xff800000, v111, vcc_lo
	v_and_b32_e32 v19, 0x7c0000, v9
	v_cmp_eq_u32_e32 vcc_lo, 0, v45
	s_delay_alu instid0(VALU_DEP_4) | instskip(NEXT) | instid1(VALU_DEP_4)
	v_add_nc_u32_e32 v18, 0x38000000, v18
	v_cndmask_b32_e32 v30, 0x7f800001, v30, vcc_lo
	s_delay_alu instid0(VALU_DEP_4) | instskip(NEXT) | instid1(VALU_DEP_2)
	v_cmp_eq_u32_e32 vcc_lo, 0x7c0000, v19
	v_cndmask_b32_e32 v45, v18, v30, vcc_lo
.LBB2_2843:                             ;   in Loop: Header=BB2_2129 Depth=4
	s_or_b32 exec_lo, exec_lo, s14
	s_delay_alu instid0(VALU_DEP_1) | instskip(SKIP_2) | instid1(VALU_DEP_2)
	v_dual_add_f32 v46, v44, v45 :: v_dual_mov_b32 v19, v3
	v_mov_b32_e32 v45, v3
                                        ; implicit-def: $vgpr79
	s_mov_b32 s14, exec_lo
	v_and_b32_e32 v18, 0x7f800000, v46
	v_and_b32_e32 v44, 0x7fffff, v46
	v_lshrrev_b32_e32 v30, 24, v46
	s_delay_alu instid0(VALU_DEP_3)
	v_cmpx_ne_u64_e32 0x7f800000, v[18:19]
	s_xor_b32 s75, exec_lo, s14
	s_cbranch_execz .LBB2_2857
; %bb.2844:                             ;   in Loop: Header=BB2_2129 Depth=4
	v_and_b32_e32 v18, 0x7fffffff, v46
	v_mov_b32_e32 v19, v3
	v_and_b32_e32 v30, 0x80, v30
                                        ; implicit-def: $vgpr79
	s_mov_b32 s14, exec_lo
	s_delay_alu instid0(VALU_DEP_2)
	v_cmpx_gt_u64_e32 0x47600001, v[18:19]
	s_xor_b32 s76, exec_lo, s14
	s_cbranch_execz .LBB2_2854
; %bb.2845:                             ;   in Loop: Header=BB2_2129 Depth=4
	v_mov_b32_e32 v79, 0
	s_mov_b32 s77, exec_lo
	v_cmpx_ne_u32_e32 0, v46
	s_cbranch_execz .LBB2_2853
; %bb.2846:                             ;   in Loop: Header=BB2_2129 Depth=4
	v_bfe_u32 v79, v46, 23, 8
	v_or_b32_e32 v46, 0x800000, v44
	s_delay_alu instid0(VALU_DEP_2) | instskip(SKIP_1) | instid1(VALU_DEP_2)
	v_sub_nc_u32_e32 v18, 0x71, v79
	v_cmp_gt_u32_e32 vcc_lo, 0x72, v79
	v_cndmask_b32_e32 v18, 0, v18, vcc_lo
	v_cmp_eq_u32_e32 vcc_lo, 0, v79
	s_delay_alu instid0(VALU_DEP_2) | instskip(SKIP_1) | instid1(VALU_DEP_2)
	v_cndmask_b32_e64 v88, v18, 0x70, vcc_lo
	v_cndmask_b32_e32 v44, v46, v44, vcc_lo
	v_dual_add_nc_u32 v18, 21, v88 :: v_dual_add_nc_u32 v47, 20, v88
	s_delay_alu instid0(VALU_DEP_1) | instskip(NEXT) | instid1(VALU_DEP_2)
	v_lshlrev_b64_e64 v[18:19], v18, -1
	v_lshlrev_b64_e64 v[46:47], v47, 1
	s_delay_alu instid0(VALU_DEP_2) | instskip(SKIP_1) | instid1(VALU_DEP_4)
	v_bfi_b32 v18, v18, 0, v44
	v_lshrrev_b64 v[44:45], v88, v[44:45]
	v_bfi_b32 v19, v19, 0, 0
	s_delay_alu instid0(VALU_DEP_1) | instskip(NEXT) | instid1(VALU_DEP_3)
	v_cmp_eq_u64_e64 s14, v[18:19], v[46:47]
	v_mov_b64_e32 v[46:47], v[44:45]
	s_and_saveexec_b32 s78, s14
; %bb.2847:                             ;   in Loop: Header=BB2_2129 Depth=4
	v_bfe_u32 v18, v44, 21, 1
	v_mov_b32_e32 v19, v3
	s_delay_alu instid0(VALU_DEP_1) | instskip(NEXT) | instid1(VALU_DEP_1)
	v_add_nc_u64_e32 v[18:19], v[44:45], v[18:19]
	v_add_nc_u64_e32 v[46:47], -1, v[18:19]
; %bb.2848:                             ;   in Loop: Header=BB2_2129 Depth=4
	s_or_b32 exec_lo, exec_lo, s78
	v_dual_mov_b32 v45, v3 :: v_dual_add_nc_u32 v18, 0xffffff81, v79
	v_lshrrev_b32_e32 v19, 23, v44
	s_mov_b32 s14, exec_lo
	s_delay_alu instid0(VALU_DEP_2) | instskip(NEXT) | instid1(VALU_DEP_1)
	v_cndmask_b32_e64 v18, v18, 0xffffff82, vcc_lo
	v_add3_u32 v47, v88, v18, v19
	v_and_b32_e32 v18, 0x1fffff, v46
                                        ; implicit-def: $vgpr46
	s_delay_alu instid0(VALU_DEP_1) | instskip(NEXT) | instid1(VALU_DEP_1)
	v_dual_add_nc_u32 v79, 14, v47 :: v_dual_add_nc_u32 v44, v18, v44
	v_cmpx_ne_u32_e32 0, v79
	s_xor_b32 s14, exec_lo, s14
; %bb.2849:                             ;   in Loop: Header=BB2_2129 Depth=4
	s_delay_alu instid0(VALU_DEP_2) | instskip(SKIP_1) | instid1(VALU_DEP_1)
	v_cmp_lt_u64_e32 vcc_lo, 0xffffff, v[44:45]
	v_add_nc_u32_e32 v18, 15, v47
	v_cndmask_b32_e32 v46, v79, v18, vcc_lo
	v_cndmask_b32_e64 v18, 0, 1, vcc_lo
	s_delay_alu instid0(VALU_DEP_1)
	v_lshrrev_b64 v[44:45], v18, v[44:45]
; %bb.2850:                             ;   in Loop: Header=BB2_2129 Depth=4
	s_and_not1_saveexec_b32 s14, s14
; %bb.2851:                             ;   in Loop: Header=BB2_2129 Depth=4
	s_delay_alu instid0(VALU_DEP_1)
	v_bfe_u32 v46, v44, 23, 1
; %bb.2852:                             ;   in Loop: Header=BB2_2129 Depth=4
	s_or_b32 exec_lo, exec_lo, s14
	s_delay_alu instid0(VALU_DEP_2) | instskip(NEXT) | instid1(VALU_DEP_2)
	v_lshrrev_b64 v[18:19], 21, v[44:45]
	v_cmp_gt_i32_e32 vcc_lo, 32, v46
	v_min_i32_e32 v44, 31, v46
	v_cmp_eq_u32_e64 s14, 0, v46
	s_delay_alu instid0(VALU_DEP_2) | instskip(SKIP_1) | instid1(VALU_DEP_2)
	v_dual_cndmask_b32 v19, 0, v19 :: v_dual_lshlrev_b32 v44, 2, v44
	v_cndmask_b32_e32 v18, 3, v18, vcc_lo
	v_and_b32_e32 v44, 0xfc, v44
	s_delay_alu instid0(VALU_DEP_2) | instskip(NEXT) | instid1(VALU_DEP_2)
	v_cmp_eq_u64_e32 vcc_lo, 0, v[18:19]
	v_and_or_b32 v18, v18, 3, v44
	s_and_b32 s14, s14, vcc_lo
	s_delay_alu instid0(VALU_DEP_1) | instid1(SALU_CYCLE_1)
	v_cndmask_b32_e64 v18, v18, 0, s14
	s_delay_alu instid0(VALU_DEP_1)
	v_or_b32_e32 v79, v18, v30
.LBB2_2853:                             ;   in Loop: Header=BB2_2129 Depth=4
	s_or_b32 exec_lo, exec_lo, s77
                                        ; implicit-def: $vgpr30
.LBB2_2854:                             ;   in Loop: Header=BB2_2129 Depth=4
	s_and_not1_saveexec_b32 s14, s76
; %bb.2855:                             ;   in Loop: Header=BB2_2129 Depth=4
	v_or_b32_e32 v79, 0x7b, v30
; %bb.2856:                             ;   in Loop: Header=BB2_2129 Depth=4
	s_or_b32 exec_lo, exec_lo, s14
                                        ; implicit-def: $vgpr46
                                        ; implicit-def: $vgpr44_vgpr45
                                        ; implicit-def: $vgpr30
.LBB2_2857:                             ;   in Loop: Header=BB2_2129 Depth=4
	s_and_not1_saveexec_b32 s14, s75
	s_cbranch_execz .LBB2_2863
; %bb.2858:                             ;   in Loop: Header=BB2_2129 Depth=4
	s_mov_b32 s75, exec_lo
                                        ; implicit-def: $vgpr79
	v_cmpx_ne_u64_e32 0, v[44:45]
	s_xor_b32 s75, exec_lo, s75
; %bb.2859:                             ;   in Loop: Header=BB2_2129 Depth=4
	v_or_b32_e32 v79, 0x7f, v30
                                        ; implicit-def: $vgpr46
; %bb.2860:                             ;   in Loop: Header=BB2_2129 Depth=4
	s_and_not1_saveexec_b32 s75, s75
; %bb.2861:                             ;   in Loop: Header=BB2_2129 Depth=4
	v_cmp_lt_i32_e32 vcc_lo, -1, v46
	v_cndmask_b32_e32 v79, 0xfc, v120, vcc_lo
; %bb.2862:                             ;   in Loop: Header=BB2_2129 Depth=4
	s_or_b32 exec_lo, exec_lo, s75
.LBB2_2863:                             ;   in Loop: Header=BB2_2129 Depth=4
	s_delay_alu instid0(SALU_CYCLE_1)
	s_or_b32 exec_lo, exec_lo, s14
	v_mov_b32_e32 v44, 0
	s_mov_b32 s14, exec_lo
	v_cmpx_lt_u32_e32 0xffffff, v2
	s_cbranch_execz .LBB2_2873
; %bb.2864:                             ;   in Loop: Header=BB2_2129 Depth=4
	v_lshrrev_b32_e32 v30, 24, v2
	v_bfrev_b32_e32 v44, 1
	s_mov_b32 s75, exec_lo
	s_delay_alu instid0(VALU_DEP_2)
	v_cmpx_ne_u32_e32 0x80, v30
	s_cbranch_execz .LBB2_2872
; %bb.2865:                             ;   in Loop: Header=BB2_2129 Depth=4
	v_and_b32_e32 v18, 0x7c000000, v2
	v_bfe_u32 v45, v2, 24, 2
	s_mov_b32 s76, exec_lo
                                        ; implicit-def: $vgpr44
	s_delay_alu instid0(VALU_DEP_2)
	v_cmpx_ne_u32_e32 0x7c000000, v18
	s_xor_b32 s76, exec_lo, s76
	s_cbranch_execz .LBB2_2869
; %bb.2866:                             ;   in Loop: Header=BB2_2129 Depth=4
	v_bfe_u32 v44, v2, 26, 5
	s_mov_b32 s77, exec_lo
	s_delay_alu instid0(VALU_DEP_1)
	v_cmpx_eq_u32_e32 0, v44
; %bb.2867:                             ;   in Loop: Header=BB2_2129 Depth=4
	v_clz_i32_u32_e32 v18, v45
	s_delay_alu instid0(VALU_DEP_1) | instskip(NEXT) | instid1(VALU_DEP_1)
	v_min_u32_e32 v44, 32, v18
	v_subrev_nc_u32_e32 v18, 29, v44
	s_delay_alu instid0(VALU_DEP_1) | instskip(NEXT) | instid1(VALU_DEP_1)
	v_lshlrev_b64_e32 v[18:19], v18, v[30:31]
	v_dual_sub_nc_u32 v44, 30, v44 :: v_dual_bitop2_b32 v45, 3, v18 bitop3:0x40
; %bb.2868:                             ;   in Loop: Header=BB2_2129 Depth=4
	s_or_b32 exec_lo, exec_lo, s77
	v_and_b32_e32 v2, 0x80000000, v2
	s_delay_alu instid0(VALU_DEP_1) | instskip(NEXT) | instid1(VALU_DEP_1)
	v_lshl_add_u32 v2, v44, 23, v2
	v_lshl_or_b32 v2, v45, 21, v2
                                        ; implicit-def: $vgpr45
	s_delay_alu instid0(VALU_DEP_1)
	v_add_nc_u32_e32 v44, 0x38000000, v2
.LBB2_2869:                             ;   in Loop: Header=BB2_2129 Depth=4
	s_and_not1_saveexec_b32 s76, s76
; %bb.2870:                             ;   in Loop: Header=BB2_2129 Depth=4
	v_cmp_lt_i32_e32 vcc_lo, -1, v2
	v_cndmask_b32_e32 v2, 0xff800000, v111, vcc_lo
	v_cmp_eq_u32_e32 vcc_lo, 0, v45
	s_delay_alu instid0(VALU_DEP_2)
	v_cndmask_b32_e32 v44, 0x7f800001, v2, vcc_lo
; %bb.2871:                             ;   in Loop: Header=BB2_2129 Depth=4
	s_or_b32 exec_lo, exec_lo, s76
.LBB2_2872:                             ;   in Loop: Header=BB2_2129 Depth=4
	s_delay_alu instid0(SALU_CYCLE_1)
	s_or_b32 exec_lo, exec_lo, s75
.LBB2_2873:                             ;   in Loop: Header=BB2_2129 Depth=4
	s_delay_alu instid0(SALU_CYCLE_1) | instskip(SKIP_3) | instid1(VALU_DEP_2)
	s_or_b32 exec_lo, exec_lo, s14
	v_bfe_u32 v30, v9, 24, 2
	v_bfe_u32 v46, v9, 26, 5
	s_mov_b32 s14, exec_lo
	v_clz_i32_u32_e32 v2, v30
	s_delay_alu instid0(VALU_DEP_2) | instskip(NEXT) | instid1(VALU_DEP_2)
	v_cmp_eq_u32_e32 vcc_lo, 0, v46
	v_min_u32_e32 v45, 32, v2
	v_lshrrev_b32_e32 v2, 24, v9
	s_delay_alu instid0(VALU_DEP_2) | instskip(NEXT) | instid1(VALU_DEP_1)
	v_subrev_nc_u32_e32 v18, 29, v45
	v_lshlrev_b64_e32 v[18:19], v18, v[2:3]
	v_sub_nc_u32_e32 v19, 30, v45
	v_and_b32_e32 v45, 0x80000000, v9
	s_delay_alu instid0(VALU_DEP_2) | instskip(NEXT) | instid1(VALU_DEP_1)
	v_dual_cndmask_b32 v19, v46, v19, vcc_lo :: v_dual_bitop2_b32 v18, 3, v18 bitop3:0x40
	v_cndmask_b32_e32 v18, v30, v18, vcc_lo
	v_cmp_lt_i64_e32 vcc_lo, -1, v[8:9]
	s_delay_alu instid0(VALU_DEP_3) | instskip(NEXT) | instid1(VALU_DEP_1)
	v_lshl_add_u32 v19, v19, 23, v45
	v_lshl_or_b32 v18, v18, 21, v19
	v_cndmask_b32_e32 v45, 0xff800000, v111, vcc_lo
	v_and_b32_e32 v19, 0x7c000000, v9
	v_cmp_eq_u32_e32 vcc_lo, 0, v30
	s_delay_alu instid0(VALU_DEP_4) | instskip(NEXT) | instid1(VALU_DEP_4)
	v_add_nc_u32_e32 v18, 0x38000000, v18
	v_cndmask_b32_e32 v30, 0x7f800001, v45, vcc_lo
	s_delay_alu instid0(VALU_DEP_4) | instskip(NEXT) | instid1(VALU_DEP_2)
	v_cmp_eq_u32_e32 vcc_lo, 0x7c000000, v19
	v_dual_mov_b32 v19, v3 :: v_dual_cndmask_b32 v18, v18, v30
	v_cmp_ne_u32_e32 vcc_lo, 0x80, v2
                                        ; implicit-def: $vgpr30
	s_delay_alu instid0(VALU_DEP_2) | instskip(SKIP_1) | instid1(VALU_DEP_2)
	v_cndmask_b32_e32 v2, 0x80000000, v18, vcc_lo
	v_cmp_lt_u64_e32 vcc_lo, s[22:23], v[8:9]
	v_cndmask_b32_e32 v2, 0, v2, vcc_lo
	s_delay_alu instid0(VALU_DEP_1) | instskip(NEXT) | instid1(VALU_DEP_1)
	v_add_f32_e32 v8, v2, v44
	v_and_b32_e32 v18, 0x7f800000, v8
	v_and_b32_e32 v2, 0x7fffff, v8
	v_lshrrev_b32_e32 v9, 24, v8
	s_delay_alu instid0(VALU_DEP_3)
	v_cmpx_ne_u64_e32 0x7f800000, v[18:19]
	s_xor_b32 s75, exec_lo, s14
	s_cbranch_execz .LBB2_2887
; %bb.2874:                             ;   in Loop: Header=BB2_2129 Depth=4
	v_and_b32_e32 v18, 0x7fffffff, v8
	v_mov_b32_e32 v19, v3
	v_and_b32_e32 v46, 0x80, v9
                                        ; implicit-def: $vgpr30
	s_mov_b32 s14, exec_lo
	s_delay_alu instid0(VALU_DEP_2)
	v_cmpx_gt_u64_e32 0x47600001, v[18:19]
	s_xor_b32 s76, exec_lo, s14
	s_cbranch_execz .LBB2_2884
; %bb.2875:                             ;   in Loop: Header=BB2_2129 Depth=4
	v_mov_b32_e32 v30, 0
	s_mov_b32 s77, exec_lo
	v_cmpx_ne_u32_e32 0, v8
	s_cbranch_execz .LBB2_2883
; %bb.2876:                             ;   in Loop: Header=BB2_2129 Depth=4
	v_bfe_u32 v30, v8, 23, 8
	v_or_b32_e32 v18, 0x800000, v2
	s_delay_alu instid0(VALU_DEP_2) | instskip(SKIP_1) | instid1(VALU_DEP_2)
	v_sub_nc_u32_e32 v8, 0x71, v30
	v_cmp_gt_u32_e32 vcc_lo, 0x72, v30
	v_cndmask_b32_e32 v8, 0, v8, vcc_lo
	v_cmp_eq_u32_e32 vcc_lo, 0, v30
	s_delay_alu instid0(VALU_DEP_2) | instskip(NEXT) | instid1(VALU_DEP_1)
	v_cndmask_b32_e64 v47, v8, 0x70, vcc_lo
	v_dual_cndmask_b32 v2, v18, v2, vcc_lo :: v_dual_add_nc_u32 v8, 21, v47
	v_add_nc_u32_e32 v19, 20, v47
	s_delay_alu instid0(VALU_DEP_2) | instskip(NEXT) | instid1(VALU_DEP_2)
	v_lshlrev_b64_e64 v[8:9], v8, -1
	v_lshlrev_b64_e64 v[18:19], v19, 1
	s_delay_alu instid0(VALU_DEP_2) | instskip(NEXT) | instid1(VALU_DEP_3)
	v_bfi_b32 v45, v9, 0, 0
	v_bfi_b32 v44, v8, 0, v2
	v_lshrrev_b64 v[8:9], v47, v[2:3]
	s_delay_alu instid0(VALU_DEP_2) | instskip(NEXT) | instid1(VALU_DEP_2)
	v_cmp_eq_u64_e64 s14, v[44:45], v[18:19]
	v_mov_b64_e32 v[44:45], v[8:9]
	s_and_saveexec_b32 s78, s14
; %bb.2877:                             ;   in Loop: Header=BB2_2129 Depth=4
	v_bfe_u32 v2, v8, 21, 1
	s_delay_alu instid0(VALU_DEP_1) | instskip(NEXT) | instid1(VALU_DEP_1)
	v_add_nc_u64_e32 v[18:19], v[8:9], v[2:3]
	v_add_nc_u64_e32 v[44:45], -1, v[18:19]
; %bb.2878:                             ;   in Loop: Header=BB2_2129 Depth=4
	s_or_b32 exec_lo, exec_lo, s78
	v_add_nc_u32_e32 v2, 0xffffff81, v30
	v_lshrrev_b32_e32 v9, 23, v8
	s_mov_b32 s14, exec_lo
                                        ; implicit-def: $vgpr30
	s_delay_alu instid0(VALU_DEP_2) | instskip(NEXT) | instid1(VALU_DEP_1)
	v_cndmask_b32_e64 v2, v2, 0xffffff82, vcc_lo
	v_add3_u32 v45, v47, v2, v9
	v_and_b32_e32 v2, 0x1fffff, v44
	s_delay_alu instid0(VALU_DEP_1) | instskip(NEXT) | instid1(VALU_DEP_1)
	v_dual_add_nc_u32 v44, 14, v45 :: v_dual_add_nc_u32 v2, v2, v8
                                        ; implicit-def: $vgpr8_vgpr9
	v_cmpx_ne_u32_e32 0, v44
	s_xor_b32 s14, exec_lo, s14
; %bb.2879:                             ;   in Loop: Header=BB2_2129 Depth=4
	s_delay_alu instid0(VALU_DEP_2) | instskip(SKIP_1) | instid1(VALU_DEP_1)
	v_cmp_lt_u64_e32 vcc_lo, 0xffffff, v[2:3]
	v_add_nc_u32_e32 v8, 15, v45
	v_cndmask_b32_e32 v30, v44, v8, vcc_lo
	v_cndmask_b32_e64 v8, 0, 1, vcc_lo
	s_delay_alu instid0(VALU_DEP_1)
	v_lshrrev_b64 v[8:9], v8, v[2:3]
; %bb.2880:                             ;   in Loop: Header=BB2_2129 Depth=4
	s_and_not1_saveexec_b32 s14, s14
; %bb.2881:                             ;   in Loop: Header=BB2_2129 Depth=4
	v_mov_b64_e32 v[8:9], v[2:3]
	v_bfe_u32 v30, v2, 23, 1
; %bb.2882:                             ;   in Loop: Header=BB2_2129 Depth=4
	s_or_b32 exec_lo, exec_lo, s14
	s_delay_alu instid0(VALU_DEP_2) | instskip(NEXT) | instid1(VALU_DEP_2)
	v_lshrrev_b64 v[8:9], 21, v[8:9]
	v_cmp_gt_i32_e32 vcc_lo, 32, v30
	v_min_i32_e32 v2, 31, v30
	v_cmp_eq_u32_e64 s14, 0, v30
	s_delay_alu instid0(VALU_DEP_2) | instskip(SKIP_1) | instid1(VALU_DEP_2)
	v_dual_cndmask_b32 v9, 0, v9 :: v_dual_lshlrev_b32 v2, 2, v2
	v_cndmask_b32_e32 v8, 3, v8, vcc_lo
	v_and_b32_e32 v2, 0xfc, v2
	s_delay_alu instid0(VALU_DEP_2) | instskip(NEXT) | instid1(VALU_DEP_2)
	v_cmp_eq_u64_e32 vcc_lo, 0, v[8:9]
	v_and_or_b32 v2, v8, 3, v2
	s_and_b32 s14, s14, vcc_lo
	s_delay_alu instid0(VALU_DEP_1) | instid1(SALU_CYCLE_1)
	v_cndmask_b32_e64 v2, v2, 0, s14
	s_delay_alu instid0(VALU_DEP_1)
	v_or_b32_e32 v30, v2, v46
.LBB2_2883:                             ;   in Loop: Header=BB2_2129 Depth=4
	s_or_b32 exec_lo, exec_lo, s77
                                        ; implicit-def: $vgpr46
.LBB2_2884:                             ;   in Loop: Header=BB2_2129 Depth=4
	s_and_not1_saveexec_b32 s14, s76
; %bb.2885:                             ;   in Loop: Header=BB2_2129 Depth=4
	v_or_b32_e32 v30, 0x7b, v46
; %bb.2886:                             ;   in Loop: Header=BB2_2129 Depth=4
	s_or_b32 exec_lo, exec_lo, s14
                                        ; implicit-def: $vgpr8
                                        ; implicit-def: $vgpr9
.LBB2_2887:                             ;   in Loop: Header=BB2_2129 Depth=4
	s_and_not1_saveexec_b32 s14, s75
	s_cbranch_execz .LBB2_2893
; %bb.2888:                             ;   in Loop: Header=BB2_2129 Depth=4
	s_mov_b32 s75, exec_lo
                                        ; implicit-def: $vgpr30
	v_cmpx_ne_u64_e32 0, v[2:3]
	s_xor_b32 s75, exec_lo, s75
; %bb.2889:                             ;   in Loop: Header=BB2_2129 Depth=4
	v_or_b32_e32 v30, 0x7f, v9
                                        ; implicit-def: $vgpr8
; %bb.2890:                             ;   in Loop: Header=BB2_2129 Depth=4
	s_and_not1_saveexec_b32 s75, s75
; %bb.2891:                             ;   in Loop: Header=BB2_2129 Depth=4
	v_cmp_lt_i32_e32 vcc_lo, -1, v8
	v_cndmask_b32_e32 v30, 0xfc, v120, vcc_lo
; %bb.2892:                             ;   in Loop: Header=BB2_2129 Depth=4
	s_or_b32 exec_lo, exec_lo, s75
.LBB2_2893:                             ;   in Loop: Header=BB2_2129 Depth=4
	s_delay_alu instid0(SALU_CYCLE_1) | instskip(SKIP_3) | instid1(VALU_DEP_1)
	s_or_b32 exec_lo, exec_lo, s14
	v_lshl_or_b32 v46, v74, 8, v62
	v_dual_lshlrev_b32 v2, 16, v77 :: v_dual_lshlrev_b32 v8, 24, v78
	s_mov_b32 s14, exec_lo
	v_or3_b32 v2, v2, v8, v46
	v_mov_b32_e32 v8, 0
	v_cmpx_ne_u32_e32 0, v62
	s_cbranch_execz .LBB2_2903
; %bb.2894:                             ;   in Loop: Header=BB2_2129 Depth=4
	v_bfrev_b32_e32 v8, 1
	s_mov_b32 s75, exec_lo
	v_cmpx_ne_u32_e32 0x80, v62
	s_cbranch_execz .LBB2_2902
; %bb.2895:                             ;   in Loop: Header=BB2_2129 Depth=4
	v_and_b32_e32 v8, 0x7c, v62
	v_and_b32_e32 v9, 3, v62
	s_delay_alu instid0(VALU_DEP_2) | instskip(SKIP_1) | instid1(SALU_CYCLE_1)
	v_cmp_ne_u32_e32 vcc_lo, 0x7c, v8
                                        ; implicit-def: $vgpr8
	s_and_saveexec_b32 s76, vcc_lo
	s_xor_b32 s76, exec_lo, s76
	s_cbranch_execz .LBB2_2899
; %bb.2896:                             ;   in Loop: Header=BB2_2129 Depth=4
	v_bfe_u32 v8, v62, 2, 5
	s_mov_b32 s77, exec_lo
	s_delay_alu instid0(VALU_DEP_1)
	v_cmpx_eq_u32_e32 0, v8
; %bb.2897:                             ;   in Loop: Header=BB2_2129 Depth=4
	v_clz_i32_u32_e32 v8, v9
	s_delay_alu instid0(VALU_DEP_1) | instskip(NEXT) | instid1(VALU_DEP_1)
	v_min_u32_e32 v8, 32, v8
	v_subrev_nc_u32_e32 v9, 29, v8
	s_delay_alu instid0(VALU_DEP_1) | instskip(NEXT) | instid1(VALU_DEP_1)
	v_lshlrev_b64_e32 v[18:19], v9, v[2:3]
	v_dual_sub_nc_u32 v8, 30, v8 :: v_dual_bitop2_b32 v9, 3, v18 bitop3:0x40
; %bb.2898:                             ;   in Loop: Header=BB2_2129 Depth=4
	s_or_b32 exec_lo, exec_lo, s77
	v_lshlrev_b32_e32 v18, 24, v62
                                        ; implicit-def: $vgpr62
	s_delay_alu instid0(VALU_DEP_1) | instskip(NEXT) | instid1(VALU_DEP_1)
	v_and_b32_e32 v18, 0x80000000, v18
	v_lshl_add_u32 v8, v8, 23, v18
	s_delay_alu instid0(VALU_DEP_1) | instskip(NEXT) | instid1(VALU_DEP_1)
	v_lshl_or_b32 v8, v9, 21, v8
                                        ; implicit-def: $vgpr9
	v_add_nc_u32_e32 v8, 0x38000000, v8
.LBB2_2899:                             ;   in Loop: Header=BB2_2129 Depth=4
	s_and_not1_saveexec_b32 s76, s76
; %bb.2900:                             ;   in Loop: Header=BB2_2129 Depth=4
	v_and_b32_e32 v8, 0x80, v62
	s_delay_alu instid0(VALU_DEP_1) | instskip(SKIP_2) | instid1(VALU_DEP_2)
	v_cmp_eq_u32_e32 vcc_lo, 0, v8
	v_cndmask_b32_e32 v8, 0xff800000, v111, vcc_lo
	v_cmp_eq_u32_e32 vcc_lo, 0, v9
	v_cndmask_b32_e32 v8, 0x7f800001, v8, vcc_lo
; %bb.2901:                             ;   in Loop: Header=BB2_2129 Depth=4
	s_or_b32 exec_lo, exec_lo, s76
.LBB2_2902:                             ;   in Loop: Header=BB2_2129 Depth=4
	s_delay_alu instid0(SALU_CYCLE_1)
	s_or_b32 exec_lo, exec_lo, s75
.LBB2_2903:                             ;   in Loop: Header=BB2_2129 Depth=4
	s_delay_alu instid0(SALU_CYCLE_1) | instskip(SKIP_3) | instid1(VALU_DEP_1)
	s_or_b32 exec_lo, exec_lo, s14
	v_and_b32_e32 v44, 0xff, v10
	s_mov_b32 s75, 0
	s_mov_b32 s14, exec_lo
	v_cmpx_lt_i16_e32 0x7f, v44
	s_xor_b32 s14, exec_lo, s14
	s_cbranch_execz .LBB2_3180
; %bb.2904:                             ;   in Loop: Header=BB2_2129 Depth=4
	s_mov_b32 s75, -1
	s_mov_b32 s76, exec_lo
	v_cmpx_eq_u16_e32 0x80, v44
; %bb.2905:                             ;   in Loop: Header=BB2_2129 Depth=4
	s_xor_b32 s75, exec_lo, -1
; %bb.2906:                             ;   in Loop: Header=BB2_2129 Depth=4
	s_or_b32 exec_lo, exec_lo, s76
	s_delay_alu instid0(SALU_CYCLE_1)
	s_and_b32 s75, s75, exec_lo
                                        ; implicit-def: $vgpr44
	s_or_saveexec_b32 s14, s14
	v_bfrev_b32_e32 v9, 1
	s_xor_b32 exec_lo, exec_lo, s14
	s_cbranch_execnz .LBB2_3181
.LBB2_2907:                             ;   in Loop: Header=BB2_2129 Depth=4
	s_or_b32 exec_lo, exec_lo, s14
	s_and_saveexec_b32 s14, s75
	s_cbranch_execz .LBB2_2909
.LBB2_2908:                             ;   in Loop: Header=BB2_2129 Depth=4
	v_and_b32_e32 v9, 3, v10
	v_bfe_u32 v45, v10, 2, 5
	s_delay_alu instid0(VALU_DEP_2) | instskip(NEXT) | instid1(VALU_DEP_2)
	v_clz_i32_u32_e32 v18, v9
	v_cmp_eq_u32_e32 vcc_lo, 0, v45
	s_delay_alu instid0(VALU_DEP_2) | instskip(NEXT) | instid1(VALU_DEP_1)
	v_min_u32_e32 v44, 32, v18
	v_subrev_nc_u32_e32 v18, 29, v44
	s_delay_alu instid0(VALU_DEP_1) | instskip(SKIP_1) | instid1(VALU_DEP_1)
	v_lshlrev_b64_e32 v[18:19], v18, v[10:11]
	v_dual_lshlrev_b32 v19, 24, v10 :: v_dual_sub_nc_u32 v44, 30, v44
	v_and_b32_e32 v19, 0x80000000, v19
	s_delay_alu instid0(VALU_DEP_2) | instskip(SKIP_1) | instid1(VALU_DEP_2)
	v_dual_cndmask_b32 v44, v45, v44, vcc_lo :: v_dual_bitop2_b32 v18, 3, v18 bitop3:0x40
	v_bfe_i32 v45, v10, 0, 8
	v_cndmask_b32_e32 v18, v9, v18, vcc_lo
	s_delay_alu instid0(VALU_DEP_3) | instskip(NEXT) | instid1(VALU_DEP_3)
	v_lshl_add_u32 v19, v44, 23, v19
	v_cmp_lt_i16_e32 vcc_lo, -1, v45
	s_delay_alu instid0(VALU_DEP_2) | instskip(SKIP_3) | instid1(VALU_DEP_4)
	v_lshl_or_b32 v18, v18, 21, v19
	v_cndmask_b32_e32 v44, 0xff800000, v111, vcc_lo
	v_and_b32_e32 v19, 0x7c, v10
	v_cmp_eq_u32_e32 vcc_lo, 0, v9
	v_add_nc_u32_e32 v18, 0x38000000, v18
	s_delay_alu instid0(VALU_DEP_4) | instskip(NEXT) | instid1(VALU_DEP_4)
	v_cndmask_b32_e32 v9, 0x7f800001, v44, vcc_lo
	v_cmp_eq_u32_e32 vcc_lo, 0x7c, v19
	s_delay_alu instid0(VALU_DEP_2)
	v_cndmask_b32_e32 v9, v18, v9, vcc_lo
.LBB2_2909:                             ;   in Loop: Header=BB2_2129 Depth=4
	s_or_b32 exec_lo, exec_lo, s14
	s_delay_alu instid0(VALU_DEP_1) | instskip(SKIP_2) | instid1(VALU_DEP_2)
	v_dual_add_f32 v44, v8, v9 :: v_dual_mov_b32 v19, v3
	v_mov_b32_e32 v9, v3
                                        ; implicit-def: $vgpr62
	s_mov_b32 s14, exec_lo
	v_and_b32_e32 v18, 0x7f800000, v44
	v_and_b32_e32 v8, 0x7fffff, v44
	v_lshrrev_b32_e32 v45, 24, v44
	s_delay_alu instid0(VALU_DEP_3)
	v_cmpx_ne_u64_e32 0x7f800000, v[18:19]
	s_xor_b32 s75, exec_lo, s14
	s_cbranch_execz .LBB2_2923
; %bb.2910:                             ;   in Loop: Header=BB2_2129 Depth=4
	v_and_b32_e32 v18, 0x7fffffff, v44
	v_mov_b32_e32 v19, v3
	v_and_b32_e32 v47, 0x80, v45
                                        ; implicit-def: $vgpr62
	s_mov_b32 s14, exec_lo
	s_delay_alu instid0(VALU_DEP_2)
	v_cmpx_gt_u64_e32 0x47600001, v[18:19]
	s_xor_b32 s76, exec_lo, s14
	s_cbranch_execz .LBB2_2920
; %bb.2911:                             ;   in Loop: Header=BB2_2129 Depth=4
	v_mov_b32_e32 v62, 0
	s_mov_b32 s77, exec_lo
	v_cmpx_ne_u32_e32 0, v44
	s_cbranch_execz .LBB2_2919
; %bb.2912:                             ;   in Loop: Header=BB2_2129 Depth=4
	v_bfe_u32 v62, v44, 23, 8
	v_or_b32_e32 v44, 0x800000, v8
	s_delay_alu instid0(VALU_DEP_2) | instskip(SKIP_1) | instid1(VALU_DEP_2)
	v_sub_nc_u32_e32 v18, 0x71, v62
	v_cmp_gt_u32_e32 vcc_lo, 0x72, v62
	v_cndmask_b32_e32 v18, 0, v18, vcc_lo
	v_cmp_eq_u32_e32 vcc_lo, 0, v62
	v_cndmask_b32_e32 v8, v44, v8, vcc_lo
	s_delay_alu instid0(VALU_DEP_3) | instskip(NEXT) | instid1(VALU_DEP_1)
	v_cndmask_b32_e64 v74, v18, 0x70, vcc_lo
	v_dual_add_nc_u32 v18, 21, v74 :: v_dual_add_nc_u32 v45, 20, v74
	s_delay_alu instid0(VALU_DEP_1) | instskip(NEXT) | instid1(VALU_DEP_2)
	v_lshlrev_b64_e64 v[18:19], v18, -1
	v_lshlrev_b64_e64 v[44:45], v45, 1
	s_delay_alu instid0(VALU_DEP_2) | instskip(SKIP_1) | instid1(VALU_DEP_4)
	v_bfi_b32 v18, v18, 0, v8
	v_lshrrev_b64 v[8:9], v74, v[8:9]
	v_bfi_b32 v19, v19, 0, 0
	s_delay_alu instid0(VALU_DEP_1) | instskip(NEXT) | instid1(VALU_DEP_3)
	v_cmp_eq_u64_e64 s14, v[18:19], v[44:45]
	v_mov_b64_e32 v[44:45], v[8:9]
	s_and_saveexec_b32 s78, s14
; %bb.2913:                             ;   in Loop: Header=BB2_2129 Depth=4
	v_bfe_u32 v18, v8, 21, 1
	v_mov_b32_e32 v19, v3
	s_delay_alu instid0(VALU_DEP_1) | instskip(NEXT) | instid1(VALU_DEP_1)
	v_add_nc_u64_e32 v[18:19], v[8:9], v[18:19]
	v_add_nc_u64_e32 v[44:45], -1, v[18:19]
; %bb.2914:                             ;   in Loop: Header=BB2_2129 Depth=4
	s_or_b32 exec_lo, exec_lo, s78
	v_add_nc_u32_e32 v9, 0xffffff81, v62
	v_lshrrev_b32_e32 v18, 23, v8
	s_mov_b32 s14, exec_lo
	s_delay_alu instid0(VALU_DEP_2) | instskip(NEXT) | instid1(VALU_DEP_1)
	v_cndmask_b32_e64 v9, v9, 0xffffff82, vcc_lo
	v_add3_u32 v45, v74, v9, v18
	v_and_b32_e32 v9, 0x1fffff, v44
                                        ; implicit-def: $vgpr44
	s_delay_alu instid0(VALU_DEP_1) | instskip(SKIP_1) | instid1(VALU_DEP_2)
	v_dual_add_nc_u32 v62, 14, v45 :: v_dual_add_nc_u32 v8, v9, v8
	v_mov_b32_e32 v9, v3
	v_cmpx_ne_u32_e32 0, v62
	s_xor_b32 s14, exec_lo, s14
; %bb.2915:                             ;   in Loop: Header=BB2_2129 Depth=4
	s_delay_alu instid0(VALU_DEP_2) | instskip(SKIP_1) | instid1(VALU_DEP_1)
	v_cmp_lt_u64_e32 vcc_lo, 0xffffff, v[8:9]
	v_add_nc_u32_e32 v18, 15, v45
	v_cndmask_b32_e32 v44, v62, v18, vcc_lo
	v_cndmask_b32_e64 v18, 0, 1, vcc_lo
	s_delay_alu instid0(VALU_DEP_1)
	v_lshrrev_b64 v[8:9], v18, v[8:9]
; %bb.2916:                             ;   in Loop: Header=BB2_2129 Depth=4
	s_and_not1_saveexec_b32 s14, s14
; %bb.2917:                             ;   in Loop: Header=BB2_2129 Depth=4
	s_delay_alu instid0(VALU_DEP_1)
	v_bfe_u32 v44, v8, 23, 1
; %bb.2918:                             ;   in Loop: Header=BB2_2129 Depth=4
	s_or_b32 exec_lo, exec_lo, s14
	s_delay_alu instid0(VALU_DEP_2) | instskip(NEXT) | instid1(VALU_DEP_2)
	v_lshrrev_b64 v[8:9], 21, v[8:9]
	v_cmp_gt_i32_e32 vcc_lo, 32, v44
	v_min_i32_e32 v18, 31, v44
	v_cmp_eq_u32_e64 s14, 0, v44
	s_delay_alu instid0(VALU_DEP_2) | instskip(SKIP_1) | instid1(VALU_DEP_2)
	v_dual_cndmask_b32 v9, 0, v9 :: v_dual_lshlrev_b32 v18, 2, v18
	v_cndmask_b32_e32 v8, 3, v8, vcc_lo
	v_and_b32_e32 v18, 0xfc, v18
	s_delay_alu instid0(VALU_DEP_2) | instskip(NEXT) | instid1(VALU_DEP_2)
	v_cmp_eq_u64_e32 vcc_lo, 0, v[8:9]
	v_and_or_b32 v8, v8, 3, v18
	s_and_b32 s14, s14, vcc_lo
	s_delay_alu instid0(VALU_DEP_1) | instid1(SALU_CYCLE_1)
	v_cndmask_b32_e64 v8, v8, 0, s14
	s_delay_alu instid0(VALU_DEP_1)
	v_or_b32_e32 v62, v8, v47
.LBB2_2919:                             ;   in Loop: Header=BB2_2129 Depth=4
	s_or_b32 exec_lo, exec_lo, s77
                                        ; implicit-def: $vgpr47
.LBB2_2920:                             ;   in Loop: Header=BB2_2129 Depth=4
	s_and_not1_saveexec_b32 s14, s76
; %bb.2921:                             ;   in Loop: Header=BB2_2129 Depth=4
	v_or_b32_e32 v62, 0x7b, v47
; %bb.2922:                             ;   in Loop: Header=BB2_2129 Depth=4
	s_or_b32 exec_lo, exec_lo, s14
                                        ; implicit-def: $vgpr44
                                        ; implicit-def: $vgpr8_vgpr9
                                        ; implicit-def: $vgpr45
.LBB2_2923:                             ;   in Loop: Header=BB2_2129 Depth=4
	s_and_not1_saveexec_b32 s14, s75
	s_cbranch_execz .LBB2_2929
; %bb.2924:                             ;   in Loop: Header=BB2_2129 Depth=4
	s_mov_b32 s75, exec_lo
                                        ; implicit-def: $vgpr62
	v_cmpx_ne_u64_e32 0, v[8:9]
	s_xor_b32 s75, exec_lo, s75
; %bb.2925:                             ;   in Loop: Header=BB2_2129 Depth=4
	v_or_b32_e32 v62, 0x7f, v45
                                        ; implicit-def: $vgpr44
; %bb.2926:                             ;   in Loop: Header=BB2_2129 Depth=4
	s_and_not1_saveexec_b32 s75, s75
; %bb.2927:                             ;   in Loop: Header=BB2_2129 Depth=4
	v_cmp_lt_i32_e32 vcc_lo, -1, v44
	v_cndmask_b32_e32 v62, 0xfc, v120, vcc_lo
; %bb.2928:                             ;   in Loop: Header=BB2_2129 Depth=4
	s_or_b32 exec_lo, exec_lo, s75
.LBB2_2929:                             ;   in Loop: Header=BB2_2129 Depth=4
	s_delay_alu instid0(SALU_CYCLE_1) | instskip(SKIP_3) | instid1(VALU_DEP_2)
	s_or_b32 exec_lo, exec_lo, s14
	v_lshrrev_b16 v8, 8, v46
	v_mov_b32_e32 v44, 0
	s_mov_b32 s14, exec_lo
	v_cmpx_ne_u16_e32 0, v8
	s_cbranch_execz .LBB2_2939
; %bb.2930:                             ;   in Loop: Header=BB2_2129 Depth=4
	v_bfrev_b32_e32 v44, 1
	s_mov_b32 s75, exec_lo
	v_cmpx_ne_u16_e32 0x80, v8
	s_cbranch_execz .LBB2_2938
; %bb.2931:                             ;   in Loop: Header=BB2_2129 Depth=4
	v_and_b32_e32 v45, 0xffff, v8
	s_mov_b32 s76, exec_lo
                                        ; implicit-def: $vgpr44
	s_delay_alu instid0(VALU_DEP_1) | instskip(SKIP_1) | instid1(VALU_DEP_2)
	v_and_b32_e32 v18, 0x7c, v45
	v_and_b32_e32 v9, 3, v45
	v_cmpx_ne_u32_e32 0x7c, v18
	s_xor_b32 s76, exec_lo, s76
	s_cbranch_execz .LBB2_2935
; %bb.2932:                             ;   in Loop: Header=BB2_2129 Depth=4
	v_bfe_u32 v44, v45, 2, 5
	s_mov_b32 s77, exec_lo
	s_delay_alu instid0(VALU_DEP_1)
	v_cmpx_eq_u32_e32 0, v44
; %bb.2933:                             ;   in Loop: Header=BB2_2129 Depth=4
	v_clz_i32_u32_e32 v9, v9
	s_delay_alu instid0(VALU_DEP_1) | instskip(NEXT) | instid1(VALU_DEP_1)
	v_min_u32_e32 v18, 32, v9
	v_dual_mov_b32 v9, v3 :: v_dual_sub_nc_u32 v44, 30, v18
	v_subrev_nc_u32_e32 v19, 29, v18
	s_delay_alu instid0(VALU_DEP_1) | instskip(NEXT) | instid1(VALU_DEP_1)
	v_lshlrev_b64_e32 v[8:9], v19, v[8:9]
	v_and_b32_e32 v9, 3, v8
; %bb.2934:                             ;   in Loop: Header=BB2_2129 Depth=4
	s_or_b32 exec_lo, exec_lo, s77
	v_lshlrev_b32_e32 v8, 16, v46
                                        ; implicit-def: $vgpr46
	s_delay_alu instid0(VALU_DEP_1) | instskip(NEXT) | instid1(VALU_DEP_1)
	v_and_b32_e32 v8, 0x80000000, v8
	v_lshl_add_u32 v8, v44, 23, v8
	s_delay_alu instid0(VALU_DEP_1) | instskip(NEXT) | instid1(VALU_DEP_1)
	v_lshl_or_b32 v8, v9, 21, v8
                                        ; implicit-def: $vgpr9
	v_add_nc_u32_e32 v44, 0x38000000, v8
.LBB2_2935:                             ;   in Loop: Header=BB2_2129 Depth=4
	s_and_not1_saveexec_b32 s76, s76
; %bb.2936:                             ;   in Loop: Header=BB2_2129 Depth=4
	v_cmp_lt_i16_e32 vcc_lo, -1, v46
	v_cndmask_b32_e32 v8, 0xff800000, v111, vcc_lo
	v_cmp_eq_u32_e32 vcc_lo, 0, v9
	s_delay_alu instid0(VALU_DEP_2)
	v_cndmask_b32_e32 v44, 0x7f800001, v8, vcc_lo
; %bb.2937:                             ;   in Loop: Header=BB2_2129 Depth=4
	s_or_b32 exec_lo, exec_lo, s76
.LBB2_2938:                             ;   in Loop: Header=BB2_2129 Depth=4
	s_delay_alu instid0(SALU_CYCLE_1)
	s_or_b32 exec_lo, exec_lo, s75
.LBB2_2939:                             ;   in Loop: Header=BB2_2129 Depth=4
	s_delay_alu instid0(SALU_CYCLE_1) | instskip(SKIP_3) | instid1(VALU_DEP_1)
	s_or_b32 exec_lo, exec_lo, s14
	v_lshrrev_b16 v8, 8, v10
	s_mov_b32 s75, 0
	s_mov_b32 s14, exec_lo
	v_cmpx_lt_i16_e32 0x7f, v8
	s_xor_b32 s14, exec_lo, s14
	s_cbranch_execz .LBB2_3182
; %bb.2940:                             ;   in Loop: Header=BB2_2129 Depth=4
	s_mov_b32 s75, -1
	s_mov_b32 s76, exec_lo
	v_cmpx_eq_u16_e32 0x80, v8
; %bb.2941:                             ;   in Loop: Header=BB2_2129 Depth=4
	s_xor_b32 s75, exec_lo, -1
; %bb.2942:                             ;   in Loop: Header=BB2_2129 Depth=4
	s_or_b32 exec_lo, exec_lo, s76
	s_delay_alu instid0(SALU_CYCLE_1)
	s_and_b32 s75, s75, exec_lo
	s_or_saveexec_b32 s14, s14
	v_bfrev_b32_e32 v9, 1
	s_xor_b32 exec_lo, exec_lo, s14
	s_cbranch_execnz .LBB2_3183
.LBB2_2943:                             ;   in Loop: Header=BB2_2129 Depth=4
	s_or_b32 exec_lo, exec_lo, s14
	s_and_saveexec_b32 s14, s75
	s_cbranch_execz .LBB2_2945
.LBB2_2944:                             ;   in Loop: Header=BB2_2129 Depth=4
	v_and_b32_e32 v45, 0xffff, v8
	s_delay_alu instid0(VALU_DEP_1) | instskip(NEXT) | instid1(VALU_DEP_1)
	v_and_b32_e32 v46, 3, v45
	v_clz_i32_u32_e32 v9, v46
	s_delay_alu instid0(VALU_DEP_1) | instskip(SKIP_1) | instid1(VALU_DEP_2)
	v_min_u32_e32 v47, 32, v9
	v_mov_b32_e32 v9, v3
	v_subrev_nc_u32_e32 v18, 29, v47
	s_delay_alu instid0(VALU_DEP_1) | instskip(SKIP_2) | instid1(VALU_DEP_2)
	v_lshlrev_b64_e32 v[18:19], v18, v[8:9]
	v_bfe_u32 v9, v45, 2, 5
	v_dual_lshlrev_b32 v8, 24, v8 :: v_dual_sub_nc_u32 v19, 30, v47
	v_cmp_eq_u32_e32 vcc_lo, 0, v9
	s_delay_alu instid0(VALU_DEP_2) | instskip(NEXT) | instid1(VALU_DEP_3)
	v_and_b32_e32 v8, 0x80000000, v8
	v_dual_cndmask_b32 v9, v9, v19, vcc_lo :: v_dual_bitop2_b32 v18, 3, v18 bitop3:0x40
	s_delay_alu instid0(VALU_DEP_1) | instskip(SKIP_1) | instid1(VALU_DEP_3)
	v_cndmask_b32_e32 v18, v46, v18, vcc_lo
	v_cmp_lt_i16_e32 vcc_lo, -1, v10
	v_lshl_add_u32 v8, v9, 23, v8
	v_cndmask_b32_e32 v9, 0xff800000, v111, vcc_lo
	v_cmp_eq_u32_e32 vcc_lo, 0, v46
	s_delay_alu instid0(VALU_DEP_3) | instskip(SKIP_1) | instid1(VALU_DEP_4)
	v_lshl_or_b32 v8, v18, 21, v8
	v_and_b32_e32 v18, 0x7c, v45
	v_cndmask_b32_e32 v9, 0x7f800001, v9, vcc_lo
	s_delay_alu instid0(VALU_DEP_3) | instskip(NEXT) | instid1(VALU_DEP_3)
	v_add_nc_u32_e32 v8, 0x38000000, v8
	v_cmp_eq_u32_e32 vcc_lo, 0x7c, v18
	s_delay_alu instid0(VALU_DEP_2)
	v_cndmask_b32_e32 v9, v8, v9, vcc_lo
.LBB2_2945:                             ;   in Loop: Header=BB2_2129 Depth=4
	s_or_b32 exec_lo, exec_lo, s14
	s_delay_alu instid0(VALU_DEP_1) | instskip(SKIP_2) | instid1(VALU_DEP_2)
	v_dual_add_f32 v44, v44, v9 :: v_dual_mov_b32 v19, v3
	v_mov_b32_e32 v9, v3
                                        ; implicit-def: $vgpr74
	s_mov_b32 s14, exec_lo
	v_and_b32_e32 v18, 0x7f800000, v44
	v_and_b32_e32 v8, 0x7fffff, v44
	v_lshrrev_b32_e32 v45, 24, v44
	s_delay_alu instid0(VALU_DEP_3)
	v_cmpx_ne_u64_e32 0x7f800000, v[18:19]
	s_xor_b32 s75, exec_lo, s14
	s_cbranch_execz .LBB2_2959
; %bb.2946:                             ;   in Loop: Header=BB2_2129 Depth=4
	v_and_b32_e32 v18, 0x7fffffff, v44
	v_mov_b32_e32 v19, v3
	v_and_b32_e32 v46, 0x80, v45
                                        ; implicit-def: $vgpr74
	s_mov_b32 s14, exec_lo
	s_delay_alu instid0(VALU_DEP_2)
	v_cmpx_gt_u64_e32 0x47600001, v[18:19]
	s_xor_b32 s76, exec_lo, s14
	s_cbranch_execz .LBB2_2956
; %bb.2947:                             ;   in Loop: Header=BB2_2129 Depth=4
	v_mov_b32_e32 v74, 0
	s_mov_b32 s77, exec_lo
	v_cmpx_ne_u32_e32 0, v44
	s_cbranch_execz .LBB2_2955
; %bb.2948:                             ;   in Loop: Header=BB2_2129 Depth=4
	v_bfe_u32 v47, v44, 23, 8
	v_or_b32_e32 v44, 0x800000, v8
	s_delay_alu instid0(VALU_DEP_2) | instskip(SKIP_1) | instid1(VALU_DEP_2)
	v_sub_nc_u32_e32 v18, 0x71, v47
	v_cmp_gt_u32_e32 vcc_lo, 0x72, v47
	v_cndmask_b32_e32 v18, 0, v18, vcc_lo
	v_cmp_eq_u32_e32 vcc_lo, 0, v47
	v_cndmask_b32_e32 v8, v44, v8, vcc_lo
	s_delay_alu instid0(VALU_DEP_3) | instskip(NEXT) | instid1(VALU_DEP_1)
	v_cndmask_b32_e64 v74, v18, 0x70, vcc_lo
	v_dual_add_nc_u32 v18, 21, v74 :: v_dual_add_nc_u32 v45, 20, v74
	s_delay_alu instid0(VALU_DEP_1) | instskip(NEXT) | instid1(VALU_DEP_2)
	v_lshlrev_b64_e64 v[18:19], v18, -1
	v_lshlrev_b64_e64 v[44:45], v45, 1
	s_delay_alu instid0(VALU_DEP_2) | instskip(SKIP_1) | instid1(VALU_DEP_4)
	v_bfi_b32 v18, v18, 0, v8
	v_lshrrev_b64 v[8:9], v74, v[8:9]
	v_bfi_b32 v19, v19, 0, 0
	s_delay_alu instid0(VALU_DEP_1) | instskip(NEXT) | instid1(VALU_DEP_3)
	v_cmp_eq_u64_e64 s14, v[18:19], v[44:45]
	v_mov_b64_e32 v[44:45], v[8:9]
	s_and_saveexec_b32 s78, s14
; %bb.2949:                             ;   in Loop: Header=BB2_2129 Depth=4
	v_bfe_u32 v18, v8, 21, 1
	v_mov_b32_e32 v19, v3
	s_delay_alu instid0(VALU_DEP_1) | instskip(NEXT) | instid1(VALU_DEP_1)
	v_add_nc_u64_e32 v[18:19], v[8:9], v[18:19]
	v_add_nc_u64_e32 v[44:45], -1, v[18:19]
; %bb.2950:                             ;   in Loop: Header=BB2_2129 Depth=4
	s_or_b32 exec_lo, exec_lo, s78
	v_add_nc_u32_e32 v9, 0xffffff81, v47
	v_lshrrev_b32_e32 v18, 23, v8
	s_mov_b32 s14, exec_lo
	s_delay_alu instid0(VALU_DEP_2) | instskip(NEXT) | instid1(VALU_DEP_1)
	v_cndmask_b32_e64 v9, v9, 0xffffff82, vcc_lo
	v_add3_u32 v45, v74, v9, v18
	v_and_b32_e32 v9, 0x1fffff, v44
                                        ; implicit-def: $vgpr44
	s_delay_alu instid0(VALU_DEP_1) | instskip(SKIP_1) | instid1(VALU_DEP_2)
	v_dual_add_nc_u32 v47, 14, v45 :: v_dual_add_nc_u32 v8, v9, v8
	v_mov_b32_e32 v9, v3
	v_cmpx_ne_u32_e32 0, v47
	s_xor_b32 s14, exec_lo, s14
; %bb.2951:                             ;   in Loop: Header=BB2_2129 Depth=4
	s_delay_alu instid0(VALU_DEP_2) | instskip(SKIP_1) | instid1(VALU_DEP_1)
	v_cmp_lt_u64_e32 vcc_lo, 0xffffff, v[8:9]
	v_add_nc_u32_e32 v18, 15, v45
	v_cndmask_b32_e32 v44, v47, v18, vcc_lo
	v_cndmask_b32_e64 v18, 0, 1, vcc_lo
	s_delay_alu instid0(VALU_DEP_1)
	v_lshrrev_b64 v[8:9], v18, v[8:9]
; %bb.2952:                             ;   in Loop: Header=BB2_2129 Depth=4
	s_and_not1_saveexec_b32 s14, s14
; %bb.2953:                             ;   in Loop: Header=BB2_2129 Depth=4
	s_delay_alu instid0(VALU_DEP_1)
	v_bfe_u32 v44, v8, 23, 1
; %bb.2954:                             ;   in Loop: Header=BB2_2129 Depth=4
	s_or_b32 exec_lo, exec_lo, s14
	s_delay_alu instid0(VALU_DEP_2) | instskip(NEXT) | instid1(VALU_DEP_2)
	v_lshrrev_b64 v[8:9], 21, v[8:9]
	v_cmp_gt_i32_e32 vcc_lo, 32, v44
	v_min_i32_e32 v18, 31, v44
	v_cmp_eq_u32_e64 s14, 0, v44
	s_delay_alu instid0(VALU_DEP_2) | instskip(SKIP_1) | instid1(VALU_DEP_2)
	v_dual_cndmask_b32 v9, 0, v9 :: v_dual_lshlrev_b32 v18, 2, v18
	v_cndmask_b32_e32 v8, 3, v8, vcc_lo
	v_and_b32_e32 v18, 0xfc, v18
	s_delay_alu instid0(VALU_DEP_2) | instskip(NEXT) | instid1(VALU_DEP_2)
	v_cmp_eq_u64_e32 vcc_lo, 0, v[8:9]
	v_and_or_b32 v8, v8, 3, v18
	s_and_b32 s14, s14, vcc_lo
	s_delay_alu instid0(VALU_DEP_1) | instid1(SALU_CYCLE_1)
	v_cndmask_b32_e64 v8, v8, 0, s14
	s_delay_alu instid0(VALU_DEP_1)
	v_or_b32_e32 v74, v8, v46
.LBB2_2955:                             ;   in Loop: Header=BB2_2129 Depth=4
	s_or_b32 exec_lo, exec_lo, s77
                                        ; implicit-def: $vgpr46
.LBB2_2956:                             ;   in Loop: Header=BB2_2129 Depth=4
	s_and_not1_saveexec_b32 s14, s76
; %bb.2957:                             ;   in Loop: Header=BB2_2129 Depth=4
	v_or_b32_e32 v74, 0x7b, v46
; %bb.2958:                             ;   in Loop: Header=BB2_2129 Depth=4
	s_or_b32 exec_lo, exec_lo, s14
                                        ; implicit-def: $vgpr44
                                        ; implicit-def: $vgpr8_vgpr9
                                        ; implicit-def: $vgpr45
.LBB2_2959:                             ;   in Loop: Header=BB2_2129 Depth=4
	s_and_not1_saveexec_b32 s14, s75
	s_cbranch_execz .LBB2_2965
; %bb.2960:                             ;   in Loop: Header=BB2_2129 Depth=4
	s_mov_b32 s75, exec_lo
                                        ; implicit-def: $vgpr74
	v_cmpx_ne_u64_e32 0, v[8:9]
	s_xor_b32 s75, exec_lo, s75
; %bb.2961:                             ;   in Loop: Header=BB2_2129 Depth=4
	v_or_b32_e32 v74, 0x7f, v45
                                        ; implicit-def: $vgpr44
; %bb.2962:                             ;   in Loop: Header=BB2_2129 Depth=4
	s_and_not1_saveexec_b32 s75, s75
; %bb.2963:                             ;   in Loop: Header=BB2_2129 Depth=4
	v_cmp_lt_i32_e32 vcc_lo, -1, v44
	v_cndmask_b32_e32 v74, 0xfc, v120, vcc_lo
; %bb.2964:                             ;   in Loop: Header=BB2_2129 Depth=4
	s_or_b32 exec_lo, exec_lo, s75
.LBB2_2965:                             ;   in Loop: Header=BB2_2129 Depth=4
	s_delay_alu instid0(SALU_CYCLE_1) | instskip(SKIP_2) | instid1(VALU_DEP_1)
	s_or_b32 exec_lo, exec_lo, s14
	v_dual_mov_b32 v9, 0 :: v_dual_lshrrev_b32 v8, 16, v2
	s_mov_b32 s14, exec_lo
	v_and_b32_e32 v44, 0xff, v8
	s_delay_alu instid0(VALU_DEP_1)
	v_cmpx_ne_u16_e32 0, v44
	s_cbranch_execz .LBB2_2975
; %bb.2966:                             ;   in Loop: Header=BB2_2129 Depth=4
	v_bfrev_b32_e32 v9, 1
	s_mov_b32 s75, exec_lo
	v_cmpx_ne_u16_e32 0x80, v44
	s_cbranch_execz .LBB2_2974
; %bb.2967:                             ;   in Loop: Header=BB2_2129 Depth=4
	v_and_b32_e32 v9, 0x7c0000, v2
	v_bfe_u32 v44, v2, 16, 2
	s_delay_alu instid0(VALU_DEP_2) | instskip(SKIP_1) | instid1(SALU_CYCLE_1)
	v_cmp_ne_u32_e32 vcc_lo, 0x7c0000, v9
                                        ; implicit-def: $vgpr9
	s_and_saveexec_b32 s76, vcc_lo
	s_xor_b32 s76, exec_lo, s76
	s_cbranch_execz .LBB2_2971
; %bb.2968:                             ;   in Loop: Header=BB2_2129 Depth=4
	v_bfe_u32 v9, v2, 18, 5
	s_mov_b32 s77, exec_lo
	s_delay_alu instid0(VALU_DEP_1)
	v_cmpx_eq_u32_e32 0, v9
; %bb.2969:                             ;   in Loop: Header=BB2_2129 Depth=4
	v_clz_i32_u32_e32 v9, v44
	s_delay_alu instid0(VALU_DEP_1) | instskip(NEXT) | instid1(VALU_DEP_1)
	v_min_u32_e32 v9, 32, v9
	v_subrev_nc_u32_e32 v18, 29, v9
	s_delay_alu instid0(VALU_DEP_1) | instskip(NEXT) | instid1(VALU_DEP_1)
	v_lshlrev_b64_e32 v[18:19], v18, v[8:9]
	v_dual_sub_nc_u32 v9, 30, v9 :: v_dual_bitop2_b32 v44, 3, v18 bitop3:0x40
; %bb.2970:                             ;   in Loop: Header=BB2_2129 Depth=4
	s_or_b32 exec_lo, exec_lo, s77
	v_lshlrev_b32_e32 v8, 24, v8
	s_delay_alu instid0(VALU_DEP_1) | instskip(NEXT) | instid1(VALU_DEP_1)
	v_and_b32_e32 v8, 0x80000000, v8
	v_lshl_add_u32 v8, v9, 23, v8
	s_delay_alu instid0(VALU_DEP_1) | instskip(NEXT) | instid1(VALU_DEP_1)
	v_lshl_or_b32 v8, v44, 21, v8
                                        ; implicit-def: $vgpr44
	v_add_nc_u32_e32 v9, 0x38000000, v8
                                        ; implicit-def: $vgpr8
.LBB2_2971:                             ;   in Loop: Header=BB2_2129 Depth=4
	s_and_not1_saveexec_b32 s76, s76
; %bb.2972:                             ;   in Loop: Header=BB2_2129 Depth=4
	v_bfe_i32 v8, v8, 0, 8
	s_delay_alu instid0(VALU_DEP_1) | instskip(SKIP_2) | instid1(VALU_DEP_2)
	v_cmp_lt_i16_e32 vcc_lo, -1, v8
	v_cndmask_b32_e32 v8, 0xff800000, v111, vcc_lo
	v_cmp_eq_u32_e32 vcc_lo, 0, v44
	v_cndmask_b32_e32 v9, 0x7f800001, v8, vcc_lo
; %bb.2973:                             ;   in Loop: Header=BB2_2129 Depth=4
	s_or_b32 exec_lo, exec_lo, s76
.LBB2_2974:                             ;   in Loop: Header=BB2_2129 Depth=4
	s_delay_alu instid0(SALU_CYCLE_1)
	s_or_b32 exec_lo, exec_lo, s75
.LBB2_2975:                             ;   in Loop: Header=BB2_2129 Depth=4
	s_delay_alu instid0(SALU_CYCLE_1) | instskip(SKIP_3) | instid1(VALU_DEP_1)
	s_or_b32 exec_lo, exec_lo, s14
	v_lshrrev_b32_e32 v8, 16, v10
	s_mov_b32 s75, 0
	s_mov_b32 s14, exec_lo
	v_and_b32_e32 v45, 0xff, v8
	s_delay_alu instid0(VALU_DEP_1)
	v_cmpx_lt_i16_e32 0x7f, v45
	s_xor_b32 s14, exec_lo, s14
	s_cbranch_execz .LBB2_3184
; %bb.2976:                             ;   in Loop: Header=BB2_2129 Depth=4
	s_mov_b32 s75, -1
	s_mov_b32 s76, exec_lo
	v_cmpx_eq_u16_e32 0x80, v45
; %bb.2977:                             ;   in Loop: Header=BB2_2129 Depth=4
	s_xor_b32 s75, exec_lo, -1
; %bb.2978:                             ;   in Loop: Header=BB2_2129 Depth=4
	s_or_b32 exec_lo, exec_lo, s76
	s_delay_alu instid0(SALU_CYCLE_1)
	s_and_b32 s75, s75, exec_lo
                                        ; implicit-def: $vgpr45
	s_or_saveexec_b32 s14, s14
	v_bfrev_b32_e32 v44, 1
	s_xor_b32 exec_lo, exec_lo, s14
	s_cbranch_execnz .LBB2_3185
.LBB2_2979:                             ;   in Loop: Header=BB2_2129 Depth=4
	s_or_b32 exec_lo, exec_lo, s14
	s_and_saveexec_b32 s14, s75
	s_cbranch_execz .LBB2_2981
.LBB2_2980:                             ;   in Loop: Header=BB2_2129 Depth=4
	v_and_b32_e32 v44, 3, v8
	v_bfe_u32 v46, v10, 18, 5
	s_delay_alu instid0(VALU_DEP_2) | instskip(NEXT) | instid1(VALU_DEP_2)
	v_clz_i32_u32_e32 v18, v44
	v_cmp_eq_u32_e32 vcc_lo, 0, v46
	s_delay_alu instid0(VALU_DEP_2) | instskip(NEXT) | instid1(VALU_DEP_1)
	v_min_u32_e32 v45, 32, v18
	v_subrev_nc_u32_e32 v18, 29, v45
	s_delay_alu instid0(VALU_DEP_1) | instskip(SKIP_2) | instid1(VALU_DEP_2)
	v_lshlrev_b64_e32 v[18:19], v18, v[8:9]
	v_dual_lshlrev_b32 v19, 24, v8 :: v_dual_sub_nc_u32 v45, 30, v45
	v_bfe_i32 v8, v8, 0, 8
	v_and_b32_e32 v19, 0x80000000, v19
	s_delay_alu instid0(VALU_DEP_3) | instskip(NEXT) | instid1(VALU_DEP_1)
	v_dual_cndmask_b32 v45, v46, v45, vcc_lo :: v_dual_bitop2_b32 v18, 3, v18 bitop3:0x40
	v_cndmask_b32_e32 v18, v44, v18, vcc_lo
	s_delay_alu instid0(VALU_DEP_2) | instskip(SKIP_1) | instid1(VALU_DEP_2)
	v_lshl_add_u32 v19, v45, 23, v19
	v_cmp_lt_i16_e32 vcc_lo, -1, v8
	v_lshl_or_b32 v18, v18, 21, v19
	v_cndmask_b32_e32 v8, 0xff800000, v111, vcc_lo
	v_and_b32_e32 v19, 0x7c0000, v10
	v_cmp_eq_u32_e32 vcc_lo, 0, v44
	s_delay_alu instid0(VALU_DEP_4) | instskip(NEXT) | instid1(VALU_DEP_4)
	v_add_nc_u32_e32 v18, 0x38000000, v18
	v_cndmask_b32_e32 v8, 0x7f800001, v8, vcc_lo
	s_delay_alu instid0(VALU_DEP_4) | instskip(NEXT) | instid1(VALU_DEP_2)
	v_cmp_eq_u32_e32 vcc_lo, 0x7c0000, v19
	v_cndmask_b32_e32 v44, v18, v8, vcc_lo
.LBB2_2981:                             ;   in Loop: Header=BB2_2129 Depth=4
	s_or_b32 exec_lo, exec_lo, s14
	s_delay_alu instid0(VALU_DEP_1) | instskip(SKIP_2) | instid1(VALU_DEP_2)
	v_dual_add_f32 v44, v9, v44 :: v_dual_mov_b32 v19, v3
	v_mov_b32_e32 v9, v3
                                        ; implicit-def: $vgpr77
	s_mov_b32 s14, exec_lo
	v_and_b32_e32 v18, 0x7f800000, v44
	v_and_b32_e32 v8, 0x7fffff, v44
	v_lshrrev_b32_e32 v45, 24, v44
	s_delay_alu instid0(VALU_DEP_3)
	v_cmpx_ne_u64_e32 0x7f800000, v[18:19]
	s_xor_b32 s75, exec_lo, s14
	s_cbranch_execz .LBB2_2995
; %bb.2982:                             ;   in Loop: Header=BB2_2129 Depth=4
	v_and_b32_e32 v18, 0x7fffffff, v44
	v_mov_b32_e32 v19, v3
	v_and_b32_e32 v46, 0x80, v45
                                        ; implicit-def: $vgpr77
	s_mov_b32 s14, exec_lo
	s_delay_alu instid0(VALU_DEP_2)
	v_cmpx_gt_u64_e32 0x47600001, v[18:19]
	s_xor_b32 s76, exec_lo, s14
	s_cbranch_execz .LBB2_2992
; %bb.2983:                             ;   in Loop: Header=BB2_2129 Depth=4
	v_mov_b32_e32 v77, 0
	s_mov_b32 s77, exec_lo
	v_cmpx_ne_u32_e32 0, v44
	s_cbranch_execz .LBB2_2991
; %bb.2984:                             ;   in Loop: Header=BB2_2129 Depth=4
	v_bfe_u32 v47, v44, 23, 8
	v_or_b32_e32 v44, 0x800000, v8
	s_delay_alu instid0(VALU_DEP_2) | instskip(SKIP_1) | instid1(VALU_DEP_2)
	v_sub_nc_u32_e32 v18, 0x71, v47
	v_cmp_gt_u32_e32 vcc_lo, 0x72, v47
	v_cndmask_b32_e32 v18, 0, v18, vcc_lo
	v_cmp_eq_u32_e32 vcc_lo, 0, v47
	s_delay_alu instid0(VALU_DEP_2) | instskip(NEXT) | instid1(VALU_DEP_1)
	v_cndmask_b32_e64 v77, v18, 0x70, vcc_lo
	v_dual_cndmask_b32 v8, v44, v8, vcc_lo :: v_dual_add_nc_u32 v18, 21, v77
	v_add_nc_u32_e32 v45, 20, v77
	s_delay_alu instid0(VALU_DEP_2) | instskip(NEXT) | instid1(VALU_DEP_2)
	v_lshlrev_b64_e64 v[18:19], v18, -1
	v_lshlrev_b64_e64 v[44:45], v45, 1
	s_delay_alu instid0(VALU_DEP_2) | instskip(SKIP_1) | instid1(VALU_DEP_4)
	v_bfi_b32 v18, v18, 0, v8
	v_lshrrev_b64 v[8:9], v77, v[8:9]
	v_bfi_b32 v19, v19, 0, 0
	s_delay_alu instid0(VALU_DEP_1) | instskip(NEXT) | instid1(VALU_DEP_3)
	v_cmp_eq_u64_e64 s14, v[18:19], v[44:45]
	v_mov_b64_e32 v[44:45], v[8:9]
	s_and_saveexec_b32 s78, s14
; %bb.2985:                             ;   in Loop: Header=BB2_2129 Depth=4
	v_bfe_u32 v18, v8, 21, 1
	v_mov_b32_e32 v19, v3
	s_delay_alu instid0(VALU_DEP_1) | instskip(NEXT) | instid1(VALU_DEP_1)
	v_add_nc_u64_e32 v[18:19], v[8:9], v[18:19]
	v_add_nc_u64_e32 v[44:45], -1, v[18:19]
; %bb.2986:                             ;   in Loop: Header=BB2_2129 Depth=4
	s_or_b32 exec_lo, exec_lo, s78
	v_add_nc_u32_e32 v9, 0xffffff81, v47
	v_lshrrev_b32_e32 v18, 23, v8
	s_mov_b32 s14, exec_lo
	s_delay_alu instid0(VALU_DEP_2) | instskip(NEXT) | instid1(VALU_DEP_1)
	v_cndmask_b32_e64 v9, v9, 0xffffff82, vcc_lo
	v_add3_u32 v45, v77, v9, v18
	v_and_b32_e32 v9, 0x1fffff, v44
                                        ; implicit-def: $vgpr44
	s_delay_alu instid0(VALU_DEP_1) | instskip(SKIP_1) | instid1(VALU_DEP_2)
	v_dual_add_nc_u32 v47, 14, v45 :: v_dual_add_nc_u32 v8, v9, v8
	v_mov_b32_e32 v9, v3
	v_cmpx_ne_u32_e32 0, v47
	s_xor_b32 s14, exec_lo, s14
; %bb.2987:                             ;   in Loop: Header=BB2_2129 Depth=4
	s_delay_alu instid0(VALU_DEP_2) | instskip(SKIP_1) | instid1(VALU_DEP_1)
	v_cmp_lt_u64_e32 vcc_lo, 0xffffff, v[8:9]
	v_add_nc_u32_e32 v18, 15, v45
	v_cndmask_b32_e32 v44, v47, v18, vcc_lo
	v_cndmask_b32_e64 v18, 0, 1, vcc_lo
	s_delay_alu instid0(VALU_DEP_1)
	v_lshrrev_b64 v[8:9], v18, v[8:9]
; %bb.2988:                             ;   in Loop: Header=BB2_2129 Depth=4
	s_and_not1_saveexec_b32 s14, s14
; %bb.2989:                             ;   in Loop: Header=BB2_2129 Depth=4
	s_delay_alu instid0(VALU_DEP_1)
	v_bfe_u32 v44, v8, 23, 1
; %bb.2990:                             ;   in Loop: Header=BB2_2129 Depth=4
	s_or_b32 exec_lo, exec_lo, s14
	s_delay_alu instid0(VALU_DEP_2) | instskip(NEXT) | instid1(VALU_DEP_2)
	v_lshrrev_b64 v[8:9], 21, v[8:9]
	v_cmp_gt_i32_e32 vcc_lo, 32, v44
	v_min_i32_e32 v18, 31, v44
	v_cmp_eq_u32_e64 s14, 0, v44
	s_delay_alu instid0(VALU_DEP_2) | instskip(SKIP_1) | instid1(VALU_DEP_2)
	v_dual_cndmask_b32 v9, 0, v9 :: v_dual_lshlrev_b32 v18, 2, v18
	v_cndmask_b32_e32 v8, 3, v8, vcc_lo
	v_and_b32_e32 v18, 0xfc, v18
	s_delay_alu instid0(VALU_DEP_2) | instskip(NEXT) | instid1(VALU_DEP_2)
	v_cmp_eq_u64_e32 vcc_lo, 0, v[8:9]
	v_and_or_b32 v8, v8, 3, v18
	s_and_b32 s14, s14, vcc_lo
	s_delay_alu instid0(VALU_DEP_1) | instid1(SALU_CYCLE_1)
	v_cndmask_b32_e64 v8, v8, 0, s14
	s_delay_alu instid0(VALU_DEP_1)
	v_or_b32_e32 v77, v8, v46
.LBB2_2991:                             ;   in Loop: Header=BB2_2129 Depth=4
	s_or_b32 exec_lo, exec_lo, s77
                                        ; implicit-def: $vgpr46
.LBB2_2992:                             ;   in Loop: Header=BB2_2129 Depth=4
	s_and_not1_saveexec_b32 s14, s76
; %bb.2993:                             ;   in Loop: Header=BB2_2129 Depth=4
	v_or_b32_e32 v77, 0x7b, v46
; %bb.2994:                             ;   in Loop: Header=BB2_2129 Depth=4
	s_or_b32 exec_lo, exec_lo, s14
                                        ; implicit-def: $vgpr44
                                        ; implicit-def: $vgpr8_vgpr9
                                        ; implicit-def: $vgpr45
.LBB2_2995:                             ;   in Loop: Header=BB2_2129 Depth=4
	s_and_not1_saveexec_b32 s14, s75
	s_cbranch_execz .LBB2_3001
; %bb.2996:                             ;   in Loop: Header=BB2_2129 Depth=4
	s_mov_b32 s75, exec_lo
                                        ; implicit-def: $vgpr77
	v_cmpx_ne_u64_e32 0, v[8:9]
	s_xor_b32 s75, exec_lo, s75
; %bb.2997:                             ;   in Loop: Header=BB2_2129 Depth=4
	v_or_b32_e32 v77, 0x7f, v45
                                        ; implicit-def: $vgpr44
; %bb.2998:                             ;   in Loop: Header=BB2_2129 Depth=4
	s_and_not1_saveexec_b32 s75, s75
; %bb.2999:                             ;   in Loop: Header=BB2_2129 Depth=4
	v_cmp_lt_i32_e32 vcc_lo, -1, v44
	v_cndmask_b32_e32 v77, 0xfc, v120, vcc_lo
; %bb.3000:                             ;   in Loop: Header=BB2_2129 Depth=4
	s_or_b32 exec_lo, exec_lo, s75
.LBB2_3001:                             ;   in Loop: Header=BB2_2129 Depth=4
	s_delay_alu instid0(SALU_CYCLE_1)
	s_or_b32 exec_lo, exec_lo, s14
	v_mov_b32_e32 v9, 0
	s_mov_b32 s14, exec_lo
	v_cmpx_lt_u32_e32 0xffffff, v2
	s_cbranch_execz .LBB2_3011
; %bb.3002:                             ;   in Loop: Header=BB2_2129 Depth=4
	v_lshrrev_b32_e32 v8, 24, v2
	v_bfrev_b32_e32 v9, 1
	s_mov_b32 s75, exec_lo
	s_delay_alu instid0(VALU_DEP_2)
	v_cmpx_ne_u32_e32 0x80, v8
	s_cbranch_execz .LBB2_3010
; %bb.3003:                             ;   in Loop: Header=BB2_2129 Depth=4
	v_and_b32_e32 v9, 0x7c000000, v2
	v_bfe_u32 v44, v2, 24, 2
	s_delay_alu instid0(VALU_DEP_2) | instskip(SKIP_1) | instid1(SALU_CYCLE_1)
	v_cmp_ne_u32_e32 vcc_lo, 0x7c000000, v9
                                        ; implicit-def: $vgpr9
	s_and_saveexec_b32 s76, vcc_lo
	s_xor_b32 s76, exec_lo, s76
	s_cbranch_execz .LBB2_3007
; %bb.3004:                             ;   in Loop: Header=BB2_2129 Depth=4
	v_bfe_u32 v9, v2, 26, 5
	s_mov_b32 s77, exec_lo
	s_delay_alu instid0(VALU_DEP_1)
	v_cmpx_eq_u32_e32 0, v9
; %bb.3005:                             ;   in Loop: Header=BB2_2129 Depth=4
	v_clz_i32_u32_e32 v9, v44
	s_delay_alu instid0(VALU_DEP_1) | instskip(NEXT) | instid1(VALU_DEP_1)
	v_min_u32_e32 v18, 32, v9
	v_subrev_nc_u32_e32 v9, 29, v18
	s_delay_alu instid0(VALU_DEP_1) | instskip(NEXT) | instid1(VALU_DEP_1)
	v_lshlrev_b64_e32 v[8:9], v9, v[8:9]
	v_dual_sub_nc_u32 v9, 30, v18 :: v_dual_bitop2_b32 v44, 3, v8 bitop3:0x40
; %bb.3006:                             ;   in Loop: Header=BB2_2129 Depth=4
	s_or_b32 exec_lo, exec_lo, s77
	v_and_b32_e32 v2, 0x80000000, v2
	s_delay_alu instid0(VALU_DEP_1) | instskip(NEXT) | instid1(VALU_DEP_1)
	v_lshl_add_u32 v2, v9, 23, v2
	v_lshl_or_b32 v2, v44, 21, v2
                                        ; implicit-def: $vgpr44
	s_delay_alu instid0(VALU_DEP_1)
	v_add_nc_u32_e32 v9, 0x38000000, v2
.LBB2_3007:                             ;   in Loop: Header=BB2_2129 Depth=4
	s_and_not1_saveexec_b32 s76, s76
; %bb.3008:                             ;   in Loop: Header=BB2_2129 Depth=4
	v_cmp_lt_i32_e32 vcc_lo, -1, v2
	v_cndmask_b32_e32 v2, 0xff800000, v111, vcc_lo
	v_cmp_eq_u32_e32 vcc_lo, 0, v44
	s_delay_alu instid0(VALU_DEP_2)
	v_cndmask_b32_e32 v9, 0x7f800001, v2, vcc_lo
; %bb.3009:                             ;   in Loop: Header=BB2_2129 Depth=4
	s_or_b32 exec_lo, exec_lo, s76
.LBB2_3010:                             ;   in Loop: Header=BB2_2129 Depth=4
	s_delay_alu instid0(SALU_CYCLE_1)
	s_or_b32 exec_lo, exec_lo, s75
.LBB2_3011:                             ;   in Loop: Header=BB2_2129 Depth=4
	s_delay_alu instid0(SALU_CYCLE_1) | instskip(SKIP_3) | instid1(VALU_DEP_2)
	s_or_b32 exec_lo, exec_lo, s14
	v_bfe_u32 v8, v10, 24, 2
	v_bfe_u32 v45, v10, 26, 5
                                        ; implicit-def: $vgpr78
	s_mov_b32 s14, exec_lo
	v_clz_i32_u32_e32 v2, v8
	s_delay_alu instid0(VALU_DEP_2) | instskip(NEXT) | instid1(VALU_DEP_2)
	v_cmp_eq_u32_e32 vcc_lo, 0, v45
	v_min_u32_e32 v44, 32, v2
	v_lshrrev_b32_e32 v2, 24, v10
	s_delay_alu instid0(VALU_DEP_2) | instskip(NEXT) | instid1(VALU_DEP_1)
	v_subrev_nc_u32_e32 v18, 29, v44
	v_lshlrev_b64_e32 v[18:19], v18, v[2:3]
	v_sub_nc_u32_e32 v19, 30, v44
	v_and_b32_e32 v44, 0x80000000, v10
	s_delay_alu instid0(VALU_DEP_2) | instskip(NEXT) | instid1(VALU_DEP_1)
	v_dual_cndmask_b32 v19, v45, v19, vcc_lo :: v_dual_bitop2_b32 v18, 3, v18 bitop3:0x40
	v_lshl_add_u32 v19, v19, 23, v44
	s_delay_alu instid0(VALU_DEP_2) | instskip(SKIP_1) | instid1(VALU_DEP_2)
	v_cndmask_b32_e32 v18, v8, v18, vcc_lo
	v_cmp_lt_i32_e32 vcc_lo, -1, v10
	v_lshl_or_b32 v18, v18, 21, v19
	v_cndmask_b32_e32 v44, 0xff800000, v111, vcc_lo
	v_and_b32_e32 v19, 0x7c000000, v10
	v_cmp_eq_u32_e32 vcc_lo, 0, v8
	s_delay_alu instid0(VALU_DEP_4) | instskip(NEXT) | instid1(VALU_DEP_4)
	v_add_nc_u32_e32 v18, 0x38000000, v18
	v_cndmask_b32_e32 v8, 0x7f800001, v44, vcc_lo
	s_delay_alu instid0(VALU_DEP_4) | instskip(NEXT) | instid1(VALU_DEP_2)
	v_cmp_eq_u32_e32 vcc_lo, 0x7c000000, v19
	v_dual_mov_b32 v19, v3 :: v_dual_cndmask_b32 v8, v18, v8
	v_cmp_ne_u32_e32 vcc_lo, 0x80, v2
	s_delay_alu instid0(VALU_DEP_2) | instskip(SKIP_1) | instid1(VALU_DEP_2)
	v_cndmask_b32_e32 v2, 0x80000000, v8, vcc_lo
	v_cmp_lt_u32_e32 vcc_lo, 0xffffff, v10
	v_cndmask_b32_e32 v2, 0, v2, vcc_lo
	s_delay_alu instid0(VALU_DEP_1) | instskip(NEXT) | instid1(VALU_DEP_1)
	v_add_f32_e32 v8, v2, v9
	v_and_b32_e32 v18, 0x7f800000, v8
	v_and_b32_e32 v2, 0x7fffff, v8
	v_lshrrev_b32_e32 v9, 24, v8
	s_delay_alu instid0(VALU_DEP_3)
	v_cmpx_ne_u64_e32 0x7f800000, v[18:19]
	s_xor_b32 s75, exec_lo, s14
	s_cbranch_execz .LBB2_3025
; %bb.3012:                             ;   in Loop: Header=BB2_2129 Depth=4
	v_and_b32_e32 v18, 0x7fffffff, v8
	v_mov_b32_e32 v19, v3
	v_and_b32_e32 v46, 0x80, v9
                                        ; implicit-def: $vgpr78
	s_mov_b32 s14, exec_lo
	s_delay_alu instid0(VALU_DEP_2)
	v_cmpx_gt_u64_e32 0x47600001, v[18:19]
	s_xor_b32 s76, exec_lo, s14
	s_cbranch_execz .LBB2_3022
; %bb.3013:                             ;   in Loop: Header=BB2_2129 Depth=4
	v_mov_b32_e32 v78, 0
	s_mov_b32 s77, exec_lo
	v_cmpx_ne_u32_e32 0, v8
	s_cbranch_execz .LBB2_3021
; %bb.3014:                             ;   in Loop: Header=BB2_2129 Depth=4
	v_bfe_u32 v47, v8, 23, 8
	v_or_b32_e32 v18, 0x800000, v2
	s_delay_alu instid0(VALU_DEP_2) | instskip(SKIP_1) | instid1(VALU_DEP_2)
	v_sub_nc_u32_e32 v8, 0x71, v47
	v_cmp_gt_u32_e32 vcc_lo, 0x72, v47
	v_cndmask_b32_e32 v8, 0, v8, vcc_lo
	v_cmp_eq_u32_e32 vcc_lo, 0, v47
	s_delay_alu instid0(VALU_DEP_2) | instskip(SKIP_1) | instid1(VALU_DEP_2)
	v_cndmask_b32_e64 v78, v8, 0x70, vcc_lo
	v_cndmask_b32_e32 v2, v18, v2, vcc_lo
	v_dual_add_nc_u32 v8, 21, v78 :: v_dual_add_nc_u32 v19, 20, v78
	s_delay_alu instid0(VALU_DEP_1) | instskip(NEXT) | instid1(VALU_DEP_2)
	v_lshlrev_b64_e64 v[8:9], v8, -1
	v_lshlrev_b64_e64 v[18:19], v19, 1
	s_delay_alu instid0(VALU_DEP_2) | instskip(NEXT) | instid1(VALU_DEP_3)
	v_bfi_b32 v45, v9, 0, 0
	v_bfi_b32 v44, v8, 0, v2
	v_lshrrev_b64 v[8:9], v78, v[2:3]
	s_delay_alu instid0(VALU_DEP_2) | instskip(NEXT) | instid1(VALU_DEP_2)
	v_cmp_eq_u64_e64 s14, v[44:45], v[18:19]
	v_mov_b64_e32 v[44:45], v[8:9]
	s_and_saveexec_b32 s78, s14
; %bb.3015:                             ;   in Loop: Header=BB2_2129 Depth=4
	v_bfe_u32 v2, v8, 21, 1
	s_delay_alu instid0(VALU_DEP_1) | instskip(NEXT) | instid1(VALU_DEP_1)
	v_add_nc_u64_e32 v[18:19], v[8:9], v[2:3]
	v_add_nc_u64_e32 v[44:45], -1, v[18:19]
; %bb.3016:                             ;   in Loop: Header=BB2_2129 Depth=4
	s_or_b32 exec_lo, exec_lo, s78
	v_add_nc_u32_e32 v2, 0xffffff81, v47
	v_lshrrev_b32_e32 v9, 23, v8
	s_mov_b32 s14, exec_lo
	s_delay_alu instid0(VALU_DEP_2) | instskip(NEXT) | instid1(VALU_DEP_1)
	v_cndmask_b32_e64 v2, v2, 0xffffff82, vcc_lo
	v_add3_u32 v45, v78, v2, v9
	v_and_b32_e32 v2, 0x1fffff, v44
                                        ; implicit-def: $vgpr44
	s_delay_alu instid0(VALU_DEP_1) | instskip(NEXT) | instid1(VALU_DEP_1)
	v_dual_add_nc_u32 v47, 14, v45 :: v_dual_add_nc_u32 v2, v2, v8
                                        ; implicit-def: $vgpr8_vgpr9
	v_cmpx_ne_u32_e32 0, v47
	s_xor_b32 s14, exec_lo, s14
; %bb.3017:                             ;   in Loop: Header=BB2_2129 Depth=4
	s_delay_alu instid0(VALU_DEP_2) | instskip(SKIP_1) | instid1(VALU_DEP_1)
	v_cmp_lt_u64_e32 vcc_lo, 0xffffff, v[2:3]
	v_add_nc_u32_e32 v8, 15, v45
	v_cndmask_b32_e32 v44, v47, v8, vcc_lo
	v_cndmask_b32_e64 v8, 0, 1, vcc_lo
	s_delay_alu instid0(VALU_DEP_1)
	v_lshrrev_b64 v[8:9], v8, v[2:3]
; %bb.3018:                             ;   in Loop: Header=BB2_2129 Depth=4
	s_and_not1_saveexec_b32 s14, s14
; %bb.3019:                             ;   in Loop: Header=BB2_2129 Depth=4
	v_mov_b64_e32 v[8:9], v[2:3]
	v_bfe_u32 v44, v2, 23, 1
; %bb.3020:                             ;   in Loop: Header=BB2_2129 Depth=4
	s_or_b32 exec_lo, exec_lo, s14
	s_delay_alu instid0(VALU_DEP_2) | instskip(NEXT) | instid1(VALU_DEP_2)
	v_lshrrev_b64 v[8:9], 21, v[8:9]
	v_cmp_gt_i32_e32 vcc_lo, 32, v44
	v_min_i32_e32 v2, 31, v44
	v_cmp_eq_u32_e64 s14, 0, v44
	s_delay_alu instid0(VALU_DEP_2) | instskip(SKIP_1) | instid1(VALU_DEP_2)
	v_dual_cndmask_b32 v9, 0, v9 :: v_dual_lshlrev_b32 v2, 2, v2
	v_cndmask_b32_e32 v8, 3, v8, vcc_lo
	v_and_b32_e32 v2, 0xfc, v2
	s_delay_alu instid0(VALU_DEP_2) | instskip(NEXT) | instid1(VALU_DEP_2)
	v_cmp_eq_u64_e32 vcc_lo, 0, v[8:9]
	v_and_or_b32 v2, v8, 3, v2
	s_and_b32 s14, s14, vcc_lo
	s_delay_alu instid0(VALU_DEP_1) | instid1(SALU_CYCLE_1)
	v_cndmask_b32_e64 v2, v2, 0, s14
	s_delay_alu instid0(VALU_DEP_1)
	v_or_b32_e32 v78, v2, v46
.LBB2_3021:                             ;   in Loop: Header=BB2_2129 Depth=4
	s_or_b32 exec_lo, exec_lo, s77
                                        ; implicit-def: $vgpr46
.LBB2_3022:                             ;   in Loop: Header=BB2_2129 Depth=4
	s_and_not1_saveexec_b32 s14, s76
; %bb.3023:                             ;   in Loop: Header=BB2_2129 Depth=4
	v_or_b32_e32 v78, 0x7b, v46
; %bb.3024:                             ;   in Loop: Header=BB2_2129 Depth=4
	s_or_b32 exec_lo, exec_lo, s14
                                        ; implicit-def: $vgpr8
                                        ; implicit-def: $vgpr9
.LBB2_3025:                             ;   in Loop: Header=BB2_2129 Depth=4
	s_and_not1_saveexec_b32 s14, s75
	s_cbranch_execz .LBB2_3031
; %bb.3026:                             ;   in Loop: Header=BB2_2129 Depth=4
	s_mov_b32 s75, exec_lo
                                        ; implicit-def: $vgpr78
	v_cmpx_ne_u64_e32 0, v[2:3]
	s_xor_b32 s75, exec_lo, s75
; %bb.3027:                             ;   in Loop: Header=BB2_2129 Depth=4
	v_or_b32_e32 v78, 0x7f, v9
                                        ; implicit-def: $vgpr8
; %bb.3028:                             ;   in Loop: Header=BB2_2129 Depth=4
	s_and_not1_saveexec_b32 s75, s75
; %bb.3029:                             ;   in Loop: Header=BB2_2129 Depth=4
	v_cmp_lt_i32_e32 vcc_lo, -1, v8
	v_cndmask_b32_e32 v78, 0xfc, v120, vcc_lo
; %bb.3030:                             ;   in Loop: Header=BB2_2129 Depth=4
	s_or_b32 exec_lo, exec_lo, s75
.LBB2_3031:                             ;   in Loop: Header=BB2_2129 Depth=4
	s_delay_alu instid0(SALU_CYCLE_1) | instskip(SKIP_4) | instid1(VALU_DEP_2)
	s_or_b32 exec_lo, exec_lo, s14
	v_dual_lshlrev_b32 v2, 24, v76 :: v_dual_lshlrev_b32 v8, 16, v73
	v_lshl_or_b32 v63, v63, 8, v17
	v_mov_b32_e32 v44, 0
	s_mov_b32 s14, exec_lo
	v_or3_b32 v2, v8, v2, v63
	v_cmpx_ne_u32_e32 0, v17
	s_cbranch_execz .LBB2_3041
; %bb.3032:                             ;   in Loop: Header=BB2_2129 Depth=4
	v_bfrev_b32_e32 v44, 1
	s_mov_b32 s75, exec_lo
	v_cmpx_ne_u32_e32 0x80, v17
	s_cbranch_execz .LBB2_3040
; %bb.3033:                             ;   in Loop: Header=BB2_2129 Depth=4
	v_and_b32_e32 v9, 0x7c, v17
	v_and_b32_e32 v8, 3, v17
	s_mov_b32 s76, exec_lo
                                        ; implicit-def: $vgpr44
	s_delay_alu instid0(VALU_DEP_2)
	v_cmpx_ne_u32_e32 0x7c, v9
	s_xor_b32 s76, exec_lo, s76
	s_cbranch_execz .LBB2_3037
; %bb.3034:                             ;   in Loop: Header=BB2_2129 Depth=4
	v_bfe_u32 v9, v17, 2, 5
	s_mov_b32 s77, exec_lo
	s_delay_alu instid0(VALU_DEP_1)
	v_cmpx_eq_u32_e32 0, v9
; %bb.3035:                             ;   in Loop: Header=BB2_2129 Depth=4
	v_clz_i32_u32_e32 v8, v8
	s_delay_alu instid0(VALU_DEP_1) | instskip(NEXT) | instid1(VALU_DEP_1)
	v_min_u32_e32 v18, 32, v8
	v_subrev_nc_u32_e32 v8, 29, v18
	s_delay_alu instid0(VALU_DEP_1) | instskip(NEXT) | instid1(VALU_DEP_1)
	v_lshlrev_b64_e32 v[8:9], v8, v[2:3]
	v_dual_sub_nc_u32 v9, 30, v18 :: v_dual_bitop2_b32 v8, 3, v8 bitop3:0x40
; %bb.3036:                             ;   in Loop: Header=BB2_2129 Depth=4
	s_or_b32 exec_lo, exec_lo, s77
	v_lshlrev_b32_e32 v17, 24, v17
	s_delay_alu instid0(VALU_DEP_1) | instskip(NEXT) | instid1(VALU_DEP_1)
	v_and_b32_e32 v17, 0x80000000, v17
	v_lshl_add_u32 v9, v9, 23, v17
                                        ; implicit-def: $vgpr17
	s_delay_alu instid0(VALU_DEP_1) | instskip(NEXT) | instid1(VALU_DEP_1)
	v_lshl_or_b32 v8, v8, 21, v9
	v_add_nc_u32_e32 v44, 0x38000000, v8
                                        ; implicit-def: $vgpr8
.LBB2_3037:                             ;   in Loop: Header=BB2_2129 Depth=4
	s_and_not1_saveexec_b32 s76, s76
; %bb.3038:                             ;   in Loop: Header=BB2_2129 Depth=4
	v_and_b32_e32 v9, 0x80, v17
	s_delay_alu instid0(VALU_DEP_1) | instskip(SKIP_2) | instid1(VALU_DEP_2)
	v_cmp_eq_u32_e32 vcc_lo, 0, v9
	v_cndmask_b32_e32 v9, 0xff800000, v111, vcc_lo
	v_cmp_eq_u32_e32 vcc_lo, 0, v8
	v_cndmask_b32_e32 v44, 0x7f800001, v9, vcc_lo
; %bb.3039:                             ;   in Loop: Header=BB2_2129 Depth=4
	s_or_b32 exec_lo, exec_lo, s76
.LBB2_3040:                             ;   in Loop: Header=BB2_2129 Depth=4
	s_delay_alu instid0(SALU_CYCLE_1)
	s_or_b32 exec_lo, exec_lo, s75
.LBB2_3041:                             ;   in Loop: Header=BB2_2129 Depth=4
	s_delay_alu instid0(SALU_CYCLE_1) | instskip(SKIP_4) | instid1(VALU_DEP_2)
	s_or_b32 exec_lo, exec_lo, s14
	v_and_b32_e32 v9, 0xff, v11
	v_mov_b32_e32 v8, v11
	s_mov_b32 s75, 0
	s_mov_b32 s14, exec_lo
	v_cmpx_lt_i16_e32 0x7f, v9
	s_xor_b32 s14, exec_lo, s14
	s_cbranch_execz .LBB2_3186
; %bb.3042:                             ;   in Loop: Header=BB2_2129 Depth=4
	s_mov_b32 s75, -1
	s_mov_b32 s76, exec_lo
	v_cmpx_eq_u16_e32 0x80, v9
; %bb.3043:                             ;   in Loop: Header=BB2_2129 Depth=4
	s_xor_b32 s75, exec_lo, -1
; %bb.3044:                             ;   in Loop: Header=BB2_2129 Depth=4
	s_or_b32 exec_lo, exec_lo, s76
	s_delay_alu instid0(SALU_CYCLE_1)
	s_and_b32 s75, s75, exec_lo
                                        ; implicit-def: $vgpr9
	s_or_saveexec_b32 s14, s14
	v_bfrev_b32_e32 v17, 1
	s_xor_b32 exec_lo, exec_lo, s14
	s_cbranch_execnz .LBB2_3187
.LBB2_3045:                             ;   in Loop: Header=BB2_2129 Depth=4
	s_or_b32 exec_lo, exec_lo, s14
	v_mov_b32_e32 v9, v3
	s_and_saveexec_b32 s14, s75
	s_cbranch_execz .LBB2_3047
.LBB2_3046:                             ;   in Loop: Header=BB2_2129 Depth=4
	v_and_b32_e32 v17, 3, v11
	s_delay_alu instid0(VALU_DEP_1) | instskip(NEXT) | instid1(VALU_DEP_1)
	v_clz_i32_u32_e32 v18, v17
	v_min_u32_e32 v45, 32, v18
	s_delay_alu instid0(VALU_DEP_1) | instskip(NEXT) | instid1(VALU_DEP_1)
	v_subrev_nc_u32_e32 v18, 29, v45
	v_lshlrev_b64_e32 v[18:19], v18, v[8:9]
	v_bfe_u32 v19, v11, 2, 5
	v_dual_lshlrev_b32 v9, 24, v11 :: v_dual_sub_nc_u32 v45, 30, v45
	s_delay_alu instid0(VALU_DEP_2) | instskip(NEXT) | instid1(VALU_DEP_2)
	v_cmp_eq_u32_e32 vcc_lo, 0, v19
	v_and_b32_e32 v9, 0x80000000, v9
	s_delay_alu instid0(VALU_DEP_3) | instskip(SKIP_1) | instid1(VALU_DEP_2)
	v_dual_cndmask_b32 v19, v19, v45, vcc_lo :: v_dual_bitop2_b32 v18, 3, v18 bitop3:0x40
	v_bfe_i32 v45, v11, 0, 8
	v_cndmask_b32_e32 v18, v17, v18, vcc_lo
	s_delay_alu instid0(VALU_DEP_3) | instskip(NEXT) | instid1(VALU_DEP_3)
	v_lshl_add_u32 v9, v19, 23, v9
	v_cmp_lt_i16_e32 vcc_lo, -1, v45
	s_delay_alu instid0(VALU_DEP_2) | instskip(SKIP_3) | instid1(VALU_DEP_4)
	v_lshl_or_b32 v9, v18, 21, v9
	v_cndmask_b32_e32 v19, 0xff800000, v111, vcc_lo
	v_and_b32_e32 v18, 0x7c, v11
	v_cmp_eq_u32_e32 vcc_lo, 0, v17
	v_add_nc_u32_e32 v9, 0x38000000, v9
	s_delay_alu instid0(VALU_DEP_4) | instskip(NEXT) | instid1(VALU_DEP_4)
	v_cndmask_b32_e32 v17, 0x7f800001, v19, vcc_lo
	v_cmp_eq_u32_e32 vcc_lo, 0x7c, v18
	s_delay_alu instid0(VALU_DEP_2)
	v_cndmask_b32_e32 v17, v9, v17, vcc_lo
.LBB2_3047:                             ;   in Loop: Header=BB2_2129 Depth=4
	s_or_b32 exec_lo, exec_lo, s14
	s_delay_alu instid0(VALU_DEP_1) | instskip(SKIP_2) | instid1(VALU_DEP_2)
	v_dual_add_f32 v46, v44, v17 :: v_dual_mov_b32 v19, v3
	v_mov_b32_e32 v45, v3
                                        ; implicit-def: $vgpr17
	s_mov_b32 s14, exec_lo
	v_and_b32_e32 v18, 0x7f800000, v46
	v_and_b32_e32 v44, 0x7fffff, v46
	v_lshrrev_b32_e32 v9, 24, v46
	s_delay_alu instid0(VALU_DEP_3)
	v_cmpx_ne_u64_e32 0x7f800000, v[18:19]
	s_xor_b32 s75, exec_lo, s14
	s_cbranch_execz .LBB2_3061
; %bb.3048:                             ;   in Loop: Header=BB2_2129 Depth=4
	v_and_b32_e32 v18, 0x7fffffff, v46
	v_mov_b32_e32 v19, v3
	v_and_b32_e32 v9, 0x80, v9
                                        ; implicit-def: $vgpr17
	s_mov_b32 s14, exec_lo
	s_delay_alu instid0(VALU_DEP_2)
	v_cmpx_gt_u64_e32 0x47600001, v[18:19]
	s_xor_b32 s76, exec_lo, s14
	s_cbranch_execz .LBB2_3058
; %bb.3049:                             ;   in Loop: Header=BB2_2129 Depth=4
	v_mov_b32_e32 v17, 0
	s_mov_b32 s77, exec_lo
	v_cmpx_ne_u32_e32 0, v46
	s_cbranch_execz .LBB2_3057
; %bb.3050:                             ;   in Loop: Header=BB2_2129 Depth=4
	v_bfe_u32 v17, v46, 23, 8
	v_or_b32_e32 v46, 0x800000, v44
	s_delay_alu instid0(VALU_DEP_2) | instskip(SKIP_1) | instid1(VALU_DEP_2)
	v_sub_nc_u32_e32 v18, 0x71, v17
	v_cmp_gt_u32_e32 vcc_lo, 0x72, v17
	v_cndmask_b32_e32 v18, 0, v18, vcc_lo
	v_cmp_eq_u32_e32 vcc_lo, 0, v17
	s_delay_alu instid0(VALU_DEP_2) | instskip(NEXT) | instid1(VALU_DEP_1)
	v_cndmask_b32_e64 v73, v18, 0x70, vcc_lo
	v_dual_cndmask_b32 v44, v46, v44, vcc_lo :: v_dual_add_nc_u32 v18, 21, v73
	v_add_nc_u32_e32 v47, 20, v73
	s_delay_alu instid0(VALU_DEP_2) | instskip(NEXT) | instid1(VALU_DEP_2)
	v_lshlrev_b64_e64 v[18:19], v18, -1
	v_lshlrev_b64_e64 v[46:47], v47, 1
	s_delay_alu instid0(VALU_DEP_2) | instskip(SKIP_1) | instid1(VALU_DEP_4)
	v_bfi_b32 v18, v18, 0, v44
	v_lshrrev_b64 v[44:45], v73, v[44:45]
	v_bfi_b32 v19, v19, 0, 0
	s_delay_alu instid0(VALU_DEP_1) | instskip(NEXT) | instid1(VALU_DEP_3)
	v_cmp_eq_u64_e64 s14, v[18:19], v[46:47]
	v_mov_b64_e32 v[46:47], v[44:45]
	s_and_saveexec_b32 s78, s14
; %bb.3051:                             ;   in Loop: Header=BB2_2129 Depth=4
	v_bfe_u32 v18, v44, 21, 1
	v_mov_b32_e32 v19, v3
	s_delay_alu instid0(VALU_DEP_1) | instskip(NEXT) | instid1(VALU_DEP_1)
	v_add_nc_u64_e32 v[18:19], v[44:45], v[18:19]
	v_add_nc_u64_e32 v[46:47], -1, v[18:19]
; %bb.3052:                             ;   in Loop: Header=BB2_2129 Depth=4
	s_or_b32 exec_lo, exec_lo, s78
	v_add_nc_u32_e32 v17, 0xffffff81, v17
	v_lshrrev_b32_e32 v18, 23, v44
	s_mov_b32 s14, exec_lo
	v_mov_b32_e32 v45, v3
	s_delay_alu instid0(VALU_DEP_3) | instskip(NEXT) | instid1(VALU_DEP_1)
	v_cndmask_b32_e64 v17, v17, 0xffffff82, vcc_lo
	v_add3_u32 v47, v73, v17, v18
	v_and_b32_e32 v17, 0x1fffff, v46
	s_delay_alu instid0(VALU_DEP_1) | instskip(NEXT) | instid1(VALU_DEP_1)
	v_dual_add_nc_u32 v46, 14, v47 :: v_dual_add_nc_u32 v44, v17, v44
                                        ; implicit-def: $vgpr17
	v_cmpx_ne_u32_e32 0, v46
	s_xor_b32 s14, exec_lo, s14
; %bb.3053:                             ;   in Loop: Header=BB2_2129 Depth=4
	s_delay_alu instid0(VALU_DEP_2) | instskip(SKIP_2) | instid1(VALU_DEP_2)
	v_cmp_lt_u64_e32 vcc_lo, 0xffffff, v[44:45]
	v_add_nc_u32_e32 v17, 15, v47
	v_cndmask_b32_e64 v18, 0, 1, vcc_lo
	v_cndmask_b32_e32 v17, v46, v17, vcc_lo
	s_delay_alu instid0(VALU_DEP_2)
	v_lshrrev_b64 v[44:45], v18, v[44:45]
; %bb.3054:                             ;   in Loop: Header=BB2_2129 Depth=4
	s_and_not1_saveexec_b32 s14, s14
; %bb.3055:                             ;   in Loop: Header=BB2_2129 Depth=4
	s_delay_alu instid0(VALU_DEP_1)
	v_bfe_u32 v17, v44, 23, 1
; %bb.3056:                             ;   in Loop: Header=BB2_2129 Depth=4
	s_or_b32 exec_lo, exec_lo, s14
	s_delay_alu instid0(VALU_DEP_2) | instskip(NEXT) | instid1(VALU_DEP_2)
	v_lshrrev_b64 v[18:19], 21, v[44:45]
	v_cmp_gt_i32_e32 vcc_lo, 32, v17
	v_min_i32_e32 v44, 31, v17
	v_cmp_eq_u32_e64 s14, 0, v17
	s_delay_alu instid0(VALU_DEP_2) | instskip(SKIP_1) | instid1(VALU_DEP_2)
	v_dual_cndmask_b32 v19, 0, v19 :: v_dual_lshlrev_b32 v44, 2, v44
	v_cndmask_b32_e32 v18, 3, v18, vcc_lo
	v_and_b32_e32 v44, 0xfc, v44
	s_delay_alu instid0(VALU_DEP_2) | instskip(NEXT) | instid1(VALU_DEP_2)
	v_cmp_eq_u64_e32 vcc_lo, 0, v[18:19]
	v_and_or_b32 v17, v18, 3, v44
	s_and_b32 s14, s14, vcc_lo
	s_delay_alu instid0(VALU_DEP_1) | instid1(SALU_CYCLE_1)
	v_cndmask_b32_e64 v17, v17, 0, s14
	s_delay_alu instid0(VALU_DEP_1)
	v_or_b32_e32 v17, v17, v9
.LBB2_3057:                             ;   in Loop: Header=BB2_2129 Depth=4
	s_or_b32 exec_lo, exec_lo, s77
                                        ; implicit-def: $vgpr9
.LBB2_3058:                             ;   in Loop: Header=BB2_2129 Depth=4
	s_and_not1_saveexec_b32 s14, s76
; %bb.3059:                             ;   in Loop: Header=BB2_2129 Depth=4
	v_or_b32_e32 v17, 0x7b, v9
; %bb.3060:                             ;   in Loop: Header=BB2_2129 Depth=4
	s_or_b32 exec_lo, exec_lo, s14
                                        ; implicit-def: $vgpr46
                                        ; implicit-def: $vgpr44_vgpr45
                                        ; implicit-def: $vgpr9
.LBB2_3061:                             ;   in Loop: Header=BB2_2129 Depth=4
	s_and_not1_saveexec_b32 s14, s75
	s_cbranch_execz .LBB2_3067
; %bb.3062:                             ;   in Loop: Header=BB2_2129 Depth=4
	s_mov_b32 s75, exec_lo
                                        ; implicit-def: $vgpr17
	v_cmpx_ne_u64_e32 0, v[44:45]
	s_xor_b32 s75, exec_lo, s75
; %bb.3063:                             ;   in Loop: Header=BB2_2129 Depth=4
	v_or_b32_e32 v17, 0x7f, v9
                                        ; implicit-def: $vgpr46
; %bb.3064:                             ;   in Loop: Header=BB2_2129 Depth=4
	s_and_not1_saveexec_b32 s75, s75
; %bb.3065:                             ;   in Loop: Header=BB2_2129 Depth=4
	v_cmp_lt_i32_e32 vcc_lo, -1, v46
	v_cndmask_b32_e32 v17, 0xfc, v120, vcc_lo
; %bb.3066:                             ;   in Loop: Header=BB2_2129 Depth=4
	s_or_b32 exec_lo, exec_lo, s75
.LBB2_3067:                             ;   in Loop: Header=BB2_2129 Depth=4
	s_delay_alu instid0(SALU_CYCLE_1) | instskip(SKIP_3) | instid1(VALU_DEP_2)
	s_or_b32 exec_lo, exec_lo, s14
	v_lshrrev_b16 v44, 8, v63
	v_mov_b32_e32 v9, 0
	s_mov_b32 s14, exec_lo
	v_cmpx_ne_u16_e32 0, v44
	s_cbranch_execz .LBB2_3077
; %bb.3068:                             ;   in Loop: Header=BB2_2129 Depth=4
	v_bfrev_b32_e32 v9, 1
	s_mov_b32 s75, exec_lo
	v_cmpx_ne_u16_e32 0x80, v44
	s_cbranch_execz .LBB2_3076
; %bb.3069:                             ;   in Loop: Header=BB2_2129 Depth=4
	v_and_b32_e32 v46, 0xffff, v44
	s_delay_alu instid0(VALU_DEP_1) | instskip(SKIP_1) | instid1(VALU_DEP_2)
	v_and_b32_e32 v9, 0x7c, v46
	v_and_b32_e32 v45, 3, v46
	v_cmp_ne_u32_e32 vcc_lo, 0x7c, v9
                                        ; implicit-def: $vgpr9
	s_and_saveexec_b32 s76, vcc_lo
	s_delay_alu instid0(SALU_CYCLE_1)
	s_xor_b32 s76, exec_lo, s76
	s_cbranch_execz .LBB2_3073
; %bb.3070:                             ;   in Loop: Header=BB2_2129 Depth=4
	v_bfe_u32 v9, v46, 2, 5
	s_mov_b32 s77, exec_lo
	s_delay_alu instid0(VALU_DEP_1)
	v_cmpx_eq_u32_e32 0, v9
	s_cbranch_execz .LBB2_3072
; %bb.3071:                             ;   in Loop: Header=BB2_2129 Depth=4
	v_clz_i32_u32_e32 v9, v45
	s_delay_alu instid0(VALU_DEP_1) | instskip(SKIP_1) | instid1(VALU_DEP_2)
	v_min_u32_e32 v9, 32, v9
	v_mov_b32_e32 v45, v3
	v_subrev_nc_u32_e32 v18, 29, v9
	v_sub_nc_u32_e32 v9, 30, v9
	s_delay_alu instid0(VALU_DEP_2) | instskip(NEXT) | instid1(VALU_DEP_1)
	v_lshlrev_b64_e32 v[18:19], v18, v[44:45]
	v_and_b32_e32 v45, 3, v18
.LBB2_3072:                             ;   in Loop: Header=BB2_2129 Depth=4
	s_or_b32 exec_lo, exec_lo, s77
	v_lshlrev_b32_e32 v18, 16, v63
                                        ; implicit-def: $vgpr63
	s_delay_alu instid0(VALU_DEP_1) | instskip(NEXT) | instid1(VALU_DEP_1)
	v_and_b32_e32 v18, 0x80000000, v18
	v_lshl_add_u32 v9, v9, 23, v18
	s_delay_alu instid0(VALU_DEP_1) | instskip(NEXT) | instid1(VALU_DEP_1)
	v_lshl_or_b32 v9, v45, 21, v9
                                        ; implicit-def: $vgpr45
	v_add_nc_u32_e32 v9, 0x38000000, v9
.LBB2_3073:                             ;   in Loop: Header=BB2_2129 Depth=4
	s_and_not1_saveexec_b32 s76, s76
; %bb.3074:                             ;   in Loop: Header=BB2_2129 Depth=4
	v_cmp_lt_i16_e32 vcc_lo, -1, v63
	v_cndmask_b32_e32 v9, 0xff800000, v111, vcc_lo
	v_cmp_eq_u32_e32 vcc_lo, 0, v45
	s_delay_alu instid0(VALU_DEP_2)
	v_cndmask_b32_e32 v9, 0x7f800001, v9, vcc_lo
; %bb.3075:                             ;   in Loop: Header=BB2_2129 Depth=4
	s_or_b32 exec_lo, exec_lo, s76
.LBB2_3076:                             ;   in Loop: Header=BB2_2129 Depth=4
	s_delay_alu instid0(SALU_CYCLE_1)
	s_or_b32 exec_lo, exec_lo, s75
.LBB2_3077:                             ;   in Loop: Header=BB2_2129 Depth=4
	s_delay_alu instid0(SALU_CYCLE_1) | instskip(SKIP_3) | instid1(VALU_DEP_1)
	s_or_b32 exec_lo, exec_lo, s14
	v_lshrrev_b16 v44, 8, v8
	s_mov_b32 s75, 0
	s_mov_b32 s14, exec_lo
	v_cmpx_lt_i16_e32 0x7f, v44
	s_xor_b32 s14, exec_lo, s14
	s_cbranch_execz .LBB2_3188
; %bb.3078:                             ;   in Loop: Header=BB2_2129 Depth=4
	s_mov_b32 s75, -1
	s_mov_b32 s76, exec_lo
	v_cmpx_eq_u16_e32 0x80, v44
; %bb.3079:                             ;   in Loop: Header=BB2_2129 Depth=4
	s_xor_b32 s75, exec_lo, -1
; %bb.3080:                             ;   in Loop: Header=BB2_2129 Depth=4
	s_or_b32 exec_lo, exec_lo, s76
	s_delay_alu instid0(SALU_CYCLE_1)
	s_and_b32 s75, s75, exec_lo
	s_or_saveexec_b32 s14, s14
	v_bfrev_b32_e32 v45, 1
	s_xor_b32 exec_lo, exec_lo, s14
	s_cbranch_execnz .LBB2_3189
.LBB2_3081:                             ;   in Loop: Header=BB2_2129 Depth=4
	s_or_b32 exec_lo, exec_lo, s14
	s_and_saveexec_b32 s14, s75
	s_cbranch_execz .LBB2_3083
.LBB2_3082:                             ;   in Loop: Header=BB2_2129 Depth=4
	v_and_b32_e32 v46, 0xffff, v44
	s_delay_alu instid0(VALU_DEP_1) | instskip(NEXT) | instid1(VALU_DEP_1)
	v_dual_mov_b32 v45, v3 :: v_dual_bitop2_b32 v47, 3, v46 bitop3:0x40
	v_clz_i32_u32_e32 v18, v47
	s_delay_alu instid0(VALU_DEP_1) | instskip(NEXT) | instid1(VALU_DEP_1)
	v_min_u32_e32 v63, 32, v18
	v_subrev_nc_u32_e32 v18, 29, v63
	s_delay_alu instid0(VALU_DEP_1) | instskip(SKIP_2) | instid1(VALU_DEP_2)
	v_lshlrev_b64_e32 v[18:19], v18, v[44:45]
	v_dual_lshlrev_b32 v19, 24, v44 :: v_dual_sub_nc_u32 v45, 30, v63
	v_bfe_u32 v44, v46, 2, 5
	v_and_b32_e32 v19, 0x80000000, v19
	s_delay_alu instid0(VALU_DEP_2) | instskip(NEXT) | instid1(VALU_DEP_4)
	v_cmp_eq_u32_e32 vcc_lo, 0, v44
	v_dual_cndmask_b32 v44, v44, v45, vcc_lo :: v_dual_bitop2_b32 v18, 3, v18 bitop3:0x40
	s_delay_alu instid0(VALU_DEP_1) | instskip(SKIP_1) | instid1(VALU_DEP_3)
	v_cndmask_b32_e32 v18, v47, v18, vcc_lo
	v_cmp_lt_i16_e32 vcc_lo, -1, v8
	v_lshl_add_u32 v19, v44, 23, v19
	v_cndmask_b32_e32 v8, 0xff800000, v111, vcc_lo
	v_cmp_eq_u32_e32 vcc_lo, 0, v47
	s_delay_alu instid0(VALU_DEP_3) | instskip(SKIP_1) | instid1(VALU_DEP_4)
	v_lshl_or_b32 v18, v18, 21, v19
	v_and_b32_e32 v19, 0x7c, v46
	v_cndmask_b32_e32 v8, 0x7f800001, v8, vcc_lo
	s_delay_alu instid0(VALU_DEP_3) | instskip(NEXT) | instid1(VALU_DEP_3)
	v_add_nc_u32_e32 v18, 0x38000000, v18
	v_cmp_eq_u32_e32 vcc_lo, 0x7c, v19
	s_delay_alu instid0(VALU_DEP_2)
	v_cndmask_b32_e32 v45, v18, v8, vcc_lo
.LBB2_3083:                             ;   in Loop: Header=BB2_2129 Depth=4
	s_or_b32 exec_lo, exec_lo, s14
	s_delay_alu instid0(VALU_DEP_1) | instskip(SKIP_2) | instid1(VALU_DEP_2)
	v_dual_add_f32 v44, v9, v45 :: v_dual_mov_b32 v19, v3
	v_mov_b32_e32 v9, v3
                                        ; implicit-def: $vgpr46
	s_mov_b32 s14, exec_lo
	v_and_b32_e32 v18, 0x7f800000, v44
	v_and_b32_e32 v8, 0x7fffff, v44
	v_lshrrev_b32_e32 v45, 24, v44
	s_delay_alu instid0(VALU_DEP_3)
	v_cmpx_ne_u64_e32 0x7f800000, v[18:19]
	s_xor_b32 s75, exec_lo, s14
	s_cbranch_execz .LBB2_3097
; %bb.3084:                             ;   in Loop: Header=BB2_2129 Depth=4
	v_and_b32_e32 v18, 0x7fffffff, v44
	v_mov_b32_e32 v19, v3
	v_and_b32_e32 v47, 0x80, v45
                                        ; implicit-def: $vgpr46
	s_mov_b32 s14, exec_lo
	s_delay_alu instid0(VALU_DEP_2)
	v_cmpx_gt_u64_e32 0x47600001, v[18:19]
	s_xor_b32 s76, exec_lo, s14
	s_cbranch_execz .LBB2_3094
; %bb.3085:                             ;   in Loop: Header=BB2_2129 Depth=4
	v_mov_b32_e32 v46, 0
	s_mov_b32 s77, exec_lo
	v_cmpx_ne_u32_e32 0, v44
	s_cbranch_execz .LBB2_3093
; %bb.3086:                             ;   in Loop: Header=BB2_2129 Depth=4
	v_bfe_u32 v46, v44, 23, 8
	v_or_b32_e32 v44, 0x800000, v8
	s_delay_alu instid0(VALU_DEP_2) | instskip(SKIP_1) | instid1(VALU_DEP_2)
	v_sub_nc_u32_e32 v18, 0x71, v46
	v_cmp_gt_u32_e32 vcc_lo, 0x72, v46
	v_cndmask_b32_e32 v18, 0, v18, vcc_lo
	v_cmp_eq_u32_e32 vcc_lo, 0, v46
	s_delay_alu instid0(VALU_DEP_2) | instskip(NEXT) | instid1(VALU_DEP_1)
	v_cndmask_b32_e64 v63, v18, 0x70, vcc_lo
	v_dual_cndmask_b32 v8, v44, v8, vcc_lo :: v_dual_add_nc_u32 v18, 21, v63
	v_add_nc_u32_e32 v45, 20, v63
	s_delay_alu instid0(VALU_DEP_2) | instskip(NEXT) | instid1(VALU_DEP_2)
	v_lshlrev_b64_e64 v[18:19], v18, -1
	v_lshlrev_b64_e64 v[44:45], v45, 1
	s_delay_alu instid0(VALU_DEP_2) | instskip(SKIP_1) | instid1(VALU_DEP_4)
	v_bfi_b32 v18, v18, 0, v8
	v_lshrrev_b64 v[8:9], v63, v[8:9]
	v_bfi_b32 v19, v19, 0, 0
	s_delay_alu instid0(VALU_DEP_1) | instskip(NEXT) | instid1(VALU_DEP_3)
	v_cmp_eq_u64_e64 s14, v[18:19], v[44:45]
	v_mov_b64_e32 v[44:45], v[8:9]
	s_and_saveexec_b32 s78, s14
; %bb.3087:                             ;   in Loop: Header=BB2_2129 Depth=4
	v_bfe_u32 v18, v8, 21, 1
	v_mov_b32_e32 v19, v3
	s_delay_alu instid0(VALU_DEP_1) | instskip(NEXT) | instid1(VALU_DEP_1)
	v_add_nc_u64_e32 v[18:19], v[8:9], v[18:19]
	v_add_nc_u64_e32 v[44:45], -1, v[18:19]
; %bb.3088:                             ;   in Loop: Header=BB2_2129 Depth=4
	s_or_b32 exec_lo, exec_lo, s78
	v_add_nc_u32_e32 v9, 0xffffff81, v46
	v_lshrrev_b32_e32 v18, 23, v8
	s_mov_b32 s14, exec_lo
	s_delay_alu instid0(VALU_DEP_2) | instskip(NEXT) | instid1(VALU_DEP_1)
	v_cndmask_b32_e64 v9, v9, 0xffffff82, vcc_lo
	v_add3_u32 v45, v63, v9, v18
	v_and_b32_e32 v9, 0x1fffff, v44
                                        ; implicit-def: $vgpr44
	s_delay_alu instid0(VALU_DEP_1) | instskip(SKIP_1) | instid1(VALU_DEP_2)
	v_dual_add_nc_u32 v46, 14, v45 :: v_dual_add_nc_u32 v8, v9, v8
	v_mov_b32_e32 v9, v3
	v_cmpx_ne_u32_e32 0, v46
	s_xor_b32 s14, exec_lo, s14
; %bb.3089:                             ;   in Loop: Header=BB2_2129 Depth=4
	s_delay_alu instid0(VALU_DEP_2) | instskip(SKIP_1) | instid1(VALU_DEP_1)
	v_cmp_lt_u64_e32 vcc_lo, 0xffffff, v[8:9]
	v_add_nc_u32_e32 v18, 15, v45
	v_cndmask_b32_e32 v44, v46, v18, vcc_lo
	v_cndmask_b32_e64 v18, 0, 1, vcc_lo
	s_delay_alu instid0(VALU_DEP_1)
	v_lshrrev_b64 v[8:9], v18, v[8:9]
; %bb.3090:                             ;   in Loop: Header=BB2_2129 Depth=4
	s_and_not1_saveexec_b32 s14, s14
; %bb.3091:                             ;   in Loop: Header=BB2_2129 Depth=4
	s_delay_alu instid0(VALU_DEP_1)
	v_bfe_u32 v44, v8, 23, 1
; %bb.3092:                             ;   in Loop: Header=BB2_2129 Depth=4
	s_or_b32 exec_lo, exec_lo, s14
	s_delay_alu instid0(VALU_DEP_2) | instskip(NEXT) | instid1(VALU_DEP_2)
	v_lshrrev_b64 v[8:9], 21, v[8:9]
	v_cmp_gt_i32_e32 vcc_lo, 32, v44
	v_min_i32_e32 v18, 31, v44
	v_cmp_eq_u32_e64 s14, 0, v44
	s_delay_alu instid0(VALU_DEP_2) | instskip(SKIP_1) | instid1(VALU_DEP_2)
	v_dual_cndmask_b32 v9, 0, v9 :: v_dual_lshlrev_b32 v18, 2, v18
	v_cndmask_b32_e32 v8, 3, v8, vcc_lo
	v_and_b32_e32 v18, 0xfc, v18
	s_delay_alu instid0(VALU_DEP_2) | instskip(NEXT) | instid1(VALU_DEP_2)
	v_cmp_eq_u64_e32 vcc_lo, 0, v[8:9]
	v_and_or_b32 v8, v8, 3, v18
	s_and_b32 s14, s14, vcc_lo
	s_delay_alu instid0(VALU_DEP_1) | instid1(SALU_CYCLE_1)
	v_cndmask_b32_e64 v8, v8, 0, s14
	s_delay_alu instid0(VALU_DEP_1)
	v_or_b32_e32 v46, v8, v47
.LBB2_3093:                             ;   in Loop: Header=BB2_2129 Depth=4
	s_or_b32 exec_lo, exec_lo, s77
                                        ; implicit-def: $vgpr47
.LBB2_3094:                             ;   in Loop: Header=BB2_2129 Depth=4
	s_and_not1_saveexec_b32 s14, s76
; %bb.3095:                             ;   in Loop: Header=BB2_2129 Depth=4
	v_or_b32_e32 v46, 0x7b, v47
; %bb.3096:                             ;   in Loop: Header=BB2_2129 Depth=4
	s_or_b32 exec_lo, exec_lo, s14
                                        ; implicit-def: $vgpr44
                                        ; implicit-def: $vgpr8_vgpr9
                                        ; implicit-def: $vgpr45
.LBB2_3097:                             ;   in Loop: Header=BB2_2129 Depth=4
	s_and_not1_saveexec_b32 s14, s75
	s_cbranch_execz .LBB2_3103
; %bb.3098:                             ;   in Loop: Header=BB2_2129 Depth=4
	s_mov_b32 s75, exec_lo
                                        ; implicit-def: $vgpr46
	v_cmpx_ne_u64_e32 0, v[8:9]
	s_xor_b32 s75, exec_lo, s75
; %bb.3099:                             ;   in Loop: Header=BB2_2129 Depth=4
	v_or_b32_e32 v46, 0x7f, v45
                                        ; implicit-def: $vgpr44
; %bb.3100:                             ;   in Loop: Header=BB2_2129 Depth=4
	s_and_not1_saveexec_b32 s75, s75
; %bb.3101:                             ;   in Loop: Header=BB2_2129 Depth=4
	v_cmp_lt_i32_e32 vcc_lo, -1, v44
	v_cndmask_b32_e32 v46, 0xfc, v120, vcc_lo
; %bb.3102:                             ;   in Loop: Header=BB2_2129 Depth=4
	s_or_b32 exec_lo, exec_lo, s75
.LBB2_3103:                             ;   in Loop: Header=BB2_2129 Depth=4
	s_delay_alu instid0(SALU_CYCLE_1) | instskip(SKIP_2) | instid1(VALU_DEP_1)
	s_or_b32 exec_lo, exec_lo, s14
	v_dual_mov_b32 v9, 0 :: v_dual_lshrrev_b32 v8, 16, v2
	s_mov_b32 s14, exec_lo
	v_and_b32_e32 v44, 0xff, v8
	s_delay_alu instid0(VALU_DEP_1)
	v_cmpx_ne_u16_e32 0, v44
	s_cbranch_execz .LBB2_3113
; %bb.3104:                             ;   in Loop: Header=BB2_2129 Depth=4
	v_bfrev_b32_e32 v9, 1
	s_mov_b32 s75, exec_lo
	v_cmpx_ne_u16_e32 0x80, v44
	s_cbranch_execz .LBB2_3112
; %bb.3105:                             ;   in Loop: Header=BB2_2129 Depth=4
	v_and_b32_e32 v9, 0x7c0000, v2
	v_bfe_u32 v44, v2, 16, 2
	s_delay_alu instid0(VALU_DEP_2) | instskip(SKIP_1) | instid1(SALU_CYCLE_1)
	v_cmp_ne_u32_e32 vcc_lo, 0x7c0000, v9
                                        ; implicit-def: $vgpr9
	s_and_saveexec_b32 s76, vcc_lo
	s_xor_b32 s76, exec_lo, s76
	s_cbranch_execz .LBB2_3109
; %bb.3106:                             ;   in Loop: Header=BB2_2129 Depth=4
	v_bfe_u32 v9, v2, 18, 5
	s_mov_b32 s77, exec_lo
	s_delay_alu instid0(VALU_DEP_1)
	v_cmpx_eq_u32_e32 0, v9
; %bb.3107:                             ;   in Loop: Header=BB2_2129 Depth=4
	v_clz_i32_u32_e32 v9, v44
	s_delay_alu instid0(VALU_DEP_1) | instskip(NEXT) | instid1(VALU_DEP_1)
	v_min_u32_e32 v9, 32, v9
	v_subrev_nc_u32_e32 v18, 29, v9
	s_delay_alu instid0(VALU_DEP_1) | instskip(NEXT) | instid1(VALU_DEP_1)
	v_lshlrev_b64_e32 v[18:19], v18, v[8:9]
	v_dual_sub_nc_u32 v9, 30, v9 :: v_dual_bitop2_b32 v44, 3, v18 bitop3:0x40
; %bb.3108:                             ;   in Loop: Header=BB2_2129 Depth=4
	s_or_b32 exec_lo, exec_lo, s77
	v_lshlrev_b32_e32 v8, 24, v8
	s_delay_alu instid0(VALU_DEP_1) | instskip(NEXT) | instid1(VALU_DEP_1)
	v_and_b32_e32 v8, 0x80000000, v8
	v_lshl_add_u32 v8, v9, 23, v8
	s_delay_alu instid0(VALU_DEP_1) | instskip(NEXT) | instid1(VALU_DEP_1)
	v_lshl_or_b32 v8, v44, 21, v8
                                        ; implicit-def: $vgpr44
	v_add_nc_u32_e32 v9, 0x38000000, v8
                                        ; implicit-def: $vgpr8
.LBB2_3109:                             ;   in Loop: Header=BB2_2129 Depth=4
	s_and_not1_saveexec_b32 s76, s76
; %bb.3110:                             ;   in Loop: Header=BB2_2129 Depth=4
	v_bfe_i32 v8, v8, 0, 8
	s_delay_alu instid0(VALU_DEP_1) | instskip(SKIP_2) | instid1(VALU_DEP_2)
	v_cmp_lt_i16_e32 vcc_lo, -1, v8
	v_cndmask_b32_e32 v8, 0xff800000, v111, vcc_lo
	v_cmp_eq_u32_e32 vcc_lo, 0, v44
	v_cndmask_b32_e32 v9, 0x7f800001, v8, vcc_lo
; %bb.3111:                             ;   in Loop: Header=BB2_2129 Depth=4
	s_or_b32 exec_lo, exec_lo, s76
.LBB2_3112:                             ;   in Loop: Header=BB2_2129 Depth=4
	s_delay_alu instid0(SALU_CYCLE_1)
	s_or_b32 exec_lo, exec_lo, s75
.LBB2_3113:                             ;   in Loop: Header=BB2_2129 Depth=4
	s_delay_alu instid0(SALU_CYCLE_1) | instskip(SKIP_3) | instid1(VALU_DEP_1)
	s_or_b32 exec_lo, exec_lo, s14
	v_lshrrev_b32_e32 v8, 16, v11
	s_mov_b32 s75, 0
	s_mov_b32 s14, exec_lo
	v_and_b32_e32 v45, 0xff, v8
	s_delay_alu instid0(VALU_DEP_1)
	v_cmpx_lt_i16_e32 0x7f, v45
	s_xor_b32 s14, exec_lo, s14
	s_cbranch_execz .LBB2_3190
; %bb.3114:                             ;   in Loop: Header=BB2_2129 Depth=4
	s_mov_b32 s75, -1
	s_mov_b32 s76, exec_lo
	v_cmpx_eq_u16_e32 0x80, v45
; %bb.3115:                             ;   in Loop: Header=BB2_2129 Depth=4
	s_xor_b32 s75, exec_lo, -1
; %bb.3116:                             ;   in Loop: Header=BB2_2129 Depth=4
	s_or_b32 exec_lo, exec_lo, s76
	s_delay_alu instid0(SALU_CYCLE_1)
	s_and_b32 s75, s75, exec_lo
                                        ; implicit-def: $vgpr45
	s_or_saveexec_b32 s14, s14
	v_bfrev_b32_e32 v44, 1
	s_xor_b32 exec_lo, exec_lo, s14
	s_cbranch_execnz .LBB2_3191
.LBB2_3117:                             ;   in Loop: Header=BB2_2129 Depth=4
	s_or_b32 exec_lo, exec_lo, s14
	s_and_saveexec_b32 s14, s75
	s_cbranch_execz .LBB2_3119
.LBB2_3118:                             ;   in Loop: Header=BB2_2129 Depth=4
	v_and_b32_e32 v44, 3, v8
	v_bfe_u32 v47, v11, 18, 5
	s_delay_alu instid0(VALU_DEP_2) | instskip(NEXT) | instid1(VALU_DEP_2)
	v_clz_i32_u32_e32 v18, v44
	v_cmp_eq_u32_e32 vcc_lo, 0, v47
	s_delay_alu instid0(VALU_DEP_2) | instskip(NEXT) | instid1(VALU_DEP_1)
	v_min_u32_e32 v45, 32, v18
	v_subrev_nc_u32_e32 v18, 29, v45
	s_delay_alu instid0(VALU_DEP_1) | instskip(SKIP_2) | instid1(VALU_DEP_2)
	v_lshlrev_b64_e32 v[18:19], v18, v[8:9]
	v_dual_lshlrev_b32 v19, 24, v8 :: v_dual_sub_nc_u32 v45, 30, v45
	v_bfe_i32 v8, v8, 0, 8
	v_and_b32_e32 v19, 0x80000000, v19
	s_delay_alu instid0(VALU_DEP_3) | instskip(NEXT) | instid1(VALU_DEP_1)
	v_dual_cndmask_b32 v45, v47, v45, vcc_lo :: v_dual_bitop2_b32 v18, 3, v18 bitop3:0x40
	v_cndmask_b32_e32 v18, v44, v18, vcc_lo
	s_delay_alu instid0(VALU_DEP_2) | instskip(SKIP_1) | instid1(VALU_DEP_2)
	v_lshl_add_u32 v19, v45, 23, v19
	v_cmp_lt_i16_e32 vcc_lo, -1, v8
	v_lshl_or_b32 v18, v18, 21, v19
	v_cndmask_b32_e32 v8, 0xff800000, v111, vcc_lo
	v_and_b32_e32 v19, 0x7c0000, v11
	v_cmp_eq_u32_e32 vcc_lo, 0, v44
	s_delay_alu instid0(VALU_DEP_4) | instskip(NEXT) | instid1(VALU_DEP_4)
	v_add_nc_u32_e32 v18, 0x38000000, v18
	v_cndmask_b32_e32 v8, 0x7f800001, v8, vcc_lo
	s_delay_alu instid0(VALU_DEP_4) | instskip(NEXT) | instid1(VALU_DEP_2)
	v_cmp_eq_u32_e32 vcc_lo, 0x7c0000, v19
	v_cndmask_b32_e32 v44, v18, v8, vcc_lo
.LBB2_3119:                             ;   in Loop: Header=BB2_2129 Depth=4
	s_or_b32 exec_lo, exec_lo, s14
	s_delay_alu instid0(VALU_DEP_1) | instskip(SKIP_2) | instid1(VALU_DEP_2)
	v_dual_add_f32 v45, v9, v44 :: v_dual_mov_b32 v19, v3
	v_mov_b32_e32 v9, v3
                                        ; implicit-def: $vgpr44
	s_mov_b32 s14, exec_lo
	v_and_b32_e32 v18, 0x7f800000, v45
	v_and_b32_e32 v8, 0x7fffff, v45
	v_lshrrev_b32_e32 v47, 24, v45
	s_delay_alu instid0(VALU_DEP_3)
	v_cmpx_ne_u64_e32 0x7f800000, v[18:19]
	s_xor_b32 s75, exec_lo, s14
	s_cbranch_execz .LBB2_3133
; %bb.3120:                             ;   in Loop: Header=BB2_2129 Depth=4
	v_and_b32_e32 v18, 0x7fffffff, v45
	v_mov_b32_e32 v19, v3
	v_and_b32_e32 v47, 0x80, v47
                                        ; implicit-def: $vgpr44
	s_mov_b32 s14, exec_lo
	s_delay_alu instid0(VALU_DEP_2)
	v_cmpx_gt_u64_e32 0x47600001, v[18:19]
	s_xor_b32 s76, exec_lo, s14
	s_cbranch_execz .LBB2_3130
; %bb.3121:                             ;   in Loop: Header=BB2_2129 Depth=4
	v_mov_b32_e32 v44, 0
	s_mov_b32 s77, exec_lo
	v_cmpx_ne_u32_e32 0, v45
	s_cbranch_execz .LBB2_3129
; %bb.3122:                             ;   in Loop: Header=BB2_2129 Depth=4
	v_bfe_u32 v63, v45, 23, 8
	v_or_b32_e32 v44, 0x800000, v8
	s_delay_alu instid0(VALU_DEP_2) | instskip(SKIP_1) | instid1(VALU_DEP_2)
	v_sub_nc_u32_e32 v18, 0x71, v63
	v_cmp_gt_u32_e32 vcc_lo, 0x72, v63
	v_cndmask_b32_e32 v18, 0, v18, vcc_lo
	v_cmp_eq_u32_e32 vcc_lo, 0, v63
	s_delay_alu instid0(VALU_DEP_2) | instskip(NEXT) | instid1(VALU_DEP_1)
	v_cndmask_b32_e64 v73, v18, 0x70, vcc_lo
	v_dual_cndmask_b32 v8, v44, v8, vcc_lo :: v_dual_add_nc_u32 v18, 21, v73
	v_add_nc_u32_e32 v45, 20, v73
	s_delay_alu instid0(VALU_DEP_2) | instskip(NEXT) | instid1(VALU_DEP_2)
	v_lshlrev_b64_e64 v[18:19], v18, -1
	v_lshlrev_b64_e64 v[44:45], v45, 1
	s_delay_alu instid0(VALU_DEP_2) | instskip(SKIP_1) | instid1(VALU_DEP_4)
	v_bfi_b32 v18, v18, 0, v8
	v_lshrrev_b64 v[8:9], v73, v[8:9]
	v_bfi_b32 v19, v19, 0, 0
	s_delay_alu instid0(VALU_DEP_1) | instskip(NEXT) | instid1(VALU_DEP_3)
	v_cmp_eq_u64_e64 s14, v[18:19], v[44:45]
	v_mov_b64_e32 v[44:45], v[8:9]
	s_and_saveexec_b32 s78, s14
; %bb.3123:                             ;   in Loop: Header=BB2_2129 Depth=4
	v_bfe_u32 v18, v8, 21, 1
	v_mov_b32_e32 v19, v3
	s_delay_alu instid0(VALU_DEP_1) | instskip(NEXT) | instid1(VALU_DEP_1)
	v_add_nc_u64_e32 v[18:19], v[8:9], v[18:19]
	v_add_nc_u64_e32 v[44:45], -1, v[18:19]
; %bb.3124:                             ;   in Loop: Header=BB2_2129 Depth=4
	s_or_b32 exec_lo, exec_lo, s78
	v_add_nc_u32_e32 v9, 0xffffff81, v63
	v_lshrrev_b32_e32 v18, 23, v8
	s_mov_b32 s14, exec_lo
	s_delay_alu instid0(VALU_DEP_2) | instskip(NEXT) | instid1(VALU_DEP_1)
	v_cndmask_b32_e64 v9, v9, 0xffffff82, vcc_lo
	v_add3_u32 v45, v73, v9, v18
	v_and_b32_e32 v9, 0x1fffff, v44
                                        ; implicit-def: $vgpr44
	s_delay_alu instid0(VALU_DEP_1) | instskip(SKIP_1) | instid1(VALU_DEP_2)
	v_dual_add_nc_u32 v63, 14, v45 :: v_dual_add_nc_u32 v8, v9, v8
	v_mov_b32_e32 v9, v3
	v_cmpx_ne_u32_e32 0, v63
	s_xor_b32 s14, exec_lo, s14
; %bb.3125:                             ;   in Loop: Header=BB2_2129 Depth=4
	s_delay_alu instid0(VALU_DEP_2) | instskip(SKIP_1) | instid1(VALU_DEP_1)
	v_cmp_lt_u64_e32 vcc_lo, 0xffffff, v[8:9]
	v_add_nc_u32_e32 v18, 15, v45
	v_cndmask_b32_e32 v44, v63, v18, vcc_lo
	v_cndmask_b32_e64 v18, 0, 1, vcc_lo
	s_delay_alu instid0(VALU_DEP_1)
	v_lshrrev_b64 v[8:9], v18, v[8:9]
; %bb.3126:                             ;   in Loop: Header=BB2_2129 Depth=4
	s_and_not1_saveexec_b32 s14, s14
; %bb.3127:                             ;   in Loop: Header=BB2_2129 Depth=4
	s_delay_alu instid0(VALU_DEP_1)
	v_bfe_u32 v44, v8, 23, 1
; %bb.3128:                             ;   in Loop: Header=BB2_2129 Depth=4
	s_or_b32 exec_lo, exec_lo, s14
	s_delay_alu instid0(VALU_DEP_2) | instskip(NEXT) | instid1(VALU_DEP_2)
	v_lshrrev_b64 v[8:9], 21, v[8:9]
	v_cmp_gt_i32_e32 vcc_lo, 32, v44
	v_min_i32_e32 v18, 31, v44
	v_cmp_eq_u32_e64 s14, 0, v44
	s_delay_alu instid0(VALU_DEP_2) | instskip(SKIP_1) | instid1(VALU_DEP_2)
	v_dual_cndmask_b32 v9, 0, v9 :: v_dual_lshlrev_b32 v18, 2, v18
	v_cndmask_b32_e32 v8, 3, v8, vcc_lo
	v_and_b32_e32 v18, 0xfc, v18
	s_delay_alu instid0(VALU_DEP_2) | instskip(NEXT) | instid1(VALU_DEP_2)
	v_cmp_eq_u64_e32 vcc_lo, 0, v[8:9]
	v_and_or_b32 v8, v8, 3, v18
	s_and_b32 s14, s14, vcc_lo
	s_delay_alu instid0(VALU_DEP_1) | instid1(SALU_CYCLE_1)
	v_cndmask_b32_e64 v8, v8, 0, s14
	s_delay_alu instid0(VALU_DEP_1)
	v_or_b32_e32 v44, v8, v47
.LBB2_3129:                             ;   in Loop: Header=BB2_2129 Depth=4
	s_or_b32 exec_lo, exec_lo, s77
                                        ; implicit-def: $vgpr47
.LBB2_3130:                             ;   in Loop: Header=BB2_2129 Depth=4
	s_and_not1_saveexec_b32 s14, s76
; %bb.3131:                             ;   in Loop: Header=BB2_2129 Depth=4
	v_or_b32_e32 v44, 0x7b, v47
; %bb.3132:                             ;   in Loop: Header=BB2_2129 Depth=4
	s_or_b32 exec_lo, exec_lo, s14
                                        ; implicit-def: $vgpr45
                                        ; implicit-def: $vgpr8_vgpr9
                                        ; implicit-def: $vgpr47
.LBB2_3133:                             ;   in Loop: Header=BB2_2129 Depth=4
	s_and_not1_saveexec_b32 s14, s75
	s_cbranch_execz .LBB2_3139
; %bb.3134:                             ;   in Loop: Header=BB2_2129 Depth=4
	s_mov_b32 s75, exec_lo
                                        ; implicit-def: $vgpr44
	v_cmpx_ne_u64_e32 0, v[8:9]
	s_xor_b32 s75, exec_lo, s75
; %bb.3135:                             ;   in Loop: Header=BB2_2129 Depth=4
	v_or_b32_e32 v44, 0x7f, v47
                                        ; implicit-def: $vgpr45
; %bb.3136:                             ;   in Loop: Header=BB2_2129 Depth=4
	s_and_not1_saveexec_b32 s75, s75
; %bb.3137:                             ;   in Loop: Header=BB2_2129 Depth=4
	v_cmp_lt_i32_e32 vcc_lo, -1, v45
	v_cndmask_b32_e32 v44, 0xfc, v120, vcc_lo
; %bb.3138:                             ;   in Loop: Header=BB2_2129 Depth=4
	s_or_b32 exec_lo, exec_lo, s75
.LBB2_3139:                             ;   in Loop: Header=BB2_2129 Depth=4
	s_delay_alu instid0(SALU_CYCLE_1)
	s_or_b32 exec_lo, exec_lo, s14
	v_mov_b32_e32 v9, 0
	s_mov_b32 s14, exec_lo
	v_cmpx_lt_u32_e32 0xffffff, v2
	s_cbranch_execz .LBB2_3149
; %bb.3140:                             ;   in Loop: Header=BB2_2129 Depth=4
	v_lshrrev_b32_e32 v8, 24, v2
	v_bfrev_b32_e32 v9, 1
	s_mov_b32 s75, exec_lo
	s_delay_alu instid0(VALU_DEP_2)
	v_cmpx_ne_u32_e32 0x80, v8
	s_cbranch_execz .LBB2_3148
; %bb.3141:                             ;   in Loop: Header=BB2_2129 Depth=4
	v_and_b32_e32 v9, 0x7c000000, v2
	v_bfe_u32 v45, v2, 24, 2
	s_delay_alu instid0(VALU_DEP_2) | instskip(SKIP_1) | instid1(SALU_CYCLE_1)
	v_cmp_ne_u32_e32 vcc_lo, 0x7c000000, v9
                                        ; implicit-def: $vgpr9
	s_and_saveexec_b32 s76, vcc_lo
	s_xor_b32 s76, exec_lo, s76
	s_cbranch_execz .LBB2_3145
; %bb.3142:                             ;   in Loop: Header=BB2_2129 Depth=4
	v_bfe_u32 v9, v2, 26, 5
	s_mov_b32 s77, exec_lo
	s_delay_alu instid0(VALU_DEP_1)
	v_cmpx_eq_u32_e32 0, v9
; %bb.3143:                             ;   in Loop: Header=BB2_2129 Depth=4
	v_clz_i32_u32_e32 v9, v45
	s_delay_alu instid0(VALU_DEP_1) | instskip(NEXT) | instid1(VALU_DEP_1)
	v_min_u32_e32 v18, 32, v9
	v_subrev_nc_u32_e32 v9, 29, v18
	s_delay_alu instid0(VALU_DEP_1) | instskip(NEXT) | instid1(VALU_DEP_1)
	v_lshlrev_b64_e32 v[8:9], v9, v[8:9]
	v_dual_sub_nc_u32 v9, 30, v18 :: v_dual_bitop2_b32 v45, 3, v8 bitop3:0x40
; %bb.3144:                             ;   in Loop: Header=BB2_2129 Depth=4
	s_or_b32 exec_lo, exec_lo, s77
	v_and_b32_e32 v2, 0x80000000, v2
	s_delay_alu instid0(VALU_DEP_1) | instskip(NEXT) | instid1(VALU_DEP_1)
	v_lshl_add_u32 v2, v9, 23, v2
	v_lshl_or_b32 v2, v45, 21, v2
                                        ; implicit-def: $vgpr45
	s_delay_alu instid0(VALU_DEP_1)
	v_add_nc_u32_e32 v9, 0x38000000, v2
.LBB2_3145:                             ;   in Loop: Header=BB2_2129 Depth=4
	s_and_not1_saveexec_b32 s76, s76
; %bb.3146:                             ;   in Loop: Header=BB2_2129 Depth=4
	v_cmp_lt_i32_e32 vcc_lo, -1, v2
	v_cndmask_b32_e32 v2, 0xff800000, v111, vcc_lo
	v_cmp_eq_u32_e32 vcc_lo, 0, v45
	s_delay_alu instid0(VALU_DEP_2)
	v_cndmask_b32_e32 v9, 0x7f800001, v2, vcc_lo
; %bb.3147:                             ;   in Loop: Header=BB2_2129 Depth=4
	s_or_b32 exec_lo, exec_lo, s76
.LBB2_3148:                             ;   in Loop: Header=BB2_2129 Depth=4
	s_delay_alu instid0(SALU_CYCLE_1)
	s_or_b32 exec_lo, exec_lo, s75
.LBB2_3149:                             ;   in Loop: Header=BB2_2129 Depth=4
	s_delay_alu instid0(SALU_CYCLE_1) | instskip(SKIP_2) | instid1(VALU_DEP_2)
	s_or_b32 exec_lo, exec_lo, s14
	v_bfe_u32 v8, v11, 24, 2
	v_bfe_u32 v47, v11, 26, 5
	v_clz_i32_u32_e32 v2, v8
	s_delay_alu instid0(VALU_DEP_2) | instskip(NEXT) | instid1(VALU_DEP_2)
	v_cmp_eq_u32_e32 vcc_lo, 0, v47
	v_min_u32_e32 v45, 32, v2
	v_lshrrev_b32_e32 v2, 24, v11
	s_delay_alu instid0(VALU_DEP_2) | instskip(NEXT) | instid1(VALU_DEP_1)
	v_subrev_nc_u32_e32 v18, 29, v45
	v_lshlrev_b64_e32 v[18:19], v18, v[2:3]
	v_sub_nc_u32_e32 v19, 30, v45
	v_and_b32_e32 v45, 0x80000000, v11
	s_delay_alu instid0(VALU_DEP_2) | instskip(NEXT) | instid1(VALU_DEP_1)
	v_dual_cndmask_b32 v19, v47, v19, vcc_lo :: v_dual_bitop2_b32 v18, 3, v18 bitop3:0x40
	v_lshl_add_u32 v19, v19, 23, v45
	s_delay_alu instid0(VALU_DEP_2) | instskip(SKIP_1) | instid1(VALU_DEP_2)
	v_cndmask_b32_e32 v18, v8, v18, vcc_lo
	v_cmp_lt_i64_e32 vcc_lo, -1, v[10:11]
	v_lshl_or_b32 v18, v18, 21, v19
	v_and_b32_e32 v19, 0x7c000000, v11
	v_cndmask_b32_e32 v45, 0xff800000, v111, vcc_lo
	v_cmp_eq_u32_e32 vcc_lo, 0, v8
	s_delay_alu instid0(VALU_DEP_4) | instskip(NEXT) | instid1(VALU_DEP_3)
	v_add_nc_u32_e32 v18, 0x38000000, v18
	v_cndmask_b32_e32 v8, 0x7f800001, v45, vcc_lo
	v_cmp_eq_u32_e32 vcc_lo, 0x7c000000, v19
	s_delay_alu instid0(VALU_DEP_2) | instskip(SKIP_1) | instid1(VALU_DEP_2)
	v_cndmask_b32_e32 v8, v18, v8, vcc_lo
	v_cmp_ne_u32_e32 vcc_lo, 0x80, v2
	v_cndmask_b32_e32 v2, 0x80000000, v8, vcc_lo
	v_cmp_lt_u64_e32 vcc_lo, s[22:23], v[10:11]
	v_mov_b32_e32 v11, v3
                                        ; implicit-def: $vgpr8
	s_delay_alu instid0(VALU_DEP_3) | instskip(NEXT) | instid1(VALU_DEP_1)
	v_cndmask_b32_e32 v2, 0, v2, vcc_lo
	v_add_f32_e32 v9, v2, v9
	s_delay_alu instid0(VALU_DEP_1) | instskip(SKIP_1) | instid1(VALU_DEP_2)
	v_and_b32_e32 v10, 0x7f800000, v9
	v_and_b32_e32 v2, 0x7fffff, v9
	v_cmp_ne_u64_e32 vcc_lo, 0x7f800000, v[10:11]
	v_lshrrev_b32_e32 v10, 24, v9
	s_and_saveexec_b32 s14, vcc_lo
	s_delay_alu instid0(SALU_CYCLE_1)
	s_xor_b32 s75, exec_lo, s14
	s_cbranch_execz .LBB2_3163
; %bb.3150:                             ;   in Loop: Header=BB2_2129 Depth=4
	v_and_b32_e32 v18, 0x7fffffff, v9
	v_mov_b32_e32 v19, v3
	v_and_b32_e32 v45, 0x80, v10
                                        ; implicit-def: $vgpr8
	s_mov_b32 s14, exec_lo
	s_delay_alu instid0(VALU_DEP_2)
	v_cmpx_gt_u64_e32 0x47600001, v[18:19]
	s_xor_b32 s76, exec_lo, s14
	s_cbranch_execz .LBB2_3160
; %bb.3151:                             ;   in Loop: Header=BB2_2129 Depth=4
	v_mov_b32_e32 v8, 0
	s_mov_b32 s77, exec_lo
	v_cmpx_ne_u32_e32 0, v9
	s_cbranch_execz .LBB2_3159
; %bb.3152:                             ;   in Loop: Header=BB2_2129 Depth=4
	v_bfe_u32 v47, v9, 23, 8
	v_or_b32_e32 v10, 0x800000, v2
	s_delay_alu instid0(VALU_DEP_2) | instskip(SKIP_1) | instid1(VALU_DEP_2)
	v_sub_nc_u32_e32 v8, 0x71, v47
	v_cmp_gt_u32_e32 vcc_lo, 0x72, v47
	v_cndmask_b32_e32 v8, 0, v8, vcc_lo
	v_cmp_eq_u32_e32 vcc_lo, 0, v47
	s_delay_alu instid0(VALU_DEP_2) | instskip(NEXT) | instid1(VALU_DEP_1)
	v_cndmask_b32_e64 v63, v8, 0x70, vcc_lo
	v_dual_cndmask_b32 v2, v10, v2, vcc_lo :: v_dual_add_nc_u32 v8, 21, v63
	v_add_nc_u32_e32 v11, 20, v63
	s_delay_alu instid0(VALU_DEP_2) | instskip(NEXT) | instid1(VALU_DEP_2)
	v_lshlrev_b64_e64 v[8:9], v8, -1
	v_lshlrev_b64_e64 v[10:11], v11, 1
	s_delay_alu instid0(VALU_DEP_2) | instskip(NEXT) | instid1(VALU_DEP_3)
	v_bfi_b32 v19, v9, 0, 0
	v_bfi_b32 v18, v8, 0, v2
	v_lshrrev_b64 v[8:9], v63, v[2:3]
	s_delay_alu instid0(VALU_DEP_2) | instskip(NEXT) | instid1(VALU_DEP_2)
	v_cmp_eq_u64_e64 s14, v[18:19], v[10:11]
	v_mov_b64_e32 v[10:11], v[8:9]
	s_and_saveexec_b32 s78, s14
; %bb.3153:                             ;   in Loop: Header=BB2_2129 Depth=4
	v_bfe_u32 v2, v8, 21, 1
	s_delay_alu instid0(VALU_DEP_1) | instskip(NEXT) | instid1(VALU_DEP_1)
	v_add_nc_u64_e32 v[10:11], v[8:9], v[2:3]
	v_add_nc_u64_e32 v[10:11], -1, v[10:11]
; %bb.3154:                             ;   in Loop: Header=BB2_2129 Depth=4
	s_or_b32 exec_lo, exec_lo, s78
	v_add_nc_u32_e32 v2, 0xffffff81, v47
	v_lshrrev_b32_e32 v9, 23, v8
	s_mov_b32 s14, exec_lo
	s_delay_alu instid0(VALU_DEP_2) | instskip(NEXT) | instid1(VALU_DEP_1)
	v_cndmask_b32_e64 v2, v2, 0xffffff82, vcc_lo
	v_add3_u32 v11, v63, v2, v9
	v_and_b32_e32 v2, 0x1fffff, v10
                                        ; implicit-def: $vgpr10
	s_delay_alu instid0(VALU_DEP_1) | instskip(NEXT) | instid1(VALU_DEP_1)
	v_dual_add_nc_u32 v47, 14, v11 :: v_dual_add_nc_u32 v2, v2, v8
                                        ; implicit-def: $vgpr8_vgpr9
	v_cmpx_ne_u32_e32 0, v47
	s_xor_b32 s14, exec_lo, s14
; %bb.3155:                             ;   in Loop: Header=BB2_2129 Depth=4
	s_delay_alu instid0(VALU_DEP_2) | instskip(SKIP_1) | instid1(VALU_DEP_1)
	v_cmp_lt_u64_e32 vcc_lo, 0xffffff, v[2:3]
	v_add_nc_u32_e32 v8, 15, v11
	v_cndmask_b32_e32 v10, v47, v8, vcc_lo
	v_cndmask_b32_e64 v8, 0, 1, vcc_lo
	s_delay_alu instid0(VALU_DEP_1)
	v_lshrrev_b64 v[8:9], v8, v[2:3]
; %bb.3156:                             ;   in Loop: Header=BB2_2129 Depth=4
	s_and_not1_saveexec_b32 s14, s14
; %bb.3157:                             ;   in Loop: Header=BB2_2129 Depth=4
	v_mov_b64_e32 v[8:9], v[2:3]
	v_bfe_u32 v10, v2, 23, 1
; %bb.3158:                             ;   in Loop: Header=BB2_2129 Depth=4
	s_or_b32 exec_lo, exec_lo, s14
	s_delay_alu instid0(VALU_DEP_2) | instskip(NEXT) | instid1(VALU_DEP_2)
	v_lshrrev_b64 v[8:9], 21, v[8:9]
	v_cmp_gt_i32_e32 vcc_lo, 32, v10
	v_min_i32_e32 v2, 31, v10
	v_cmp_eq_u32_e64 s14, 0, v10
	s_delay_alu instid0(VALU_DEP_2) | instskip(SKIP_1) | instid1(VALU_DEP_2)
	v_dual_cndmask_b32 v9, 0, v9 :: v_dual_lshlrev_b32 v2, 2, v2
	v_cndmask_b32_e32 v8, 3, v8, vcc_lo
	v_and_b32_e32 v2, 0xfc, v2
	s_delay_alu instid0(VALU_DEP_2) | instskip(NEXT) | instid1(VALU_DEP_2)
	v_cmp_eq_u64_e32 vcc_lo, 0, v[8:9]
	v_and_or_b32 v2, v8, 3, v2
	s_and_b32 s14, s14, vcc_lo
	s_delay_alu instid0(VALU_DEP_1) | instid1(SALU_CYCLE_1)
	v_cndmask_b32_e64 v2, v2, 0, s14
	s_delay_alu instid0(VALU_DEP_1)
	v_or_b32_e32 v8, v2, v45
.LBB2_3159:                             ;   in Loop: Header=BB2_2129 Depth=4
	s_or_b32 exec_lo, exec_lo, s77
                                        ; implicit-def: $vgpr45
.LBB2_3160:                             ;   in Loop: Header=BB2_2129 Depth=4
	s_and_not1_saveexec_b32 s14, s76
; %bb.3161:                             ;   in Loop: Header=BB2_2129 Depth=4
	v_or_b32_e32 v8, 0x7b, v45
; %bb.3162:                             ;   in Loop: Header=BB2_2129 Depth=4
	s_or_b32 exec_lo, exec_lo, s14
                                        ; implicit-def: $vgpr9
                                        ; implicit-def: $vgpr10
.LBB2_3163:                             ;   in Loop: Header=BB2_2129 Depth=4
	s_and_not1_saveexec_b32 s14, s75
	s_cbranch_execz .LBB2_2128
; %bb.3164:                             ;   in Loop: Header=BB2_2129 Depth=4
	s_mov_b32 s75, exec_lo
                                        ; implicit-def: $vgpr8
	v_cmpx_ne_u64_e32 0, v[2:3]
	s_xor_b32 s75, exec_lo, s75
; %bb.3165:                             ;   in Loop: Header=BB2_2129 Depth=4
	v_or_b32_e32 v8, 0x7f, v10
                                        ; implicit-def: $vgpr9
; %bb.3166:                             ;   in Loop: Header=BB2_2129 Depth=4
	s_and_not1_saveexec_b32 s75, s75
	s_cbranch_execz .LBB2_2127
; %bb.3167:                             ;   in Loop: Header=BB2_2129 Depth=4
	v_cmp_lt_i32_e32 vcc_lo, -1, v9
	v_cndmask_b32_e32 v8, 0xfc, v120, vcc_lo
	s_branch .LBB2_2127
.LBB2_3168:                             ;   in Loop: Header=BB2_2129 Depth=4
	s_or_saveexec_b32 s14, s14
	v_bfrev_b32_e32 v16, 1
	s_xor_b32 exec_lo, exec_lo, s14
	s_cbranch_execz .LBB2_2631
.LBB2_3169:                             ;   in Loop: Header=BB2_2129 Depth=4
	v_cmp_ne_u16_e32 vcc_lo, 0, v45
	v_mov_b32_e32 v16, 0
	s_and_not1_b32 s75, s75, exec_lo
	s_and_b32 s76, vcc_lo, exec_lo
	s_delay_alu instid0(SALU_CYCLE_1)
	s_or_b32 s75, s75, s76
	s_or_b32 exec_lo, exec_lo, s14
	s_and_saveexec_b32 s14, s75
	s_cbranch_execnz .LBB2_2632
	s_branch .LBB2_2633
.LBB2_3170:                             ;   in Loop: Header=BB2_2129 Depth=4
	s_or_saveexec_b32 s14, s14
	v_bfrev_b32_e32 v30, 1
	s_xor_b32 exec_lo, exec_lo, s14
	s_cbranch_execz .LBB2_2667
.LBB2_3171:                             ;   in Loop: Header=BB2_2129 Depth=4
	v_cmp_ne_u16_e32 vcc_lo, 0, v44
	v_mov_b32_e32 v30, 0
	s_and_not1_b32 s75, s75, exec_lo
	s_and_b32 s76, vcc_lo, exec_lo
	s_delay_alu instid0(SALU_CYCLE_1)
	s_or_b32 s75, s75, s76
	s_or_b32 exec_lo, exec_lo, s14
	s_and_saveexec_b32 s14, s75
	s_cbranch_execnz .LBB2_2668
	s_branch .LBB2_2669
.LBB2_3172:                             ;   in Loop: Header=BB2_2129 Depth=4
	s_or_saveexec_b32 s14, s14
	v_bfrev_b32_e32 v45, 1
	s_xor_b32 exec_lo, exec_lo, s14
	s_cbranch_execz .LBB2_2703
.LBB2_3173:                             ;   in Loop: Header=BB2_2129 Depth=4
	v_cmp_ne_u16_e32 vcc_lo, 0, v46
	v_mov_b32_e32 v45, 0
	s_and_not1_b32 s75, s75, exec_lo
	s_and_b32 s76, vcc_lo, exec_lo
	s_delay_alu instid0(SALU_CYCLE_1)
	s_or_b32 s75, s75, s76
	s_or_b32 exec_lo, exec_lo, s14
	s_and_saveexec_b32 s14, s75
	s_cbranch_execnz .LBB2_2704
	s_branch .LBB2_2705
.LBB2_3174:                             ;   in Loop: Header=BB2_2129 Depth=4
	s_or_saveexec_b32 s14, s14
	v_bfrev_b32_e32 v47, 1
	s_xor_b32 exec_lo, exec_lo, s14
	s_cbranch_execz .LBB2_2769
.LBB2_3175:                             ;   in Loop: Header=BB2_2129 Depth=4
	v_cmp_ne_u16_e32 vcc_lo, 0, v45
	v_mov_b32_e32 v47, 0
	s_and_not1_b32 s75, s75, exec_lo
	s_and_b32 s76, vcc_lo, exec_lo
	s_delay_alu instid0(SALU_CYCLE_1)
	s_or_b32 s75, s75, s76
	s_or_b32 exec_lo, exec_lo, s14
	v_mov_b32_e32 v45, v3
	s_and_saveexec_b32 s14, s75
	s_cbranch_execnz .LBB2_2770
	s_branch .LBB2_2771
.LBB2_3176:                             ;   in Loop: Header=BB2_2129 Depth=4
	s_or_saveexec_b32 s14, s14
	v_bfrev_b32_e32 v30, 1
	s_xor_b32 exec_lo, exec_lo, s14
	s_cbranch_execz .LBB2_2805
.LBB2_3177:                             ;   in Loop: Header=BB2_2129 Depth=4
	v_cmp_ne_u16_e32 vcc_lo, 0, v46
	v_mov_b32_e32 v30, 0
	s_and_not1_b32 s75, s75, exec_lo
	s_and_b32 s76, vcc_lo, exec_lo
	s_delay_alu instid0(SALU_CYCLE_1)
	s_or_b32 s75, s75, s76
	s_or_b32 exec_lo, exec_lo, s14
	s_and_saveexec_b32 s14, s75
	s_cbranch_execnz .LBB2_2806
	s_branch .LBB2_2807
.LBB2_3178:                             ;   in Loop: Header=BB2_2129 Depth=4
	s_or_saveexec_b32 s14, s14
	v_bfrev_b32_e32 v45, 1
	s_xor_b32 exec_lo, exec_lo, s14
	s_cbranch_execz .LBB2_2841
.LBB2_3179:                             ;   in Loop: Header=BB2_2129 Depth=4
	v_cmp_ne_u16_e32 vcc_lo, 0, v46
	v_mov_b32_e32 v45, 0
	s_and_not1_b32 s75, s75, exec_lo
	s_and_b32 s76, vcc_lo, exec_lo
	s_delay_alu instid0(SALU_CYCLE_1)
	s_or_b32 s75, s75, s76
	s_or_b32 exec_lo, exec_lo, s14
	s_and_saveexec_b32 s14, s75
	s_cbranch_execnz .LBB2_2842
	s_branch .LBB2_2843
.LBB2_3180:                             ;   in Loop: Header=BB2_2129 Depth=4
	s_or_saveexec_b32 s14, s14
	v_bfrev_b32_e32 v9, 1
	s_xor_b32 exec_lo, exec_lo, s14
	s_cbranch_execz .LBB2_2907
.LBB2_3181:                             ;   in Loop: Header=BB2_2129 Depth=4
	v_cmp_ne_u16_e32 vcc_lo, 0, v44
	v_mov_b32_e32 v9, 0
	s_and_not1_b32 s75, s75, exec_lo
	s_and_b32 s76, vcc_lo, exec_lo
	s_delay_alu instid0(SALU_CYCLE_1)
	s_or_b32 s75, s75, s76
	s_or_b32 exec_lo, exec_lo, s14
	s_and_saveexec_b32 s14, s75
	s_cbranch_execnz .LBB2_2908
	s_branch .LBB2_2909
.LBB2_3182:                             ;   in Loop: Header=BB2_2129 Depth=4
	s_or_saveexec_b32 s14, s14
	v_bfrev_b32_e32 v9, 1
	s_xor_b32 exec_lo, exec_lo, s14
	s_cbranch_execz .LBB2_2943
.LBB2_3183:                             ;   in Loop: Header=BB2_2129 Depth=4
	v_cmp_ne_u16_e32 vcc_lo, 0, v8
	v_mov_b32_e32 v9, 0
	s_and_not1_b32 s75, s75, exec_lo
	s_and_b32 s76, vcc_lo, exec_lo
	s_delay_alu instid0(SALU_CYCLE_1)
	s_or_b32 s75, s75, s76
	s_or_b32 exec_lo, exec_lo, s14
	s_and_saveexec_b32 s14, s75
	s_cbranch_execnz .LBB2_2944
	s_branch .LBB2_2945
.LBB2_3184:                             ;   in Loop: Header=BB2_2129 Depth=4
	s_or_saveexec_b32 s14, s14
	v_bfrev_b32_e32 v44, 1
	s_xor_b32 exec_lo, exec_lo, s14
	s_cbranch_execz .LBB2_2979
.LBB2_3185:                             ;   in Loop: Header=BB2_2129 Depth=4
	v_cmp_ne_u16_e32 vcc_lo, 0, v45
	v_mov_b32_e32 v44, 0
	s_and_not1_b32 s75, s75, exec_lo
	s_and_b32 s76, vcc_lo, exec_lo
	s_delay_alu instid0(SALU_CYCLE_1)
	s_or_b32 s75, s75, s76
	s_or_b32 exec_lo, exec_lo, s14
	s_and_saveexec_b32 s14, s75
	s_cbranch_execnz .LBB2_2980
	s_branch .LBB2_2981
.LBB2_3186:                             ;   in Loop: Header=BB2_2129 Depth=4
	s_or_saveexec_b32 s14, s14
	v_bfrev_b32_e32 v17, 1
	s_xor_b32 exec_lo, exec_lo, s14
	s_cbranch_execz .LBB2_3045
.LBB2_3187:                             ;   in Loop: Header=BB2_2129 Depth=4
	v_cmp_ne_u16_e32 vcc_lo, 0, v9
	v_mov_b32_e32 v17, 0
	s_and_not1_b32 s75, s75, exec_lo
	s_and_b32 s76, vcc_lo, exec_lo
	s_delay_alu instid0(SALU_CYCLE_1)
	s_or_b32 s75, s75, s76
	s_or_b32 exec_lo, exec_lo, s14
	v_mov_b32_e32 v9, v3
	s_and_saveexec_b32 s14, s75
	s_cbranch_execnz .LBB2_3046
	s_branch .LBB2_3047
.LBB2_3188:                             ;   in Loop: Header=BB2_2129 Depth=4
	s_or_saveexec_b32 s14, s14
	v_bfrev_b32_e32 v45, 1
	s_xor_b32 exec_lo, exec_lo, s14
	s_cbranch_execz .LBB2_3081
.LBB2_3189:                             ;   in Loop: Header=BB2_2129 Depth=4
	v_cmp_ne_u16_e32 vcc_lo, 0, v44
	v_mov_b32_e32 v45, 0
	s_and_not1_b32 s75, s75, exec_lo
	s_and_b32 s76, vcc_lo, exec_lo
	s_delay_alu instid0(SALU_CYCLE_1)
	s_or_b32 s75, s75, s76
	s_or_b32 exec_lo, exec_lo, s14
	s_and_saveexec_b32 s14, s75
	s_cbranch_execnz .LBB2_3082
	s_branch .LBB2_3083
.LBB2_3190:                             ;   in Loop: Header=BB2_2129 Depth=4
	s_or_saveexec_b32 s14, s14
	v_bfrev_b32_e32 v44, 1
	s_xor_b32 exec_lo, exec_lo, s14
	s_cbranch_execz .LBB2_3117
.LBB2_3191:                             ;   in Loop: Header=BB2_2129 Depth=4
	v_cmp_ne_u16_e32 vcc_lo, 0, v45
	v_mov_b32_e32 v44, 0
	s_and_not1_b32 s75, s75, exec_lo
	s_and_b32 s76, vcc_lo, exec_lo
	s_delay_alu instid0(SALU_CYCLE_1)
	s_or_b32 s75, s75, s76
	s_or_b32 exec_lo, exec_lo, s14
	s_and_saveexec_b32 s14, s75
	s_cbranch_execnz .LBB2_3118
	s_branch .LBB2_3119
.LBB2_3192:                             ;   in Loop: Header=BB2_2050 Depth=3
	s_or_b32 exec_lo, exec_lo, s72
.LBB2_3193:                             ;   in Loop: Header=BB2_2050 Depth=3
	s_delay_alu instid0(SALU_CYCLE_1) | instskip(SKIP_3) | instid1(VALU_DEP_1)
	s_or_b32 exec_lo, exec_lo, s15
	v_dual_mov_b32 v30, 0 :: v_dual_bitop2_b32 v2, 15, v101 bitop3:0x40
	s_mov_b32 s14, 0
	s_mov_b32 s15, exec_lo
                                        ; implicit-def: $vgpr93
                                        ; implicit-def: $vgpr16
	v_cndmask_b32_e64 v58, v59, v2, s13
	s_delay_alu instid0(VALU_DEP_1)
	v_cmpx_ne_u32_e32 0, v58
	s_cbranch_execz .LBB2_4263
; %bb.3194:                             ;   in Loop: Header=BB2_2050 Depth=3
	v_cmp_lt_i32_e32 vcc_lo, 0, v60
	s_mov_b32 s72, exec_lo
	v_dual_ashrrev_i32 v10, 31, v58 :: v_dual_cndmask_b32 v8, 0, v32, vcc_lo
	s_delay_alu instid0(VALU_DEP_1) | instskip(NEXT) | instid1(VALU_DEP_1)
	v_dual_lshrrev_b32 v10, 23, v10 :: v_dual_sub_nc_u32 v8, v8, v60
	v_add_nc_u32_e32 v10, v58, v10
	s_delay_alu instid0(VALU_DEP_2) | instskip(NEXT) | instid1(VALU_DEP_2)
	v_lshl_or_b32 v8, v8, 5, v108
	v_and_b32_e32 v61, 0xfffffe00, v10
	s_delay_alu instid0(VALU_DEP_2) | instskip(NEXT) | instid1(VALU_DEP_1)
	v_dual_ashrrev_i32 v10, 9, v10 :: v_dual_ashrrev_i32 v9, 31, v8
	v_lshrrev_b32_e32 v9, 27, v9
	s_delay_alu instid0(VALU_DEP_1) | instskip(NEXT) | instid1(VALU_DEP_1)
	v_add_nc_u32_e32 v9, v8, v9
	v_and_b32_e32 v11, 0xffffffe0, v9
	s_delay_alu instid0(VALU_DEP_1) | instskip(SKIP_1) | instid1(VALU_DEP_2)
	v_dual_sub_nc_u32 v60, v8, v11 :: v_dual_ashrrev_i32 v8, 5, v9
	v_dual_sub_nc_u32 v11, v59, v2 :: v_dual_sub_nc_u32 v59, v58, v61
	v_lshlrev_b32_e32 v9, 4, v60
	s_delay_alu instid0(VALU_DEP_1) | instskip(NEXT) | instid1(VALU_DEP_3)
	v_lshl_add_u32 v2, v8, 9, v9
	v_cndmask_b32_e64 v9, 0, v11, s13
	s_delay_alu instid0(VALU_DEP_4) | instskip(NEXT) | instid1(VALU_DEP_3)
	v_cmp_lt_i32_e64 s13, 15, v59
	v_sub_nc_u32_e32 v63, v58, v2
	s_delay_alu instid0(VALU_DEP_2) | instskip(NEXT) | instid1(VALU_DEP_1)
	v_add_co_ci_u32_e64 v10, null, 0, v10, s13
	v_dual_add_nc_u32 v103, v9, v103 :: v_dual_sub_nc_u32 v62, v10, v8
	s_delay_alu instid0(VALU_DEP_3)
	v_cmpx_lt_i32_e32 15, v63
	s_cbranch_execz .LBB2_4262
; %bb.3195:                             ;   in Loop: Header=BB2_2050 Depth=3
	s_trap 2
	ds_load_b64 v[8:9], v0
	v_add_nc_u32_e32 v10, v2, v103
	s_delay_alu instid0(VALU_DEP_1) | instskip(NEXT) | instid1(VALU_DEP_1)
	v_ashrrev_i32_e32 v11, 31, v10
	v_add_nc_u64_e32 v[118:119], v[10:11], v[114:115]
	v_add_nc_u64_e32 v[40:41], v[10:11], v[116:117]
	s_wait_dscnt 0x0
	v_readfirstlane_b32 s74, v8
	v_readfirstlane_b32 s75, v9
	v_add_nc_u64_e32 v[42:43], v[8:9], v[10:11]
	s_and_b32 s73, s74, 3
	s_bfe_i32 s14, s74, 0x80000
	s_clz_i32_u32 s78, s73
	s_bfe_u32 s76, s74, 0x50002
	s_min_u32 s78, s78, 32
	s_and_b32 s77, s74, 0x7c
	s_sub_co_i32 s89, s78, 29
	s_lshl_b32 s79, s74, 24
	s_sext_i32_i8 s88, s74
	s_lshl_b64 s[74:75], s[74:75], s89
	s_and_b32 s79, s79, 0x80000000
	s_sub_co_i32 s75, 30, s78
	s_and_b32 s74, s74, 3
	s_cmp_gt_i32 s88, -1
	s_cselect_b32 s78, s47, 0xff800000
	s_cmp_eq_u32 s73, 0
	s_cselect_b32 s78, s78, 0x7f800001
	s_cmp_eq_u32 s76, 0
	s_cselect_b32 s75, s75, s76
	s_cselect_b32 s73, s74, s73
	s_lshl_b32 s74, s75, 23
	s_lshl_b32 s73, s73, 21
	s_add_co_i32 s74, s74, s79
	s_delay_alu instid0(SALU_CYCLE_1) | instskip(NEXT) | instid1(SALU_CYCLE_1)
	s_or_b32 s73, s74, s73
	s_add_co_i32 s74, s73, 0x38000000
	s_cmp_eq_u32 s77, 0x7c
	s_mov_b32 s73, 0
	s_cselect_b32 s74, s78, s74
	s_and_b32 s75, s14, 0xff
	s_branch .LBB2_3198
.LBB2_3196:                             ;   in Loop: Header=BB2_3198 Depth=4
	s_or_b32 exec_lo, exec_lo, s76
.LBB2_3197:                             ;   in Loop: Header=BB2_3198 Depth=4
	s_delay_alu instid0(SALU_CYCLE_1)
	s_or_b32 exec_lo, exec_lo, s14
	v_lshl_or_b32 v2, v57, 8, v56
	v_lshlrev_b32_e32 v9, 16, v90
	v_dual_lshlrev_b32 v10, 24, v30 :: v_dual_lshlrev_b32 v30, 16, v88
	v_lshl_or_b32 v11, v72, 8, v16
	v_dual_lshlrev_b32 v16, 16, v75 :: v_dual_lshlrev_b32 v18, 24, v78
	v_lshlrev_b32_e32 v45, 24, v89
	v_lshl_or_b32 v19, v77, 8, v73
	v_lshlrev_b32_e32 v47, 24, v8
	v_lshlrev_b32_e32 v44, 16, v44
	v_lshl_or_b32 v17, v46, 8, v17
	v_or3_b32 v9, v2, v9, v10
	v_or3_b32 v8, v11, v16, v18
	;; [unrolled: 1-line block ×3, first 2 shown]
	v_sub_nc_u32_e32 v63, v63, v52
	v_or3_b32 v11, v17, v44, v47
	v_add_nc_u64_e32 v[118:119], v[118:119], v[52:53]
	v_add_nc_u64_e32 v[42:43], v[42:43], v[52:53]
	v_sub_nc_u32_e32 v62, v62, v32
	v_cmp_gt_i32_e32 vcc_lo, 16, v63
	global_store_b128 v[40:41], v[8:11], off th:TH_STORE_NT
	s_wait_xcnt 0x0
	v_add_nc_u64_e32 v[40:41], v[40:41], v[52:53]
	s_or_b32 s73, vcc_lo, s73
	s_delay_alu instid0(SALU_CYCLE_1)
	s_and_not1_b32 exec_lo, exec_lo, s73
	s_cbranch_execz .LBB2_4261
.LBB2_3198:                             ;   Parent Loop BB2_47 Depth=1
                                        ;     Parent Loop BB2_2047 Depth=2
                                        ;       Parent Loop BB2_2050 Depth=3
                                        ; =>      This Inner Loop Header: Depth=4
	s_cmp_lt_i32 s75, 0x80
	s_cbranch_scc1 .LBB2_3202
; %bb.3199:                             ;   in Loop: Header=BB2_3198 Depth=4
	s_and_b32 s14, 0xffff, s75
	s_delay_alu instid0(SALU_CYCLE_1)
	s_cmp_eq_u32 s14, 0x80
	s_mov_b32 s14, -1
	s_cbranch_scc0 .LBB2_3201
; %bb.3200:                             ;   in Loop: Header=BB2_3198 Depth=4
	s_mov_b32 s14, 0
.LBB2_3201:                             ;   in Loop: Header=BB2_3198 Depth=4
	s_brev_b32 s76, 1
	s_branch .LBB2_3204
.LBB2_3202:                             ;   in Loop: Header=BB2_3198 Depth=4
	s_mov_b32 s14, 0
	s_brev_b32 s76, 1
	s_cbranch_execz .LBB2_3204
; %bb.3203:                             ;   in Loop: Header=BB2_3198 Depth=4
	s_and_b32 s14, 0xffff, s75
	s_mov_b32 s76, 0
	s_cmp_lg_u32 s14, 0
	s_cselect_b32 s14, -1, 0
.LBB2_3204:                             ;   in Loop: Header=BB2_3198 Depth=4
	s_delay_alu instid0(SALU_CYCLE_1)
	s_and_not1_b32 vcc_lo, exec_lo, s14
	s_cbranch_vccnz .LBB2_3206
; %bb.3205:                             ;   in Loop: Header=BB2_3198 Depth=4
	s_mov_b32 s76, s74
.LBB2_3206:                             ;   in Loop: Header=BB2_3198 Depth=4
	global_load_b128 v[8:11], v[118:119], off th:TH_LOAD_NT
	s_wait_loadcnt 0x0
	v_and_b32_e32 v2, 0xff, v8
	s_delay_alu instid0(VALU_DEP_1)
	v_cmp_ne_u16_e32 vcc_lo, 0, v2
	v_mov_b32_e32 v2, 0
	s_wait_xcnt 0x0
	s_and_saveexec_b32 s14, vcc_lo
	s_cbranch_execz .LBB2_3216
; %bb.3207:                             ;   in Loop: Header=BB2_3198 Depth=4
	v_bfe_i32 v17, v8, 0, 8
	v_bfrev_b32_e32 v2, 1
	s_mov_b32 s77, exec_lo
	s_delay_alu instid0(VALU_DEP_2)
	v_cmpx_ne_u16_e32 0xff80, v17
	s_cbranch_execz .LBB2_3215
; %bb.3208:                             ;   in Loop: Header=BB2_3198 Depth=4
	v_and_b32_e32 v2, 0x7c, v8
	v_and_b32_e32 v16, 3, v8
	s_delay_alu instid0(VALU_DEP_2) | instskip(SKIP_1) | instid1(SALU_CYCLE_1)
	v_cmp_ne_u32_e32 vcc_lo, 0x7c, v2
                                        ; implicit-def: $vgpr2
	s_and_saveexec_b32 s78, vcc_lo
	s_xor_b32 s78, exec_lo, s78
	s_cbranch_execz .LBB2_3212
; %bb.3209:                             ;   in Loop: Header=BB2_3198 Depth=4
	v_bfe_u32 v2, v8, 2, 5
	s_mov_b32 s79, exec_lo
	s_delay_alu instid0(VALU_DEP_1)
	v_cmpx_eq_u32_e32 0, v2
; %bb.3210:                             ;   in Loop: Header=BB2_3198 Depth=4
	v_clz_i32_u32_e32 v2, v16
	s_delay_alu instid0(VALU_DEP_1) | instskip(NEXT) | instid1(VALU_DEP_1)
	v_min_u32_e32 v2, 32, v2
	v_subrev_nc_u32_e32 v16, 29, v2
	s_delay_alu instid0(VALU_DEP_1) | instskip(NEXT) | instid1(VALU_DEP_1)
	v_lshlrev_b64_e32 v[16:17], v16, v[8:9]
	v_dual_sub_nc_u32 v2, 30, v2 :: v_dual_bitop2_b32 v16, 3, v16 bitop3:0x40
; %bb.3211:                             ;   in Loop: Header=BB2_3198 Depth=4
	s_or_b32 exec_lo, exec_lo, s79
	v_lshlrev_b32_e32 v17, 24, v8
	s_delay_alu instid0(VALU_DEP_1) | instskip(NEXT) | instid1(VALU_DEP_1)
	v_and_b32_e32 v17, 0x80000000, v17
	v_lshl_add_u32 v2, v2, 23, v17
                                        ; implicit-def: $vgpr17
	s_delay_alu instid0(VALU_DEP_1) | instskip(NEXT) | instid1(VALU_DEP_1)
	v_lshl_or_b32 v2, v16, 21, v2
                                        ; implicit-def: $vgpr16
	v_add_nc_u32_e32 v2, 0x38000000, v2
.LBB2_3212:                             ;   in Loop: Header=BB2_3198 Depth=4
	s_and_not1_saveexec_b32 s78, s78
; %bb.3213:                             ;   in Loop: Header=BB2_3198 Depth=4
	v_cmp_lt_i16_e32 vcc_lo, -1, v17
	v_cndmask_b32_e32 v2, 0xff800000, v111, vcc_lo
	v_cmp_eq_u32_e32 vcc_lo, 0, v16
	s_delay_alu instid0(VALU_DEP_2)
	v_cndmask_b32_e32 v2, 0x7f800001, v2, vcc_lo
; %bb.3214:                             ;   in Loop: Header=BB2_3198 Depth=4
	s_or_b32 exec_lo, exec_lo, s78
.LBB2_3215:                             ;   in Loop: Header=BB2_3198 Depth=4
	s_delay_alu instid0(SALU_CYCLE_1)
	s_or_b32 exec_lo, exec_lo, s77
.LBB2_3216:                             ;   in Loop: Header=BB2_3198 Depth=4
	s_delay_alu instid0(SALU_CYCLE_1) | instskip(NEXT) | instid1(VALU_DEP_1)
	s_or_b32 exec_lo, exec_lo, s14
	v_dual_mul_f32 v30, s76, v2 :: v_dual_mov_b32 v17, v3
	s_delay_alu instid0(VALU_DEP_1) | instskip(SKIP_1) | instid1(VALU_DEP_2)
	v_and_b32_e32 v16, 0x7f800000, v30
	v_and_b32_e32 v2, 0x7fffff, v30
	v_cmp_ne_u64_e32 vcc_lo, 0x7f800000, v[16:17]
	v_lshrrev_b32_e32 v17, 24, v30
                                        ; implicit-def: $vgpr16
	s_and_saveexec_b32 s14, vcc_lo
	s_delay_alu instid0(SALU_CYCLE_1)
	s_xor_b32 s77, exec_lo, s14
	s_cbranch_execz .LBB2_3230
; %bb.3217:                             ;   in Loop: Header=BB2_3198 Depth=4
	v_and_b32_e32 v18, 0x7fffffff, v30
	v_mov_b32_e32 v19, v3
	v_and_b32_e32 v17, 0x80, v17
                                        ; implicit-def: $vgpr16
	s_mov_b32 s14, exec_lo
	s_delay_alu instid0(VALU_DEP_2)
	v_cmpx_gt_u64_e32 0x47600001, v[18:19]
	s_xor_b32 s78, exec_lo, s14
	s_cbranch_execz .LBB2_3227
; %bb.3218:                             ;   in Loop: Header=BB2_3198 Depth=4
	v_mov_b32_e32 v16, 0
	s_mov_b32 s79, exec_lo
	v_cmpx_ne_u32_e32 0, v30
	s_cbranch_execz .LBB2_3226
; %bb.3219:                             ;   in Loop: Header=BB2_3198 Depth=4
	v_bfe_u32 v16, v30, 23, 8
	v_or_b32_e32 v44, 0x800000, v2
	s_delay_alu instid0(VALU_DEP_2) | instskip(SKIP_1) | instid1(VALU_DEP_2)
	v_sub_nc_u32_e32 v18, 0x71, v16
	v_cmp_gt_u32_e32 vcc_lo, 0x72, v16
	v_cndmask_b32_e32 v18, 0, v18, vcc_lo
	v_cmp_eq_u32_e32 vcc_lo, 0, v16
	s_delay_alu instid0(VALU_DEP_2) | instskip(SKIP_1) | instid1(VALU_DEP_2)
	v_cndmask_b32_e64 v30, v18, 0x70, vcc_lo
	v_cndmask_b32_e32 v2, v44, v2, vcc_lo
	v_dual_add_nc_u32 v18, 21, v30 :: v_dual_add_nc_u32 v45, 20, v30
	s_delay_alu instid0(VALU_DEP_1) | instskip(NEXT) | instid1(VALU_DEP_2)
	v_lshlrev_b64_e64 v[18:19], v18, -1
	v_lshlrev_b64_e64 v[46:47], v45, 1
	s_delay_alu instid0(VALU_DEP_4) | instskip(NEXT) | instid1(VALU_DEP_3)
	v_lshrrev_b64 v[44:45], v30, v[2:3]
	v_bfi_b32 v19, v19, 0, 0
	s_delay_alu instid0(VALU_DEP_4) | instskip(NEXT) | instid1(VALU_DEP_1)
	v_bfi_b32 v18, v18, 0, v2
	v_cmp_eq_u64_e64 s14, v[18:19], v[46:47]
	s_delay_alu instid0(VALU_DEP_4)
	v_mov_b64_e32 v[46:47], v[44:45]
	s_and_saveexec_b32 s88, s14
; %bb.3220:                             ;   in Loop: Header=BB2_3198 Depth=4
	v_bfe_u32 v2, v44, 21, 1
	s_delay_alu instid0(VALU_DEP_1) | instskip(NEXT) | instid1(VALU_DEP_1)
	v_add_nc_u64_e32 v[18:19], v[44:45], v[2:3]
	v_add_nc_u64_e32 v[46:47], -1, v[18:19]
; %bb.3221:                             ;   in Loop: Header=BB2_3198 Depth=4
	s_or_b32 exec_lo, exec_lo, s88
	v_add_nc_u32_e32 v2, 0xffffff81, v16
	v_lshrrev_b32_e32 v16, 23, v44
	s_mov_b32 s14, exec_lo
	s_delay_alu instid0(VALU_DEP_2) | instskip(NEXT) | instid1(VALU_DEP_1)
	v_cndmask_b32_e64 v2, v2, 0xffffff82, vcc_lo
	v_add3_u32 v30, v30, v2, v16
	v_and_b32_e32 v2, 0x1fffff, v46
                                        ; implicit-def: $vgpr16
	s_delay_alu instid0(VALU_DEP_1) | instskip(NEXT) | instid1(VALU_DEP_1)
	v_dual_add_nc_u32 v46, 14, v30 :: v_dual_add_nc_u32 v2, v2, v44
                                        ; implicit-def: $vgpr44_vgpr45
	v_cmpx_ne_u32_e32 0, v46
	s_xor_b32 s14, exec_lo, s14
; %bb.3222:                             ;   in Loop: Header=BB2_3198 Depth=4
	s_delay_alu instid0(VALU_DEP_2) | instskip(SKIP_2) | instid1(VALU_DEP_2)
	v_cmp_lt_u64_e32 vcc_lo, 0xffffff, v[2:3]
	v_add_nc_u32_e32 v16, 15, v30
	v_cndmask_b32_e64 v18, 0, 1, vcc_lo
	v_cndmask_b32_e32 v16, v46, v16, vcc_lo
	s_delay_alu instid0(VALU_DEP_2)
	v_lshrrev_b64 v[44:45], v18, v[2:3]
; %bb.3223:                             ;   in Loop: Header=BB2_3198 Depth=4
	s_and_not1_saveexec_b32 s14, s14
; %bb.3224:                             ;   in Loop: Header=BB2_3198 Depth=4
	v_mov_b64_e32 v[44:45], v[2:3]
	v_bfe_u32 v16, v2, 23, 1
; %bb.3225:                             ;   in Loop: Header=BB2_3198 Depth=4
	s_or_b32 exec_lo, exec_lo, s14
	s_delay_alu instid0(VALU_DEP_2) | instskip(NEXT) | instid1(VALU_DEP_2)
	v_lshrrev_b64 v[18:19], 21, v[44:45]
	v_cmp_gt_i32_e32 vcc_lo, 32, v16
	v_min_i32_e32 v2, 31, v16
	v_cmp_eq_u32_e64 s14, 0, v16
	s_delay_alu instid0(VALU_DEP_2) | instskip(SKIP_1) | instid1(VALU_DEP_2)
	v_dual_cndmask_b32 v19, 0, v19 :: v_dual_lshlrev_b32 v2, 2, v2
	v_cndmask_b32_e32 v18, 3, v18, vcc_lo
	v_and_b32_e32 v2, 0xfc, v2
	s_delay_alu instid0(VALU_DEP_2) | instskip(NEXT) | instid1(VALU_DEP_2)
	v_cmp_eq_u64_e32 vcc_lo, 0, v[18:19]
	v_and_or_b32 v2, v18, 3, v2
	s_and_b32 s14, s14, vcc_lo
	s_delay_alu instid0(VALU_DEP_1) | instid1(SALU_CYCLE_1)
	v_cndmask_b32_e64 v2, v2, 0, s14
	s_delay_alu instid0(VALU_DEP_1)
	v_or_b32_e32 v16, v2, v17
.LBB2_3226:                             ;   in Loop: Header=BB2_3198 Depth=4
	s_or_b32 exec_lo, exec_lo, s79
                                        ; implicit-def: $vgpr17
.LBB2_3227:                             ;   in Loop: Header=BB2_3198 Depth=4
	s_and_not1_saveexec_b32 s14, s78
; %bb.3228:                             ;   in Loop: Header=BB2_3198 Depth=4
	v_or_b32_e32 v16, 0x7b, v17
; %bb.3229:                             ;   in Loop: Header=BB2_3198 Depth=4
	s_or_b32 exec_lo, exec_lo, s14
                                        ; implicit-def: $vgpr30
                                        ; implicit-def: $vgpr17
.LBB2_3230:                             ;   in Loop: Header=BB2_3198 Depth=4
	s_and_not1_saveexec_b32 s14, s77
	s_cbranch_execz .LBB2_3236
; %bb.3231:                             ;   in Loop: Header=BB2_3198 Depth=4
	s_mov_b32 s77, exec_lo
                                        ; implicit-def: $vgpr16
	v_cmpx_ne_u64_e32 0, v[2:3]
	s_xor_b32 s77, exec_lo, s77
; %bb.3232:                             ;   in Loop: Header=BB2_3198 Depth=4
	v_or_b32_e32 v16, 0x7f, v17
                                        ; implicit-def: $vgpr30
; %bb.3233:                             ;   in Loop: Header=BB2_3198 Depth=4
	s_and_not1_saveexec_b32 s77, s77
; %bb.3234:                             ;   in Loop: Header=BB2_3198 Depth=4
	v_cmp_lt_i32_e32 vcc_lo, -1, v30
	v_cndmask_b32_e32 v16, 0xfc, v120, vcc_lo
; %bb.3235:                             ;   in Loop: Header=BB2_3198 Depth=4
	s_or_b32 exec_lo, exec_lo, s77
.LBB2_3236:                             ;   in Loop: Header=BB2_3198 Depth=4
	s_delay_alu instid0(SALU_CYCLE_1) | instskip(SKIP_3) | instid1(VALU_DEP_2)
	s_or_b32 exec_lo, exec_lo, s14
	v_lshrrev_b16 v2, 8, v8
	v_mov_b32_e32 v30, 0
	s_mov_b32 s14, exec_lo
	v_cmpx_ne_u16_e32 0, v2
	s_cbranch_execz .LBB2_3246
; %bb.3237:                             ;   in Loop: Header=BB2_3198 Depth=4
	v_bfrev_b32_e32 v30, 1
	s_mov_b32 s77, exec_lo
	v_cmpx_ne_u16_e32 0x80, v2
	s_cbranch_execz .LBB2_3245
; %bb.3238:                             ;   in Loop: Header=BB2_3198 Depth=4
	v_and_b32_e32 v44, 0xffff, v2
	s_mov_b32 s78, exec_lo
                                        ; implicit-def: $vgpr30
	s_delay_alu instid0(VALU_DEP_1) | instskip(SKIP_1) | instid1(VALU_DEP_2)
	v_and_b32_e32 v18, 0x7c, v44
	v_and_b32_e32 v17, 3, v44
	v_cmpx_ne_u32_e32 0x7c, v18
	s_xor_b32 s78, exec_lo, s78
	s_cbranch_execz .LBB2_3242
; %bb.3239:                             ;   in Loop: Header=BB2_3198 Depth=4
	v_bfe_u32 v30, v44, 2, 5
	s_mov_b32 s79, exec_lo
	s_delay_alu instid0(VALU_DEP_1)
	v_cmpx_eq_u32_e32 0, v30
; %bb.3240:                             ;   in Loop: Header=BB2_3198 Depth=4
	v_clz_i32_u32_e32 v17, v17
	s_delay_alu instid0(VALU_DEP_1) | instskip(NEXT) | instid1(VALU_DEP_1)
	v_min_u32_e32 v17, 32, v17
	v_subrev_nc_u32_e32 v18, 29, v17
	s_delay_alu instid0(VALU_DEP_1) | instskip(NEXT) | instid1(VALU_DEP_1)
	v_lshlrev_b64_e32 v[18:19], v18, v[2:3]
	v_dual_sub_nc_u32 v30, 30, v17 :: v_dual_bitop2_b32 v17, 3, v18 bitop3:0x40
; %bb.3241:                             ;   in Loop: Header=BB2_3198 Depth=4
	s_or_b32 exec_lo, exec_lo, s79
	v_lshlrev_b32_e32 v2, 16, v8
	s_delay_alu instid0(VALU_DEP_1) | instskip(NEXT) | instid1(VALU_DEP_1)
	v_and_b32_e32 v2, 0x80000000, v2
	v_lshl_add_u32 v2, v30, 23, v2
	s_delay_alu instid0(VALU_DEP_1) | instskip(NEXT) | instid1(VALU_DEP_1)
	v_lshl_or_b32 v2, v17, 21, v2
                                        ; implicit-def: $vgpr17
	v_add_nc_u32_e32 v30, 0x38000000, v2
.LBB2_3242:                             ;   in Loop: Header=BB2_3198 Depth=4
	s_and_not1_saveexec_b32 s78, s78
; %bb.3243:                             ;   in Loop: Header=BB2_3198 Depth=4
	v_cmp_lt_i16_e32 vcc_lo, -1, v8
	v_cndmask_b32_e32 v2, 0xff800000, v111, vcc_lo
	v_cmp_eq_u32_e32 vcc_lo, 0, v17
	s_delay_alu instid0(VALU_DEP_2)
	v_cndmask_b32_e32 v30, 0x7f800001, v2, vcc_lo
; %bb.3244:                             ;   in Loop: Header=BB2_3198 Depth=4
	s_or_b32 exec_lo, exec_lo, s78
.LBB2_3245:                             ;   in Loop: Header=BB2_3198 Depth=4
	s_delay_alu instid0(SALU_CYCLE_1)
	s_or_b32 exec_lo, exec_lo, s77
.LBB2_3246:                             ;   in Loop: Header=BB2_3198 Depth=4
	s_delay_alu instid0(SALU_CYCLE_1) | instskip(NEXT) | instid1(VALU_DEP_1)
	s_or_b32 exec_lo, exec_lo, s14
	v_dual_mul_f32 v44, s76, v30 :: v_dual_mov_b32 v19, v3
                                        ; implicit-def: $vgpr30
	s_mov_b32 s14, exec_lo
	s_delay_alu instid0(VALU_DEP_1) | instskip(SKIP_2) | instid1(VALU_DEP_3)
	v_and_b32_e32 v18, 0x7f800000, v44
	v_and_b32_e32 v2, 0x7fffff, v44
	v_lshrrev_b32_e32 v17, 24, v44
	v_cmpx_ne_u64_e32 0x7f800000, v[18:19]
	s_xor_b32 s77, exec_lo, s14
	s_cbranch_execz .LBB2_3260
; %bb.3247:                             ;   in Loop: Header=BB2_3198 Depth=4
	v_and_b32_e32 v18, 0x7fffffff, v44
	v_mov_b32_e32 v19, v3
	v_and_b32_e32 v17, 0x80, v17
                                        ; implicit-def: $vgpr30
	s_mov_b32 s14, exec_lo
	s_delay_alu instid0(VALU_DEP_2)
	v_cmpx_gt_u64_e32 0x47600001, v[18:19]
	s_xor_b32 s78, exec_lo, s14
	s_cbranch_execz .LBB2_3257
; %bb.3248:                             ;   in Loop: Header=BB2_3198 Depth=4
	v_mov_b32_e32 v30, 0
	s_mov_b32 s79, exec_lo
	v_cmpx_ne_u32_e32 0, v44
	s_cbranch_execz .LBB2_3256
; %bb.3249:                             ;   in Loop: Header=BB2_3198 Depth=4
	v_bfe_u32 v30, v44, 23, 8
	v_or_b32_e32 v44, 0x800000, v2
	s_delay_alu instid0(VALU_DEP_2) | instskip(SKIP_1) | instid1(VALU_DEP_2)
	v_sub_nc_u32_e32 v18, 0x71, v30
	v_cmp_gt_u32_e32 vcc_lo, 0x72, v30
	v_cndmask_b32_e32 v18, 0, v18, vcc_lo
	v_cmp_eq_u32_e32 vcc_lo, 0, v30
	s_delay_alu instid0(VALU_DEP_2) | instskip(NEXT) | instid1(VALU_DEP_1)
	v_cndmask_b32_e64 v56, v18, 0x70, vcc_lo
	v_dual_cndmask_b32 v2, v44, v2, vcc_lo :: v_dual_add_nc_u32 v18, 21, v56
	v_add_nc_u32_e32 v45, 20, v56
	s_delay_alu instid0(VALU_DEP_2) | instskip(NEXT) | instid1(VALU_DEP_2)
	v_lshlrev_b64_e64 v[18:19], v18, -1
	v_lshlrev_b64_e64 v[46:47], v45, 1
	s_delay_alu instid0(VALU_DEP_4) | instskip(NEXT) | instid1(VALU_DEP_3)
	v_lshrrev_b64 v[44:45], v56, v[2:3]
	v_bfi_b32 v19, v19, 0, 0
	s_delay_alu instid0(VALU_DEP_4) | instskip(NEXT) | instid1(VALU_DEP_1)
	v_bfi_b32 v18, v18, 0, v2
	v_cmp_eq_u64_e64 s14, v[18:19], v[46:47]
	s_delay_alu instid0(VALU_DEP_4)
	v_mov_b64_e32 v[46:47], v[44:45]
	s_and_saveexec_b32 s88, s14
; %bb.3250:                             ;   in Loop: Header=BB2_3198 Depth=4
	v_bfe_u32 v2, v44, 21, 1
	s_delay_alu instid0(VALU_DEP_1) | instskip(NEXT) | instid1(VALU_DEP_1)
	v_add_nc_u64_e32 v[18:19], v[44:45], v[2:3]
	v_add_nc_u64_e32 v[46:47], -1, v[18:19]
; %bb.3251:                             ;   in Loop: Header=BB2_3198 Depth=4
	s_or_b32 exec_lo, exec_lo, s88
	v_add_nc_u32_e32 v2, 0xffffff81, v30
	v_lshrrev_b32_e32 v18, 23, v44
	s_mov_b32 s14, exec_lo
                                        ; implicit-def: $vgpr30
	s_delay_alu instid0(VALU_DEP_2) | instskip(NEXT) | instid1(VALU_DEP_1)
	v_cndmask_b32_e64 v2, v2, 0xffffff82, vcc_lo
	v_add3_u32 v47, v56, v2, v18
	v_and_b32_e32 v2, 0x1fffff, v46
	s_delay_alu instid0(VALU_DEP_1) | instskip(NEXT) | instid1(VALU_DEP_1)
	v_dual_add_nc_u32 v46, 14, v47 :: v_dual_add_nc_u32 v2, v2, v44
                                        ; implicit-def: $vgpr44_vgpr45
	v_cmpx_ne_u32_e32 0, v46
	s_xor_b32 s14, exec_lo, s14
; %bb.3252:                             ;   in Loop: Header=BB2_3198 Depth=4
	s_delay_alu instid0(VALU_DEP_2) | instskip(SKIP_1) | instid1(VALU_DEP_1)
	v_cmp_lt_u64_e32 vcc_lo, 0xffffff, v[2:3]
	v_add_nc_u32_e32 v18, 15, v47
	v_cndmask_b32_e32 v30, v46, v18, vcc_lo
	v_cndmask_b32_e64 v18, 0, 1, vcc_lo
	s_delay_alu instid0(VALU_DEP_1)
	v_lshrrev_b64 v[44:45], v18, v[2:3]
; %bb.3253:                             ;   in Loop: Header=BB2_3198 Depth=4
	s_and_not1_saveexec_b32 s14, s14
; %bb.3254:                             ;   in Loop: Header=BB2_3198 Depth=4
	v_mov_b64_e32 v[44:45], v[2:3]
	v_bfe_u32 v30, v2, 23, 1
; %bb.3255:                             ;   in Loop: Header=BB2_3198 Depth=4
	s_or_b32 exec_lo, exec_lo, s14
	s_delay_alu instid0(VALU_DEP_2) | instskip(NEXT) | instid1(VALU_DEP_2)
	v_lshrrev_b64 v[18:19], 21, v[44:45]
	v_cmp_gt_i32_e32 vcc_lo, 32, v30
	v_min_i32_e32 v2, 31, v30
	v_cmp_eq_u32_e64 s14, 0, v30
	s_delay_alu instid0(VALU_DEP_2) | instskip(SKIP_1) | instid1(VALU_DEP_2)
	v_dual_cndmask_b32 v19, 0, v19 :: v_dual_lshlrev_b32 v2, 2, v2
	v_cndmask_b32_e32 v18, 3, v18, vcc_lo
	v_and_b32_e32 v2, 0xfc, v2
	s_delay_alu instid0(VALU_DEP_2) | instskip(NEXT) | instid1(VALU_DEP_2)
	v_cmp_eq_u64_e32 vcc_lo, 0, v[18:19]
	v_and_or_b32 v2, v18, 3, v2
	s_and_b32 s14, s14, vcc_lo
	s_delay_alu instid0(VALU_DEP_1) | instid1(SALU_CYCLE_1)
	v_cndmask_b32_e64 v2, v2, 0, s14
	s_delay_alu instid0(VALU_DEP_1)
	v_or_b32_e32 v30, v2, v17
.LBB2_3256:                             ;   in Loop: Header=BB2_3198 Depth=4
	s_or_b32 exec_lo, exec_lo, s79
                                        ; implicit-def: $vgpr17
.LBB2_3257:                             ;   in Loop: Header=BB2_3198 Depth=4
	s_and_not1_saveexec_b32 s14, s78
; %bb.3258:                             ;   in Loop: Header=BB2_3198 Depth=4
	v_or_b32_e32 v30, 0x7b, v17
; %bb.3259:                             ;   in Loop: Header=BB2_3198 Depth=4
	s_or_b32 exec_lo, exec_lo, s14
                                        ; implicit-def: $vgpr44
                                        ; implicit-def: $vgpr17
.LBB2_3260:                             ;   in Loop: Header=BB2_3198 Depth=4
	s_and_not1_saveexec_b32 s14, s77
	s_cbranch_execz .LBB2_3266
; %bb.3261:                             ;   in Loop: Header=BB2_3198 Depth=4
	s_mov_b32 s77, exec_lo
                                        ; implicit-def: $vgpr30
	v_cmpx_ne_u64_e32 0, v[2:3]
	s_xor_b32 s77, exec_lo, s77
; %bb.3262:                             ;   in Loop: Header=BB2_3198 Depth=4
	v_or_b32_e32 v30, 0x7f, v17
                                        ; implicit-def: $vgpr44
; %bb.3263:                             ;   in Loop: Header=BB2_3198 Depth=4
	s_and_not1_saveexec_b32 s77, s77
; %bb.3264:                             ;   in Loop: Header=BB2_3198 Depth=4
	v_cmp_lt_i32_e32 vcc_lo, -1, v44
	v_cndmask_b32_e32 v30, 0xfc, v120, vcc_lo
; %bb.3265:                             ;   in Loop: Header=BB2_3198 Depth=4
	s_or_b32 exec_lo, exec_lo, s77
.LBB2_3266:                             ;   in Loop: Header=BB2_3198 Depth=4
	s_delay_alu instid0(SALU_CYCLE_1) | instskip(SKIP_2) | instid1(VALU_DEP_1)
	s_or_b32 exec_lo, exec_lo, s14
	v_dual_mov_b32 v17, 0 :: v_dual_lshrrev_b32 v2, 16, v8
	s_mov_b32 s14, exec_lo
	v_and_b32_e32 v44, 0xff, v2
	s_delay_alu instid0(VALU_DEP_1)
	v_cmpx_ne_u16_e32 0, v44
	s_cbranch_execz .LBB2_3276
; %bb.3267:                             ;   in Loop: Header=BB2_3198 Depth=4
	v_bfrev_b32_e32 v17, 1
	s_mov_b32 s77, exec_lo
	v_cmpx_ne_u16_e32 0x80, v44
	s_cbranch_execz .LBB2_3275
; %bb.3268:                             ;   in Loop: Header=BB2_3198 Depth=4
	v_and_b32_e32 v17, 0x7c0000, v8
	v_bfe_u32 v44, v8, 16, 2
	s_delay_alu instid0(VALU_DEP_2) | instskip(SKIP_1) | instid1(SALU_CYCLE_1)
	v_cmp_ne_u32_e32 vcc_lo, 0x7c0000, v17
                                        ; implicit-def: $vgpr17
	s_and_saveexec_b32 s78, vcc_lo
	s_xor_b32 s78, exec_lo, s78
	s_cbranch_execz .LBB2_3272
; %bb.3269:                             ;   in Loop: Header=BB2_3198 Depth=4
	v_bfe_u32 v17, v8, 18, 5
	s_mov_b32 s79, exec_lo
	s_delay_alu instid0(VALU_DEP_1)
	v_cmpx_eq_u32_e32 0, v17
; %bb.3270:                             ;   in Loop: Header=BB2_3198 Depth=4
	v_clz_i32_u32_e32 v17, v44
	s_delay_alu instid0(VALU_DEP_1) | instskip(NEXT) | instid1(VALU_DEP_1)
	v_min_u32_e32 v17, 32, v17
	v_subrev_nc_u32_e32 v18, 29, v17
	s_delay_alu instid0(VALU_DEP_1) | instskip(NEXT) | instid1(VALU_DEP_1)
	v_lshlrev_b64_e32 v[18:19], v18, v[2:3]
	v_dual_sub_nc_u32 v17, 30, v17 :: v_dual_bitop2_b32 v44, 3, v18 bitop3:0x40
; %bb.3271:                             ;   in Loop: Header=BB2_3198 Depth=4
	s_or_b32 exec_lo, exec_lo, s79
	v_lshlrev_b32_e32 v2, 24, v2
	s_delay_alu instid0(VALU_DEP_1) | instskip(NEXT) | instid1(VALU_DEP_1)
	v_and_b32_e32 v2, 0x80000000, v2
	v_lshl_add_u32 v2, v17, 23, v2
	s_delay_alu instid0(VALU_DEP_1) | instskip(NEXT) | instid1(VALU_DEP_1)
	v_lshl_or_b32 v2, v44, 21, v2
                                        ; implicit-def: $vgpr44
	v_add_nc_u32_e32 v17, 0x38000000, v2
                                        ; implicit-def: $vgpr2
.LBB2_3272:                             ;   in Loop: Header=BB2_3198 Depth=4
	s_and_not1_saveexec_b32 s78, s78
; %bb.3273:                             ;   in Loop: Header=BB2_3198 Depth=4
	v_bfe_i32 v2, v2, 0, 8
	s_delay_alu instid0(VALU_DEP_1) | instskip(SKIP_2) | instid1(VALU_DEP_2)
	v_cmp_lt_i16_e32 vcc_lo, -1, v2
	v_cndmask_b32_e32 v2, 0xff800000, v111, vcc_lo
	v_cmp_eq_u32_e32 vcc_lo, 0, v44
	v_cndmask_b32_e32 v17, 0x7f800001, v2, vcc_lo
; %bb.3274:                             ;   in Loop: Header=BB2_3198 Depth=4
	s_or_b32 exec_lo, exec_lo, s78
.LBB2_3275:                             ;   in Loop: Header=BB2_3198 Depth=4
	s_delay_alu instid0(SALU_CYCLE_1)
	s_or_b32 exec_lo, exec_lo, s77
.LBB2_3276:                             ;   in Loop: Header=BB2_3198 Depth=4
	s_delay_alu instid0(SALU_CYCLE_1) | instskip(NEXT) | instid1(VALU_DEP_1)
	s_or_b32 exec_lo, exec_lo, s14
	v_dual_mul_f32 v44, s76, v17 :: v_dual_mov_b32 v19, v3
                                        ; implicit-def: $vgpr72
	s_mov_b32 s14, exec_lo
	s_delay_alu instid0(VALU_DEP_1) | instskip(SKIP_2) | instid1(VALU_DEP_3)
	v_and_b32_e32 v18, 0x7f800000, v44
	v_and_b32_e32 v2, 0x7fffff, v44
	v_lshrrev_b32_e32 v17, 24, v44
	v_cmpx_ne_u64_e32 0x7f800000, v[18:19]
	s_xor_b32 s77, exec_lo, s14
	s_cbranch_execz .LBB2_3290
; %bb.3277:                             ;   in Loop: Header=BB2_3198 Depth=4
	v_and_b32_e32 v18, 0x7fffffff, v44
	v_mov_b32_e32 v19, v3
	v_and_b32_e32 v17, 0x80, v17
                                        ; implicit-def: $vgpr72
	s_mov_b32 s14, exec_lo
	s_delay_alu instid0(VALU_DEP_2)
	v_cmpx_gt_u64_e32 0x47600001, v[18:19]
	s_xor_b32 s78, exec_lo, s14
	s_cbranch_execz .LBB2_3287
; %bb.3278:                             ;   in Loop: Header=BB2_3198 Depth=4
	v_mov_b32_e32 v72, 0
	s_mov_b32 s79, exec_lo
	v_cmpx_ne_u32_e32 0, v44
	s_cbranch_execz .LBB2_3286
; %bb.3279:                             ;   in Loop: Header=BB2_3198 Depth=4
	v_bfe_u32 v56, v44, 23, 8
	v_or_b32_e32 v44, 0x800000, v2
	s_delay_alu instid0(VALU_DEP_2) | instskip(SKIP_1) | instid1(VALU_DEP_2)
	v_sub_nc_u32_e32 v18, 0x71, v56
	v_cmp_gt_u32_e32 vcc_lo, 0x72, v56
	v_cndmask_b32_e32 v18, 0, v18, vcc_lo
	v_cmp_eq_u32_e32 vcc_lo, 0, v56
	s_delay_alu instid0(VALU_DEP_2) | instskip(NEXT) | instid1(VALU_DEP_1)
	v_cndmask_b32_e64 v57, v18, 0x70, vcc_lo
	v_dual_cndmask_b32 v2, v44, v2, vcc_lo :: v_dual_add_nc_u32 v18, 21, v57
	v_add_nc_u32_e32 v45, 20, v57
	s_delay_alu instid0(VALU_DEP_2) | instskip(NEXT) | instid1(VALU_DEP_2)
	v_lshlrev_b64_e64 v[18:19], v18, -1
	v_lshlrev_b64_e64 v[46:47], v45, 1
	s_delay_alu instid0(VALU_DEP_4) | instskip(NEXT) | instid1(VALU_DEP_3)
	v_lshrrev_b64 v[44:45], v57, v[2:3]
	v_bfi_b32 v19, v19, 0, 0
	s_delay_alu instid0(VALU_DEP_4) | instskip(NEXT) | instid1(VALU_DEP_1)
	v_bfi_b32 v18, v18, 0, v2
	v_cmp_eq_u64_e64 s14, v[18:19], v[46:47]
	s_delay_alu instid0(VALU_DEP_4)
	v_mov_b64_e32 v[46:47], v[44:45]
	s_and_saveexec_b32 s88, s14
; %bb.3280:                             ;   in Loop: Header=BB2_3198 Depth=4
	v_bfe_u32 v2, v44, 21, 1
	s_delay_alu instid0(VALU_DEP_1) | instskip(NEXT) | instid1(VALU_DEP_1)
	v_add_nc_u64_e32 v[18:19], v[44:45], v[2:3]
	v_add_nc_u64_e32 v[46:47], -1, v[18:19]
; %bb.3281:                             ;   in Loop: Header=BB2_3198 Depth=4
	s_or_b32 exec_lo, exec_lo, s88
	v_add_nc_u32_e32 v2, 0xffffff81, v56
	v_lshrrev_b32_e32 v18, 23, v44
	s_mov_b32 s14, exec_lo
	s_delay_alu instid0(VALU_DEP_2) | instskip(NEXT) | instid1(VALU_DEP_1)
	v_cndmask_b32_e64 v2, v2, 0xffffff82, vcc_lo
	v_add3_u32 v47, v57, v2, v18
	v_and_b32_e32 v2, 0x1fffff, v46
                                        ; implicit-def: $vgpr46
	s_delay_alu instid0(VALU_DEP_1) | instskip(NEXT) | instid1(VALU_DEP_1)
	v_dual_add_nc_u32 v56, 14, v47 :: v_dual_add_nc_u32 v2, v2, v44
                                        ; implicit-def: $vgpr44_vgpr45
	v_cmpx_ne_u32_e32 0, v56
	s_xor_b32 s14, exec_lo, s14
; %bb.3282:                             ;   in Loop: Header=BB2_3198 Depth=4
	s_delay_alu instid0(VALU_DEP_2) | instskip(SKIP_1) | instid1(VALU_DEP_1)
	v_cmp_lt_u64_e32 vcc_lo, 0xffffff, v[2:3]
	v_add_nc_u32_e32 v18, 15, v47
	v_cndmask_b32_e32 v46, v56, v18, vcc_lo
	v_cndmask_b32_e64 v18, 0, 1, vcc_lo
	s_delay_alu instid0(VALU_DEP_1)
	v_lshrrev_b64 v[44:45], v18, v[2:3]
; %bb.3283:                             ;   in Loop: Header=BB2_3198 Depth=4
	s_and_not1_saveexec_b32 s14, s14
; %bb.3284:                             ;   in Loop: Header=BB2_3198 Depth=4
	v_mov_b64_e32 v[44:45], v[2:3]
	v_bfe_u32 v46, v2, 23, 1
; %bb.3285:                             ;   in Loop: Header=BB2_3198 Depth=4
	s_or_b32 exec_lo, exec_lo, s14
	s_delay_alu instid0(VALU_DEP_2) | instskip(NEXT) | instid1(VALU_DEP_2)
	v_lshrrev_b64 v[18:19], 21, v[44:45]
	v_cmp_gt_i32_e32 vcc_lo, 32, v46
	v_min_i32_e32 v2, 31, v46
	v_cmp_eq_u32_e64 s14, 0, v46
	s_delay_alu instid0(VALU_DEP_2) | instskip(SKIP_1) | instid1(VALU_DEP_2)
	v_dual_cndmask_b32 v19, 0, v19 :: v_dual_lshlrev_b32 v2, 2, v2
	v_cndmask_b32_e32 v18, 3, v18, vcc_lo
	v_and_b32_e32 v2, 0xfc, v2
	s_delay_alu instid0(VALU_DEP_2) | instskip(NEXT) | instid1(VALU_DEP_2)
	v_cmp_eq_u64_e32 vcc_lo, 0, v[18:19]
	v_and_or_b32 v2, v18, 3, v2
	s_and_b32 s14, s14, vcc_lo
	s_delay_alu instid0(VALU_DEP_1) | instid1(SALU_CYCLE_1)
	v_cndmask_b32_e64 v2, v2, 0, s14
	s_delay_alu instid0(VALU_DEP_1)
	v_or_b32_e32 v72, v2, v17
.LBB2_3286:                             ;   in Loop: Header=BB2_3198 Depth=4
	s_or_b32 exec_lo, exec_lo, s79
                                        ; implicit-def: $vgpr17
.LBB2_3287:                             ;   in Loop: Header=BB2_3198 Depth=4
	s_and_not1_saveexec_b32 s14, s78
; %bb.3288:                             ;   in Loop: Header=BB2_3198 Depth=4
	v_or_b32_e32 v72, 0x7b, v17
; %bb.3289:                             ;   in Loop: Header=BB2_3198 Depth=4
	s_or_b32 exec_lo, exec_lo, s14
                                        ; implicit-def: $vgpr44
                                        ; implicit-def: $vgpr17
.LBB2_3290:                             ;   in Loop: Header=BB2_3198 Depth=4
	s_and_not1_saveexec_b32 s14, s77
	s_cbranch_execz .LBB2_3296
; %bb.3291:                             ;   in Loop: Header=BB2_3198 Depth=4
	s_mov_b32 s77, exec_lo
                                        ; implicit-def: $vgpr72
	v_cmpx_ne_u64_e32 0, v[2:3]
	s_xor_b32 s77, exec_lo, s77
; %bb.3292:                             ;   in Loop: Header=BB2_3198 Depth=4
	v_or_b32_e32 v72, 0x7f, v17
                                        ; implicit-def: $vgpr44
; %bb.3293:                             ;   in Loop: Header=BB2_3198 Depth=4
	s_and_not1_saveexec_b32 s77, s77
; %bb.3294:                             ;   in Loop: Header=BB2_3198 Depth=4
	v_cmp_lt_i32_e32 vcc_lo, -1, v44
	v_cndmask_b32_e32 v72, 0xfc, v120, vcc_lo
; %bb.3295:                             ;   in Loop: Header=BB2_3198 Depth=4
	s_or_b32 exec_lo, exec_lo, s77
.LBB2_3296:                             ;   in Loop: Header=BB2_3198 Depth=4
	s_delay_alu instid0(SALU_CYCLE_1)
	s_or_b32 exec_lo, exec_lo, s14
	v_mov_b32_e32 v17, 0
	s_mov_b32 s14, exec_lo
	v_cmpx_lt_u32_e32 0xffffff, v8
	s_cbranch_execz .LBB2_3306
; %bb.3297:                             ;   in Loop: Header=BB2_3198 Depth=4
	v_lshrrev_b32_e32 v2, 24, v8
	v_bfrev_b32_e32 v17, 1
	s_mov_b32 s77, exec_lo
	s_delay_alu instid0(VALU_DEP_2)
	v_cmpx_ne_u32_e32 0x80, v2
	s_cbranch_execz .LBB2_3305
; %bb.3298:                             ;   in Loop: Header=BB2_3198 Depth=4
	v_and_b32_e32 v17, 0x7c000000, v8
	v_bfe_u32 v44, v8, 24, 2
	s_delay_alu instid0(VALU_DEP_2) | instskip(SKIP_1) | instid1(SALU_CYCLE_1)
	v_cmp_ne_u32_e32 vcc_lo, 0x7c000000, v17
                                        ; implicit-def: $vgpr17
	s_and_saveexec_b32 s78, vcc_lo
	s_xor_b32 s78, exec_lo, s78
	s_cbranch_execz .LBB2_3302
; %bb.3299:                             ;   in Loop: Header=BB2_3198 Depth=4
	v_bfe_u32 v17, v8, 26, 5
	s_mov_b32 s79, exec_lo
	s_delay_alu instid0(VALU_DEP_1)
	v_cmpx_eq_u32_e32 0, v17
; %bb.3300:                             ;   in Loop: Header=BB2_3198 Depth=4
	v_clz_i32_u32_e32 v17, v44
	s_delay_alu instid0(VALU_DEP_1) | instskip(NEXT) | instid1(VALU_DEP_1)
	v_min_u32_e32 v17, 32, v17
	v_subrev_nc_u32_e32 v18, 29, v17
	s_delay_alu instid0(VALU_DEP_1) | instskip(NEXT) | instid1(VALU_DEP_1)
	v_lshlrev_b64_e32 v[18:19], v18, v[2:3]
	v_dual_sub_nc_u32 v17, 30, v17 :: v_dual_bitop2_b32 v44, 3, v18 bitop3:0x40
; %bb.3301:                             ;   in Loop: Header=BB2_3198 Depth=4
	s_or_b32 exec_lo, exec_lo, s79
	v_and_b32_e32 v2, 0x80000000, v8
	s_delay_alu instid0(VALU_DEP_1) | instskip(NEXT) | instid1(VALU_DEP_1)
	v_lshl_add_u32 v2, v17, 23, v2
	v_lshl_or_b32 v2, v44, 21, v2
                                        ; implicit-def: $vgpr44
	s_delay_alu instid0(VALU_DEP_1)
	v_add_nc_u32_e32 v17, 0x38000000, v2
.LBB2_3302:                             ;   in Loop: Header=BB2_3198 Depth=4
	s_and_not1_saveexec_b32 s78, s78
; %bb.3303:                             ;   in Loop: Header=BB2_3198 Depth=4
	v_cmp_lt_i32_e32 vcc_lo, -1, v8
	v_cndmask_b32_e32 v2, 0xff800000, v111, vcc_lo
	v_cmp_eq_u32_e32 vcc_lo, 0, v44
	s_delay_alu instid0(VALU_DEP_2)
	v_cndmask_b32_e32 v17, 0x7f800001, v2, vcc_lo
; %bb.3304:                             ;   in Loop: Header=BB2_3198 Depth=4
	s_or_b32 exec_lo, exec_lo, s78
.LBB2_3305:                             ;   in Loop: Header=BB2_3198 Depth=4
	s_delay_alu instid0(SALU_CYCLE_1)
	s_or_b32 exec_lo, exec_lo, s77
.LBB2_3306:                             ;   in Loop: Header=BB2_3198 Depth=4
	s_delay_alu instid0(SALU_CYCLE_1) | instskip(NEXT) | instid1(VALU_DEP_1)
	s_or_b32 exec_lo, exec_lo, s14
	v_dual_mul_f32 v44, s76, v17 :: v_dual_mov_b32 v19, v3
                                        ; implicit-def: $vgpr75
	s_mov_b32 s14, exec_lo
	s_delay_alu instid0(VALU_DEP_1) | instskip(SKIP_2) | instid1(VALU_DEP_3)
	v_and_b32_e32 v18, 0x7f800000, v44
	v_and_b32_e32 v2, 0x7fffff, v44
	v_lshrrev_b32_e32 v17, 24, v44
	v_cmpx_ne_u64_e32 0x7f800000, v[18:19]
	s_xor_b32 s77, exec_lo, s14
	s_cbranch_execz .LBB2_3320
; %bb.3307:                             ;   in Loop: Header=BB2_3198 Depth=4
	v_and_b32_e32 v18, 0x7fffffff, v44
	v_mov_b32_e32 v19, v3
	v_and_b32_e32 v17, 0x80, v17
                                        ; implicit-def: $vgpr75
	s_mov_b32 s14, exec_lo
	s_delay_alu instid0(VALU_DEP_2)
	v_cmpx_gt_u64_e32 0x47600001, v[18:19]
	s_xor_b32 s78, exec_lo, s14
	s_cbranch_execz .LBB2_3317
; %bb.3308:                             ;   in Loop: Header=BB2_3198 Depth=4
	v_mov_b32_e32 v75, 0
	s_mov_b32 s79, exec_lo
	v_cmpx_ne_u32_e32 0, v44
	s_cbranch_execz .LBB2_3316
; %bb.3309:                             ;   in Loop: Header=BB2_3198 Depth=4
	v_bfe_u32 v56, v44, 23, 8
	v_or_b32_e32 v44, 0x800000, v2
	s_delay_alu instid0(VALU_DEP_2) | instskip(SKIP_1) | instid1(VALU_DEP_2)
	v_sub_nc_u32_e32 v18, 0x71, v56
	v_cmp_gt_u32_e32 vcc_lo, 0x72, v56
	v_cndmask_b32_e32 v18, 0, v18, vcc_lo
	v_cmp_eq_u32_e32 vcc_lo, 0, v56
	s_delay_alu instid0(VALU_DEP_2) | instskip(NEXT) | instid1(VALU_DEP_1)
	v_cndmask_b32_e64 v57, v18, 0x70, vcc_lo
	v_dual_cndmask_b32 v2, v44, v2, vcc_lo :: v_dual_add_nc_u32 v18, 21, v57
	v_add_nc_u32_e32 v45, 20, v57
	s_delay_alu instid0(VALU_DEP_2) | instskip(NEXT) | instid1(VALU_DEP_2)
	v_lshlrev_b64_e64 v[18:19], v18, -1
	v_lshlrev_b64_e64 v[46:47], v45, 1
	s_delay_alu instid0(VALU_DEP_4) | instskip(NEXT) | instid1(VALU_DEP_3)
	v_lshrrev_b64 v[44:45], v57, v[2:3]
	v_bfi_b32 v19, v19, 0, 0
	s_delay_alu instid0(VALU_DEP_4) | instskip(NEXT) | instid1(VALU_DEP_1)
	v_bfi_b32 v18, v18, 0, v2
	v_cmp_eq_u64_e64 s14, v[18:19], v[46:47]
	s_delay_alu instid0(VALU_DEP_4)
	v_mov_b64_e32 v[46:47], v[44:45]
	s_and_saveexec_b32 s88, s14
; %bb.3310:                             ;   in Loop: Header=BB2_3198 Depth=4
	v_bfe_u32 v2, v44, 21, 1
	s_delay_alu instid0(VALU_DEP_1) | instskip(NEXT) | instid1(VALU_DEP_1)
	v_add_nc_u64_e32 v[18:19], v[44:45], v[2:3]
	v_add_nc_u64_e32 v[46:47], -1, v[18:19]
; %bb.3311:                             ;   in Loop: Header=BB2_3198 Depth=4
	s_or_b32 exec_lo, exec_lo, s88
	v_add_nc_u32_e32 v2, 0xffffff81, v56
	v_lshrrev_b32_e32 v18, 23, v44
	s_mov_b32 s14, exec_lo
	s_delay_alu instid0(VALU_DEP_2) | instskip(NEXT) | instid1(VALU_DEP_1)
	v_cndmask_b32_e64 v2, v2, 0xffffff82, vcc_lo
	v_add3_u32 v47, v57, v2, v18
	v_and_b32_e32 v2, 0x1fffff, v46
                                        ; implicit-def: $vgpr46
	s_delay_alu instid0(VALU_DEP_1) | instskip(NEXT) | instid1(VALU_DEP_1)
	v_dual_add_nc_u32 v56, 14, v47 :: v_dual_add_nc_u32 v2, v2, v44
                                        ; implicit-def: $vgpr44_vgpr45
	v_cmpx_ne_u32_e32 0, v56
	s_xor_b32 s14, exec_lo, s14
; %bb.3312:                             ;   in Loop: Header=BB2_3198 Depth=4
	s_delay_alu instid0(VALU_DEP_2) | instskip(SKIP_1) | instid1(VALU_DEP_1)
	v_cmp_lt_u64_e32 vcc_lo, 0xffffff, v[2:3]
	v_add_nc_u32_e32 v18, 15, v47
	v_cndmask_b32_e32 v46, v56, v18, vcc_lo
	v_cndmask_b32_e64 v18, 0, 1, vcc_lo
	s_delay_alu instid0(VALU_DEP_1)
	v_lshrrev_b64 v[44:45], v18, v[2:3]
; %bb.3313:                             ;   in Loop: Header=BB2_3198 Depth=4
	s_and_not1_saveexec_b32 s14, s14
; %bb.3314:                             ;   in Loop: Header=BB2_3198 Depth=4
	v_mov_b64_e32 v[44:45], v[2:3]
	v_bfe_u32 v46, v2, 23, 1
; %bb.3315:                             ;   in Loop: Header=BB2_3198 Depth=4
	s_or_b32 exec_lo, exec_lo, s14
	s_delay_alu instid0(VALU_DEP_2) | instskip(NEXT) | instid1(VALU_DEP_2)
	v_lshrrev_b64 v[18:19], 21, v[44:45]
	v_cmp_gt_i32_e32 vcc_lo, 32, v46
	v_min_i32_e32 v2, 31, v46
	v_cmp_eq_u32_e64 s14, 0, v46
	s_delay_alu instid0(VALU_DEP_2) | instskip(SKIP_1) | instid1(VALU_DEP_2)
	v_dual_cndmask_b32 v19, 0, v19 :: v_dual_lshlrev_b32 v2, 2, v2
	v_cndmask_b32_e32 v18, 3, v18, vcc_lo
	v_and_b32_e32 v2, 0xfc, v2
	s_delay_alu instid0(VALU_DEP_2) | instskip(NEXT) | instid1(VALU_DEP_2)
	v_cmp_eq_u64_e32 vcc_lo, 0, v[18:19]
	v_and_or_b32 v2, v18, 3, v2
	s_and_b32 s14, s14, vcc_lo
	s_delay_alu instid0(VALU_DEP_1) | instid1(SALU_CYCLE_1)
	v_cndmask_b32_e64 v2, v2, 0, s14
	s_delay_alu instid0(VALU_DEP_1)
	v_or_b32_e32 v75, v2, v17
.LBB2_3316:                             ;   in Loop: Header=BB2_3198 Depth=4
	s_or_b32 exec_lo, exec_lo, s79
                                        ; implicit-def: $vgpr17
.LBB2_3317:                             ;   in Loop: Header=BB2_3198 Depth=4
	s_and_not1_saveexec_b32 s14, s78
; %bb.3318:                             ;   in Loop: Header=BB2_3198 Depth=4
	v_or_b32_e32 v75, 0x7b, v17
; %bb.3319:                             ;   in Loop: Header=BB2_3198 Depth=4
	s_or_b32 exec_lo, exec_lo, s14
                                        ; implicit-def: $vgpr44
                                        ; implicit-def: $vgpr17
.LBB2_3320:                             ;   in Loop: Header=BB2_3198 Depth=4
	s_and_not1_saveexec_b32 s14, s77
	s_cbranch_execz .LBB2_3326
; %bb.3321:                             ;   in Loop: Header=BB2_3198 Depth=4
	s_mov_b32 s77, exec_lo
                                        ; implicit-def: $vgpr75
	v_cmpx_ne_u64_e32 0, v[2:3]
	s_xor_b32 s77, exec_lo, s77
; %bb.3322:                             ;   in Loop: Header=BB2_3198 Depth=4
	v_or_b32_e32 v75, 0x7f, v17
                                        ; implicit-def: $vgpr44
; %bb.3323:                             ;   in Loop: Header=BB2_3198 Depth=4
	s_and_not1_saveexec_b32 s77, s77
; %bb.3324:                             ;   in Loop: Header=BB2_3198 Depth=4
	v_cmp_lt_i32_e32 vcc_lo, -1, v44
	v_cndmask_b32_e32 v75, 0xfc, v120, vcc_lo
; %bb.3325:                             ;   in Loop: Header=BB2_3198 Depth=4
	s_or_b32 exec_lo, exec_lo, s77
.LBB2_3326:                             ;   in Loop: Header=BB2_3198 Depth=4
	s_delay_alu instid0(SALU_CYCLE_1) | instskip(SKIP_3) | instid1(VALU_DEP_2)
	s_or_b32 exec_lo, exec_lo, s14
	v_and_b32_e32 v44, 0xff, v9
	v_dual_mov_b32 v2, v9 :: v_dual_mov_b32 v17, 0
	s_mov_b32 s14, exec_lo
	v_cmpx_ne_u16_e32 0, v44
	s_cbranch_execz .LBB2_3336
; %bb.3327:                             ;   in Loop: Header=BB2_3198 Depth=4
	v_bfrev_b32_e32 v17, 1
	s_mov_b32 s77, exec_lo
	v_cmpx_ne_u16_e32 0x80, v44
	s_cbranch_execz .LBB2_3335
; %bb.3328:                             ;   in Loop: Header=BB2_3198 Depth=4
	v_and_b32_e32 v17, 0x7c, v9
	v_and_b32_e32 v44, 3, v9
	s_delay_alu instid0(VALU_DEP_2) | instskip(SKIP_1) | instid1(SALU_CYCLE_1)
	v_cmp_ne_u32_e32 vcc_lo, 0x7c, v17
                                        ; implicit-def: $vgpr17
	s_and_saveexec_b32 s78, vcc_lo
	s_xor_b32 s78, exec_lo, s78
	s_cbranch_execz .LBB2_3332
; %bb.3329:                             ;   in Loop: Header=BB2_3198 Depth=4
	v_bfe_u32 v17, v9, 2, 5
	s_mov_b32 s79, exec_lo
	s_delay_alu instid0(VALU_DEP_1)
	v_cmpx_eq_u32_e32 0, v17
; %bb.3330:                             ;   in Loop: Header=BB2_3198 Depth=4
	v_clz_i32_u32_e32 v17, v44
	s_delay_alu instid0(VALU_DEP_1) | instskip(NEXT) | instid1(VALU_DEP_1)
	v_min_u32_e32 v17, 32, v17
	v_subrev_nc_u32_e32 v18, 29, v17
	s_delay_alu instid0(VALU_DEP_1) | instskip(NEXT) | instid1(VALU_DEP_1)
	v_lshlrev_b64_e32 v[18:19], v18, v[2:3]
	v_dual_sub_nc_u32 v17, 30, v17 :: v_dual_bitop2_b32 v44, 3, v18 bitop3:0x40
; %bb.3331:                             ;   in Loop: Header=BB2_3198 Depth=4
	s_or_b32 exec_lo, exec_lo, s79
	v_lshlrev_b32_e32 v18, 24, v9
	s_delay_alu instid0(VALU_DEP_1) | instskip(NEXT) | instid1(VALU_DEP_1)
	v_and_b32_e32 v18, 0x80000000, v18
	v_lshl_add_u32 v17, v17, 23, v18
	s_delay_alu instid0(VALU_DEP_1) | instskip(NEXT) | instid1(VALU_DEP_1)
	v_lshl_or_b32 v17, v44, 21, v17
                                        ; implicit-def: $vgpr44
	v_add_nc_u32_e32 v17, 0x38000000, v17
.LBB2_3332:                             ;   in Loop: Header=BB2_3198 Depth=4
	s_and_not1_saveexec_b32 s78, s78
; %bb.3333:                             ;   in Loop: Header=BB2_3198 Depth=4
	v_bfe_i32 v17, v9, 0, 8
	s_delay_alu instid0(VALU_DEP_1) | instskip(SKIP_2) | instid1(VALU_DEP_2)
	v_cmp_lt_i16_e32 vcc_lo, -1, v17
	v_cndmask_b32_e32 v17, 0xff800000, v111, vcc_lo
	v_cmp_eq_u32_e32 vcc_lo, 0, v44
	v_cndmask_b32_e32 v17, 0x7f800001, v17, vcc_lo
; %bb.3334:                             ;   in Loop: Header=BB2_3198 Depth=4
	s_or_b32 exec_lo, exec_lo, s78
.LBB2_3335:                             ;   in Loop: Header=BB2_3198 Depth=4
	s_delay_alu instid0(SALU_CYCLE_1)
	s_or_b32 exec_lo, exec_lo, s77
.LBB2_3336:                             ;   in Loop: Header=BB2_3198 Depth=4
	s_delay_alu instid0(SALU_CYCLE_1) | instskip(NEXT) | instid1(VALU_DEP_1)
	s_or_b32 exec_lo, exec_lo, s14
	v_dual_mul_f32 v46, s76, v17 :: v_dual_mov_b32 v19, v3
	v_mov_b32_e32 v45, v3
                                        ; implicit-def: $vgpr56
	s_mov_b32 s14, exec_lo
	s_delay_alu instid0(VALU_DEP_2) | instskip(SKIP_2) | instid1(VALU_DEP_3)
	v_and_b32_e32 v18, 0x7f800000, v46
	v_and_b32_e32 v44, 0x7fffff, v46
	v_lshrrev_b32_e32 v17, 24, v46
	v_cmpx_ne_u64_e32 0x7f800000, v[18:19]
	s_xor_b32 s77, exec_lo, s14
	s_cbranch_execz .LBB2_3350
; %bb.3337:                             ;   in Loop: Header=BB2_3198 Depth=4
	v_and_b32_e32 v18, 0x7fffffff, v46
	v_mov_b32_e32 v19, v3
	v_and_b32_e32 v17, 0x80, v17
                                        ; implicit-def: $vgpr56
	s_mov_b32 s14, exec_lo
	s_delay_alu instid0(VALU_DEP_2)
	v_cmpx_gt_u64_e32 0x47600001, v[18:19]
	s_xor_b32 s78, exec_lo, s14
	s_cbranch_execz .LBB2_3347
; %bb.3338:                             ;   in Loop: Header=BB2_3198 Depth=4
	v_mov_b32_e32 v56, 0
	s_mov_b32 s79, exec_lo
	v_cmpx_ne_u32_e32 0, v46
	s_cbranch_execz .LBB2_3346
; %bb.3339:                             ;   in Loop: Header=BB2_3198 Depth=4
	v_bfe_u32 v56, v46, 23, 8
	v_or_b32_e32 v46, 0x800000, v44
	s_delay_alu instid0(VALU_DEP_2) | instskip(SKIP_1) | instid1(VALU_DEP_2)
	v_sub_nc_u32_e32 v18, 0x71, v56
	v_cmp_gt_u32_e32 vcc_lo, 0x72, v56
	v_cndmask_b32_e32 v18, 0, v18, vcc_lo
	v_cmp_eq_u32_e32 vcc_lo, 0, v56
	s_delay_alu instid0(VALU_DEP_2) | instskip(NEXT) | instid1(VALU_DEP_1)
	v_cndmask_b32_e64 v57, v18, 0x70, vcc_lo
	v_dual_cndmask_b32 v44, v46, v44, vcc_lo :: v_dual_add_nc_u32 v18, 21, v57
	v_add_nc_u32_e32 v47, 20, v57
	s_delay_alu instid0(VALU_DEP_2) | instskip(NEXT) | instid1(VALU_DEP_2)
	v_lshlrev_b64_e64 v[18:19], v18, -1
	v_lshlrev_b64_e64 v[46:47], v47, 1
	s_delay_alu instid0(VALU_DEP_2) | instskip(SKIP_1) | instid1(VALU_DEP_4)
	v_bfi_b32 v18, v18, 0, v44
	v_lshrrev_b64 v[44:45], v57, v[44:45]
	v_bfi_b32 v19, v19, 0, 0
	s_delay_alu instid0(VALU_DEP_1) | instskip(NEXT) | instid1(VALU_DEP_3)
	v_cmp_eq_u64_e64 s14, v[18:19], v[46:47]
	v_mov_b64_e32 v[46:47], v[44:45]
	s_and_saveexec_b32 s88, s14
; %bb.3340:                             ;   in Loop: Header=BB2_3198 Depth=4
	v_bfe_u32 v18, v44, 21, 1
	v_mov_b32_e32 v19, v3
	s_delay_alu instid0(VALU_DEP_1) | instskip(NEXT) | instid1(VALU_DEP_1)
	v_add_nc_u64_e32 v[18:19], v[44:45], v[18:19]
	v_add_nc_u64_e32 v[46:47], -1, v[18:19]
; %bb.3341:                             ;   in Loop: Header=BB2_3198 Depth=4
	s_or_b32 exec_lo, exec_lo, s88
	v_dual_mov_b32 v45, v3 :: v_dual_add_nc_u32 v18, 0xffffff81, v56
	v_lshrrev_b32_e32 v19, 23, v44
	s_mov_b32 s14, exec_lo
	s_delay_alu instid0(VALU_DEP_2) | instskip(NEXT) | instid1(VALU_DEP_1)
	v_cndmask_b32_e64 v18, v18, 0xffffff82, vcc_lo
	v_add3_u32 v47, v57, v18, v19
	v_and_b32_e32 v18, 0x1fffff, v46
                                        ; implicit-def: $vgpr46
	s_delay_alu instid0(VALU_DEP_1) | instskip(NEXT) | instid1(VALU_DEP_1)
	v_dual_add_nc_u32 v56, 14, v47 :: v_dual_add_nc_u32 v44, v18, v44
	v_cmpx_ne_u32_e32 0, v56
	s_xor_b32 s14, exec_lo, s14
; %bb.3342:                             ;   in Loop: Header=BB2_3198 Depth=4
	s_delay_alu instid0(VALU_DEP_2) | instskip(SKIP_1) | instid1(VALU_DEP_1)
	v_cmp_lt_u64_e32 vcc_lo, 0xffffff, v[44:45]
	v_add_nc_u32_e32 v18, 15, v47
	v_cndmask_b32_e32 v46, v56, v18, vcc_lo
	v_cndmask_b32_e64 v18, 0, 1, vcc_lo
	s_delay_alu instid0(VALU_DEP_1)
	v_lshrrev_b64 v[44:45], v18, v[44:45]
; %bb.3343:                             ;   in Loop: Header=BB2_3198 Depth=4
	s_and_not1_saveexec_b32 s14, s14
; %bb.3344:                             ;   in Loop: Header=BB2_3198 Depth=4
	s_delay_alu instid0(VALU_DEP_1)
	v_bfe_u32 v46, v44, 23, 1
; %bb.3345:                             ;   in Loop: Header=BB2_3198 Depth=4
	s_or_b32 exec_lo, exec_lo, s14
	s_delay_alu instid0(VALU_DEP_2) | instskip(NEXT) | instid1(VALU_DEP_2)
	v_lshrrev_b64 v[18:19], 21, v[44:45]
	v_cmp_gt_i32_e32 vcc_lo, 32, v46
	v_min_i32_e32 v44, 31, v46
	v_cmp_eq_u32_e64 s14, 0, v46
	s_delay_alu instid0(VALU_DEP_2) | instskip(SKIP_1) | instid1(VALU_DEP_2)
	v_dual_cndmask_b32 v19, 0, v19 :: v_dual_lshlrev_b32 v44, 2, v44
	v_cndmask_b32_e32 v18, 3, v18, vcc_lo
	v_and_b32_e32 v44, 0xfc, v44
	s_delay_alu instid0(VALU_DEP_2) | instskip(NEXT) | instid1(VALU_DEP_2)
	v_cmp_eq_u64_e32 vcc_lo, 0, v[18:19]
	v_and_or_b32 v18, v18, 3, v44
	s_and_b32 s14, s14, vcc_lo
	s_delay_alu instid0(VALU_DEP_1) | instid1(SALU_CYCLE_1)
	v_cndmask_b32_e64 v18, v18, 0, s14
	s_delay_alu instid0(VALU_DEP_1)
	v_or_b32_e32 v56, v18, v17
.LBB2_3346:                             ;   in Loop: Header=BB2_3198 Depth=4
	s_or_b32 exec_lo, exec_lo, s79
                                        ; implicit-def: $vgpr17
.LBB2_3347:                             ;   in Loop: Header=BB2_3198 Depth=4
	s_and_not1_saveexec_b32 s14, s78
; %bb.3348:                             ;   in Loop: Header=BB2_3198 Depth=4
	v_or_b32_e32 v56, 0x7b, v17
; %bb.3349:                             ;   in Loop: Header=BB2_3198 Depth=4
	s_or_b32 exec_lo, exec_lo, s14
                                        ; implicit-def: $vgpr46
                                        ; implicit-def: $vgpr44_vgpr45
                                        ; implicit-def: $vgpr17
.LBB2_3350:                             ;   in Loop: Header=BB2_3198 Depth=4
	s_and_not1_saveexec_b32 s14, s77
	s_cbranch_execz .LBB2_3356
; %bb.3351:                             ;   in Loop: Header=BB2_3198 Depth=4
	s_mov_b32 s77, exec_lo
                                        ; implicit-def: $vgpr56
	v_cmpx_ne_u64_e32 0, v[44:45]
	s_xor_b32 s77, exec_lo, s77
; %bb.3352:                             ;   in Loop: Header=BB2_3198 Depth=4
	v_or_b32_e32 v56, 0x7f, v17
                                        ; implicit-def: $vgpr46
; %bb.3353:                             ;   in Loop: Header=BB2_3198 Depth=4
	s_and_not1_saveexec_b32 s77, s77
; %bb.3354:                             ;   in Loop: Header=BB2_3198 Depth=4
	v_cmp_lt_i32_e32 vcc_lo, -1, v46
	v_cndmask_b32_e32 v56, 0xfc, v120, vcc_lo
; %bb.3355:                             ;   in Loop: Header=BB2_3198 Depth=4
	s_or_b32 exec_lo, exec_lo, s77
.LBB2_3356:                             ;   in Loop: Header=BB2_3198 Depth=4
	s_delay_alu instid0(SALU_CYCLE_1) | instskip(SKIP_3) | instid1(VALU_DEP_2)
	s_or_b32 exec_lo, exec_lo, s14
	v_lshrrev_b16 v44, 8, v2
	v_mov_b32_e32 v45, 0
	s_mov_b32 s14, exec_lo
	v_cmpx_ne_u16_e32 0, v44
	s_cbranch_execz .LBB2_3366
; %bb.3357:                             ;   in Loop: Header=BB2_3198 Depth=4
	v_bfrev_b32_e32 v45, 1
	s_mov_b32 s77, exec_lo
	v_cmpx_ne_u16_e32 0x80, v44
	s_cbranch_execz .LBB2_3365
; %bb.3358:                             ;   in Loop: Header=BB2_3198 Depth=4
	v_and_b32_e32 v46, 0xffff, v44
	s_mov_b32 s78, exec_lo
                                        ; implicit-def: $vgpr45
	s_delay_alu instid0(VALU_DEP_1) | instskip(SKIP_1) | instid1(VALU_DEP_2)
	v_and_b32_e32 v18, 0x7c, v46
	v_and_b32_e32 v17, 3, v46
	v_cmpx_ne_u32_e32 0x7c, v18
	s_xor_b32 s78, exec_lo, s78
	s_cbranch_execz .LBB2_3362
; %bb.3359:                             ;   in Loop: Header=BB2_3198 Depth=4
	v_bfe_u32 v45, v46, 2, 5
	s_mov_b32 s79, exec_lo
	s_delay_alu instid0(VALU_DEP_1)
	v_cmpx_eq_u32_e32 0, v45
; %bb.3360:                             ;   in Loop: Header=BB2_3198 Depth=4
	v_clz_i32_u32_e32 v17, v17
	v_mov_b32_e32 v45, v3
	s_delay_alu instid0(VALU_DEP_2) | instskip(NEXT) | instid1(VALU_DEP_1)
	v_min_u32_e32 v17, 32, v17
	v_subrev_nc_u32_e32 v18, 29, v17
	s_delay_alu instid0(VALU_DEP_1) | instskip(NEXT) | instid1(VALU_DEP_1)
	v_lshlrev_b64_e32 v[18:19], v18, v[44:45]
	v_dual_sub_nc_u32 v45, 30, v17 :: v_dual_bitop2_b32 v17, 3, v18 bitop3:0x40
; %bb.3361:                             ;   in Loop: Header=BB2_3198 Depth=4
	s_or_b32 exec_lo, exec_lo, s79
	v_lshlrev_b32_e32 v2, 16, v2
	s_delay_alu instid0(VALU_DEP_1) | instskip(NEXT) | instid1(VALU_DEP_1)
	v_and_b32_e32 v2, 0x80000000, v2
	v_lshl_add_u32 v2, v45, 23, v2
	s_delay_alu instid0(VALU_DEP_1) | instskip(NEXT) | instid1(VALU_DEP_1)
	v_lshl_or_b32 v2, v17, 21, v2
                                        ; implicit-def: $vgpr17
	v_add_nc_u32_e32 v45, 0x38000000, v2
.LBB2_3362:                             ;   in Loop: Header=BB2_3198 Depth=4
	s_and_not1_saveexec_b32 s78, s78
; %bb.3363:                             ;   in Loop: Header=BB2_3198 Depth=4
	v_cmp_lt_i16_e32 vcc_lo, -1, v2
	v_cndmask_b32_e32 v2, 0xff800000, v111, vcc_lo
	v_cmp_eq_u32_e32 vcc_lo, 0, v17
	s_delay_alu instid0(VALU_DEP_2)
	v_cndmask_b32_e32 v45, 0x7f800001, v2, vcc_lo
; %bb.3364:                             ;   in Loop: Header=BB2_3198 Depth=4
	s_or_b32 exec_lo, exec_lo, s78
.LBB2_3365:                             ;   in Loop: Header=BB2_3198 Depth=4
	s_delay_alu instid0(SALU_CYCLE_1)
	s_or_b32 exec_lo, exec_lo, s77
.LBB2_3366:                             ;   in Loop: Header=BB2_3198 Depth=4
	s_delay_alu instid0(SALU_CYCLE_1) | instskip(NEXT) | instid1(VALU_DEP_1)
	s_or_b32 exec_lo, exec_lo, s14
	v_dual_mul_f32 v44, s76, v45 :: v_dual_mov_b32 v19, v3
                                        ; implicit-def: $vgpr57
	s_mov_b32 s14, exec_lo
	s_delay_alu instid0(VALU_DEP_1) | instskip(SKIP_2) | instid1(VALU_DEP_3)
	v_and_b32_e32 v18, 0x7f800000, v44
	v_and_b32_e32 v2, 0x7fffff, v44
	v_lshrrev_b32_e32 v17, 24, v44
	v_cmpx_ne_u64_e32 0x7f800000, v[18:19]
	s_xor_b32 s77, exec_lo, s14
	s_cbranch_execz .LBB2_3380
; %bb.3367:                             ;   in Loop: Header=BB2_3198 Depth=4
	v_and_b32_e32 v18, 0x7fffffff, v44
	v_mov_b32_e32 v19, v3
	v_and_b32_e32 v17, 0x80, v17
                                        ; implicit-def: $vgpr57
	s_mov_b32 s14, exec_lo
	s_delay_alu instid0(VALU_DEP_2)
	v_cmpx_gt_u64_e32 0x47600001, v[18:19]
	s_xor_b32 s78, exec_lo, s14
	s_cbranch_execz .LBB2_3377
; %bb.3368:                             ;   in Loop: Header=BB2_3198 Depth=4
	v_mov_b32_e32 v57, 0
	s_mov_b32 s79, exec_lo
	v_cmpx_ne_u32_e32 0, v44
	s_cbranch_execz .LBB2_3376
; %bb.3369:                             ;   in Loop: Header=BB2_3198 Depth=4
	v_bfe_u32 v57, v44, 23, 8
	v_or_b32_e32 v44, 0x800000, v2
	s_delay_alu instid0(VALU_DEP_2) | instskip(SKIP_1) | instid1(VALU_DEP_2)
	v_sub_nc_u32_e32 v18, 0x71, v57
	v_cmp_gt_u32_e32 vcc_lo, 0x72, v57
	v_cndmask_b32_e32 v18, 0, v18, vcc_lo
	v_cmp_eq_u32_e32 vcc_lo, 0, v57
	s_delay_alu instid0(VALU_DEP_2) | instskip(NEXT) | instid1(VALU_DEP_1)
	v_cndmask_b32_e64 v73, v18, 0x70, vcc_lo
	v_dual_cndmask_b32 v2, v44, v2, vcc_lo :: v_dual_add_nc_u32 v18, 21, v73
	v_add_nc_u32_e32 v45, 20, v73
	s_delay_alu instid0(VALU_DEP_2) | instskip(NEXT) | instid1(VALU_DEP_2)
	v_lshlrev_b64_e64 v[18:19], v18, -1
	v_lshlrev_b64_e64 v[46:47], v45, 1
	s_delay_alu instid0(VALU_DEP_4) | instskip(NEXT) | instid1(VALU_DEP_3)
	v_lshrrev_b64 v[44:45], v73, v[2:3]
	v_bfi_b32 v19, v19, 0, 0
	s_delay_alu instid0(VALU_DEP_4) | instskip(NEXT) | instid1(VALU_DEP_1)
	v_bfi_b32 v18, v18, 0, v2
	v_cmp_eq_u64_e64 s14, v[18:19], v[46:47]
	s_delay_alu instid0(VALU_DEP_4)
	v_mov_b64_e32 v[46:47], v[44:45]
	s_and_saveexec_b32 s88, s14
; %bb.3370:                             ;   in Loop: Header=BB2_3198 Depth=4
	v_bfe_u32 v2, v44, 21, 1
	s_delay_alu instid0(VALU_DEP_1) | instskip(NEXT) | instid1(VALU_DEP_1)
	v_add_nc_u64_e32 v[18:19], v[44:45], v[2:3]
	v_add_nc_u64_e32 v[46:47], -1, v[18:19]
; %bb.3371:                             ;   in Loop: Header=BB2_3198 Depth=4
	s_or_b32 exec_lo, exec_lo, s88
	v_add_nc_u32_e32 v2, 0xffffff81, v57
	v_lshrrev_b32_e32 v18, 23, v44
	s_mov_b32 s14, exec_lo
	s_delay_alu instid0(VALU_DEP_2) | instskip(NEXT) | instid1(VALU_DEP_1)
	v_cndmask_b32_e64 v2, v2, 0xffffff82, vcc_lo
	v_add3_u32 v47, v73, v2, v18
	v_and_b32_e32 v2, 0x1fffff, v46
                                        ; implicit-def: $vgpr46
	s_delay_alu instid0(VALU_DEP_1) | instskip(NEXT) | instid1(VALU_DEP_1)
	v_dual_add_nc_u32 v57, 14, v47 :: v_dual_add_nc_u32 v2, v2, v44
                                        ; implicit-def: $vgpr44_vgpr45
	v_cmpx_ne_u32_e32 0, v57
	s_xor_b32 s14, exec_lo, s14
; %bb.3372:                             ;   in Loop: Header=BB2_3198 Depth=4
	s_delay_alu instid0(VALU_DEP_2) | instskip(SKIP_1) | instid1(VALU_DEP_1)
	v_cmp_lt_u64_e32 vcc_lo, 0xffffff, v[2:3]
	v_add_nc_u32_e32 v18, 15, v47
	v_cndmask_b32_e32 v46, v57, v18, vcc_lo
	v_cndmask_b32_e64 v18, 0, 1, vcc_lo
	s_delay_alu instid0(VALU_DEP_1)
	v_lshrrev_b64 v[44:45], v18, v[2:3]
; %bb.3373:                             ;   in Loop: Header=BB2_3198 Depth=4
	s_and_not1_saveexec_b32 s14, s14
; %bb.3374:                             ;   in Loop: Header=BB2_3198 Depth=4
	v_mov_b64_e32 v[44:45], v[2:3]
	v_bfe_u32 v46, v2, 23, 1
; %bb.3375:                             ;   in Loop: Header=BB2_3198 Depth=4
	s_or_b32 exec_lo, exec_lo, s14
	s_delay_alu instid0(VALU_DEP_2) | instskip(NEXT) | instid1(VALU_DEP_2)
	v_lshrrev_b64 v[18:19], 21, v[44:45]
	v_cmp_gt_i32_e32 vcc_lo, 32, v46
	v_min_i32_e32 v2, 31, v46
	v_cmp_eq_u32_e64 s14, 0, v46
	s_delay_alu instid0(VALU_DEP_2) | instskip(SKIP_1) | instid1(VALU_DEP_2)
	v_dual_cndmask_b32 v19, 0, v19 :: v_dual_lshlrev_b32 v2, 2, v2
	v_cndmask_b32_e32 v18, 3, v18, vcc_lo
	v_and_b32_e32 v2, 0xfc, v2
	s_delay_alu instid0(VALU_DEP_2) | instskip(NEXT) | instid1(VALU_DEP_2)
	v_cmp_eq_u64_e32 vcc_lo, 0, v[18:19]
	v_and_or_b32 v2, v18, 3, v2
	s_and_b32 s14, s14, vcc_lo
	s_delay_alu instid0(VALU_DEP_1) | instid1(SALU_CYCLE_1)
	v_cndmask_b32_e64 v2, v2, 0, s14
	s_delay_alu instid0(VALU_DEP_1)
	v_or_b32_e32 v57, v2, v17
.LBB2_3376:                             ;   in Loop: Header=BB2_3198 Depth=4
	s_or_b32 exec_lo, exec_lo, s79
                                        ; implicit-def: $vgpr17
.LBB2_3377:                             ;   in Loop: Header=BB2_3198 Depth=4
	s_and_not1_saveexec_b32 s14, s78
; %bb.3378:                             ;   in Loop: Header=BB2_3198 Depth=4
	v_or_b32_e32 v57, 0x7b, v17
; %bb.3379:                             ;   in Loop: Header=BB2_3198 Depth=4
	s_or_b32 exec_lo, exec_lo, s14
                                        ; implicit-def: $vgpr44
                                        ; implicit-def: $vgpr17
.LBB2_3380:                             ;   in Loop: Header=BB2_3198 Depth=4
	s_and_not1_saveexec_b32 s14, s77
	s_cbranch_execz .LBB2_3386
; %bb.3381:                             ;   in Loop: Header=BB2_3198 Depth=4
	s_mov_b32 s77, exec_lo
                                        ; implicit-def: $vgpr57
	v_cmpx_ne_u64_e32 0, v[2:3]
	s_xor_b32 s77, exec_lo, s77
; %bb.3382:                             ;   in Loop: Header=BB2_3198 Depth=4
	v_or_b32_e32 v57, 0x7f, v17
                                        ; implicit-def: $vgpr44
; %bb.3383:                             ;   in Loop: Header=BB2_3198 Depth=4
	s_and_not1_saveexec_b32 s77, s77
; %bb.3384:                             ;   in Loop: Header=BB2_3198 Depth=4
	v_cmp_lt_i32_e32 vcc_lo, -1, v44
	v_cndmask_b32_e32 v57, 0xfc, v120, vcc_lo
; %bb.3385:                             ;   in Loop: Header=BB2_3198 Depth=4
	s_or_b32 exec_lo, exec_lo, s77
.LBB2_3386:                             ;   in Loop: Header=BB2_3198 Depth=4
	s_delay_alu instid0(SALU_CYCLE_1) | instskip(SKIP_2) | instid1(VALU_DEP_1)
	s_or_b32 exec_lo, exec_lo, s14
	v_dual_mov_b32 v17, 0 :: v_dual_lshrrev_b32 v2, 16, v9
	s_mov_b32 s14, exec_lo
	v_and_b32_e32 v44, 0xff, v2
	s_delay_alu instid0(VALU_DEP_1)
	v_cmpx_ne_u16_e32 0, v44
	s_cbranch_execz .LBB2_3396
; %bb.3387:                             ;   in Loop: Header=BB2_3198 Depth=4
	v_bfrev_b32_e32 v17, 1
	s_mov_b32 s77, exec_lo
	v_cmpx_ne_u16_e32 0x80, v44
	s_cbranch_execz .LBB2_3395
; %bb.3388:                             ;   in Loop: Header=BB2_3198 Depth=4
	v_and_b32_e32 v17, 0x7c0000, v9
	v_bfe_u32 v44, v9, 16, 2
	s_delay_alu instid0(VALU_DEP_2) | instskip(SKIP_1) | instid1(SALU_CYCLE_1)
	v_cmp_ne_u32_e32 vcc_lo, 0x7c0000, v17
                                        ; implicit-def: $vgpr17
	s_and_saveexec_b32 s78, vcc_lo
	s_xor_b32 s78, exec_lo, s78
	s_cbranch_execz .LBB2_3392
; %bb.3389:                             ;   in Loop: Header=BB2_3198 Depth=4
	v_bfe_u32 v17, v9, 18, 5
	s_mov_b32 s79, exec_lo
	s_delay_alu instid0(VALU_DEP_1)
	v_cmpx_eq_u32_e32 0, v17
; %bb.3390:                             ;   in Loop: Header=BB2_3198 Depth=4
	v_clz_i32_u32_e32 v17, v44
	s_delay_alu instid0(VALU_DEP_1) | instskip(NEXT) | instid1(VALU_DEP_1)
	v_min_u32_e32 v17, 32, v17
	v_subrev_nc_u32_e32 v18, 29, v17
	s_delay_alu instid0(VALU_DEP_1) | instskip(NEXT) | instid1(VALU_DEP_1)
	v_lshlrev_b64_e32 v[18:19], v18, v[2:3]
	v_dual_sub_nc_u32 v17, 30, v17 :: v_dual_bitop2_b32 v44, 3, v18 bitop3:0x40
; %bb.3391:                             ;   in Loop: Header=BB2_3198 Depth=4
	s_or_b32 exec_lo, exec_lo, s79
	v_lshlrev_b32_e32 v2, 24, v2
	s_delay_alu instid0(VALU_DEP_1) | instskip(NEXT) | instid1(VALU_DEP_1)
	v_and_b32_e32 v2, 0x80000000, v2
	v_lshl_add_u32 v2, v17, 23, v2
	s_delay_alu instid0(VALU_DEP_1) | instskip(NEXT) | instid1(VALU_DEP_1)
	v_lshl_or_b32 v2, v44, 21, v2
                                        ; implicit-def: $vgpr44
	v_add_nc_u32_e32 v17, 0x38000000, v2
                                        ; implicit-def: $vgpr2
.LBB2_3392:                             ;   in Loop: Header=BB2_3198 Depth=4
	s_and_not1_saveexec_b32 s78, s78
; %bb.3393:                             ;   in Loop: Header=BB2_3198 Depth=4
	v_bfe_i32 v2, v2, 0, 8
	s_delay_alu instid0(VALU_DEP_1) | instskip(SKIP_2) | instid1(VALU_DEP_2)
	v_cmp_lt_i16_e32 vcc_lo, -1, v2
	v_cndmask_b32_e32 v2, 0xff800000, v111, vcc_lo
	v_cmp_eq_u32_e32 vcc_lo, 0, v44
	v_cndmask_b32_e32 v17, 0x7f800001, v2, vcc_lo
; %bb.3394:                             ;   in Loop: Header=BB2_3198 Depth=4
	s_or_b32 exec_lo, exec_lo, s78
.LBB2_3395:                             ;   in Loop: Header=BB2_3198 Depth=4
	s_delay_alu instid0(SALU_CYCLE_1)
	s_or_b32 exec_lo, exec_lo, s77
.LBB2_3396:                             ;   in Loop: Header=BB2_3198 Depth=4
	s_delay_alu instid0(SALU_CYCLE_1) | instskip(NEXT) | instid1(VALU_DEP_1)
	s_or_b32 exec_lo, exec_lo, s14
	v_dual_mul_f32 v44, s76, v17 :: v_dual_mov_b32 v19, v3
                                        ; implicit-def: $vgpr90
	s_mov_b32 s14, exec_lo
	s_delay_alu instid0(VALU_DEP_1) | instskip(SKIP_2) | instid1(VALU_DEP_3)
	v_and_b32_e32 v18, 0x7f800000, v44
	v_and_b32_e32 v2, 0x7fffff, v44
	v_lshrrev_b32_e32 v17, 24, v44
	v_cmpx_ne_u64_e32 0x7f800000, v[18:19]
	s_xor_b32 s77, exec_lo, s14
	s_cbranch_execz .LBB2_3410
; %bb.3397:                             ;   in Loop: Header=BB2_3198 Depth=4
	v_and_b32_e32 v18, 0x7fffffff, v44
	v_mov_b32_e32 v19, v3
	v_and_b32_e32 v17, 0x80, v17
                                        ; implicit-def: $vgpr90
	s_mov_b32 s14, exec_lo
	s_delay_alu instid0(VALU_DEP_2)
	v_cmpx_gt_u64_e32 0x47600001, v[18:19]
	s_xor_b32 s78, exec_lo, s14
	s_cbranch_execz .LBB2_3407
; %bb.3398:                             ;   in Loop: Header=BB2_3198 Depth=4
	v_mov_b32_e32 v90, 0
	s_mov_b32 s79, exec_lo
	v_cmpx_ne_u32_e32 0, v44
	s_cbranch_execz .LBB2_3406
; %bb.3399:                             ;   in Loop: Header=BB2_3198 Depth=4
	v_bfe_u32 v73, v44, 23, 8
	v_or_b32_e32 v44, 0x800000, v2
	s_delay_alu instid0(VALU_DEP_2) | instskip(SKIP_1) | instid1(VALU_DEP_2)
	v_sub_nc_u32_e32 v18, 0x71, v73
	v_cmp_gt_u32_e32 vcc_lo, 0x72, v73
	v_cndmask_b32_e32 v18, 0, v18, vcc_lo
	v_cmp_eq_u32_e32 vcc_lo, 0, v73
	s_delay_alu instid0(VALU_DEP_2) | instskip(SKIP_1) | instid1(VALU_DEP_2)
	v_cndmask_b32_e64 v74, v18, 0x70, vcc_lo
	v_cndmask_b32_e32 v2, v44, v2, vcc_lo
	v_dual_add_nc_u32 v18, 21, v74 :: v_dual_add_nc_u32 v45, 20, v74
	s_delay_alu instid0(VALU_DEP_1) | instskip(NEXT) | instid1(VALU_DEP_2)
	v_lshlrev_b64_e64 v[18:19], v18, -1
	v_lshlrev_b64_e64 v[46:47], v45, 1
	s_delay_alu instid0(VALU_DEP_4) | instskip(NEXT) | instid1(VALU_DEP_3)
	v_lshrrev_b64 v[44:45], v74, v[2:3]
	v_bfi_b32 v19, v19, 0, 0
	s_delay_alu instid0(VALU_DEP_4) | instskip(NEXT) | instid1(VALU_DEP_1)
	v_bfi_b32 v18, v18, 0, v2
	v_cmp_eq_u64_e64 s14, v[18:19], v[46:47]
	s_delay_alu instid0(VALU_DEP_4)
	v_mov_b64_e32 v[46:47], v[44:45]
	s_and_saveexec_b32 s88, s14
; %bb.3400:                             ;   in Loop: Header=BB2_3198 Depth=4
	v_bfe_u32 v2, v44, 21, 1
	s_delay_alu instid0(VALU_DEP_1) | instskip(NEXT) | instid1(VALU_DEP_1)
	v_add_nc_u64_e32 v[18:19], v[44:45], v[2:3]
	v_add_nc_u64_e32 v[46:47], -1, v[18:19]
; %bb.3401:                             ;   in Loop: Header=BB2_3198 Depth=4
	s_or_b32 exec_lo, exec_lo, s88
	v_add_nc_u32_e32 v2, 0xffffff81, v73
	v_lshrrev_b32_e32 v18, 23, v44
	s_mov_b32 s14, exec_lo
	s_delay_alu instid0(VALU_DEP_2) | instskip(NEXT) | instid1(VALU_DEP_1)
	v_cndmask_b32_e64 v2, v2, 0xffffff82, vcc_lo
	v_add3_u32 v47, v74, v2, v18
	v_and_b32_e32 v2, 0x1fffff, v46
                                        ; implicit-def: $vgpr46
	s_delay_alu instid0(VALU_DEP_1) | instskip(NEXT) | instid1(VALU_DEP_1)
	v_dual_add_nc_u32 v73, 14, v47 :: v_dual_add_nc_u32 v2, v2, v44
                                        ; implicit-def: $vgpr44_vgpr45
	v_cmpx_ne_u32_e32 0, v73
	s_xor_b32 s14, exec_lo, s14
; %bb.3402:                             ;   in Loop: Header=BB2_3198 Depth=4
	s_delay_alu instid0(VALU_DEP_2) | instskip(SKIP_1) | instid1(VALU_DEP_1)
	v_cmp_lt_u64_e32 vcc_lo, 0xffffff, v[2:3]
	v_add_nc_u32_e32 v18, 15, v47
	v_cndmask_b32_e32 v46, v73, v18, vcc_lo
	v_cndmask_b32_e64 v18, 0, 1, vcc_lo
	s_delay_alu instid0(VALU_DEP_1)
	v_lshrrev_b64 v[44:45], v18, v[2:3]
; %bb.3403:                             ;   in Loop: Header=BB2_3198 Depth=4
	s_and_not1_saveexec_b32 s14, s14
; %bb.3404:                             ;   in Loop: Header=BB2_3198 Depth=4
	v_mov_b64_e32 v[44:45], v[2:3]
	v_bfe_u32 v46, v2, 23, 1
; %bb.3405:                             ;   in Loop: Header=BB2_3198 Depth=4
	s_or_b32 exec_lo, exec_lo, s14
	s_delay_alu instid0(VALU_DEP_2) | instskip(NEXT) | instid1(VALU_DEP_2)
	v_lshrrev_b64 v[18:19], 21, v[44:45]
	v_cmp_gt_i32_e32 vcc_lo, 32, v46
	v_min_i32_e32 v2, 31, v46
	v_cmp_eq_u32_e64 s14, 0, v46
	s_delay_alu instid0(VALU_DEP_2) | instskip(SKIP_1) | instid1(VALU_DEP_2)
	v_dual_cndmask_b32 v19, 0, v19 :: v_dual_lshlrev_b32 v2, 2, v2
	v_cndmask_b32_e32 v18, 3, v18, vcc_lo
	v_and_b32_e32 v2, 0xfc, v2
	s_delay_alu instid0(VALU_DEP_2) | instskip(NEXT) | instid1(VALU_DEP_2)
	v_cmp_eq_u64_e32 vcc_lo, 0, v[18:19]
	v_and_or_b32 v2, v18, 3, v2
	s_and_b32 s14, s14, vcc_lo
	s_delay_alu instid0(VALU_DEP_1) | instid1(SALU_CYCLE_1)
	v_cndmask_b32_e64 v2, v2, 0, s14
	s_delay_alu instid0(VALU_DEP_1)
	v_or_b32_e32 v90, v2, v17
.LBB2_3406:                             ;   in Loop: Header=BB2_3198 Depth=4
	s_or_b32 exec_lo, exec_lo, s79
                                        ; implicit-def: $vgpr17
.LBB2_3407:                             ;   in Loop: Header=BB2_3198 Depth=4
	s_and_not1_saveexec_b32 s14, s78
; %bb.3408:                             ;   in Loop: Header=BB2_3198 Depth=4
	v_or_b32_e32 v90, 0x7b, v17
; %bb.3409:                             ;   in Loop: Header=BB2_3198 Depth=4
	s_or_b32 exec_lo, exec_lo, s14
                                        ; implicit-def: $vgpr44
                                        ; implicit-def: $vgpr17
.LBB2_3410:                             ;   in Loop: Header=BB2_3198 Depth=4
	s_and_not1_saveexec_b32 s14, s77
	s_cbranch_execz .LBB2_3416
; %bb.3411:                             ;   in Loop: Header=BB2_3198 Depth=4
	s_mov_b32 s77, exec_lo
                                        ; implicit-def: $vgpr90
	v_cmpx_ne_u64_e32 0, v[2:3]
	s_xor_b32 s77, exec_lo, s77
; %bb.3412:                             ;   in Loop: Header=BB2_3198 Depth=4
	v_or_b32_e32 v90, 0x7f, v17
                                        ; implicit-def: $vgpr44
; %bb.3413:                             ;   in Loop: Header=BB2_3198 Depth=4
	s_and_not1_saveexec_b32 s77, s77
; %bb.3414:                             ;   in Loop: Header=BB2_3198 Depth=4
	v_cmp_lt_i32_e32 vcc_lo, -1, v44
	v_cndmask_b32_e32 v90, 0xfc, v120, vcc_lo
; %bb.3415:                             ;   in Loop: Header=BB2_3198 Depth=4
	s_or_b32 exec_lo, exec_lo, s77
.LBB2_3416:                             ;   in Loop: Header=BB2_3198 Depth=4
	s_delay_alu instid0(SALU_CYCLE_1)
	s_or_b32 exec_lo, exec_lo, s14
	v_mov_b32_e32 v17, 0
	s_mov_b32 s14, exec_lo
	v_cmpx_lt_u64_e64 s[22:23], v[8:9]
	s_cbranch_execz .LBB2_3426
; %bb.3417:                             ;   in Loop: Header=BB2_3198 Depth=4
	v_lshrrev_b32_e32 v2, 24, v9
	v_bfrev_b32_e32 v17, 1
	s_mov_b32 s77, exec_lo
	s_delay_alu instid0(VALU_DEP_2)
	v_cmpx_ne_u32_e32 0x80, v2
	s_cbranch_execz .LBB2_3425
; %bb.3418:                             ;   in Loop: Header=BB2_3198 Depth=4
	v_and_b32_e32 v17, 0x7c000000, v9
	v_bfe_u32 v44, v9, 24, 2
	s_delay_alu instid0(VALU_DEP_2) | instskip(SKIP_1) | instid1(SALU_CYCLE_1)
	v_cmp_ne_u32_e32 vcc_lo, 0x7c000000, v17
                                        ; implicit-def: $vgpr17
	s_and_saveexec_b32 s78, vcc_lo
	s_xor_b32 s78, exec_lo, s78
	s_cbranch_execz .LBB2_3422
; %bb.3419:                             ;   in Loop: Header=BB2_3198 Depth=4
	v_bfe_u32 v17, v9, 26, 5
	s_mov_b32 s79, exec_lo
	s_delay_alu instid0(VALU_DEP_1)
	v_cmpx_eq_u32_e32 0, v17
; %bb.3420:                             ;   in Loop: Header=BB2_3198 Depth=4
	v_clz_i32_u32_e32 v17, v44
	s_delay_alu instid0(VALU_DEP_1) | instskip(NEXT) | instid1(VALU_DEP_1)
	v_min_u32_e32 v17, 32, v17
	v_subrev_nc_u32_e32 v18, 29, v17
	s_delay_alu instid0(VALU_DEP_1) | instskip(NEXT) | instid1(VALU_DEP_1)
	v_lshlrev_b64_e32 v[18:19], v18, v[2:3]
	v_dual_sub_nc_u32 v17, 30, v17 :: v_dual_bitop2_b32 v44, 3, v18 bitop3:0x40
; %bb.3421:                             ;   in Loop: Header=BB2_3198 Depth=4
	s_or_b32 exec_lo, exec_lo, s79
	v_and_b32_e32 v2, 0x80000000, v9
	s_delay_alu instid0(VALU_DEP_1) | instskip(NEXT) | instid1(VALU_DEP_1)
	v_lshl_add_u32 v2, v17, 23, v2
	v_lshl_or_b32 v2, v44, 21, v2
                                        ; implicit-def: $vgpr44
	s_delay_alu instid0(VALU_DEP_1)
	v_add_nc_u32_e32 v17, 0x38000000, v2
.LBB2_3422:                             ;   in Loop: Header=BB2_3198 Depth=4
	s_and_not1_saveexec_b32 s78, s78
; %bb.3423:                             ;   in Loop: Header=BB2_3198 Depth=4
	v_cmp_lt_i64_e32 vcc_lo, -1, v[8:9]
	v_cndmask_b32_e32 v2, 0xff800000, v111, vcc_lo
	v_cmp_eq_u32_e32 vcc_lo, 0, v44
	s_delay_alu instid0(VALU_DEP_2)
	v_cndmask_b32_e32 v17, 0x7f800001, v2, vcc_lo
; %bb.3424:                             ;   in Loop: Header=BB2_3198 Depth=4
	s_or_b32 exec_lo, exec_lo, s78
.LBB2_3425:                             ;   in Loop: Header=BB2_3198 Depth=4
	s_delay_alu instid0(SALU_CYCLE_1)
	s_or_b32 exec_lo, exec_lo, s77
.LBB2_3426:                             ;   in Loop: Header=BB2_3198 Depth=4
	s_delay_alu instid0(SALU_CYCLE_1) | instskip(NEXT) | instid1(VALU_DEP_1)
	s_or_b32 exec_lo, exec_lo, s14
	v_dual_mul_f32 v8, s76, v17 :: v_dual_mov_b32 v19, v3
                                        ; implicit-def: $vgpr91
	s_mov_b32 s14, exec_lo
	s_delay_alu instid0(VALU_DEP_1) | instskip(SKIP_2) | instid1(VALU_DEP_3)
	v_and_b32_e32 v18, 0x7f800000, v8
	v_and_b32_e32 v2, 0x7fffff, v8
	v_lshrrev_b32_e32 v9, 24, v8
	v_cmpx_ne_u64_e32 0x7f800000, v[18:19]
	s_xor_b32 s77, exec_lo, s14
	s_cbranch_execz .LBB2_3440
; %bb.3427:                             ;   in Loop: Header=BB2_3198 Depth=4
	v_and_b32_e32 v18, 0x7fffffff, v8
	v_mov_b32_e32 v19, v3
	v_and_b32_e32 v17, 0x80, v9
                                        ; implicit-def: $vgpr91
	s_mov_b32 s14, exec_lo
	s_delay_alu instid0(VALU_DEP_2)
	v_cmpx_gt_u64_e32 0x47600001, v[18:19]
	s_xor_b32 s78, exec_lo, s14
	s_cbranch_execz .LBB2_3437
; %bb.3428:                             ;   in Loop: Header=BB2_3198 Depth=4
	v_mov_b32_e32 v91, 0
	s_mov_b32 s79, exec_lo
	v_cmpx_ne_u32_e32 0, v8
	s_cbranch_execz .LBB2_3436
; %bb.3429:                             ;   in Loop: Header=BB2_3198 Depth=4
	v_bfe_u32 v46, v8, 23, 8
	v_or_b32_e32 v18, 0x800000, v2
	s_delay_alu instid0(VALU_DEP_2) | instskip(SKIP_1) | instid1(VALU_DEP_2)
	v_sub_nc_u32_e32 v8, 0x71, v46
	v_cmp_gt_u32_e32 vcc_lo, 0x72, v46
	v_cndmask_b32_e32 v8, 0, v8, vcc_lo
	v_cmp_eq_u32_e32 vcc_lo, 0, v46
	s_delay_alu instid0(VALU_DEP_2) | instskip(NEXT) | instid1(VALU_DEP_1)
	v_cndmask_b32_e64 v47, v8, 0x70, vcc_lo
	v_dual_cndmask_b32 v2, v18, v2, vcc_lo :: v_dual_add_nc_u32 v8, 21, v47
	v_add_nc_u32_e32 v19, 20, v47
	s_delay_alu instid0(VALU_DEP_2) | instskip(NEXT) | instid1(VALU_DEP_2)
	v_lshlrev_b64_e64 v[8:9], v8, -1
	v_lshlrev_b64_e64 v[18:19], v19, 1
	s_delay_alu instid0(VALU_DEP_2) | instskip(NEXT) | instid1(VALU_DEP_3)
	v_bfi_b32 v45, v9, 0, 0
	v_bfi_b32 v44, v8, 0, v2
	v_lshrrev_b64 v[8:9], v47, v[2:3]
	s_delay_alu instid0(VALU_DEP_2) | instskip(NEXT) | instid1(VALU_DEP_2)
	v_cmp_eq_u64_e64 s14, v[44:45], v[18:19]
	v_mov_b64_e32 v[44:45], v[8:9]
	s_and_saveexec_b32 s88, s14
; %bb.3430:                             ;   in Loop: Header=BB2_3198 Depth=4
	v_bfe_u32 v2, v8, 21, 1
	s_delay_alu instid0(VALU_DEP_1) | instskip(NEXT) | instid1(VALU_DEP_1)
	v_add_nc_u64_e32 v[18:19], v[8:9], v[2:3]
	v_add_nc_u64_e32 v[44:45], -1, v[18:19]
; %bb.3431:                             ;   in Loop: Header=BB2_3198 Depth=4
	s_or_b32 exec_lo, exec_lo, s88
	v_add_nc_u32_e32 v2, 0xffffff81, v46
	v_lshrrev_b32_e32 v9, 23, v8
	s_mov_b32 s14, exec_lo
	s_delay_alu instid0(VALU_DEP_2) | instskip(NEXT) | instid1(VALU_DEP_1)
	v_cndmask_b32_e64 v2, v2, 0xffffff82, vcc_lo
	v_add3_u32 v45, v47, v2, v9
	v_and_b32_e32 v2, 0x1fffff, v44
                                        ; implicit-def: $vgpr44
	s_delay_alu instid0(VALU_DEP_1) | instskip(NEXT) | instid1(VALU_DEP_1)
	v_dual_add_nc_u32 v46, 14, v45 :: v_dual_add_nc_u32 v2, v2, v8
                                        ; implicit-def: $vgpr8_vgpr9
	v_cmpx_ne_u32_e32 0, v46
	s_xor_b32 s14, exec_lo, s14
; %bb.3432:                             ;   in Loop: Header=BB2_3198 Depth=4
	s_delay_alu instid0(VALU_DEP_2) | instskip(SKIP_1) | instid1(VALU_DEP_1)
	v_cmp_lt_u64_e32 vcc_lo, 0xffffff, v[2:3]
	v_add_nc_u32_e32 v8, 15, v45
	v_cndmask_b32_e32 v44, v46, v8, vcc_lo
	v_cndmask_b32_e64 v8, 0, 1, vcc_lo
	s_delay_alu instid0(VALU_DEP_1)
	v_lshrrev_b64 v[8:9], v8, v[2:3]
; %bb.3433:                             ;   in Loop: Header=BB2_3198 Depth=4
	s_and_not1_saveexec_b32 s14, s14
; %bb.3434:                             ;   in Loop: Header=BB2_3198 Depth=4
	v_mov_b64_e32 v[8:9], v[2:3]
	v_bfe_u32 v44, v2, 23, 1
; %bb.3435:                             ;   in Loop: Header=BB2_3198 Depth=4
	s_or_b32 exec_lo, exec_lo, s14
	s_delay_alu instid0(VALU_DEP_2) | instskip(NEXT) | instid1(VALU_DEP_2)
	v_lshrrev_b64 v[8:9], 21, v[8:9]
	v_cmp_gt_i32_e32 vcc_lo, 32, v44
	v_min_i32_e32 v2, 31, v44
	v_cmp_eq_u32_e64 s14, 0, v44
	s_delay_alu instid0(VALU_DEP_2) | instskip(SKIP_1) | instid1(VALU_DEP_2)
	v_dual_cndmask_b32 v9, 0, v9 :: v_dual_lshlrev_b32 v2, 2, v2
	v_cndmask_b32_e32 v8, 3, v8, vcc_lo
	v_and_b32_e32 v2, 0xfc, v2
	s_delay_alu instid0(VALU_DEP_2) | instskip(NEXT) | instid1(VALU_DEP_2)
	v_cmp_eq_u64_e32 vcc_lo, 0, v[8:9]
	v_and_or_b32 v2, v8, 3, v2
	s_and_b32 s14, s14, vcc_lo
	s_delay_alu instid0(VALU_DEP_1) | instid1(SALU_CYCLE_1)
	v_cndmask_b32_e64 v2, v2, 0, s14
	s_delay_alu instid0(VALU_DEP_1)
	v_or_b32_e32 v91, v2, v17
.LBB2_3436:                             ;   in Loop: Header=BB2_3198 Depth=4
	s_or_b32 exec_lo, exec_lo, s79
                                        ; implicit-def: $vgpr17
.LBB2_3437:                             ;   in Loop: Header=BB2_3198 Depth=4
	s_and_not1_saveexec_b32 s14, s78
; %bb.3438:                             ;   in Loop: Header=BB2_3198 Depth=4
	v_or_b32_e32 v91, 0x7b, v17
; %bb.3439:                             ;   in Loop: Header=BB2_3198 Depth=4
	s_or_b32 exec_lo, exec_lo, s14
                                        ; implicit-def: $vgpr8
                                        ; implicit-def: $vgpr9
.LBB2_3440:                             ;   in Loop: Header=BB2_3198 Depth=4
	s_and_not1_saveexec_b32 s14, s77
	s_cbranch_execz .LBB2_3446
; %bb.3441:                             ;   in Loop: Header=BB2_3198 Depth=4
	s_mov_b32 s77, exec_lo
                                        ; implicit-def: $vgpr91
	v_cmpx_ne_u64_e32 0, v[2:3]
	s_xor_b32 s77, exec_lo, s77
; %bb.3442:                             ;   in Loop: Header=BB2_3198 Depth=4
	v_or_b32_e32 v91, 0x7f, v9
                                        ; implicit-def: $vgpr8
; %bb.3443:                             ;   in Loop: Header=BB2_3198 Depth=4
	s_and_not1_saveexec_b32 s77, s77
; %bb.3444:                             ;   in Loop: Header=BB2_3198 Depth=4
	v_cmp_lt_i32_e32 vcc_lo, -1, v8
	v_cndmask_b32_e32 v91, 0xfc, v120, vcc_lo
; %bb.3445:                             ;   in Loop: Header=BB2_3198 Depth=4
	s_or_b32 exec_lo, exec_lo, s77
.LBB2_3446:                             ;   in Loop: Header=BB2_3198 Depth=4
	s_delay_alu instid0(SALU_CYCLE_1) | instskip(SKIP_1) | instid1(VALU_DEP_1)
	s_or_b32 exec_lo, exec_lo, s14
	v_and_b32_e32 v2, 0xff, v10
	v_cmp_ne_u16_e32 vcc_lo, 0, v2
	v_mov_b32_e32 v2, 0
	s_and_saveexec_b32 s14, vcc_lo
	s_cbranch_execz .LBB2_3456
; %bb.3447:                             ;   in Loop: Header=BB2_3198 Depth=4
	v_bfe_i32 v9, v10, 0, 8
	v_bfrev_b32_e32 v2, 1
	s_mov_b32 s77, exec_lo
	s_delay_alu instid0(VALU_DEP_2)
	v_cmpx_ne_u16_e32 0xff80, v9
	s_cbranch_execz .LBB2_3455
; %bb.3448:                             ;   in Loop: Header=BB2_3198 Depth=4
	v_and_b32_e32 v2, 0x7c, v10
	v_and_b32_e32 v8, 3, v10
	s_delay_alu instid0(VALU_DEP_2) | instskip(SKIP_1) | instid1(SALU_CYCLE_1)
	v_cmp_ne_u32_e32 vcc_lo, 0x7c, v2
                                        ; implicit-def: $vgpr2
	s_and_saveexec_b32 s78, vcc_lo
	s_xor_b32 s78, exec_lo, s78
	s_cbranch_execz .LBB2_3452
; %bb.3449:                             ;   in Loop: Header=BB2_3198 Depth=4
	v_bfe_u32 v2, v10, 2, 5
	s_mov_b32 s79, exec_lo
	s_delay_alu instid0(VALU_DEP_1)
	v_cmpx_eq_u32_e32 0, v2
; %bb.3450:                             ;   in Loop: Header=BB2_3198 Depth=4
	v_clz_i32_u32_e32 v2, v8
	s_delay_alu instid0(VALU_DEP_1) | instskip(NEXT) | instid1(VALU_DEP_1)
	v_min_u32_e32 v2, 32, v2
	v_subrev_nc_u32_e32 v8, 29, v2
	s_delay_alu instid0(VALU_DEP_1) | instskip(NEXT) | instid1(VALU_DEP_1)
	v_lshlrev_b64_e32 v[8:9], v8, v[10:11]
	v_dual_sub_nc_u32 v2, 30, v2 :: v_dual_bitop2_b32 v8, 3, v8 bitop3:0x40
; %bb.3451:                             ;   in Loop: Header=BB2_3198 Depth=4
	s_or_b32 exec_lo, exec_lo, s79
	v_lshlrev_b32_e32 v9, 24, v10
	s_delay_alu instid0(VALU_DEP_1) | instskip(NEXT) | instid1(VALU_DEP_1)
	v_and_b32_e32 v9, 0x80000000, v9
	v_lshl_add_u32 v2, v2, 23, v9
                                        ; implicit-def: $vgpr9
	s_delay_alu instid0(VALU_DEP_1) | instskip(NEXT) | instid1(VALU_DEP_1)
	v_lshl_or_b32 v2, v8, 21, v2
                                        ; implicit-def: $vgpr8
	v_add_nc_u32_e32 v2, 0x38000000, v2
.LBB2_3452:                             ;   in Loop: Header=BB2_3198 Depth=4
	s_and_not1_saveexec_b32 s78, s78
; %bb.3453:                             ;   in Loop: Header=BB2_3198 Depth=4
	v_cmp_lt_i16_e32 vcc_lo, -1, v9
	v_cndmask_b32_e32 v2, 0xff800000, v111, vcc_lo
	v_cmp_eq_u32_e32 vcc_lo, 0, v8
	s_delay_alu instid0(VALU_DEP_2)
	v_cndmask_b32_e32 v2, 0x7f800001, v2, vcc_lo
; %bb.3454:                             ;   in Loop: Header=BB2_3198 Depth=4
	s_or_b32 exec_lo, exec_lo, s78
.LBB2_3455:                             ;   in Loop: Header=BB2_3198 Depth=4
	s_delay_alu instid0(SALU_CYCLE_1)
	s_or_b32 exec_lo, exec_lo, s77
.LBB2_3456:                             ;   in Loop: Header=BB2_3198 Depth=4
	s_delay_alu instid0(SALU_CYCLE_1) | instskip(NEXT) | instid1(VALU_DEP_1)
	s_or_b32 exec_lo, exec_lo, s14
	v_dual_mul_f32 v8, s76, v2 :: v_dual_mov_b32 v19, v3
                                        ; implicit-def: $vgpr73
	s_mov_b32 s14, exec_lo
	s_delay_alu instid0(VALU_DEP_1) | instskip(SKIP_2) | instid1(VALU_DEP_3)
	v_and_b32_e32 v18, 0x7f800000, v8
	v_and_b32_e32 v2, 0x7fffff, v8
	v_lshrrev_b32_e32 v9, 24, v8
	v_cmpx_ne_u64_e32 0x7f800000, v[18:19]
	s_xor_b32 s77, exec_lo, s14
	s_cbranch_execz .LBB2_3470
; %bb.3457:                             ;   in Loop: Header=BB2_3198 Depth=4
	v_and_b32_e32 v18, 0x7fffffff, v8
	v_mov_b32_e32 v19, v3
	v_and_b32_e32 v17, 0x80, v9
                                        ; implicit-def: $vgpr73
	s_mov_b32 s14, exec_lo
	s_delay_alu instid0(VALU_DEP_2)
	v_cmpx_gt_u64_e32 0x47600001, v[18:19]
	s_xor_b32 s78, exec_lo, s14
	s_cbranch_execz .LBB2_3467
; %bb.3458:                             ;   in Loop: Header=BB2_3198 Depth=4
	v_mov_b32_e32 v73, 0
	s_mov_b32 s79, exec_lo
	v_cmpx_ne_u32_e32 0, v8
	s_cbranch_execz .LBB2_3466
; %bb.3459:                             ;   in Loop: Header=BB2_3198 Depth=4
	v_bfe_u32 v46, v8, 23, 8
	v_or_b32_e32 v18, 0x800000, v2
	s_delay_alu instid0(VALU_DEP_2) | instskip(SKIP_1) | instid1(VALU_DEP_2)
	v_sub_nc_u32_e32 v8, 0x71, v46
	v_cmp_gt_u32_e32 vcc_lo, 0x72, v46
	v_cndmask_b32_e32 v8, 0, v8, vcc_lo
	v_cmp_eq_u32_e32 vcc_lo, 0, v46
	s_delay_alu instid0(VALU_DEP_2) | instskip(NEXT) | instid1(VALU_DEP_1)
	v_cndmask_b32_e64 v47, v8, 0x70, vcc_lo
	v_dual_cndmask_b32 v2, v18, v2, vcc_lo :: v_dual_add_nc_u32 v8, 21, v47
	v_add_nc_u32_e32 v19, 20, v47
	s_delay_alu instid0(VALU_DEP_2) | instskip(NEXT) | instid1(VALU_DEP_2)
	v_lshlrev_b64_e64 v[8:9], v8, -1
	v_lshlrev_b64_e64 v[18:19], v19, 1
	s_delay_alu instid0(VALU_DEP_2) | instskip(NEXT) | instid1(VALU_DEP_3)
	v_bfi_b32 v45, v9, 0, 0
	v_bfi_b32 v44, v8, 0, v2
	v_lshrrev_b64 v[8:9], v47, v[2:3]
	s_delay_alu instid0(VALU_DEP_2) | instskip(NEXT) | instid1(VALU_DEP_2)
	v_cmp_eq_u64_e64 s14, v[44:45], v[18:19]
	v_mov_b64_e32 v[44:45], v[8:9]
	s_and_saveexec_b32 s88, s14
; %bb.3460:                             ;   in Loop: Header=BB2_3198 Depth=4
	v_bfe_u32 v2, v8, 21, 1
	s_delay_alu instid0(VALU_DEP_1) | instskip(NEXT) | instid1(VALU_DEP_1)
	v_add_nc_u64_e32 v[18:19], v[8:9], v[2:3]
	v_add_nc_u64_e32 v[44:45], -1, v[18:19]
; %bb.3461:                             ;   in Loop: Header=BB2_3198 Depth=4
	s_or_b32 exec_lo, exec_lo, s88
	v_add_nc_u32_e32 v2, 0xffffff81, v46
	v_lshrrev_b32_e32 v9, 23, v8
	s_mov_b32 s14, exec_lo
	s_delay_alu instid0(VALU_DEP_2) | instskip(NEXT) | instid1(VALU_DEP_1)
	v_cndmask_b32_e64 v2, v2, 0xffffff82, vcc_lo
	v_add3_u32 v45, v47, v2, v9
	v_and_b32_e32 v2, 0x1fffff, v44
                                        ; implicit-def: $vgpr44
	s_delay_alu instid0(VALU_DEP_1) | instskip(NEXT) | instid1(VALU_DEP_1)
	v_dual_add_nc_u32 v46, 14, v45 :: v_dual_add_nc_u32 v2, v2, v8
                                        ; implicit-def: $vgpr8_vgpr9
	v_cmpx_ne_u32_e32 0, v46
	s_xor_b32 s14, exec_lo, s14
; %bb.3462:                             ;   in Loop: Header=BB2_3198 Depth=4
	s_delay_alu instid0(VALU_DEP_2) | instskip(SKIP_1) | instid1(VALU_DEP_1)
	v_cmp_lt_u64_e32 vcc_lo, 0xffffff, v[2:3]
	v_add_nc_u32_e32 v8, 15, v45
	v_cndmask_b32_e32 v44, v46, v8, vcc_lo
	v_cndmask_b32_e64 v8, 0, 1, vcc_lo
	s_delay_alu instid0(VALU_DEP_1)
	v_lshrrev_b64 v[8:9], v8, v[2:3]
; %bb.3463:                             ;   in Loop: Header=BB2_3198 Depth=4
	s_and_not1_saveexec_b32 s14, s14
; %bb.3464:                             ;   in Loop: Header=BB2_3198 Depth=4
	v_mov_b64_e32 v[8:9], v[2:3]
	v_bfe_u32 v44, v2, 23, 1
; %bb.3465:                             ;   in Loop: Header=BB2_3198 Depth=4
	s_or_b32 exec_lo, exec_lo, s14
	s_delay_alu instid0(VALU_DEP_2) | instskip(NEXT) | instid1(VALU_DEP_2)
	v_lshrrev_b64 v[8:9], 21, v[8:9]
	v_cmp_gt_i32_e32 vcc_lo, 32, v44
	v_min_i32_e32 v2, 31, v44
	v_cmp_eq_u32_e64 s14, 0, v44
	s_delay_alu instid0(VALU_DEP_2) | instskip(SKIP_1) | instid1(VALU_DEP_2)
	v_dual_cndmask_b32 v9, 0, v9 :: v_dual_lshlrev_b32 v2, 2, v2
	v_cndmask_b32_e32 v8, 3, v8, vcc_lo
	v_and_b32_e32 v2, 0xfc, v2
	s_delay_alu instid0(VALU_DEP_2) | instskip(NEXT) | instid1(VALU_DEP_2)
	v_cmp_eq_u64_e32 vcc_lo, 0, v[8:9]
	v_and_or_b32 v2, v8, 3, v2
	s_and_b32 s14, s14, vcc_lo
	s_delay_alu instid0(VALU_DEP_1) | instid1(SALU_CYCLE_1)
	v_cndmask_b32_e64 v2, v2, 0, s14
	s_delay_alu instid0(VALU_DEP_1)
	v_or_b32_e32 v73, v2, v17
.LBB2_3466:                             ;   in Loop: Header=BB2_3198 Depth=4
	s_or_b32 exec_lo, exec_lo, s79
                                        ; implicit-def: $vgpr17
.LBB2_3467:                             ;   in Loop: Header=BB2_3198 Depth=4
	s_and_not1_saveexec_b32 s14, s78
; %bb.3468:                             ;   in Loop: Header=BB2_3198 Depth=4
	v_or_b32_e32 v73, 0x7b, v17
; %bb.3469:                             ;   in Loop: Header=BB2_3198 Depth=4
	s_or_b32 exec_lo, exec_lo, s14
                                        ; implicit-def: $vgpr8
                                        ; implicit-def: $vgpr9
.LBB2_3470:                             ;   in Loop: Header=BB2_3198 Depth=4
	s_and_not1_saveexec_b32 s14, s77
	s_cbranch_execz .LBB2_3476
; %bb.3471:                             ;   in Loop: Header=BB2_3198 Depth=4
	s_mov_b32 s77, exec_lo
                                        ; implicit-def: $vgpr73
	v_cmpx_ne_u64_e32 0, v[2:3]
	s_xor_b32 s77, exec_lo, s77
; %bb.3472:                             ;   in Loop: Header=BB2_3198 Depth=4
	v_or_b32_e32 v73, 0x7f, v9
                                        ; implicit-def: $vgpr8
; %bb.3473:                             ;   in Loop: Header=BB2_3198 Depth=4
	s_and_not1_saveexec_b32 s77, s77
; %bb.3474:                             ;   in Loop: Header=BB2_3198 Depth=4
	v_cmp_lt_i32_e32 vcc_lo, -1, v8
	v_cndmask_b32_e32 v73, 0xfc, v120, vcc_lo
; %bb.3475:                             ;   in Loop: Header=BB2_3198 Depth=4
	s_or_b32 exec_lo, exec_lo, s77
.LBB2_3476:                             ;   in Loop: Header=BB2_3198 Depth=4
	s_delay_alu instid0(SALU_CYCLE_1) | instskip(SKIP_3) | instid1(VALU_DEP_2)
	s_or_b32 exec_lo, exec_lo, s14
	v_lshrrev_b16 v2, 8, v10
	v_mov_b32_e32 v9, 0
	s_mov_b32 s14, exec_lo
	v_cmpx_ne_u16_e32 0, v2
	s_cbranch_execz .LBB2_3486
; %bb.3477:                             ;   in Loop: Header=BB2_3198 Depth=4
	v_bfrev_b32_e32 v9, 1
	s_mov_b32 s77, exec_lo
	v_cmpx_ne_u16_e32 0x80, v2
	s_cbranch_execz .LBB2_3485
; %bb.3478:                             ;   in Loop: Header=BB2_3198 Depth=4
	v_and_b32_e32 v17, 0xffff, v2
	s_delay_alu instid0(VALU_DEP_1) | instskip(SKIP_1) | instid1(VALU_DEP_2)
	v_and_b32_e32 v9, 0x7c, v17
	v_and_b32_e32 v8, 3, v17
	v_cmp_ne_u32_e32 vcc_lo, 0x7c, v9
                                        ; implicit-def: $vgpr9
	s_and_saveexec_b32 s78, vcc_lo
	s_delay_alu instid0(SALU_CYCLE_1)
	s_xor_b32 s78, exec_lo, s78
	s_cbranch_execz .LBB2_3482
; %bb.3479:                             ;   in Loop: Header=BB2_3198 Depth=4
	v_bfe_u32 v9, v17, 2, 5
	s_mov_b32 s79, exec_lo
	s_delay_alu instid0(VALU_DEP_1)
	v_cmpx_eq_u32_e32 0, v9
; %bb.3480:                             ;   in Loop: Header=BB2_3198 Depth=4
	v_clz_i32_u32_e32 v8, v8
	s_delay_alu instid0(VALU_DEP_1) | instskip(NEXT) | instid1(VALU_DEP_1)
	v_min_u32_e32 v17, 32, v8
	v_subrev_nc_u32_e32 v8, 29, v17
	s_delay_alu instid0(VALU_DEP_1) | instskip(NEXT) | instid1(VALU_DEP_1)
	v_lshlrev_b64_e32 v[8:9], v8, v[2:3]
	v_dual_sub_nc_u32 v9, 30, v17 :: v_dual_bitop2_b32 v8, 3, v8 bitop3:0x40
; %bb.3481:                             ;   in Loop: Header=BB2_3198 Depth=4
	s_or_b32 exec_lo, exec_lo, s79
	v_lshlrev_b32_e32 v2, 16, v10
	s_delay_alu instid0(VALU_DEP_1) | instskip(NEXT) | instid1(VALU_DEP_1)
	v_and_b32_e32 v2, 0x80000000, v2
	v_lshl_add_u32 v2, v9, 23, v2
	s_delay_alu instid0(VALU_DEP_1) | instskip(NEXT) | instid1(VALU_DEP_1)
	v_lshl_or_b32 v2, v8, 21, v2
                                        ; implicit-def: $vgpr8
	v_add_nc_u32_e32 v9, 0x38000000, v2
.LBB2_3482:                             ;   in Loop: Header=BB2_3198 Depth=4
	s_and_not1_saveexec_b32 s78, s78
; %bb.3483:                             ;   in Loop: Header=BB2_3198 Depth=4
	v_cmp_lt_i16_e32 vcc_lo, -1, v10
	v_cndmask_b32_e32 v2, 0xff800000, v111, vcc_lo
	v_cmp_eq_u32_e32 vcc_lo, 0, v8
	s_delay_alu instid0(VALU_DEP_2)
	v_cndmask_b32_e32 v9, 0x7f800001, v2, vcc_lo
; %bb.3484:                             ;   in Loop: Header=BB2_3198 Depth=4
	s_or_b32 exec_lo, exec_lo, s78
.LBB2_3485:                             ;   in Loop: Header=BB2_3198 Depth=4
	s_delay_alu instid0(SALU_CYCLE_1)
	s_or_b32 exec_lo, exec_lo, s77
.LBB2_3486:                             ;   in Loop: Header=BB2_3198 Depth=4
	s_delay_alu instid0(SALU_CYCLE_1) | instskip(NEXT) | instid1(VALU_DEP_1)
	s_or_b32 exec_lo, exec_lo, s14
	v_dual_mul_f32 v8, s76, v9 :: v_dual_mov_b32 v19, v3
                                        ; implicit-def: $vgpr77
	s_mov_b32 s14, exec_lo
	s_delay_alu instid0(VALU_DEP_1) | instskip(SKIP_2) | instid1(VALU_DEP_3)
	v_and_b32_e32 v18, 0x7f800000, v8
	v_and_b32_e32 v2, 0x7fffff, v8
	v_lshrrev_b32_e32 v9, 24, v8
	v_cmpx_ne_u64_e32 0x7f800000, v[18:19]
	s_xor_b32 s77, exec_lo, s14
	s_cbranch_execz .LBB2_3500
; %bb.3487:                             ;   in Loop: Header=BB2_3198 Depth=4
	v_and_b32_e32 v18, 0x7fffffff, v8
	v_mov_b32_e32 v19, v3
	v_and_b32_e32 v17, 0x80, v9
                                        ; implicit-def: $vgpr77
	s_mov_b32 s14, exec_lo
	s_delay_alu instid0(VALU_DEP_2)
	v_cmpx_gt_u64_e32 0x47600001, v[18:19]
	s_xor_b32 s78, exec_lo, s14
	s_cbranch_execz .LBB2_3497
; %bb.3488:                             ;   in Loop: Header=BB2_3198 Depth=4
	v_mov_b32_e32 v77, 0
	s_mov_b32 s79, exec_lo
	v_cmpx_ne_u32_e32 0, v8
	s_cbranch_execz .LBB2_3496
; %bb.3489:                             ;   in Loop: Header=BB2_3198 Depth=4
	v_bfe_u32 v46, v8, 23, 8
	v_or_b32_e32 v18, 0x800000, v2
	s_delay_alu instid0(VALU_DEP_2) | instskip(SKIP_1) | instid1(VALU_DEP_2)
	v_sub_nc_u32_e32 v8, 0x71, v46
	v_cmp_gt_u32_e32 vcc_lo, 0x72, v46
	v_cndmask_b32_e32 v8, 0, v8, vcc_lo
	v_cmp_eq_u32_e32 vcc_lo, 0, v46
	s_delay_alu instid0(VALU_DEP_2) | instskip(NEXT) | instid1(VALU_DEP_1)
	v_cndmask_b32_e64 v47, v8, 0x70, vcc_lo
	v_dual_cndmask_b32 v2, v18, v2, vcc_lo :: v_dual_add_nc_u32 v8, 21, v47
	v_add_nc_u32_e32 v19, 20, v47
	s_delay_alu instid0(VALU_DEP_2) | instskip(NEXT) | instid1(VALU_DEP_2)
	v_lshlrev_b64_e64 v[8:9], v8, -1
	v_lshlrev_b64_e64 v[18:19], v19, 1
	s_delay_alu instid0(VALU_DEP_2) | instskip(NEXT) | instid1(VALU_DEP_3)
	v_bfi_b32 v45, v9, 0, 0
	v_bfi_b32 v44, v8, 0, v2
	v_lshrrev_b64 v[8:9], v47, v[2:3]
	s_delay_alu instid0(VALU_DEP_2) | instskip(NEXT) | instid1(VALU_DEP_2)
	v_cmp_eq_u64_e64 s14, v[44:45], v[18:19]
	v_mov_b64_e32 v[44:45], v[8:9]
	s_and_saveexec_b32 s88, s14
; %bb.3490:                             ;   in Loop: Header=BB2_3198 Depth=4
	v_bfe_u32 v2, v8, 21, 1
	s_delay_alu instid0(VALU_DEP_1) | instskip(NEXT) | instid1(VALU_DEP_1)
	v_add_nc_u64_e32 v[18:19], v[8:9], v[2:3]
	v_add_nc_u64_e32 v[44:45], -1, v[18:19]
; %bb.3491:                             ;   in Loop: Header=BB2_3198 Depth=4
	s_or_b32 exec_lo, exec_lo, s88
	v_add_nc_u32_e32 v2, 0xffffff81, v46
	v_lshrrev_b32_e32 v9, 23, v8
	s_mov_b32 s14, exec_lo
	s_delay_alu instid0(VALU_DEP_2) | instskip(NEXT) | instid1(VALU_DEP_1)
	v_cndmask_b32_e64 v2, v2, 0xffffff82, vcc_lo
	v_add3_u32 v45, v47, v2, v9
	v_and_b32_e32 v2, 0x1fffff, v44
                                        ; implicit-def: $vgpr44
	s_delay_alu instid0(VALU_DEP_1) | instskip(NEXT) | instid1(VALU_DEP_1)
	v_dual_add_nc_u32 v46, 14, v45 :: v_dual_add_nc_u32 v2, v2, v8
                                        ; implicit-def: $vgpr8_vgpr9
	v_cmpx_ne_u32_e32 0, v46
	s_xor_b32 s14, exec_lo, s14
; %bb.3492:                             ;   in Loop: Header=BB2_3198 Depth=4
	s_delay_alu instid0(VALU_DEP_2) | instskip(SKIP_1) | instid1(VALU_DEP_1)
	v_cmp_lt_u64_e32 vcc_lo, 0xffffff, v[2:3]
	v_add_nc_u32_e32 v8, 15, v45
	v_cndmask_b32_e32 v44, v46, v8, vcc_lo
	v_cndmask_b32_e64 v8, 0, 1, vcc_lo
	s_delay_alu instid0(VALU_DEP_1)
	v_lshrrev_b64 v[8:9], v8, v[2:3]
; %bb.3493:                             ;   in Loop: Header=BB2_3198 Depth=4
	s_and_not1_saveexec_b32 s14, s14
; %bb.3494:                             ;   in Loop: Header=BB2_3198 Depth=4
	v_mov_b64_e32 v[8:9], v[2:3]
	v_bfe_u32 v44, v2, 23, 1
; %bb.3495:                             ;   in Loop: Header=BB2_3198 Depth=4
	s_or_b32 exec_lo, exec_lo, s14
	s_delay_alu instid0(VALU_DEP_2) | instskip(NEXT) | instid1(VALU_DEP_2)
	v_lshrrev_b64 v[8:9], 21, v[8:9]
	v_cmp_gt_i32_e32 vcc_lo, 32, v44
	v_min_i32_e32 v2, 31, v44
	v_cmp_eq_u32_e64 s14, 0, v44
	s_delay_alu instid0(VALU_DEP_2) | instskip(SKIP_1) | instid1(VALU_DEP_2)
	v_dual_cndmask_b32 v9, 0, v9 :: v_dual_lshlrev_b32 v2, 2, v2
	v_cndmask_b32_e32 v8, 3, v8, vcc_lo
	v_and_b32_e32 v2, 0xfc, v2
	s_delay_alu instid0(VALU_DEP_2) | instskip(NEXT) | instid1(VALU_DEP_2)
	v_cmp_eq_u64_e32 vcc_lo, 0, v[8:9]
	v_and_or_b32 v2, v8, 3, v2
	s_and_b32 s14, s14, vcc_lo
	s_delay_alu instid0(VALU_DEP_1) | instid1(SALU_CYCLE_1)
	v_cndmask_b32_e64 v2, v2, 0, s14
	s_delay_alu instid0(VALU_DEP_1)
	v_or_b32_e32 v77, v2, v17
.LBB2_3496:                             ;   in Loop: Header=BB2_3198 Depth=4
	s_or_b32 exec_lo, exec_lo, s79
                                        ; implicit-def: $vgpr17
.LBB2_3497:                             ;   in Loop: Header=BB2_3198 Depth=4
	s_and_not1_saveexec_b32 s14, s78
; %bb.3498:                             ;   in Loop: Header=BB2_3198 Depth=4
	v_or_b32_e32 v77, 0x7b, v17
; %bb.3499:                             ;   in Loop: Header=BB2_3198 Depth=4
	s_or_b32 exec_lo, exec_lo, s14
                                        ; implicit-def: $vgpr8
                                        ; implicit-def: $vgpr9
.LBB2_3500:                             ;   in Loop: Header=BB2_3198 Depth=4
	s_and_not1_saveexec_b32 s14, s77
	s_cbranch_execz .LBB2_3506
; %bb.3501:                             ;   in Loop: Header=BB2_3198 Depth=4
	s_mov_b32 s77, exec_lo
                                        ; implicit-def: $vgpr77
	v_cmpx_ne_u64_e32 0, v[2:3]
	s_xor_b32 s77, exec_lo, s77
; %bb.3502:                             ;   in Loop: Header=BB2_3198 Depth=4
	v_or_b32_e32 v77, 0x7f, v9
                                        ; implicit-def: $vgpr8
; %bb.3503:                             ;   in Loop: Header=BB2_3198 Depth=4
	s_and_not1_saveexec_b32 s77, s77
; %bb.3504:                             ;   in Loop: Header=BB2_3198 Depth=4
	v_cmp_lt_i32_e32 vcc_lo, -1, v8
	v_cndmask_b32_e32 v77, 0xfc, v120, vcc_lo
; %bb.3505:                             ;   in Loop: Header=BB2_3198 Depth=4
	s_or_b32 exec_lo, exec_lo, s77
.LBB2_3506:                             ;   in Loop: Header=BB2_3198 Depth=4
	s_delay_alu instid0(SALU_CYCLE_1) | instskip(SKIP_2) | instid1(VALU_DEP_1)
	s_or_b32 exec_lo, exec_lo, s14
	v_dual_lshrrev_b32 v2, 16, v10 :: v_dual_mov_b32 v8, 0
	s_mov_b32 s14, exec_lo
	v_and_b32_e32 v9, 0xff, v2
	s_delay_alu instid0(VALU_DEP_1)
	v_cmpx_ne_u16_e32 0, v9
	s_cbranch_execz .LBB2_3516
; %bb.3507:                             ;   in Loop: Header=BB2_3198 Depth=4
	v_bfrev_b32_e32 v8, 1
	s_mov_b32 s77, exec_lo
	v_cmpx_ne_u16_e32 0x80, v9
	s_cbranch_execz .LBB2_3515
; %bb.3508:                             ;   in Loop: Header=BB2_3198 Depth=4
	v_and_b32_e32 v8, 0x7c0000, v10
	v_bfe_u32 v9, v10, 16, 2
	s_delay_alu instid0(VALU_DEP_2) | instskip(SKIP_1) | instid1(SALU_CYCLE_1)
	v_cmp_ne_u32_e32 vcc_lo, 0x7c0000, v8
                                        ; implicit-def: $vgpr8
	s_and_saveexec_b32 s78, vcc_lo
	s_xor_b32 s78, exec_lo, s78
	s_cbranch_execz .LBB2_3512
; %bb.3509:                             ;   in Loop: Header=BB2_3198 Depth=4
	v_bfe_u32 v8, v10, 18, 5
	s_mov_b32 s79, exec_lo
	s_delay_alu instid0(VALU_DEP_1)
	v_cmpx_eq_u32_e32 0, v8
; %bb.3510:                             ;   in Loop: Header=BB2_3198 Depth=4
	v_clz_i32_u32_e32 v8, v9
	s_delay_alu instid0(VALU_DEP_1) | instskip(NEXT) | instid1(VALU_DEP_1)
	v_min_u32_e32 v8, 32, v8
	v_subrev_nc_u32_e32 v9, 29, v8
	s_delay_alu instid0(VALU_DEP_1) | instskip(NEXT) | instid1(VALU_DEP_1)
	v_lshlrev_b64_e32 v[18:19], v9, v[2:3]
	v_dual_sub_nc_u32 v8, 30, v8 :: v_dual_bitop2_b32 v9, 3, v18 bitop3:0x40
; %bb.3511:                             ;   in Loop: Header=BB2_3198 Depth=4
	s_or_b32 exec_lo, exec_lo, s79
	v_lshlrev_b32_e32 v2, 24, v2
	s_delay_alu instid0(VALU_DEP_1) | instskip(NEXT) | instid1(VALU_DEP_1)
	v_and_b32_e32 v2, 0x80000000, v2
	v_lshl_add_u32 v2, v8, 23, v2
	s_delay_alu instid0(VALU_DEP_1) | instskip(NEXT) | instid1(VALU_DEP_1)
	v_lshl_or_b32 v2, v9, 21, v2
                                        ; implicit-def: $vgpr9
	v_add_nc_u32_e32 v8, 0x38000000, v2
                                        ; implicit-def: $vgpr2
.LBB2_3512:                             ;   in Loop: Header=BB2_3198 Depth=4
	s_and_not1_saveexec_b32 s78, s78
; %bb.3513:                             ;   in Loop: Header=BB2_3198 Depth=4
	v_bfe_i32 v2, v2, 0, 8
	s_delay_alu instid0(VALU_DEP_1) | instskip(SKIP_2) | instid1(VALU_DEP_2)
	v_cmp_lt_i16_e32 vcc_lo, -1, v2
	v_cndmask_b32_e32 v2, 0xff800000, v111, vcc_lo
	v_cmp_eq_u32_e32 vcc_lo, 0, v9
	v_cndmask_b32_e32 v8, 0x7f800001, v2, vcc_lo
; %bb.3514:                             ;   in Loop: Header=BB2_3198 Depth=4
	s_or_b32 exec_lo, exec_lo, s78
.LBB2_3515:                             ;   in Loop: Header=BB2_3198 Depth=4
	s_delay_alu instid0(SALU_CYCLE_1)
	s_or_b32 exec_lo, exec_lo, s77
.LBB2_3516:                             ;   in Loop: Header=BB2_3198 Depth=4
	s_delay_alu instid0(SALU_CYCLE_1) | instskip(NEXT) | instid1(VALU_DEP_1)
	s_or_b32 exec_lo, exec_lo, s14
	v_dual_mul_f32 v8, s76, v8 :: v_dual_mov_b32 v19, v3
                                        ; implicit-def: $vgpr88
	s_mov_b32 s14, exec_lo
	s_delay_alu instid0(VALU_DEP_1) | instskip(SKIP_2) | instid1(VALU_DEP_3)
	v_and_b32_e32 v18, 0x7f800000, v8
	v_and_b32_e32 v2, 0x7fffff, v8
	v_lshrrev_b32_e32 v9, 24, v8
	v_cmpx_ne_u64_e32 0x7f800000, v[18:19]
	s_xor_b32 s77, exec_lo, s14
	s_cbranch_execz .LBB2_3530
; %bb.3517:                             ;   in Loop: Header=BB2_3198 Depth=4
	v_and_b32_e32 v18, 0x7fffffff, v8
	v_mov_b32_e32 v19, v3
	v_and_b32_e32 v17, 0x80, v9
                                        ; implicit-def: $vgpr88
	s_mov_b32 s14, exec_lo
	s_delay_alu instid0(VALU_DEP_2)
	v_cmpx_gt_u64_e32 0x47600001, v[18:19]
	s_xor_b32 s78, exec_lo, s14
	s_cbranch_execz .LBB2_3527
; %bb.3518:                             ;   in Loop: Header=BB2_3198 Depth=4
	v_mov_b32_e32 v88, 0
	s_mov_b32 s79, exec_lo
	v_cmpx_ne_u32_e32 0, v8
	s_cbranch_execz .LBB2_3526
; %bb.3519:                             ;   in Loop: Header=BB2_3198 Depth=4
	v_bfe_u32 v46, v8, 23, 8
	v_or_b32_e32 v18, 0x800000, v2
	s_delay_alu instid0(VALU_DEP_2) | instskip(SKIP_1) | instid1(VALU_DEP_2)
	v_sub_nc_u32_e32 v8, 0x71, v46
	v_cmp_gt_u32_e32 vcc_lo, 0x72, v46
	v_cndmask_b32_e32 v8, 0, v8, vcc_lo
	v_cmp_eq_u32_e32 vcc_lo, 0, v46
	s_delay_alu instid0(VALU_DEP_2) | instskip(NEXT) | instid1(VALU_DEP_1)
	v_cndmask_b32_e64 v47, v8, 0x70, vcc_lo
	v_dual_cndmask_b32 v2, v18, v2, vcc_lo :: v_dual_add_nc_u32 v8, 21, v47
	v_add_nc_u32_e32 v19, 20, v47
	s_delay_alu instid0(VALU_DEP_2) | instskip(NEXT) | instid1(VALU_DEP_2)
	v_lshlrev_b64_e64 v[8:9], v8, -1
	v_lshlrev_b64_e64 v[18:19], v19, 1
	s_delay_alu instid0(VALU_DEP_2) | instskip(NEXT) | instid1(VALU_DEP_3)
	v_bfi_b32 v45, v9, 0, 0
	v_bfi_b32 v44, v8, 0, v2
	v_lshrrev_b64 v[8:9], v47, v[2:3]
	s_delay_alu instid0(VALU_DEP_2) | instskip(NEXT) | instid1(VALU_DEP_2)
	v_cmp_eq_u64_e64 s14, v[44:45], v[18:19]
	v_mov_b64_e32 v[44:45], v[8:9]
	s_and_saveexec_b32 s88, s14
; %bb.3520:                             ;   in Loop: Header=BB2_3198 Depth=4
	v_bfe_u32 v2, v8, 21, 1
	s_delay_alu instid0(VALU_DEP_1) | instskip(NEXT) | instid1(VALU_DEP_1)
	v_add_nc_u64_e32 v[18:19], v[8:9], v[2:3]
	v_add_nc_u64_e32 v[44:45], -1, v[18:19]
; %bb.3521:                             ;   in Loop: Header=BB2_3198 Depth=4
	s_or_b32 exec_lo, exec_lo, s88
	v_add_nc_u32_e32 v2, 0xffffff81, v46
	v_lshrrev_b32_e32 v9, 23, v8
	s_mov_b32 s14, exec_lo
	s_delay_alu instid0(VALU_DEP_2) | instskip(NEXT) | instid1(VALU_DEP_1)
	v_cndmask_b32_e64 v2, v2, 0xffffff82, vcc_lo
	v_add3_u32 v45, v47, v2, v9
	v_and_b32_e32 v2, 0x1fffff, v44
                                        ; implicit-def: $vgpr44
	s_delay_alu instid0(VALU_DEP_1) | instskip(NEXT) | instid1(VALU_DEP_1)
	v_dual_add_nc_u32 v46, 14, v45 :: v_dual_add_nc_u32 v2, v2, v8
                                        ; implicit-def: $vgpr8_vgpr9
	v_cmpx_ne_u32_e32 0, v46
	s_xor_b32 s14, exec_lo, s14
; %bb.3522:                             ;   in Loop: Header=BB2_3198 Depth=4
	s_delay_alu instid0(VALU_DEP_2) | instskip(SKIP_1) | instid1(VALU_DEP_1)
	v_cmp_lt_u64_e32 vcc_lo, 0xffffff, v[2:3]
	v_add_nc_u32_e32 v8, 15, v45
	v_cndmask_b32_e32 v44, v46, v8, vcc_lo
	v_cndmask_b32_e64 v8, 0, 1, vcc_lo
	s_delay_alu instid0(VALU_DEP_1)
	v_lshrrev_b64 v[8:9], v8, v[2:3]
; %bb.3523:                             ;   in Loop: Header=BB2_3198 Depth=4
	s_and_not1_saveexec_b32 s14, s14
; %bb.3524:                             ;   in Loop: Header=BB2_3198 Depth=4
	v_mov_b64_e32 v[8:9], v[2:3]
	v_bfe_u32 v44, v2, 23, 1
; %bb.3525:                             ;   in Loop: Header=BB2_3198 Depth=4
	s_or_b32 exec_lo, exec_lo, s14
	s_delay_alu instid0(VALU_DEP_2) | instskip(NEXT) | instid1(VALU_DEP_2)
	v_lshrrev_b64 v[8:9], 21, v[8:9]
	v_cmp_gt_i32_e32 vcc_lo, 32, v44
	v_min_i32_e32 v2, 31, v44
	v_cmp_eq_u32_e64 s14, 0, v44
	s_delay_alu instid0(VALU_DEP_2) | instskip(SKIP_1) | instid1(VALU_DEP_2)
	v_dual_cndmask_b32 v9, 0, v9 :: v_dual_lshlrev_b32 v2, 2, v2
	v_cndmask_b32_e32 v8, 3, v8, vcc_lo
	v_and_b32_e32 v2, 0xfc, v2
	s_delay_alu instid0(VALU_DEP_2) | instskip(NEXT) | instid1(VALU_DEP_2)
	v_cmp_eq_u64_e32 vcc_lo, 0, v[8:9]
	v_and_or_b32 v2, v8, 3, v2
	s_and_b32 s14, s14, vcc_lo
	s_delay_alu instid0(VALU_DEP_1) | instid1(SALU_CYCLE_1)
	v_cndmask_b32_e64 v2, v2, 0, s14
	s_delay_alu instid0(VALU_DEP_1)
	v_or_b32_e32 v88, v2, v17
.LBB2_3526:                             ;   in Loop: Header=BB2_3198 Depth=4
	s_or_b32 exec_lo, exec_lo, s79
                                        ; implicit-def: $vgpr17
.LBB2_3527:                             ;   in Loop: Header=BB2_3198 Depth=4
	s_and_not1_saveexec_b32 s14, s78
; %bb.3528:                             ;   in Loop: Header=BB2_3198 Depth=4
	v_or_b32_e32 v88, 0x7b, v17
; %bb.3529:                             ;   in Loop: Header=BB2_3198 Depth=4
	s_or_b32 exec_lo, exec_lo, s14
                                        ; implicit-def: $vgpr8
                                        ; implicit-def: $vgpr9
.LBB2_3530:                             ;   in Loop: Header=BB2_3198 Depth=4
	s_and_not1_saveexec_b32 s14, s77
	s_cbranch_execz .LBB2_3536
; %bb.3531:                             ;   in Loop: Header=BB2_3198 Depth=4
	s_mov_b32 s77, exec_lo
                                        ; implicit-def: $vgpr88
	v_cmpx_ne_u64_e32 0, v[2:3]
	s_xor_b32 s77, exec_lo, s77
; %bb.3532:                             ;   in Loop: Header=BB2_3198 Depth=4
	v_or_b32_e32 v88, 0x7f, v9
                                        ; implicit-def: $vgpr8
; %bb.3533:                             ;   in Loop: Header=BB2_3198 Depth=4
	s_and_not1_saveexec_b32 s77, s77
; %bb.3534:                             ;   in Loop: Header=BB2_3198 Depth=4
	v_cmp_lt_i32_e32 vcc_lo, -1, v8
	v_cndmask_b32_e32 v88, 0xfc, v120, vcc_lo
; %bb.3535:                             ;   in Loop: Header=BB2_3198 Depth=4
	s_or_b32 exec_lo, exec_lo, s77
.LBB2_3536:                             ;   in Loop: Header=BB2_3198 Depth=4
	s_delay_alu instid0(SALU_CYCLE_1)
	s_or_b32 exec_lo, exec_lo, s14
	v_mov_b32_e32 v8, 0
	s_mov_b32 s14, exec_lo
	v_cmpx_lt_u32_e32 0xffffff, v10
	s_cbranch_execz .LBB2_3546
; %bb.3537:                             ;   in Loop: Header=BB2_3198 Depth=4
	v_lshrrev_b32_e32 v2, 24, v10
	v_bfrev_b32_e32 v8, 1
	s_mov_b32 s77, exec_lo
	s_delay_alu instid0(VALU_DEP_2)
	v_cmpx_ne_u32_e32 0x80, v2
	s_cbranch_execz .LBB2_3545
; %bb.3538:                             ;   in Loop: Header=BB2_3198 Depth=4
	v_and_b32_e32 v8, 0x7c000000, v10
	v_bfe_u32 v9, v10, 24, 2
	s_delay_alu instid0(VALU_DEP_2) | instskip(SKIP_1) | instid1(SALU_CYCLE_1)
	v_cmp_ne_u32_e32 vcc_lo, 0x7c000000, v8
                                        ; implicit-def: $vgpr8
	s_and_saveexec_b32 s78, vcc_lo
	s_xor_b32 s78, exec_lo, s78
	s_cbranch_execz .LBB2_3542
; %bb.3539:                             ;   in Loop: Header=BB2_3198 Depth=4
	v_bfe_u32 v8, v10, 26, 5
	s_mov_b32 s79, exec_lo
	s_delay_alu instid0(VALU_DEP_1)
	v_cmpx_eq_u32_e32 0, v8
; %bb.3540:                             ;   in Loop: Header=BB2_3198 Depth=4
	v_clz_i32_u32_e32 v8, v9
	s_delay_alu instid0(VALU_DEP_1) | instskip(NEXT) | instid1(VALU_DEP_1)
	v_min_u32_e32 v8, 32, v8
	v_subrev_nc_u32_e32 v9, 29, v8
	s_delay_alu instid0(VALU_DEP_1) | instskip(NEXT) | instid1(VALU_DEP_1)
	v_lshlrev_b64_e32 v[18:19], v9, v[2:3]
	v_dual_sub_nc_u32 v8, 30, v8 :: v_dual_bitop2_b32 v9, 3, v18 bitop3:0x40
; %bb.3541:                             ;   in Loop: Header=BB2_3198 Depth=4
	s_or_b32 exec_lo, exec_lo, s79
	v_and_b32_e32 v2, 0x80000000, v10
	s_delay_alu instid0(VALU_DEP_1) | instskip(NEXT) | instid1(VALU_DEP_1)
	v_lshl_add_u32 v2, v8, 23, v2
	v_lshl_or_b32 v2, v9, 21, v2
                                        ; implicit-def: $vgpr9
	s_delay_alu instid0(VALU_DEP_1)
	v_add_nc_u32_e32 v8, 0x38000000, v2
.LBB2_3542:                             ;   in Loop: Header=BB2_3198 Depth=4
	s_and_not1_saveexec_b32 s78, s78
; %bb.3543:                             ;   in Loop: Header=BB2_3198 Depth=4
	v_cmp_lt_i32_e32 vcc_lo, -1, v10
	v_cndmask_b32_e32 v2, 0xff800000, v111, vcc_lo
	v_cmp_eq_u32_e32 vcc_lo, 0, v9
	s_delay_alu instid0(VALU_DEP_2)
	v_cndmask_b32_e32 v8, 0x7f800001, v2, vcc_lo
; %bb.3544:                             ;   in Loop: Header=BB2_3198 Depth=4
	s_or_b32 exec_lo, exec_lo, s78
.LBB2_3545:                             ;   in Loop: Header=BB2_3198 Depth=4
	s_delay_alu instid0(SALU_CYCLE_1)
	s_or_b32 exec_lo, exec_lo, s77
.LBB2_3546:                             ;   in Loop: Header=BB2_3198 Depth=4
	s_delay_alu instid0(SALU_CYCLE_1) | instskip(NEXT) | instid1(VALU_DEP_1)
	s_or_b32 exec_lo, exec_lo, s14
	v_dual_mul_f32 v8, s76, v8 :: v_dual_mov_b32 v19, v3
                                        ; implicit-def: $vgpr89
	s_mov_b32 s14, exec_lo
	s_delay_alu instid0(VALU_DEP_1) | instskip(SKIP_2) | instid1(VALU_DEP_3)
	v_and_b32_e32 v18, 0x7f800000, v8
	v_and_b32_e32 v2, 0x7fffff, v8
	v_lshrrev_b32_e32 v9, 24, v8
	v_cmpx_ne_u64_e32 0x7f800000, v[18:19]
	s_xor_b32 s77, exec_lo, s14
	s_cbranch_execz .LBB2_3560
; %bb.3547:                             ;   in Loop: Header=BB2_3198 Depth=4
	v_and_b32_e32 v18, 0x7fffffff, v8
	v_mov_b32_e32 v19, v3
	v_and_b32_e32 v17, 0x80, v9
                                        ; implicit-def: $vgpr89
	s_mov_b32 s14, exec_lo
	s_delay_alu instid0(VALU_DEP_2)
	v_cmpx_gt_u64_e32 0x47600001, v[18:19]
	s_xor_b32 s78, exec_lo, s14
	s_cbranch_execz .LBB2_3557
; %bb.3548:                             ;   in Loop: Header=BB2_3198 Depth=4
	v_mov_b32_e32 v89, 0
	s_mov_b32 s79, exec_lo
	v_cmpx_ne_u32_e32 0, v8
	s_cbranch_execz .LBB2_3556
; %bb.3549:                             ;   in Loop: Header=BB2_3198 Depth=4
	v_bfe_u32 v46, v8, 23, 8
	v_or_b32_e32 v18, 0x800000, v2
	s_delay_alu instid0(VALU_DEP_2) | instskip(SKIP_1) | instid1(VALU_DEP_2)
	v_sub_nc_u32_e32 v8, 0x71, v46
	v_cmp_gt_u32_e32 vcc_lo, 0x72, v46
	v_cndmask_b32_e32 v8, 0, v8, vcc_lo
	v_cmp_eq_u32_e32 vcc_lo, 0, v46
	s_delay_alu instid0(VALU_DEP_2) | instskip(NEXT) | instid1(VALU_DEP_1)
	v_cndmask_b32_e64 v47, v8, 0x70, vcc_lo
	v_dual_cndmask_b32 v2, v18, v2, vcc_lo :: v_dual_add_nc_u32 v8, 21, v47
	v_add_nc_u32_e32 v19, 20, v47
	s_delay_alu instid0(VALU_DEP_2) | instskip(NEXT) | instid1(VALU_DEP_2)
	v_lshlrev_b64_e64 v[8:9], v8, -1
	v_lshlrev_b64_e64 v[18:19], v19, 1
	s_delay_alu instid0(VALU_DEP_2) | instskip(NEXT) | instid1(VALU_DEP_3)
	v_bfi_b32 v45, v9, 0, 0
	v_bfi_b32 v44, v8, 0, v2
	v_lshrrev_b64 v[8:9], v47, v[2:3]
	s_delay_alu instid0(VALU_DEP_2) | instskip(NEXT) | instid1(VALU_DEP_2)
	v_cmp_eq_u64_e64 s14, v[44:45], v[18:19]
	v_mov_b64_e32 v[44:45], v[8:9]
	s_and_saveexec_b32 s88, s14
; %bb.3550:                             ;   in Loop: Header=BB2_3198 Depth=4
	v_bfe_u32 v2, v8, 21, 1
	s_delay_alu instid0(VALU_DEP_1) | instskip(NEXT) | instid1(VALU_DEP_1)
	v_add_nc_u64_e32 v[18:19], v[8:9], v[2:3]
	v_add_nc_u64_e32 v[44:45], -1, v[18:19]
; %bb.3551:                             ;   in Loop: Header=BB2_3198 Depth=4
	s_or_b32 exec_lo, exec_lo, s88
	v_add_nc_u32_e32 v2, 0xffffff81, v46
	v_lshrrev_b32_e32 v9, 23, v8
	s_mov_b32 s14, exec_lo
	s_delay_alu instid0(VALU_DEP_2) | instskip(NEXT) | instid1(VALU_DEP_1)
	v_cndmask_b32_e64 v2, v2, 0xffffff82, vcc_lo
	v_add3_u32 v45, v47, v2, v9
	v_and_b32_e32 v2, 0x1fffff, v44
                                        ; implicit-def: $vgpr44
	s_delay_alu instid0(VALU_DEP_1) | instskip(NEXT) | instid1(VALU_DEP_1)
	v_dual_add_nc_u32 v46, 14, v45 :: v_dual_add_nc_u32 v2, v2, v8
                                        ; implicit-def: $vgpr8_vgpr9
	v_cmpx_ne_u32_e32 0, v46
	s_xor_b32 s14, exec_lo, s14
; %bb.3552:                             ;   in Loop: Header=BB2_3198 Depth=4
	s_delay_alu instid0(VALU_DEP_2) | instskip(SKIP_1) | instid1(VALU_DEP_1)
	v_cmp_lt_u64_e32 vcc_lo, 0xffffff, v[2:3]
	v_add_nc_u32_e32 v8, 15, v45
	v_cndmask_b32_e32 v44, v46, v8, vcc_lo
	v_cndmask_b32_e64 v8, 0, 1, vcc_lo
	s_delay_alu instid0(VALU_DEP_1)
	v_lshrrev_b64 v[8:9], v8, v[2:3]
; %bb.3553:                             ;   in Loop: Header=BB2_3198 Depth=4
	s_and_not1_saveexec_b32 s14, s14
; %bb.3554:                             ;   in Loop: Header=BB2_3198 Depth=4
	v_mov_b64_e32 v[8:9], v[2:3]
	v_bfe_u32 v44, v2, 23, 1
; %bb.3555:                             ;   in Loop: Header=BB2_3198 Depth=4
	s_or_b32 exec_lo, exec_lo, s14
	s_delay_alu instid0(VALU_DEP_2) | instskip(NEXT) | instid1(VALU_DEP_2)
	v_lshrrev_b64 v[8:9], 21, v[8:9]
	v_cmp_gt_i32_e32 vcc_lo, 32, v44
	v_min_i32_e32 v2, 31, v44
	v_cmp_eq_u32_e64 s14, 0, v44
	s_delay_alu instid0(VALU_DEP_2) | instskip(SKIP_1) | instid1(VALU_DEP_2)
	v_dual_cndmask_b32 v9, 0, v9 :: v_dual_lshlrev_b32 v2, 2, v2
	v_cndmask_b32_e32 v8, 3, v8, vcc_lo
	v_and_b32_e32 v2, 0xfc, v2
	s_delay_alu instid0(VALU_DEP_2) | instskip(NEXT) | instid1(VALU_DEP_2)
	v_cmp_eq_u64_e32 vcc_lo, 0, v[8:9]
	v_and_or_b32 v2, v8, 3, v2
	s_and_b32 s14, s14, vcc_lo
	s_delay_alu instid0(VALU_DEP_1) | instid1(SALU_CYCLE_1)
	v_cndmask_b32_e64 v2, v2, 0, s14
	s_delay_alu instid0(VALU_DEP_1)
	v_or_b32_e32 v89, v2, v17
.LBB2_3556:                             ;   in Loop: Header=BB2_3198 Depth=4
	s_or_b32 exec_lo, exec_lo, s79
                                        ; implicit-def: $vgpr17
.LBB2_3557:                             ;   in Loop: Header=BB2_3198 Depth=4
	s_and_not1_saveexec_b32 s14, s78
; %bb.3558:                             ;   in Loop: Header=BB2_3198 Depth=4
	v_or_b32_e32 v89, 0x7b, v17
; %bb.3559:                             ;   in Loop: Header=BB2_3198 Depth=4
	s_or_b32 exec_lo, exec_lo, s14
                                        ; implicit-def: $vgpr8
                                        ; implicit-def: $vgpr9
.LBB2_3560:                             ;   in Loop: Header=BB2_3198 Depth=4
	s_and_not1_saveexec_b32 s14, s77
	s_cbranch_execz .LBB2_3566
; %bb.3561:                             ;   in Loop: Header=BB2_3198 Depth=4
	s_mov_b32 s77, exec_lo
                                        ; implicit-def: $vgpr89
	v_cmpx_ne_u64_e32 0, v[2:3]
	s_xor_b32 s77, exec_lo, s77
; %bb.3562:                             ;   in Loop: Header=BB2_3198 Depth=4
	v_or_b32_e32 v89, 0x7f, v9
                                        ; implicit-def: $vgpr8
; %bb.3563:                             ;   in Loop: Header=BB2_3198 Depth=4
	s_and_not1_saveexec_b32 s77, s77
; %bb.3564:                             ;   in Loop: Header=BB2_3198 Depth=4
	v_cmp_lt_i32_e32 vcc_lo, -1, v8
	v_cndmask_b32_e32 v89, 0xfc, v120, vcc_lo
; %bb.3565:                             ;   in Loop: Header=BB2_3198 Depth=4
	s_or_b32 exec_lo, exec_lo, s77
.LBB2_3566:                             ;   in Loop: Header=BB2_3198 Depth=4
	s_delay_alu instid0(SALU_CYCLE_1) | instskip(SKIP_3) | instid1(VALU_DEP_2)
	s_or_b32 exec_lo, exec_lo, s14
	v_and_b32_e32 v9, 0xff, v11
	v_dual_mov_b32 v2, v11 :: v_dual_mov_b32 v8, 0
	s_mov_b32 s14, exec_lo
	v_cmpx_ne_u16_e32 0, v9
	s_cbranch_execz .LBB2_3576
; %bb.3567:                             ;   in Loop: Header=BB2_3198 Depth=4
	v_bfrev_b32_e32 v8, 1
	s_mov_b32 s77, exec_lo
	v_cmpx_ne_u16_e32 0x80, v9
	s_cbranch_execz .LBB2_3575
; %bb.3568:                             ;   in Loop: Header=BB2_3198 Depth=4
	v_and_b32_e32 v8, 0x7c, v11
	v_and_b32_e32 v9, 3, v11
	s_delay_alu instid0(VALU_DEP_2) | instskip(SKIP_1) | instid1(SALU_CYCLE_1)
	v_cmp_ne_u32_e32 vcc_lo, 0x7c, v8
                                        ; implicit-def: $vgpr8
	s_and_saveexec_b32 s78, vcc_lo
	s_xor_b32 s78, exec_lo, s78
	s_cbranch_execz .LBB2_3572
; %bb.3569:                             ;   in Loop: Header=BB2_3198 Depth=4
	v_bfe_u32 v8, v11, 2, 5
	s_mov_b32 s79, exec_lo
	s_delay_alu instid0(VALU_DEP_1)
	v_cmpx_eq_u32_e32 0, v8
; %bb.3570:                             ;   in Loop: Header=BB2_3198 Depth=4
	v_clz_i32_u32_e32 v8, v9
	s_delay_alu instid0(VALU_DEP_1) | instskip(NEXT) | instid1(VALU_DEP_1)
	v_min_u32_e32 v8, 32, v8
	v_subrev_nc_u32_e32 v9, 29, v8
	s_delay_alu instid0(VALU_DEP_1) | instskip(NEXT) | instid1(VALU_DEP_1)
	v_lshlrev_b64_e32 v[18:19], v9, v[2:3]
	v_dual_sub_nc_u32 v8, 30, v8 :: v_dual_bitop2_b32 v9, 3, v18 bitop3:0x40
; %bb.3571:                             ;   in Loop: Header=BB2_3198 Depth=4
	s_or_b32 exec_lo, exec_lo, s79
	v_lshlrev_b32_e32 v17, 24, v11
	s_delay_alu instid0(VALU_DEP_1) | instskip(NEXT) | instid1(VALU_DEP_1)
	v_and_b32_e32 v17, 0x80000000, v17
	v_lshl_add_u32 v8, v8, 23, v17
	s_delay_alu instid0(VALU_DEP_1) | instskip(NEXT) | instid1(VALU_DEP_1)
	v_lshl_or_b32 v8, v9, 21, v8
                                        ; implicit-def: $vgpr9
	v_add_nc_u32_e32 v8, 0x38000000, v8
.LBB2_3572:                             ;   in Loop: Header=BB2_3198 Depth=4
	s_and_not1_saveexec_b32 s78, s78
; %bb.3573:                             ;   in Loop: Header=BB2_3198 Depth=4
	v_bfe_i32 v8, v11, 0, 8
	s_delay_alu instid0(VALU_DEP_1) | instskip(SKIP_2) | instid1(VALU_DEP_2)
	v_cmp_lt_i16_e32 vcc_lo, -1, v8
	v_cndmask_b32_e32 v8, 0xff800000, v111, vcc_lo
	v_cmp_eq_u32_e32 vcc_lo, 0, v9
	v_cndmask_b32_e32 v8, 0x7f800001, v8, vcc_lo
; %bb.3574:                             ;   in Loop: Header=BB2_3198 Depth=4
	s_or_b32 exec_lo, exec_lo, s78
.LBB2_3575:                             ;   in Loop: Header=BB2_3198 Depth=4
	s_delay_alu instid0(SALU_CYCLE_1)
	s_or_b32 exec_lo, exec_lo, s77
.LBB2_3576:                             ;   in Loop: Header=BB2_3198 Depth=4
	s_delay_alu instid0(SALU_CYCLE_1) | instskip(NEXT) | instid1(VALU_DEP_1)
	s_or_b32 exec_lo, exec_lo, s14
	v_dual_mul_f32 v44, s76, v8 :: v_dual_mov_b32 v19, v3
	v_mov_b32_e32 v9, v3
                                        ; implicit-def: $vgpr17
	s_mov_b32 s14, exec_lo
	s_delay_alu instid0(VALU_DEP_2) | instskip(SKIP_2) | instid1(VALU_DEP_3)
	v_and_b32_e32 v18, 0x7f800000, v44
	v_and_b32_e32 v8, 0x7fffff, v44
	v_lshrrev_b32_e32 v45, 24, v44
	v_cmpx_ne_u64_e32 0x7f800000, v[18:19]
	s_xor_b32 s77, exec_lo, s14
	s_cbranch_execz .LBB2_3590
; %bb.3577:                             ;   in Loop: Header=BB2_3198 Depth=4
	v_and_b32_e32 v18, 0x7fffffff, v44
	v_mov_b32_e32 v19, v3
	v_and_b32_e32 v46, 0x80, v45
                                        ; implicit-def: $vgpr17
	s_mov_b32 s14, exec_lo
	s_delay_alu instid0(VALU_DEP_2)
	v_cmpx_gt_u64_e32 0x47600001, v[18:19]
	s_xor_b32 s78, exec_lo, s14
	s_cbranch_execz .LBB2_3587
; %bb.3578:                             ;   in Loop: Header=BB2_3198 Depth=4
	v_mov_b32_e32 v17, 0
	s_mov_b32 s79, exec_lo
	v_cmpx_ne_u32_e32 0, v44
	s_cbranch_execz .LBB2_3586
; %bb.3579:                             ;   in Loop: Header=BB2_3198 Depth=4
	v_bfe_u32 v17, v44, 23, 8
	v_or_b32_e32 v44, 0x800000, v8
	s_delay_alu instid0(VALU_DEP_2) | instskip(SKIP_1) | instid1(VALU_DEP_2)
	v_sub_nc_u32_e32 v18, 0x71, v17
	v_cmp_gt_u32_e32 vcc_lo, 0x72, v17
	v_cndmask_b32_e32 v18, 0, v18, vcc_lo
	v_cmp_eq_u32_e32 vcc_lo, 0, v17
	s_delay_alu instid0(VALU_DEP_2) | instskip(NEXT) | instid1(VALU_DEP_1)
	v_cndmask_b32_e64 v47, v18, 0x70, vcc_lo
	v_dual_cndmask_b32 v8, v44, v8, vcc_lo :: v_dual_add_nc_u32 v18, 21, v47
	v_add_nc_u32_e32 v45, 20, v47
	s_delay_alu instid0(VALU_DEP_2) | instskip(NEXT) | instid1(VALU_DEP_2)
	v_lshlrev_b64_e64 v[18:19], v18, -1
	v_lshlrev_b64_e64 v[44:45], v45, 1
	s_delay_alu instid0(VALU_DEP_2) | instskip(SKIP_1) | instid1(VALU_DEP_4)
	v_bfi_b32 v18, v18, 0, v8
	v_lshrrev_b64 v[8:9], v47, v[8:9]
	v_bfi_b32 v19, v19, 0, 0
	s_delay_alu instid0(VALU_DEP_1) | instskip(NEXT) | instid1(VALU_DEP_3)
	v_cmp_eq_u64_e64 s14, v[18:19], v[44:45]
	v_mov_b64_e32 v[44:45], v[8:9]
	s_and_saveexec_b32 s88, s14
; %bb.3580:                             ;   in Loop: Header=BB2_3198 Depth=4
	v_bfe_u32 v18, v8, 21, 1
	v_mov_b32_e32 v19, v3
	s_delay_alu instid0(VALU_DEP_1) | instskip(NEXT) | instid1(VALU_DEP_1)
	v_add_nc_u64_e32 v[18:19], v[8:9], v[18:19]
	v_add_nc_u64_e32 v[44:45], -1, v[18:19]
; %bb.3581:                             ;   in Loop: Header=BB2_3198 Depth=4
	s_or_b32 exec_lo, exec_lo, s88
	v_add_nc_u32_e32 v9, 0xffffff81, v17
	v_lshrrev_b32_e32 v17, 23, v8
	s_mov_b32 s14, exec_lo
	s_delay_alu instid0(VALU_DEP_2) | instskip(NEXT) | instid1(VALU_DEP_1)
	v_cndmask_b32_e64 v9, v9, 0xffffff82, vcc_lo
	v_add3_u32 v45, v47, v9, v17
	v_and_b32_e32 v9, 0x1fffff, v44
                                        ; implicit-def: $vgpr17
	s_delay_alu instid0(VALU_DEP_1) | instskip(SKIP_1) | instid1(VALU_DEP_2)
	v_dual_add_nc_u32 v44, 14, v45 :: v_dual_add_nc_u32 v8, v9, v8
	v_mov_b32_e32 v9, v3
	v_cmpx_ne_u32_e32 0, v44
	s_xor_b32 s14, exec_lo, s14
; %bb.3582:                             ;   in Loop: Header=BB2_3198 Depth=4
	s_delay_alu instid0(VALU_DEP_2) | instskip(SKIP_2) | instid1(VALU_DEP_2)
	v_cmp_lt_u64_e32 vcc_lo, 0xffffff, v[8:9]
	v_add_nc_u32_e32 v17, 15, v45
	v_cndmask_b32_e64 v18, 0, 1, vcc_lo
	v_cndmask_b32_e32 v17, v44, v17, vcc_lo
	s_delay_alu instid0(VALU_DEP_2)
	v_lshrrev_b64 v[8:9], v18, v[8:9]
; %bb.3583:                             ;   in Loop: Header=BB2_3198 Depth=4
	s_and_not1_saveexec_b32 s14, s14
; %bb.3584:                             ;   in Loop: Header=BB2_3198 Depth=4
	s_delay_alu instid0(VALU_DEP_1)
	v_bfe_u32 v17, v8, 23, 1
; %bb.3585:                             ;   in Loop: Header=BB2_3198 Depth=4
	s_or_b32 exec_lo, exec_lo, s14
	s_delay_alu instid0(VALU_DEP_2) | instskip(NEXT) | instid1(VALU_DEP_2)
	v_lshrrev_b64 v[8:9], 21, v[8:9]
	v_cmp_gt_i32_e32 vcc_lo, 32, v17
	v_min_i32_e32 v18, 31, v17
	v_cmp_eq_u32_e64 s14, 0, v17
	s_delay_alu instid0(VALU_DEP_2) | instskip(SKIP_1) | instid1(VALU_DEP_2)
	v_dual_cndmask_b32 v8, 3, v8, vcc_lo :: v_dual_lshlrev_b32 v18, 2, v18
	v_cndmask_b32_e32 v9, 0, v9, vcc_lo
	v_and_b32_e32 v18, 0xfc, v18
	s_delay_alu instid0(VALU_DEP_2) | instskip(NEXT) | instid1(VALU_DEP_2)
	v_cmp_eq_u64_e32 vcc_lo, 0, v[8:9]
	v_and_or_b32 v8, v8, 3, v18
	s_and_b32 s14, s14, vcc_lo
	s_delay_alu instid0(VALU_DEP_1) | instid1(SALU_CYCLE_1)
	v_cndmask_b32_e64 v8, v8, 0, s14
	s_delay_alu instid0(VALU_DEP_1)
	v_or_b32_e32 v17, v8, v46
.LBB2_3586:                             ;   in Loop: Header=BB2_3198 Depth=4
	s_or_b32 exec_lo, exec_lo, s79
                                        ; implicit-def: $vgpr46
.LBB2_3587:                             ;   in Loop: Header=BB2_3198 Depth=4
	s_and_not1_saveexec_b32 s14, s78
; %bb.3588:                             ;   in Loop: Header=BB2_3198 Depth=4
	v_or_b32_e32 v17, 0x7b, v46
; %bb.3589:                             ;   in Loop: Header=BB2_3198 Depth=4
	s_or_b32 exec_lo, exec_lo, s14
                                        ; implicit-def: $vgpr44
                                        ; implicit-def: $vgpr8_vgpr9
                                        ; implicit-def: $vgpr45
.LBB2_3590:                             ;   in Loop: Header=BB2_3198 Depth=4
	s_and_not1_saveexec_b32 s14, s77
	s_cbranch_execz .LBB2_3596
; %bb.3591:                             ;   in Loop: Header=BB2_3198 Depth=4
	s_mov_b32 s77, exec_lo
                                        ; implicit-def: $vgpr17
	v_cmpx_ne_u64_e32 0, v[8:9]
	s_xor_b32 s77, exec_lo, s77
; %bb.3592:                             ;   in Loop: Header=BB2_3198 Depth=4
	v_or_b32_e32 v17, 0x7f, v45
                                        ; implicit-def: $vgpr44
; %bb.3593:                             ;   in Loop: Header=BB2_3198 Depth=4
	s_and_not1_saveexec_b32 s77, s77
; %bb.3594:                             ;   in Loop: Header=BB2_3198 Depth=4
	v_cmp_lt_i32_e32 vcc_lo, -1, v44
	v_cndmask_b32_e32 v17, 0xfc, v120, vcc_lo
; %bb.3595:                             ;   in Loop: Header=BB2_3198 Depth=4
	s_or_b32 exec_lo, exec_lo, s77
.LBB2_3596:                             ;   in Loop: Header=BB2_3198 Depth=4
	s_delay_alu instid0(SALU_CYCLE_1) | instskip(SKIP_3) | instid1(VALU_DEP_2)
	s_or_b32 exec_lo, exec_lo, s14
	v_lshrrev_b16 v8, 8, v2
	v_mov_b32_e32 v44, 0
	s_mov_b32 s14, exec_lo
	v_cmpx_ne_u16_e32 0, v8
	s_cbranch_execz .LBB2_3606
; %bb.3597:                             ;   in Loop: Header=BB2_3198 Depth=4
	v_bfrev_b32_e32 v44, 1
	s_mov_b32 s77, exec_lo
	v_cmpx_ne_u16_e32 0x80, v8
	s_cbranch_execz .LBB2_3605
; %bb.3598:                             ;   in Loop: Header=BB2_3198 Depth=4
	v_and_b32_e32 v45, 0xffff, v8
	s_mov_b32 s78, exec_lo
                                        ; implicit-def: $vgpr44
	s_delay_alu instid0(VALU_DEP_1) | instskip(SKIP_1) | instid1(VALU_DEP_2)
	v_and_b32_e32 v18, 0x7c, v45
	v_and_b32_e32 v9, 3, v45
	v_cmpx_ne_u32_e32 0x7c, v18
	s_xor_b32 s78, exec_lo, s78
	s_cbranch_execz .LBB2_3602
; %bb.3599:                             ;   in Loop: Header=BB2_3198 Depth=4
	v_bfe_u32 v44, v45, 2, 5
	s_mov_b32 s79, exec_lo
	s_delay_alu instid0(VALU_DEP_1)
	v_cmpx_eq_u32_e32 0, v44
; %bb.3600:                             ;   in Loop: Header=BB2_3198 Depth=4
	v_clz_i32_u32_e32 v9, v9
	s_delay_alu instid0(VALU_DEP_1) | instskip(NEXT) | instid1(VALU_DEP_1)
	v_min_u32_e32 v18, 32, v9
	v_dual_mov_b32 v9, v3 :: v_dual_sub_nc_u32 v44, 30, v18
	v_subrev_nc_u32_e32 v19, 29, v18
	s_delay_alu instid0(VALU_DEP_1) | instskip(NEXT) | instid1(VALU_DEP_1)
	v_lshlrev_b64_e32 v[8:9], v19, v[8:9]
	v_and_b32_e32 v9, 3, v8
; %bb.3601:                             ;   in Loop: Header=BB2_3198 Depth=4
	s_or_b32 exec_lo, exec_lo, s79
	v_lshlrev_b32_e32 v2, 16, v2
	s_delay_alu instid0(VALU_DEP_1) | instskip(NEXT) | instid1(VALU_DEP_1)
	v_and_b32_e32 v2, 0x80000000, v2
	v_lshl_add_u32 v2, v44, 23, v2
	s_delay_alu instid0(VALU_DEP_1) | instskip(NEXT) | instid1(VALU_DEP_1)
	v_lshl_or_b32 v2, v9, 21, v2
                                        ; implicit-def: $vgpr9
	v_add_nc_u32_e32 v44, 0x38000000, v2
.LBB2_3602:                             ;   in Loop: Header=BB2_3198 Depth=4
	s_and_not1_saveexec_b32 s78, s78
; %bb.3603:                             ;   in Loop: Header=BB2_3198 Depth=4
	v_cmp_lt_i16_e32 vcc_lo, -1, v2
	v_cndmask_b32_e32 v2, 0xff800000, v111, vcc_lo
	v_cmp_eq_u32_e32 vcc_lo, 0, v9
	s_delay_alu instid0(VALU_DEP_2)
	v_cndmask_b32_e32 v44, 0x7f800001, v2, vcc_lo
; %bb.3604:                             ;   in Loop: Header=BB2_3198 Depth=4
	s_or_b32 exec_lo, exec_lo, s78
.LBB2_3605:                             ;   in Loop: Header=BB2_3198 Depth=4
	s_delay_alu instid0(SALU_CYCLE_1)
	s_or_b32 exec_lo, exec_lo, s77
.LBB2_3606:                             ;   in Loop: Header=BB2_3198 Depth=4
	s_delay_alu instid0(SALU_CYCLE_1) | instskip(NEXT) | instid1(VALU_DEP_1)
	s_or_b32 exec_lo, exec_lo, s14
	v_dual_mul_f32 v8, s76, v44 :: v_dual_mov_b32 v19, v3
                                        ; implicit-def: $vgpr74
	s_mov_b32 s14, exec_lo
	s_delay_alu instid0(VALU_DEP_1) | instskip(SKIP_2) | instid1(VALU_DEP_3)
	v_and_b32_e32 v18, 0x7f800000, v8
	v_and_b32_e32 v2, 0x7fffff, v8
	v_lshrrev_b32_e32 v9, 24, v8
	v_cmpx_ne_u64_e32 0x7f800000, v[18:19]
	s_xor_b32 s77, exec_lo, s14
	s_cbranch_execz .LBB2_3620
; %bb.3607:                             ;   in Loop: Header=BB2_3198 Depth=4
	v_and_b32_e32 v18, 0x7fffffff, v8
	v_mov_b32_e32 v19, v3
	v_and_b32_e32 v46, 0x80, v9
                                        ; implicit-def: $vgpr74
	s_mov_b32 s14, exec_lo
	s_delay_alu instid0(VALU_DEP_2)
	v_cmpx_gt_u64_e32 0x47600001, v[18:19]
	s_xor_b32 s78, exec_lo, s14
	s_cbranch_execz .LBB2_3617
; %bb.3608:                             ;   in Loop: Header=BB2_3198 Depth=4
	v_mov_b32_e32 v74, 0
	s_mov_b32 s79, exec_lo
	v_cmpx_ne_u32_e32 0, v8
	s_cbranch_execz .LBB2_3616
; %bb.3609:                             ;   in Loop: Header=BB2_3198 Depth=4
	v_bfe_u32 v47, v8, 23, 8
	v_or_b32_e32 v18, 0x800000, v2
	s_delay_alu instid0(VALU_DEP_2) | instskip(SKIP_1) | instid1(VALU_DEP_2)
	v_sub_nc_u32_e32 v8, 0x71, v47
	v_cmp_gt_u32_e32 vcc_lo, 0x72, v47
	v_cndmask_b32_e32 v8, 0, v8, vcc_lo
	v_cmp_eq_u32_e32 vcc_lo, 0, v47
	s_delay_alu instid0(VALU_DEP_2) | instskip(SKIP_1) | instid1(VALU_DEP_2)
	v_cndmask_b32_e64 v74, v8, 0x70, vcc_lo
	v_cndmask_b32_e32 v2, v18, v2, vcc_lo
	v_dual_add_nc_u32 v8, 21, v74 :: v_dual_add_nc_u32 v19, 20, v74
	s_delay_alu instid0(VALU_DEP_1) | instskip(NEXT) | instid1(VALU_DEP_2)
	v_lshlrev_b64_e64 v[8:9], v8, -1
	v_lshlrev_b64_e64 v[18:19], v19, 1
	s_delay_alu instid0(VALU_DEP_2) | instskip(NEXT) | instid1(VALU_DEP_3)
	v_bfi_b32 v45, v9, 0, 0
	v_bfi_b32 v44, v8, 0, v2
	v_lshrrev_b64 v[8:9], v74, v[2:3]
	s_delay_alu instid0(VALU_DEP_2) | instskip(NEXT) | instid1(VALU_DEP_2)
	v_cmp_eq_u64_e64 s14, v[44:45], v[18:19]
	v_mov_b64_e32 v[44:45], v[8:9]
	s_and_saveexec_b32 s88, s14
; %bb.3610:                             ;   in Loop: Header=BB2_3198 Depth=4
	v_bfe_u32 v2, v8, 21, 1
	s_delay_alu instid0(VALU_DEP_1) | instskip(NEXT) | instid1(VALU_DEP_1)
	v_add_nc_u64_e32 v[18:19], v[8:9], v[2:3]
	v_add_nc_u64_e32 v[44:45], -1, v[18:19]
; %bb.3611:                             ;   in Loop: Header=BB2_3198 Depth=4
	s_or_b32 exec_lo, exec_lo, s88
	v_add_nc_u32_e32 v2, 0xffffff81, v47
	v_lshrrev_b32_e32 v9, 23, v8
	s_mov_b32 s14, exec_lo
	s_delay_alu instid0(VALU_DEP_2) | instskip(NEXT) | instid1(VALU_DEP_1)
	v_cndmask_b32_e64 v2, v2, 0xffffff82, vcc_lo
	v_add3_u32 v45, v74, v2, v9
	v_and_b32_e32 v2, 0x1fffff, v44
                                        ; implicit-def: $vgpr44
	s_delay_alu instid0(VALU_DEP_1) | instskip(NEXT) | instid1(VALU_DEP_1)
	v_dual_add_nc_u32 v47, 14, v45 :: v_dual_add_nc_u32 v2, v2, v8
                                        ; implicit-def: $vgpr8_vgpr9
	v_cmpx_ne_u32_e32 0, v47
	s_xor_b32 s14, exec_lo, s14
; %bb.3612:                             ;   in Loop: Header=BB2_3198 Depth=4
	s_delay_alu instid0(VALU_DEP_2) | instskip(SKIP_1) | instid1(VALU_DEP_1)
	v_cmp_lt_u64_e32 vcc_lo, 0xffffff, v[2:3]
	v_add_nc_u32_e32 v8, 15, v45
	v_cndmask_b32_e32 v44, v47, v8, vcc_lo
	v_cndmask_b32_e64 v8, 0, 1, vcc_lo
	s_delay_alu instid0(VALU_DEP_1)
	v_lshrrev_b64 v[8:9], v8, v[2:3]
; %bb.3613:                             ;   in Loop: Header=BB2_3198 Depth=4
	s_and_not1_saveexec_b32 s14, s14
; %bb.3614:                             ;   in Loop: Header=BB2_3198 Depth=4
	v_mov_b64_e32 v[8:9], v[2:3]
	v_bfe_u32 v44, v2, 23, 1
; %bb.3615:                             ;   in Loop: Header=BB2_3198 Depth=4
	s_or_b32 exec_lo, exec_lo, s14
	s_delay_alu instid0(VALU_DEP_2) | instskip(NEXT) | instid1(VALU_DEP_2)
	v_lshrrev_b64 v[8:9], 21, v[8:9]
	v_cmp_gt_i32_e32 vcc_lo, 32, v44
	v_min_i32_e32 v2, 31, v44
	v_cmp_eq_u32_e64 s14, 0, v44
	s_delay_alu instid0(VALU_DEP_2) | instskip(SKIP_1) | instid1(VALU_DEP_2)
	v_dual_cndmask_b32 v9, 0, v9 :: v_dual_lshlrev_b32 v2, 2, v2
	v_cndmask_b32_e32 v8, 3, v8, vcc_lo
	v_and_b32_e32 v2, 0xfc, v2
	s_delay_alu instid0(VALU_DEP_2) | instskip(NEXT) | instid1(VALU_DEP_2)
	v_cmp_eq_u64_e32 vcc_lo, 0, v[8:9]
	v_and_or_b32 v2, v8, 3, v2
	s_and_b32 s14, s14, vcc_lo
	s_delay_alu instid0(VALU_DEP_1) | instid1(SALU_CYCLE_1)
	v_cndmask_b32_e64 v2, v2, 0, s14
	s_delay_alu instid0(VALU_DEP_1)
	v_or_b32_e32 v74, v2, v46
.LBB2_3616:                             ;   in Loop: Header=BB2_3198 Depth=4
	s_or_b32 exec_lo, exec_lo, s79
                                        ; implicit-def: $vgpr46
.LBB2_3617:                             ;   in Loop: Header=BB2_3198 Depth=4
	s_and_not1_saveexec_b32 s14, s78
; %bb.3618:                             ;   in Loop: Header=BB2_3198 Depth=4
	v_or_b32_e32 v74, 0x7b, v46
; %bb.3619:                             ;   in Loop: Header=BB2_3198 Depth=4
	s_or_b32 exec_lo, exec_lo, s14
                                        ; implicit-def: $vgpr8
                                        ; implicit-def: $vgpr9
.LBB2_3620:                             ;   in Loop: Header=BB2_3198 Depth=4
	s_and_not1_saveexec_b32 s14, s77
	s_cbranch_execz .LBB2_3626
; %bb.3621:                             ;   in Loop: Header=BB2_3198 Depth=4
	s_mov_b32 s77, exec_lo
                                        ; implicit-def: $vgpr74
	v_cmpx_ne_u64_e32 0, v[2:3]
	s_xor_b32 s77, exec_lo, s77
; %bb.3622:                             ;   in Loop: Header=BB2_3198 Depth=4
	v_or_b32_e32 v74, 0x7f, v9
                                        ; implicit-def: $vgpr8
; %bb.3623:                             ;   in Loop: Header=BB2_3198 Depth=4
	s_and_not1_saveexec_b32 s77, s77
; %bb.3624:                             ;   in Loop: Header=BB2_3198 Depth=4
	v_cmp_lt_i32_e32 vcc_lo, -1, v8
	v_cndmask_b32_e32 v74, 0xfc, v120, vcc_lo
; %bb.3625:                             ;   in Loop: Header=BB2_3198 Depth=4
	s_or_b32 exec_lo, exec_lo, s77
.LBB2_3626:                             ;   in Loop: Header=BB2_3198 Depth=4
	s_delay_alu instid0(SALU_CYCLE_1) | instskip(SKIP_2) | instid1(VALU_DEP_1)
	s_or_b32 exec_lo, exec_lo, s14
	v_dual_lshrrev_b32 v2, 16, v11 :: v_dual_mov_b32 v8, 0
	s_mov_b32 s14, exec_lo
	v_and_b32_e32 v9, 0xff, v2
	s_delay_alu instid0(VALU_DEP_1)
	v_cmpx_ne_u16_e32 0, v9
	s_cbranch_execz .LBB2_3636
; %bb.3627:                             ;   in Loop: Header=BB2_3198 Depth=4
	v_bfrev_b32_e32 v8, 1
	s_mov_b32 s77, exec_lo
	v_cmpx_ne_u16_e32 0x80, v9
	s_cbranch_execz .LBB2_3635
; %bb.3628:                             ;   in Loop: Header=BB2_3198 Depth=4
	v_and_b32_e32 v8, 0x7c0000, v11
	v_bfe_u32 v9, v11, 16, 2
	s_delay_alu instid0(VALU_DEP_2) | instskip(SKIP_1) | instid1(SALU_CYCLE_1)
	v_cmp_ne_u32_e32 vcc_lo, 0x7c0000, v8
                                        ; implicit-def: $vgpr8
	s_and_saveexec_b32 s78, vcc_lo
	s_xor_b32 s78, exec_lo, s78
	s_cbranch_execz .LBB2_3632
; %bb.3629:                             ;   in Loop: Header=BB2_3198 Depth=4
	v_bfe_u32 v8, v11, 18, 5
	s_mov_b32 s79, exec_lo
	s_delay_alu instid0(VALU_DEP_1)
	v_cmpx_eq_u32_e32 0, v8
; %bb.3630:                             ;   in Loop: Header=BB2_3198 Depth=4
	v_clz_i32_u32_e32 v8, v9
	s_delay_alu instid0(VALU_DEP_1) | instskip(NEXT) | instid1(VALU_DEP_1)
	v_min_u32_e32 v8, 32, v8
	v_subrev_nc_u32_e32 v9, 29, v8
	s_delay_alu instid0(VALU_DEP_1) | instskip(NEXT) | instid1(VALU_DEP_1)
	v_lshlrev_b64_e32 v[18:19], v9, v[2:3]
	v_dual_sub_nc_u32 v8, 30, v8 :: v_dual_bitop2_b32 v9, 3, v18 bitop3:0x40
; %bb.3631:                             ;   in Loop: Header=BB2_3198 Depth=4
	s_or_b32 exec_lo, exec_lo, s79
	v_lshlrev_b32_e32 v2, 24, v2
	s_delay_alu instid0(VALU_DEP_1) | instskip(NEXT) | instid1(VALU_DEP_1)
	v_and_b32_e32 v2, 0x80000000, v2
	v_lshl_add_u32 v2, v8, 23, v2
	s_delay_alu instid0(VALU_DEP_1) | instskip(NEXT) | instid1(VALU_DEP_1)
	v_lshl_or_b32 v2, v9, 21, v2
                                        ; implicit-def: $vgpr9
	v_add_nc_u32_e32 v8, 0x38000000, v2
                                        ; implicit-def: $vgpr2
.LBB2_3632:                             ;   in Loop: Header=BB2_3198 Depth=4
	s_and_not1_saveexec_b32 s78, s78
; %bb.3633:                             ;   in Loop: Header=BB2_3198 Depth=4
	v_bfe_i32 v2, v2, 0, 8
	s_delay_alu instid0(VALU_DEP_1) | instskip(SKIP_2) | instid1(VALU_DEP_2)
	v_cmp_lt_i16_e32 vcc_lo, -1, v2
	v_cndmask_b32_e32 v2, 0xff800000, v111, vcc_lo
	v_cmp_eq_u32_e32 vcc_lo, 0, v9
	v_cndmask_b32_e32 v8, 0x7f800001, v2, vcc_lo
; %bb.3634:                             ;   in Loop: Header=BB2_3198 Depth=4
	s_or_b32 exec_lo, exec_lo, s78
.LBB2_3635:                             ;   in Loop: Header=BB2_3198 Depth=4
	s_delay_alu instid0(SALU_CYCLE_1)
	s_or_b32 exec_lo, exec_lo, s77
.LBB2_3636:                             ;   in Loop: Header=BB2_3198 Depth=4
	s_delay_alu instid0(SALU_CYCLE_1) | instskip(NEXT) | instid1(VALU_DEP_1)
	s_or_b32 exec_lo, exec_lo, s14
	v_dual_mul_f32 v8, s76, v8 :: v_dual_mov_b32 v19, v3
                                        ; implicit-def: $vgpr76
	s_mov_b32 s14, exec_lo
	s_delay_alu instid0(VALU_DEP_1) | instskip(SKIP_2) | instid1(VALU_DEP_3)
	v_and_b32_e32 v18, 0x7f800000, v8
	v_and_b32_e32 v2, 0x7fffff, v8
	v_lshrrev_b32_e32 v9, 24, v8
	v_cmpx_ne_u64_e32 0x7f800000, v[18:19]
	s_xor_b32 s77, exec_lo, s14
	s_cbranch_execz .LBB2_3650
; %bb.3637:                             ;   in Loop: Header=BB2_3198 Depth=4
	v_and_b32_e32 v18, 0x7fffffff, v8
	v_mov_b32_e32 v19, v3
	v_and_b32_e32 v46, 0x80, v9
                                        ; implicit-def: $vgpr76
	s_mov_b32 s14, exec_lo
	s_delay_alu instid0(VALU_DEP_2)
	v_cmpx_gt_u64_e32 0x47600001, v[18:19]
	s_xor_b32 s78, exec_lo, s14
	s_cbranch_execz .LBB2_3647
; %bb.3638:                             ;   in Loop: Header=BB2_3198 Depth=4
	v_mov_b32_e32 v76, 0
	s_mov_b32 s79, exec_lo
	v_cmpx_ne_u32_e32 0, v8
	s_cbranch_execz .LBB2_3646
; %bb.3639:                             ;   in Loop: Header=BB2_3198 Depth=4
	v_bfe_u32 v47, v8, 23, 8
	v_or_b32_e32 v18, 0x800000, v2
	s_delay_alu instid0(VALU_DEP_2) | instskip(SKIP_1) | instid1(VALU_DEP_2)
	v_sub_nc_u32_e32 v8, 0x71, v47
	v_cmp_gt_u32_e32 vcc_lo, 0x72, v47
	v_cndmask_b32_e32 v8, 0, v8, vcc_lo
	v_cmp_eq_u32_e32 vcc_lo, 0, v47
	v_cndmask_b32_e32 v2, v18, v2, vcc_lo
	s_delay_alu instid0(VALU_DEP_3) | instskip(NEXT) | instid1(VALU_DEP_1)
	v_cndmask_b32_e64 v76, v8, 0x70, vcc_lo
	v_dual_add_nc_u32 v8, 21, v76 :: v_dual_add_nc_u32 v19, 20, v76
	s_delay_alu instid0(VALU_DEP_1) | instskip(NEXT) | instid1(VALU_DEP_2)
	v_lshlrev_b64_e64 v[8:9], v8, -1
	v_lshlrev_b64_e64 v[18:19], v19, 1
	s_delay_alu instid0(VALU_DEP_2) | instskip(NEXT) | instid1(VALU_DEP_3)
	v_bfi_b32 v45, v9, 0, 0
	v_bfi_b32 v44, v8, 0, v2
	v_lshrrev_b64 v[8:9], v76, v[2:3]
	s_delay_alu instid0(VALU_DEP_2) | instskip(NEXT) | instid1(VALU_DEP_2)
	v_cmp_eq_u64_e64 s14, v[44:45], v[18:19]
	v_mov_b64_e32 v[44:45], v[8:9]
	s_and_saveexec_b32 s88, s14
; %bb.3640:                             ;   in Loop: Header=BB2_3198 Depth=4
	v_bfe_u32 v2, v8, 21, 1
	s_delay_alu instid0(VALU_DEP_1) | instskip(NEXT) | instid1(VALU_DEP_1)
	v_add_nc_u64_e32 v[18:19], v[8:9], v[2:3]
	v_add_nc_u64_e32 v[44:45], -1, v[18:19]
; %bb.3641:                             ;   in Loop: Header=BB2_3198 Depth=4
	s_or_b32 exec_lo, exec_lo, s88
	v_add_nc_u32_e32 v2, 0xffffff81, v47
	v_lshrrev_b32_e32 v9, 23, v8
	s_mov_b32 s14, exec_lo
	s_delay_alu instid0(VALU_DEP_2) | instskip(NEXT) | instid1(VALU_DEP_1)
	v_cndmask_b32_e64 v2, v2, 0xffffff82, vcc_lo
	v_add3_u32 v45, v76, v2, v9
	v_and_b32_e32 v2, 0x1fffff, v44
                                        ; implicit-def: $vgpr44
	s_delay_alu instid0(VALU_DEP_1) | instskip(NEXT) | instid1(VALU_DEP_1)
	v_dual_add_nc_u32 v47, 14, v45 :: v_dual_add_nc_u32 v2, v2, v8
                                        ; implicit-def: $vgpr8_vgpr9
	v_cmpx_ne_u32_e32 0, v47
	s_xor_b32 s14, exec_lo, s14
; %bb.3642:                             ;   in Loop: Header=BB2_3198 Depth=4
	s_delay_alu instid0(VALU_DEP_2) | instskip(SKIP_1) | instid1(VALU_DEP_1)
	v_cmp_lt_u64_e32 vcc_lo, 0xffffff, v[2:3]
	v_add_nc_u32_e32 v8, 15, v45
	v_cndmask_b32_e32 v44, v47, v8, vcc_lo
	v_cndmask_b32_e64 v8, 0, 1, vcc_lo
	s_delay_alu instid0(VALU_DEP_1)
	v_lshrrev_b64 v[8:9], v8, v[2:3]
; %bb.3643:                             ;   in Loop: Header=BB2_3198 Depth=4
	s_and_not1_saveexec_b32 s14, s14
; %bb.3644:                             ;   in Loop: Header=BB2_3198 Depth=4
	v_mov_b64_e32 v[8:9], v[2:3]
	v_bfe_u32 v44, v2, 23, 1
; %bb.3645:                             ;   in Loop: Header=BB2_3198 Depth=4
	s_or_b32 exec_lo, exec_lo, s14
	s_delay_alu instid0(VALU_DEP_2) | instskip(NEXT) | instid1(VALU_DEP_2)
	v_lshrrev_b64 v[8:9], 21, v[8:9]
	v_cmp_gt_i32_e32 vcc_lo, 32, v44
	v_min_i32_e32 v2, 31, v44
	v_cmp_eq_u32_e64 s14, 0, v44
	s_delay_alu instid0(VALU_DEP_2) | instskip(SKIP_1) | instid1(VALU_DEP_2)
	v_dual_cndmask_b32 v9, 0, v9 :: v_dual_lshlrev_b32 v2, 2, v2
	v_cndmask_b32_e32 v8, 3, v8, vcc_lo
	v_and_b32_e32 v2, 0xfc, v2
	s_delay_alu instid0(VALU_DEP_2) | instskip(NEXT) | instid1(VALU_DEP_2)
	v_cmp_eq_u64_e32 vcc_lo, 0, v[8:9]
	v_and_or_b32 v2, v8, 3, v2
	s_and_b32 s14, s14, vcc_lo
	s_delay_alu instid0(VALU_DEP_1) | instid1(SALU_CYCLE_1)
	v_cndmask_b32_e64 v2, v2, 0, s14
	s_delay_alu instid0(VALU_DEP_1)
	v_or_b32_e32 v76, v2, v46
.LBB2_3646:                             ;   in Loop: Header=BB2_3198 Depth=4
	s_or_b32 exec_lo, exec_lo, s79
                                        ; implicit-def: $vgpr46
.LBB2_3647:                             ;   in Loop: Header=BB2_3198 Depth=4
	s_and_not1_saveexec_b32 s14, s78
; %bb.3648:                             ;   in Loop: Header=BB2_3198 Depth=4
	v_or_b32_e32 v76, 0x7b, v46
; %bb.3649:                             ;   in Loop: Header=BB2_3198 Depth=4
	s_or_b32 exec_lo, exec_lo, s14
                                        ; implicit-def: $vgpr8
                                        ; implicit-def: $vgpr9
.LBB2_3650:                             ;   in Loop: Header=BB2_3198 Depth=4
	s_and_not1_saveexec_b32 s14, s77
	s_cbranch_execz .LBB2_3656
; %bb.3651:                             ;   in Loop: Header=BB2_3198 Depth=4
	s_mov_b32 s77, exec_lo
                                        ; implicit-def: $vgpr76
	v_cmpx_ne_u64_e32 0, v[2:3]
	s_xor_b32 s77, exec_lo, s77
; %bb.3652:                             ;   in Loop: Header=BB2_3198 Depth=4
	v_or_b32_e32 v76, 0x7f, v9
                                        ; implicit-def: $vgpr8
; %bb.3653:                             ;   in Loop: Header=BB2_3198 Depth=4
	s_and_not1_saveexec_b32 s77, s77
; %bb.3654:                             ;   in Loop: Header=BB2_3198 Depth=4
	v_cmp_lt_i32_e32 vcc_lo, -1, v8
	v_cndmask_b32_e32 v76, 0xfc, v120, vcc_lo
; %bb.3655:                             ;   in Loop: Header=BB2_3198 Depth=4
	s_or_b32 exec_lo, exec_lo, s77
.LBB2_3656:                             ;   in Loop: Header=BB2_3198 Depth=4
	s_delay_alu instid0(SALU_CYCLE_1)
	s_or_b32 exec_lo, exec_lo, s14
	v_mov_b32_e32 v8, 0
	s_mov_b32 s14, exec_lo
	v_cmpx_lt_u64_e64 s[22:23], v[10:11]
	s_cbranch_execz .LBB2_3666
; %bb.3657:                             ;   in Loop: Header=BB2_3198 Depth=4
	v_lshrrev_b32_e32 v2, 24, v11
	v_bfrev_b32_e32 v8, 1
	s_mov_b32 s77, exec_lo
	s_delay_alu instid0(VALU_DEP_2)
	v_cmpx_ne_u32_e32 0x80, v2
	s_cbranch_execz .LBB2_3665
; %bb.3658:                             ;   in Loop: Header=BB2_3198 Depth=4
	v_and_b32_e32 v8, 0x7c000000, v11
	v_bfe_u32 v9, v11, 24, 2
	s_delay_alu instid0(VALU_DEP_2) | instskip(SKIP_1) | instid1(SALU_CYCLE_1)
	v_cmp_ne_u32_e32 vcc_lo, 0x7c000000, v8
                                        ; implicit-def: $vgpr8
	s_and_saveexec_b32 s78, vcc_lo
	s_xor_b32 s78, exec_lo, s78
	s_cbranch_execz .LBB2_3662
; %bb.3659:                             ;   in Loop: Header=BB2_3198 Depth=4
	v_bfe_u32 v8, v11, 26, 5
	s_mov_b32 s79, exec_lo
	s_delay_alu instid0(VALU_DEP_1)
	v_cmpx_eq_u32_e32 0, v8
; %bb.3660:                             ;   in Loop: Header=BB2_3198 Depth=4
	v_clz_i32_u32_e32 v8, v9
	s_delay_alu instid0(VALU_DEP_1) | instskip(NEXT) | instid1(VALU_DEP_1)
	v_min_u32_e32 v8, 32, v8
	v_subrev_nc_u32_e32 v9, 29, v8
	s_delay_alu instid0(VALU_DEP_1) | instskip(NEXT) | instid1(VALU_DEP_1)
	v_lshlrev_b64_e32 v[18:19], v9, v[2:3]
	v_dual_sub_nc_u32 v8, 30, v8 :: v_dual_bitop2_b32 v9, 3, v18 bitop3:0x40
; %bb.3661:                             ;   in Loop: Header=BB2_3198 Depth=4
	s_or_b32 exec_lo, exec_lo, s79
	v_and_b32_e32 v2, 0x80000000, v11
                                        ; implicit-def: $vgpr10_vgpr11
	s_delay_alu instid0(VALU_DEP_1) | instskip(NEXT) | instid1(VALU_DEP_1)
	v_lshl_add_u32 v2, v8, 23, v2
	v_lshl_or_b32 v2, v9, 21, v2
                                        ; implicit-def: $vgpr9
	s_delay_alu instid0(VALU_DEP_1)
	v_add_nc_u32_e32 v8, 0x38000000, v2
.LBB2_3662:                             ;   in Loop: Header=BB2_3198 Depth=4
	s_and_not1_saveexec_b32 s78, s78
; %bb.3663:                             ;   in Loop: Header=BB2_3198 Depth=4
	v_cmp_lt_i64_e32 vcc_lo, -1, v[10:11]
	v_cndmask_b32_e32 v2, 0xff800000, v111, vcc_lo
	v_cmp_eq_u32_e32 vcc_lo, 0, v9
	s_delay_alu instid0(VALU_DEP_2)
	v_cndmask_b32_e32 v8, 0x7f800001, v2, vcc_lo
; %bb.3664:                             ;   in Loop: Header=BB2_3198 Depth=4
	s_or_b32 exec_lo, exec_lo, s78
.LBB2_3665:                             ;   in Loop: Header=BB2_3198 Depth=4
	s_delay_alu instid0(SALU_CYCLE_1)
	s_or_b32 exec_lo, exec_lo, s77
.LBB2_3666:                             ;   in Loop: Header=BB2_3198 Depth=4
	s_delay_alu instid0(SALU_CYCLE_1) | instskip(NEXT) | instid1(VALU_DEP_1)
	s_or_b32 exec_lo, exec_lo, s14
	v_dual_mul_f32 v8, s76, v8 :: v_dual_mov_b32 v11, v3
                                        ; implicit-def: $vgpr79
	s_mov_b32 s14, exec_lo
	s_delay_alu instid0(VALU_DEP_1) | instskip(SKIP_2) | instid1(VALU_DEP_3)
	v_and_b32_e32 v10, 0x7f800000, v8
	v_and_b32_e32 v2, 0x7fffff, v8
	v_lshrrev_b32_e32 v9, 24, v8
	v_cmpx_ne_u64_e32 0x7f800000, v[10:11]
	s_xor_b32 s76, exec_lo, s14
	s_cbranch_execz .LBB2_3680
; %bb.3667:                             ;   in Loop: Header=BB2_3198 Depth=4
	v_and_b32_e32 v10, 0x7fffffff, v8
	v_mov_b32_e32 v11, v3
	v_and_b32_e32 v44, 0x80, v9
                                        ; implicit-def: $vgpr79
	s_mov_b32 s14, exec_lo
	s_delay_alu instid0(VALU_DEP_2)
	v_cmpx_gt_u64_e32 0x47600001, v[10:11]
	s_xor_b32 s77, exec_lo, s14
	s_cbranch_execz .LBB2_3677
; %bb.3668:                             ;   in Loop: Header=BB2_3198 Depth=4
	v_mov_b32_e32 v79, 0
	s_mov_b32 s78, exec_lo
	v_cmpx_ne_u32_e32 0, v8
	s_cbranch_execz .LBB2_3676
; %bb.3669:                             ;   in Loop: Header=BB2_3198 Depth=4
	v_bfe_u32 v45, v8, 23, 8
	v_or_b32_e32 v10, 0x800000, v2
	s_delay_alu instid0(VALU_DEP_2) | instskip(SKIP_1) | instid1(VALU_DEP_2)
	v_sub_nc_u32_e32 v8, 0x71, v45
	v_cmp_gt_u32_e32 vcc_lo, 0x72, v45
	v_cndmask_b32_e32 v8, 0, v8, vcc_lo
	v_cmp_eq_u32_e32 vcc_lo, 0, v45
	s_delay_alu instid0(VALU_DEP_2) | instskip(SKIP_1) | instid1(VALU_DEP_2)
	v_cndmask_b32_e64 v46, v8, 0x70, vcc_lo
	v_cndmask_b32_e32 v2, v10, v2, vcc_lo
	v_dual_add_nc_u32 v8, 21, v46 :: v_dual_add_nc_u32 v11, 20, v46
	s_delay_alu instid0(VALU_DEP_1) | instskip(NEXT) | instid1(VALU_DEP_2)
	v_lshlrev_b64_e64 v[8:9], v8, -1
	v_lshlrev_b64_e64 v[10:11], v11, 1
	s_delay_alu instid0(VALU_DEP_2) | instskip(NEXT) | instid1(VALU_DEP_3)
	v_bfi_b32 v19, v9, 0, 0
	v_bfi_b32 v18, v8, 0, v2
	v_lshrrev_b64 v[8:9], v46, v[2:3]
	s_delay_alu instid0(VALU_DEP_2) | instskip(NEXT) | instid1(VALU_DEP_2)
	v_cmp_eq_u64_e64 s14, v[18:19], v[10:11]
	v_mov_b64_e32 v[10:11], v[8:9]
	s_and_saveexec_b32 s79, s14
; %bb.3670:                             ;   in Loop: Header=BB2_3198 Depth=4
	v_bfe_u32 v2, v8, 21, 1
	s_delay_alu instid0(VALU_DEP_1) | instskip(NEXT) | instid1(VALU_DEP_1)
	v_add_nc_u64_e32 v[10:11], v[8:9], v[2:3]
	v_add_nc_u64_e32 v[10:11], -1, v[10:11]
; %bb.3671:                             ;   in Loop: Header=BB2_3198 Depth=4
	s_or_b32 exec_lo, exec_lo, s79
	v_add_nc_u32_e32 v2, 0xffffff81, v45
	v_lshrrev_b32_e32 v9, 23, v8
	s_mov_b32 s14, exec_lo
	s_delay_alu instid0(VALU_DEP_2) | instskip(NEXT) | instid1(VALU_DEP_1)
	v_cndmask_b32_e64 v2, v2, 0xffffff82, vcc_lo
	v_add3_u32 v11, v46, v2, v9
	v_and_b32_e32 v2, 0x1fffff, v10
                                        ; implicit-def: $vgpr10
	s_delay_alu instid0(VALU_DEP_1) | instskip(NEXT) | instid1(VALU_DEP_1)
	v_dual_add_nc_u32 v45, 14, v11 :: v_dual_add_nc_u32 v2, v2, v8
                                        ; implicit-def: $vgpr8_vgpr9
	v_cmpx_ne_u32_e32 0, v45
	s_xor_b32 s14, exec_lo, s14
; %bb.3672:                             ;   in Loop: Header=BB2_3198 Depth=4
	s_delay_alu instid0(VALU_DEP_2) | instskip(SKIP_1) | instid1(VALU_DEP_1)
	v_cmp_lt_u64_e32 vcc_lo, 0xffffff, v[2:3]
	v_add_nc_u32_e32 v8, 15, v11
	v_cndmask_b32_e32 v10, v45, v8, vcc_lo
	v_cndmask_b32_e64 v8, 0, 1, vcc_lo
	s_delay_alu instid0(VALU_DEP_1)
	v_lshrrev_b64 v[8:9], v8, v[2:3]
; %bb.3673:                             ;   in Loop: Header=BB2_3198 Depth=4
	s_and_not1_saveexec_b32 s14, s14
; %bb.3674:                             ;   in Loop: Header=BB2_3198 Depth=4
	v_mov_b64_e32 v[8:9], v[2:3]
	v_bfe_u32 v10, v2, 23, 1
; %bb.3675:                             ;   in Loop: Header=BB2_3198 Depth=4
	s_or_b32 exec_lo, exec_lo, s14
	s_delay_alu instid0(VALU_DEP_2) | instskip(NEXT) | instid1(VALU_DEP_2)
	v_lshrrev_b64 v[8:9], 21, v[8:9]
	v_cmp_gt_i32_e32 vcc_lo, 32, v10
	v_min_i32_e32 v2, 31, v10
	v_cmp_eq_u32_e64 s14, 0, v10
	s_delay_alu instid0(VALU_DEP_2) | instskip(SKIP_1) | instid1(VALU_DEP_2)
	v_dual_cndmask_b32 v9, 0, v9 :: v_dual_lshlrev_b32 v2, 2, v2
	v_cndmask_b32_e32 v8, 3, v8, vcc_lo
	v_and_b32_e32 v2, 0xfc, v2
	s_delay_alu instid0(VALU_DEP_2) | instskip(NEXT) | instid1(VALU_DEP_2)
	v_cmp_eq_u64_e32 vcc_lo, 0, v[8:9]
	v_and_or_b32 v2, v8, 3, v2
	s_and_b32 s14, s14, vcc_lo
	s_delay_alu instid0(VALU_DEP_1) | instid1(SALU_CYCLE_1)
	v_cndmask_b32_e64 v2, v2, 0, s14
	s_delay_alu instid0(VALU_DEP_1)
	v_or_b32_e32 v79, v2, v44
.LBB2_3676:                             ;   in Loop: Header=BB2_3198 Depth=4
	s_or_b32 exec_lo, exec_lo, s78
                                        ; implicit-def: $vgpr44
.LBB2_3677:                             ;   in Loop: Header=BB2_3198 Depth=4
	s_and_not1_saveexec_b32 s14, s77
; %bb.3678:                             ;   in Loop: Header=BB2_3198 Depth=4
	v_or_b32_e32 v79, 0x7b, v44
; %bb.3679:                             ;   in Loop: Header=BB2_3198 Depth=4
	s_or_b32 exec_lo, exec_lo, s14
                                        ; implicit-def: $vgpr8
                                        ; implicit-def: $vgpr9
.LBB2_3680:                             ;   in Loop: Header=BB2_3198 Depth=4
	s_and_not1_saveexec_b32 s14, s76
	s_cbranch_execz .LBB2_3686
; %bb.3681:                             ;   in Loop: Header=BB2_3198 Depth=4
	s_mov_b32 s76, exec_lo
                                        ; implicit-def: $vgpr79
	v_cmpx_ne_u64_e32 0, v[2:3]
	s_xor_b32 s76, exec_lo, s76
; %bb.3682:                             ;   in Loop: Header=BB2_3198 Depth=4
	v_or_b32_e32 v79, 0x7f, v9
                                        ; implicit-def: $vgpr8
; %bb.3683:                             ;   in Loop: Header=BB2_3198 Depth=4
	s_and_not1_saveexec_b32 s76, s76
; %bb.3684:                             ;   in Loop: Header=BB2_3198 Depth=4
	v_cmp_lt_i32_e32 vcc_lo, -1, v8
	v_cndmask_b32_e32 v79, 0xfc, v120, vcc_lo
; %bb.3685:                             ;   in Loop: Header=BB2_3198 Depth=4
	s_or_b32 exec_lo, exec_lo, s76
.LBB2_3686:                             ;   in Loop: Header=BB2_3198 Depth=4
	s_delay_alu instid0(SALU_CYCLE_1)
	s_or_b32 exec_lo, exec_lo, s14
	global_load_b128 v[8:11], v[42:43], off th:TH_LOAD_NT
	v_lshl_or_b32 v30, v30, 8, v16
	v_dual_lshlrev_b32 v2, 16, v72 :: v_dual_lshlrev_b32 v18, 24, v75
	v_mov_b32_e32 v44, 0
	s_mov_b32 s14, exec_lo
	s_delay_alu instid0(VALU_DEP_2)
	v_or3_b32 v2, v2, v18, v30
	s_wait_xcnt 0x0
	v_cmpx_ne_u32_e32 0, v16
	s_cbranch_execz .LBB2_3696
; %bb.3687:                             ;   in Loop: Header=BB2_3198 Depth=4
	v_bfrev_b32_e32 v44, 1
	s_mov_b32 s76, exec_lo
	v_cmpx_ne_u32_e32 0x80, v16
	s_cbranch_execz .LBB2_3695
; %bb.3688:                             ;   in Loop: Header=BB2_3198 Depth=4
	v_and_b32_e32 v18, 0x7c, v16
	v_and_b32_e32 v45, 3, v16
	s_mov_b32 s77, exec_lo
                                        ; implicit-def: $vgpr44
	s_delay_alu instid0(VALU_DEP_2)
	v_cmpx_ne_u32_e32 0x7c, v18
	s_xor_b32 s77, exec_lo, s77
	s_cbranch_execz .LBB2_3692
; %bb.3689:                             ;   in Loop: Header=BB2_3198 Depth=4
	v_bfe_u32 v44, v16, 2, 5
	s_mov_b32 s78, exec_lo
	s_delay_alu instid0(VALU_DEP_1)
	v_cmpx_eq_u32_e32 0, v44
; %bb.3690:                             ;   in Loop: Header=BB2_3198 Depth=4
	v_clz_i32_u32_e32 v18, v45
	s_delay_alu instid0(VALU_DEP_1) | instskip(NEXT) | instid1(VALU_DEP_1)
	v_min_u32_e32 v44, 32, v18
	v_subrev_nc_u32_e32 v18, 29, v44
	s_delay_alu instid0(VALU_DEP_1) | instskip(NEXT) | instid1(VALU_DEP_1)
	v_lshlrev_b64_e32 v[18:19], v18, v[2:3]
	v_dual_sub_nc_u32 v44, 30, v44 :: v_dual_bitop2_b32 v45, 3, v18 bitop3:0x40
; %bb.3691:                             ;   in Loop: Header=BB2_3198 Depth=4
	s_or_b32 exec_lo, exec_lo, s78
	v_lshlrev_b32_e32 v16, 24, v16
	s_delay_alu instid0(VALU_DEP_1) | instskip(NEXT) | instid1(VALU_DEP_1)
	v_and_b32_e32 v16, 0x80000000, v16
	v_lshl_add_u32 v16, v44, 23, v16
	s_delay_alu instid0(VALU_DEP_1) | instskip(NEXT) | instid1(VALU_DEP_1)
	v_lshl_or_b32 v16, v45, 21, v16
                                        ; implicit-def: $vgpr45
	v_add_nc_u32_e32 v44, 0x38000000, v16
                                        ; implicit-def: $vgpr16
.LBB2_3692:                             ;   in Loop: Header=BB2_3198 Depth=4
	s_and_not1_saveexec_b32 s77, s77
; %bb.3693:                             ;   in Loop: Header=BB2_3198 Depth=4
	v_and_b32_e32 v16, 0x80, v16
	s_delay_alu instid0(VALU_DEP_1) | instskip(SKIP_2) | instid1(VALU_DEP_2)
	v_cmp_eq_u32_e32 vcc_lo, 0, v16
	v_cndmask_b32_e32 v16, 0xff800000, v111, vcc_lo
	v_cmp_eq_u32_e32 vcc_lo, 0, v45
	v_cndmask_b32_e32 v44, 0x7f800001, v16, vcc_lo
; %bb.3694:                             ;   in Loop: Header=BB2_3198 Depth=4
	s_or_b32 exec_lo, exec_lo, s77
.LBB2_3695:                             ;   in Loop: Header=BB2_3198 Depth=4
	s_delay_alu instid0(SALU_CYCLE_1)
	s_or_b32 exec_lo, exec_lo, s76
.LBB2_3696:                             ;   in Loop: Header=BB2_3198 Depth=4
	s_delay_alu instid0(SALU_CYCLE_1) | instskip(SKIP_4) | instid1(VALU_DEP_1)
	s_or_b32 exec_lo, exec_lo, s14
	s_wait_loadcnt 0x0
	v_and_b32_e32 v45, 0xff, v8
	s_mov_b32 s76, 0
	s_mov_b32 s14, exec_lo
	v_cmpx_lt_i16_e32 0x7f, v45
	s_xor_b32 s14, exec_lo, s14
	s_cbranch_execz .LBB2_4237
; %bb.3697:                             ;   in Loop: Header=BB2_3198 Depth=4
	s_mov_b32 s76, -1
	s_mov_b32 s77, exec_lo
	v_cmpx_eq_u16_e32 0x80, v45
; %bb.3698:                             ;   in Loop: Header=BB2_3198 Depth=4
	s_xor_b32 s76, exec_lo, -1
; %bb.3699:                             ;   in Loop: Header=BB2_3198 Depth=4
	s_or_b32 exec_lo, exec_lo, s77
	s_delay_alu instid0(SALU_CYCLE_1)
	s_and_b32 s76, s76, exec_lo
                                        ; implicit-def: $vgpr45
	s_or_saveexec_b32 s14, s14
	v_bfrev_b32_e32 v16, 1
	s_xor_b32 exec_lo, exec_lo, s14
	s_cbranch_execnz .LBB2_4238
.LBB2_3700:                             ;   in Loop: Header=BB2_3198 Depth=4
	s_or_b32 exec_lo, exec_lo, s14
	s_and_saveexec_b32 s14, s76
	s_cbranch_execz .LBB2_3702
.LBB2_3701:                             ;   in Loop: Header=BB2_3198 Depth=4
	v_and_b32_e32 v16, 3, v8
	v_bfe_u32 v46, v8, 2, 5
	s_delay_alu instid0(VALU_DEP_2) | instskip(NEXT) | instid1(VALU_DEP_2)
	v_clz_i32_u32_e32 v18, v16
	v_cmp_eq_u32_e32 vcc_lo, 0, v46
	s_delay_alu instid0(VALU_DEP_2) | instskip(NEXT) | instid1(VALU_DEP_1)
	v_min_u32_e32 v45, 32, v18
	v_subrev_nc_u32_e32 v18, 29, v45
	s_delay_alu instid0(VALU_DEP_1) | instskip(SKIP_1) | instid1(VALU_DEP_1)
	v_lshlrev_b64_e32 v[18:19], v18, v[8:9]
	v_dual_lshlrev_b32 v19, 24, v8 :: v_dual_sub_nc_u32 v45, 30, v45
	v_and_b32_e32 v19, 0x80000000, v19
	s_delay_alu instid0(VALU_DEP_2) | instskip(SKIP_1) | instid1(VALU_DEP_2)
	v_dual_cndmask_b32 v45, v46, v45, vcc_lo :: v_dual_bitop2_b32 v18, 3, v18 bitop3:0x40
	v_bfe_i32 v46, v8, 0, 8
	v_cndmask_b32_e32 v18, v16, v18, vcc_lo
	s_delay_alu instid0(VALU_DEP_3) | instskip(NEXT) | instid1(VALU_DEP_3)
	v_lshl_add_u32 v19, v45, 23, v19
	v_cmp_lt_i16_e32 vcc_lo, -1, v46
	s_delay_alu instid0(VALU_DEP_2) | instskip(SKIP_3) | instid1(VALU_DEP_4)
	v_lshl_or_b32 v18, v18, 21, v19
	v_cndmask_b32_e32 v45, 0xff800000, v111, vcc_lo
	v_and_b32_e32 v19, 0x7c, v8
	v_cmp_eq_u32_e32 vcc_lo, 0, v16
	v_add_nc_u32_e32 v18, 0x38000000, v18
	s_delay_alu instid0(VALU_DEP_4) | instskip(NEXT) | instid1(VALU_DEP_4)
	v_cndmask_b32_e32 v16, 0x7f800001, v45, vcc_lo
	v_cmp_eq_u32_e32 vcc_lo, 0x7c, v19
	s_delay_alu instid0(VALU_DEP_2)
	v_cndmask_b32_e32 v16, v18, v16, vcc_lo
.LBB2_3702:                             ;   in Loop: Header=BB2_3198 Depth=4
	s_or_b32 exec_lo, exec_lo, s14
	s_delay_alu instid0(VALU_DEP_1) | instskip(SKIP_2) | instid1(VALU_DEP_2)
	v_dual_add_f32 v46, v44, v16 :: v_dual_mov_b32 v19, v3
	v_mov_b32_e32 v45, v3
                                        ; implicit-def: $vgpr16
	s_mov_b32 s14, exec_lo
	v_and_b32_e32 v18, 0x7f800000, v46
	v_and_b32_e32 v44, 0x7fffff, v46
	v_lshrrev_b32_e32 v47, 24, v46
	s_delay_alu instid0(VALU_DEP_3)
	v_cmpx_ne_u64_e32 0x7f800000, v[18:19]
	s_xor_b32 s76, exec_lo, s14
	s_cbranch_execz .LBB2_3716
; %bb.3703:                             ;   in Loop: Header=BB2_3198 Depth=4
	v_and_b32_e32 v18, 0x7fffffff, v46
	v_mov_b32_e32 v19, v3
	v_and_b32_e32 v72, 0x80, v47
                                        ; implicit-def: $vgpr16
	s_mov_b32 s14, exec_lo
	s_delay_alu instid0(VALU_DEP_2)
	v_cmpx_gt_u64_e32 0x47600001, v[18:19]
	s_xor_b32 s77, exec_lo, s14
	s_cbranch_execz .LBB2_3713
; %bb.3704:                             ;   in Loop: Header=BB2_3198 Depth=4
	v_mov_b32_e32 v16, 0
	s_mov_b32 s78, exec_lo
	v_cmpx_ne_u32_e32 0, v46
	s_cbranch_execz .LBB2_3712
; %bb.3705:                             ;   in Loop: Header=BB2_3198 Depth=4
	v_bfe_u32 v16, v46, 23, 8
	v_or_b32_e32 v46, 0x800000, v44
	s_delay_alu instid0(VALU_DEP_2) | instskip(SKIP_1) | instid1(VALU_DEP_2)
	v_sub_nc_u32_e32 v18, 0x71, v16
	v_cmp_gt_u32_e32 vcc_lo, 0x72, v16
	v_cndmask_b32_e32 v18, 0, v18, vcc_lo
	v_cmp_eq_u32_e32 vcc_lo, 0, v16
	s_delay_alu instid0(VALU_DEP_2) | instskip(NEXT) | instid1(VALU_DEP_1)
	v_cndmask_b32_e64 v75, v18, 0x70, vcc_lo
	v_dual_cndmask_b32 v44, v46, v44, vcc_lo :: v_dual_add_nc_u32 v18, 21, v75
	v_add_nc_u32_e32 v47, 20, v75
	s_delay_alu instid0(VALU_DEP_2) | instskip(NEXT) | instid1(VALU_DEP_2)
	v_lshlrev_b64_e64 v[18:19], v18, -1
	v_lshlrev_b64_e64 v[46:47], v47, 1
	s_delay_alu instid0(VALU_DEP_2) | instskip(SKIP_1) | instid1(VALU_DEP_4)
	v_bfi_b32 v18, v18, 0, v44
	v_lshrrev_b64 v[44:45], v75, v[44:45]
	v_bfi_b32 v19, v19, 0, 0
	s_delay_alu instid0(VALU_DEP_1) | instskip(NEXT) | instid1(VALU_DEP_3)
	v_cmp_eq_u64_e64 s14, v[18:19], v[46:47]
	v_mov_b64_e32 v[46:47], v[44:45]
	s_and_saveexec_b32 s79, s14
; %bb.3706:                             ;   in Loop: Header=BB2_3198 Depth=4
	v_bfe_u32 v18, v44, 21, 1
	v_mov_b32_e32 v19, v3
	s_delay_alu instid0(VALU_DEP_1) | instskip(NEXT) | instid1(VALU_DEP_1)
	v_add_nc_u64_e32 v[18:19], v[44:45], v[18:19]
	v_add_nc_u64_e32 v[46:47], -1, v[18:19]
; %bb.3707:                             ;   in Loop: Header=BB2_3198 Depth=4
	s_or_b32 exec_lo, exec_lo, s79
	v_dual_mov_b32 v45, v3 :: v_dual_add_nc_u32 v16, 0xffffff81, v16
	v_lshrrev_b32_e32 v18, 23, v44
	s_mov_b32 s14, exec_lo
	s_delay_alu instid0(VALU_DEP_2) | instskip(NEXT) | instid1(VALU_DEP_1)
	v_cndmask_b32_e64 v16, v16, 0xffffff82, vcc_lo
	v_add3_u32 v47, v75, v16, v18
	v_and_b32_e32 v16, 0x1fffff, v46
	s_delay_alu instid0(VALU_DEP_1) | instskip(NEXT) | instid1(VALU_DEP_1)
	v_dual_add_nc_u32 v46, 14, v47 :: v_dual_add_nc_u32 v44, v16, v44
                                        ; implicit-def: $vgpr16
	v_cmpx_ne_u32_e32 0, v46
	s_xor_b32 s14, exec_lo, s14
; %bb.3708:                             ;   in Loop: Header=BB2_3198 Depth=4
	s_delay_alu instid0(VALU_DEP_2) | instskip(SKIP_2) | instid1(VALU_DEP_2)
	v_cmp_lt_u64_e32 vcc_lo, 0xffffff, v[44:45]
	v_add_nc_u32_e32 v16, 15, v47
	v_cndmask_b32_e64 v18, 0, 1, vcc_lo
	v_cndmask_b32_e32 v16, v46, v16, vcc_lo
	s_delay_alu instid0(VALU_DEP_2)
	v_lshrrev_b64 v[44:45], v18, v[44:45]
; %bb.3709:                             ;   in Loop: Header=BB2_3198 Depth=4
	s_and_not1_saveexec_b32 s14, s14
; %bb.3710:                             ;   in Loop: Header=BB2_3198 Depth=4
	s_delay_alu instid0(VALU_DEP_1)
	v_bfe_u32 v16, v44, 23, 1
; %bb.3711:                             ;   in Loop: Header=BB2_3198 Depth=4
	s_or_b32 exec_lo, exec_lo, s14
	s_delay_alu instid0(VALU_DEP_2) | instskip(NEXT) | instid1(VALU_DEP_2)
	v_lshrrev_b64 v[18:19], 21, v[44:45]
	v_cmp_gt_i32_e32 vcc_lo, 32, v16
	v_min_i32_e32 v44, 31, v16
	v_cmp_eq_u32_e64 s14, 0, v16
	s_delay_alu instid0(VALU_DEP_2) | instskip(SKIP_1) | instid1(VALU_DEP_2)
	v_dual_cndmask_b32 v19, 0, v19 :: v_dual_lshlrev_b32 v44, 2, v44
	v_cndmask_b32_e32 v18, 3, v18, vcc_lo
	v_and_b32_e32 v44, 0xfc, v44
	s_delay_alu instid0(VALU_DEP_2) | instskip(NEXT) | instid1(VALU_DEP_2)
	v_cmp_eq_u64_e32 vcc_lo, 0, v[18:19]
	v_and_or_b32 v16, v18, 3, v44
	s_and_b32 s14, s14, vcc_lo
	s_delay_alu instid0(VALU_DEP_1) | instid1(SALU_CYCLE_1)
	v_cndmask_b32_e64 v16, v16, 0, s14
	s_delay_alu instid0(VALU_DEP_1)
	v_or_b32_e32 v16, v16, v72
.LBB2_3712:                             ;   in Loop: Header=BB2_3198 Depth=4
	s_or_b32 exec_lo, exec_lo, s78
                                        ; implicit-def: $vgpr72
.LBB2_3713:                             ;   in Loop: Header=BB2_3198 Depth=4
	s_and_not1_saveexec_b32 s14, s77
; %bb.3714:                             ;   in Loop: Header=BB2_3198 Depth=4
	v_or_b32_e32 v16, 0x7b, v72
; %bb.3715:                             ;   in Loop: Header=BB2_3198 Depth=4
	s_or_b32 exec_lo, exec_lo, s14
                                        ; implicit-def: $vgpr46
                                        ; implicit-def: $vgpr44_vgpr45
                                        ; implicit-def: $vgpr47
.LBB2_3716:                             ;   in Loop: Header=BB2_3198 Depth=4
	s_and_not1_saveexec_b32 s14, s76
	s_cbranch_execz .LBB2_3722
; %bb.3717:                             ;   in Loop: Header=BB2_3198 Depth=4
	s_mov_b32 s76, exec_lo
                                        ; implicit-def: $vgpr16
	v_cmpx_ne_u64_e32 0, v[44:45]
	s_xor_b32 s76, exec_lo, s76
; %bb.3718:                             ;   in Loop: Header=BB2_3198 Depth=4
	v_or_b32_e32 v16, 0x7f, v47
                                        ; implicit-def: $vgpr46
; %bb.3719:                             ;   in Loop: Header=BB2_3198 Depth=4
	s_and_not1_saveexec_b32 s76, s76
; %bb.3720:                             ;   in Loop: Header=BB2_3198 Depth=4
	v_cmp_lt_i32_e32 vcc_lo, -1, v46
	v_cndmask_b32_e32 v16, 0xfc, v120, vcc_lo
; %bb.3721:                             ;   in Loop: Header=BB2_3198 Depth=4
	s_or_b32 exec_lo, exec_lo, s76
.LBB2_3722:                             ;   in Loop: Header=BB2_3198 Depth=4
	s_delay_alu instid0(SALU_CYCLE_1) | instskip(SKIP_3) | instid1(VALU_DEP_2)
	s_or_b32 exec_lo, exec_lo, s14
	v_lshrrev_b16 v44, 8, v30
	v_mov_b32_e32 v46, 0
	s_mov_b32 s14, exec_lo
	v_cmpx_ne_u16_e32 0, v44
	s_cbranch_execz .LBB2_3732
; %bb.3723:                             ;   in Loop: Header=BB2_3198 Depth=4
	v_bfrev_b32_e32 v46, 1
	s_mov_b32 s76, exec_lo
	v_cmpx_ne_u16_e32 0x80, v44
	s_cbranch_execz .LBB2_3731
; %bb.3724:                             ;   in Loop: Header=BB2_3198 Depth=4
	v_and_b32_e32 v47, 0xffff, v44
	s_mov_b32 s77, exec_lo
                                        ; implicit-def: $vgpr46
	s_delay_alu instid0(VALU_DEP_1) | instskip(SKIP_1) | instid1(VALU_DEP_2)
	v_and_b32_e32 v18, 0x7c, v47
	v_and_b32_e32 v45, 3, v47
	v_cmpx_ne_u32_e32 0x7c, v18
	s_xor_b32 s77, exec_lo, s77
	s_cbranch_execz .LBB2_3728
; %bb.3725:                             ;   in Loop: Header=BB2_3198 Depth=4
	v_bfe_u32 v46, v47, 2, 5
	s_mov_b32 s78, exec_lo
	s_delay_alu instid0(VALU_DEP_1)
	v_cmpx_eq_u32_e32 0, v46
	s_cbranch_execz .LBB2_3727
; %bb.3726:                             ;   in Loop: Header=BB2_3198 Depth=4
	v_clz_i32_u32_e32 v18, v45
	s_delay_alu instid0(VALU_DEP_1) | instskip(SKIP_1) | instid1(VALU_DEP_2)
	v_min_u32_e32 v46, 32, v18
	v_mov_b32_e32 v45, v3
	v_subrev_nc_u32_e32 v18, 29, v46
	v_sub_nc_u32_e32 v46, 30, v46
	s_delay_alu instid0(VALU_DEP_2) | instskip(NEXT) | instid1(VALU_DEP_1)
	v_lshlrev_b64_e32 v[18:19], v18, v[44:45]
	v_and_b32_e32 v45, 3, v18
.LBB2_3727:                             ;   in Loop: Header=BB2_3198 Depth=4
	s_or_b32 exec_lo, exec_lo, s78
	v_lshlrev_b32_e32 v18, 16, v30
                                        ; implicit-def: $vgpr30
	s_delay_alu instid0(VALU_DEP_1) | instskip(NEXT) | instid1(VALU_DEP_1)
	v_and_b32_e32 v18, 0x80000000, v18
	v_lshl_add_u32 v18, v46, 23, v18
	s_delay_alu instid0(VALU_DEP_1) | instskip(NEXT) | instid1(VALU_DEP_1)
	v_lshl_or_b32 v18, v45, 21, v18
                                        ; implicit-def: $vgpr45
	v_add_nc_u32_e32 v46, 0x38000000, v18
.LBB2_3728:                             ;   in Loop: Header=BB2_3198 Depth=4
	s_and_not1_saveexec_b32 s77, s77
; %bb.3729:                             ;   in Loop: Header=BB2_3198 Depth=4
	v_cmp_lt_i16_e32 vcc_lo, -1, v30
	v_cndmask_b32_e32 v18, 0xff800000, v111, vcc_lo
	v_cmp_eq_u32_e32 vcc_lo, 0, v45
	s_delay_alu instid0(VALU_DEP_2)
	v_cndmask_b32_e32 v46, 0x7f800001, v18, vcc_lo
; %bb.3730:                             ;   in Loop: Header=BB2_3198 Depth=4
	s_or_b32 exec_lo, exec_lo, s77
.LBB2_3731:                             ;   in Loop: Header=BB2_3198 Depth=4
	s_delay_alu instid0(SALU_CYCLE_1)
	s_or_b32 exec_lo, exec_lo, s76
.LBB2_3732:                             ;   in Loop: Header=BB2_3198 Depth=4
	s_delay_alu instid0(SALU_CYCLE_1) | instskip(SKIP_3) | instid1(VALU_DEP_1)
	s_or_b32 exec_lo, exec_lo, s14
	v_lshrrev_b16 v44, 8, v8
	s_mov_b32 s76, 0
	s_mov_b32 s14, exec_lo
	v_cmpx_lt_i16_e32 0x7f, v44
	s_xor_b32 s14, exec_lo, s14
	s_cbranch_execz .LBB2_4239
; %bb.3733:                             ;   in Loop: Header=BB2_3198 Depth=4
	s_mov_b32 s76, -1
	s_mov_b32 s77, exec_lo
	v_cmpx_eq_u16_e32 0x80, v44
; %bb.3734:                             ;   in Loop: Header=BB2_3198 Depth=4
	s_xor_b32 s76, exec_lo, -1
; %bb.3735:                             ;   in Loop: Header=BB2_3198 Depth=4
	s_or_b32 exec_lo, exec_lo, s77
	s_delay_alu instid0(SALU_CYCLE_1)
	s_and_b32 s76, s76, exec_lo
	s_or_saveexec_b32 s14, s14
	v_bfrev_b32_e32 v30, 1
	s_xor_b32 exec_lo, exec_lo, s14
	s_cbranch_execnz .LBB2_4240
.LBB2_3736:                             ;   in Loop: Header=BB2_3198 Depth=4
	s_or_b32 exec_lo, exec_lo, s14
	s_and_saveexec_b32 s14, s76
	s_cbranch_execz .LBB2_3738
.LBB2_3737:                             ;   in Loop: Header=BB2_3198 Depth=4
	v_and_b32_e32 v30, 0xffff, v44
	s_delay_alu instid0(VALU_DEP_1) | instskip(NEXT) | instid1(VALU_DEP_1)
	v_dual_mov_b32 v45, v3 :: v_dual_bitop2_b32 v47, 3, v30 bitop3:0x40
	v_clz_i32_u32_e32 v18, v47
	s_delay_alu instid0(VALU_DEP_1) | instskip(NEXT) | instid1(VALU_DEP_1)
	v_min_u32_e32 v72, 32, v18
	v_subrev_nc_u32_e32 v18, 29, v72
	s_delay_alu instid0(VALU_DEP_1) | instskip(SKIP_2) | instid1(VALU_DEP_1)
	v_lshlrev_b64_e32 v[18:19], v18, v[44:45]
	v_lshlrev_b32_e32 v19, 24, v44
	v_bfe_u32 v44, v30, 2, 5
	v_cmp_eq_u32_e32 vcc_lo, 0, v44
	s_delay_alu instid0(VALU_DEP_4) | instskip(NEXT) | instid1(VALU_DEP_4)
	v_dual_sub_nc_u32 v45, 30, v72 :: v_dual_bitop2_b32 v18, 3, v18 bitop3:0x40
	v_and_b32_e32 v19, 0x80000000, v19
	s_delay_alu instid0(VALU_DEP_2) | instskip(SKIP_1) | instid1(VALU_DEP_2)
	v_dual_cndmask_b32 v18, v47, v18, vcc_lo :: v_dual_cndmask_b32 v44, v44, v45, vcc_lo
	v_cmp_lt_i16_e32 vcc_lo, -1, v8
	v_lshl_add_u32 v19, v44, 23, v19
	v_cndmask_b32_e32 v44, 0xff800000, v111, vcc_lo
	v_cmp_eq_u32_e32 vcc_lo, 0, v47
	s_delay_alu instid0(VALU_DEP_3) | instskip(SKIP_1) | instid1(VALU_DEP_4)
	v_lshl_or_b32 v18, v18, 21, v19
	v_and_b32_e32 v19, 0x7c, v30
	v_cndmask_b32_e32 v30, 0x7f800001, v44, vcc_lo
	s_delay_alu instid0(VALU_DEP_3) | instskip(NEXT) | instid1(VALU_DEP_3)
	v_add_nc_u32_e32 v18, 0x38000000, v18
	v_cmp_eq_u32_e32 vcc_lo, 0x7c, v19
	s_delay_alu instid0(VALU_DEP_2)
	v_cndmask_b32_e32 v30, v18, v30, vcc_lo
.LBB2_3738:                             ;   in Loop: Header=BB2_3198 Depth=4
	s_or_b32 exec_lo, exec_lo, s14
	s_delay_alu instid0(VALU_DEP_1) | instskip(SKIP_2) | instid1(VALU_DEP_2)
	v_dual_add_f32 v46, v46, v30 :: v_dual_mov_b32 v19, v3
	v_mov_b32_e32 v45, v3
                                        ; implicit-def: $vgpr72
	s_mov_b32 s14, exec_lo
	v_and_b32_e32 v18, 0x7f800000, v46
	v_and_b32_e32 v44, 0x7fffff, v46
	v_lshrrev_b32_e32 v30, 24, v46
	s_delay_alu instid0(VALU_DEP_3)
	v_cmpx_ne_u64_e32 0x7f800000, v[18:19]
	s_xor_b32 s76, exec_lo, s14
	s_cbranch_execz .LBB2_3752
; %bb.3739:                             ;   in Loop: Header=BB2_3198 Depth=4
	v_and_b32_e32 v18, 0x7fffffff, v46
	v_mov_b32_e32 v19, v3
	v_and_b32_e32 v30, 0x80, v30
                                        ; implicit-def: $vgpr72
	s_mov_b32 s14, exec_lo
	s_delay_alu instid0(VALU_DEP_2)
	v_cmpx_gt_u64_e32 0x47600001, v[18:19]
	s_xor_b32 s77, exec_lo, s14
	s_cbranch_execz .LBB2_3749
; %bb.3740:                             ;   in Loop: Header=BB2_3198 Depth=4
	v_mov_b32_e32 v72, 0
	s_mov_b32 s78, exec_lo
	v_cmpx_ne_u32_e32 0, v46
	s_cbranch_execz .LBB2_3748
; %bb.3741:                             ;   in Loop: Header=BB2_3198 Depth=4
	v_bfe_u32 v72, v46, 23, 8
	v_or_b32_e32 v46, 0x800000, v44
	s_delay_alu instid0(VALU_DEP_2) | instskip(SKIP_1) | instid1(VALU_DEP_2)
	v_sub_nc_u32_e32 v18, 0x71, v72
	v_cmp_gt_u32_e32 vcc_lo, 0x72, v72
	v_cndmask_b32_e32 v18, 0, v18, vcc_lo
	v_cmp_eq_u32_e32 vcc_lo, 0, v72
	s_delay_alu instid0(VALU_DEP_2) | instskip(NEXT) | instid1(VALU_DEP_1)
	v_cndmask_b32_e64 v75, v18, 0x70, vcc_lo
	v_dual_cndmask_b32 v44, v46, v44, vcc_lo :: v_dual_add_nc_u32 v18, 21, v75
	v_add_nc_u32_e32 v47, 20, v75
	s_delay_alu instid0(VALU_DEP_2) | instskip(NEXT) | instid1(VALU_DEP_2)
	v_lshlrev_b64_e64 v[18:19], v18, -1
	v_lshlrev_b64_e64 v[46:47], v47, 1
	s_delay_alu instid0(VALU_DEP_2) | instskip(SKIP_1) | instid1(VALU_DEP_4)
	v_bfi_b32 v18, v18, 0, v44
	v_lshrrev_b64 v[44:45], v75, v[44:45]
	v_bfi_b32 v19, v19, 0, 0
	s_delay_alu instid0(VALU_DEP_1) | instskip(NEXT) | instid1(VALU_DEP_3)
	v_cmp_eq_u64_e64 s14, v[18:19], v[46:47]
	v_mov_b64_e32 v[46:47], v[44:45]
	s_and_saveexec_b32 s79, s14
; %bb.3742:                             ;   in Loop: Header=BB2_3198 Depth=4
	v_bfe_u32 v18, v44, 21, 1
	v_mov_b32_e32 v19, v3
	s_delay_alu instid0(VALU_DEP_1) | instskip(NEXT) | instid1(VALU_DEP_1)
	v_add_nc_u64_e32 v[18:19], v[44:45], v[18:19]
	v_add_nc_u64_e32 v[46:47], -1, v[18:19]
; %bb.3743:                             ;   in Loop: Header=BB2_3198 Depth=4
	s_or_b32 exec_lo, exec_lo, s79
	v_dual_mov_b32 v45, v3 :: v_dual_add_nc_u32 v18, 0xffffff81, v72
	v_lshrrev_b32_e32 v19, 23, v44
	s_mov_b32 s14, exec_lo
	s_delay_alu instid0(VALU_DEP_2) | instskip(NEXT) | instid1(VALU_DEP_1)
	v_cndmask_b32_e64 v18, v18, 0xffffff82, vcc_lo
	v_add3_u32 v47, v75, v18, v19
	v_and_b32_e32 v18, 0x1fffff, v46
                                        ; implicit-def: $vgpr46
	s_delay_alu instid0(VALU_DEP_1) | instskip(NEXT) | instid1(VALU_DEP_1)
	v_dual_add_nc_u32 v72, 14, v47 :: v_dual_add_nc_u32 v44, v18, v44
	v_cmpx_ne_u32_e32 0, v72
	s_xor_b32 s14, exec_lo, s14
; %bb.3744:                             ;   in Loop: Header=BB2_3198 Depth=4
	s_delay_alu instid0(VALU_DEP_2) | instskip(SKIP_1) | instid1(VALU_DEP_1)
	v_cmp_lt_u64_e32 vcc_lo, 0xffffff, v[44:45]
	v_add_nc_u32_e32 v18, 15, v47
	v_cndmask_b32_e32 v46, v72, v18, vcc_lo
	v_cndmask_b32_e64 v18, 0, 1, vcc_lo
	s_delay_alu instid0(VALU_DEP_1)
	v_lshrrev_b64 v[44:45], v18, v[44:45]
; %bb.3745:                             ;   in Loop: Header=BB2_3198 Depth=4
	s_and_not1_saveexec_b32 s14, s14
; %bb.3746:                             ;   in Loop: Header=BB2_3198 Depth=4
	s_delay_alu instid0(VALU_DEP_1)
	v_bfe_u32 v46, v44, 23, 1
; %bb.3747:                             ;   in Loop: Header=BB2_3198 Depth=4
	s_or_b32 exec_lo, exec_lo, s14
	s_delay_alu instid0(VALU_DEP_2) | instskip(NEXT) | instid1(VALU_DEP_2)
	v_lshrrev_b64 v[18:19], 21, v[44:45]
	v_cmp_gt_i32_e32 vcc_lo, 32, v46
	v_min_i32_e32 v44, 31, v46
	v_cmp_eq_u32_e64 s14, 0, v46
	s_delay_alu instid0(VALU_DEP_2) | instskip(SKIP_1) | instid1(VALU_DEP_2)
	v_dual_cndmask_b32 v19, 0, v19 :: v_dual_lshlrev_b32 v44, 2, v44
	v_cndmask_b32_e32 v18, 3, v18, vcc_lo
	v_and_b32_e32 v44, 0xfc, v44
	s_delay_alu instid0(VALU_DEP_2) | instskip(NEXT) | instid1(VALU_DEP_2)
	v_cmp_eq_u64_e32 vcc_lo, 0, v[18:19]
	v_and_or_b32 v18, v18, 3, v44
	s_and_b32 s14, s14, vcc_lo
	s_delay_alu instid0(VALU_DEP_1) | instid1(SALU_CYCLE_1)
	v_cndmask_b32_e64 v18, v18, 0, s14
	s_delay_alu instid0(VALU_DEP_1)
	v_or_b32_e32 v72, v18, v30
.LBB2_3748:                             ;   in Loop: Header=BB2_3198 Depth=4
	s_or_b32 exec_lo, exec_lo, s78
                                        ; implicit-def: $vgpr30
.LBB2_3749:                             ;   in Loop: Header=BB2_3198 Depth=4
	s_and_not1_saveexec_b32 s14, s77
; %bb.3750:                             ;   in Loop: Header=BB2_3198 Depth=4
	v_or_b32_e32 v72, 0x7b, v30
; %bb.3751:                             ;   in Loop: Header=BB2_3198 Depth=4
	s_or_b32 exec_lo, exec_lo, s14
                                        ; implicit-def: $vgpr46
                                        ; implicit-def: $vgpr44_vgpr45
                                        ; implicit-def: $vgpr30
.LBB2_3752:                             ;   in Loop: Header=BB2_3198 Depth=4
	s_and_not1_saveexec_b32 s14, s76
	s_cbranch_execz .LBB2_3758
; %bb.3753:                             ;   in Loop: Header=BB2_3198 Depth=4
	s_mov_b32 s76, exec_lo
                                        ; implicit-def: $vgpr72
	v_cmpx_ne_u64_e32 0, v[44:45]
	s_xor_b32 s76, exec_lo, s76
; %bb.3754:                             ;   in Loop: Header=BB2_3198 Depth=4
	v_or_b32_e32 v72, 0x7f, v30
                                        ; implicit-def: $vgpr46
; %bb.3755:                             ;   in Loop: Header=BB2_3198 Depth=4
	s_and_not1_saveexec_b32 s76, s76
; %bb.3756:                             ;   in Loop: Header=BB2_3198 Depth=4
	v_cmp_lt_i32_e32 vcc_lo, -1, v46
	v_cndmask_b32_e32 v72, 0xfc, v120, vcc_lo
; %bb.3757:                             ;   in Loop: Header=BB2_3198 Depth=4
	s_or_b32 exec_lo, exec_lo, s76
.LBB2_3758:                             ;   in Loop: Header=BB2_3198 Depth=4
	s_delay_alu instid0(SALU_CYCLE_1) | instskip(SKIP_2) | instid1(VALU_DEP_1)
	s_or_b32 exec_lo, exec_lo, s14
	v_dual_lshrrev_b32 v30, 16, v2 :: v_dual_mov_b32 v44, 0
	s_mov_b32 s14, exec_lo
	v_and_b32_e32 v45, 0xff, v30
	s_delay_alu instid0(VALU_DEP_1)
	v_cmpx_ne_u16_e32 0, v45
	s_cbranch_execz .LBB2_3768
; %bb.3759:                             ;   in Loop: Header=BB2_3198 Depth=4
	v_bfrev_b32_e32 v44, 1
	s_mov_b32 s76, exec_lo
	v_cmpx_ne_u16_e32 0x80, v45
	s_cbranch_execz .LBB2_3767
; %bb.3760:                             ;   in Loop: Header=BB2_3198 Depth=4
	v_and_b32_e32 v18, 0x7c0000, v2
	v_bfe_u32 v45, v2, 16, 2
	s_mov_b32 s77, exec_lo
                                        ; implicit-def: $vgpr44
	s_delay_alu instid0(VALU_DEP_2)
	v_cmpx_ne_u32_e32 0x7c0000, v18
	s_xor_b32 s77, exec_lo, s77
	s_cbranch_execz .LBB2_3764
; %bb.3761:                             ;   in Loop: Header=BB2_3198 Depth=4
	v_bfe_u32 v44, v2, 18, 5
	v_lshrrev_b32_e32 v30, 16, v2
	s_mov_b32 s78, exec_lo
	s_delay_alu instid0(VALU_DEP_2)
	v_cmpx_eq_u32_e32 0, v44
; %bb.3762:                             ;   in Loop: Header=BB2_3198 Depth=4
	v_clz_i32_u32_e32 v18, v45
	s_delay_alu instid0(VALU_DEP_1) | instskip(NEXT) | instid1(VALU_DEP_1)
	v_min_u32_e32 v44, 32, v18
	v_subrev_nc_u32_e32 v18, 29, v44
	s_delay_alu instid0(VALU_DEP_1) | instskip(NEXT) | instid1(VALU_DEP_1)
	v_lshlrev_b64_e32 v[18:19], v18, v[30:31]
	v_dual_sub_nc_u32 v44, 30, v44 :: v_dual_bitop2_b32 v45, 3, v18 bitop3:0x40
; %bb.3763:                             ;   in Loop: Header=BB2_3198 Depth=4
	s_or_b32 exec_lo, exec_lo, s78
	v_lshlrev_b32_e32 v18, 24, v30
                                        ; implicit-def: $vgpr30
	s_delay_alu instid0(VALU_DEP_1) | instskip(NEXT) | instid1(VALU_DEP_1)
	v_and_b32_e32 v18, 0x80000000, v18
	v_lshl_add_u32 v18, v44, 23, v18
	s_delay_alu instid0(VALU_DEP_1) | instskip(NEXT) | instid1(VALU_DEP_1)
	v_lshl_or_b32 v18, v45, 21, v18
                                        ; implicit-def: $vgpr45
	v_add_nc_u32_e32 v44, 0x38000000, v18
.LBB2_3764:                             ;   in Loop: Header=BB2_3198 Depth=4
	s_and_not1_saveexec_b32 s77, s77
; %bb.3765:                             ;   in Loop: Header=BB2_3198 Depth=4
	v_bfe_i32 v18, v30, 0, 8
	s_delay_alu instid0(VALU_DEP_1) | instskip(SKIP_2) | instid1(VALU_DEP_2)
	v_cmp_lt_i16_e32 vcc_lo, -1, v18
	v_cndmask_b32_e32 v18, 0xff800000, v111, vcc_lo
	v_cmp_eq_u32_e32 vcc_lo, 0, v45
	v_cndmask_b32_e32 v44, 0x7f800001, v18, vcc_lo
; %bb.3766:                             ;   in Loop: Header=BB2_3198 Depth=4
	s_or_b32 exec_lo, exec_lo, s77
.LBB2_3767:                             ;   in Loop: Header=BB2_3198 Depth=4
	s_delay_alu instid0(SALU_CYCLE_1)
	s_or_b32 exec_lo, exec_lo, s76
.LBB2_3768:                             ;   in Loop: Header=BB2_3198 Depth=4
	s_delay_alu instid0(SALU_CYCLE_1) | instskip(SKIP_3) | instid1(VALU_DEP_1)
	s_or_b32 exec_lo, exec_lo, s14
	v_lshrrev_b32_e32 v30, 16, v8
	s_mov_b32 s76, 0
	s_mov_b32 s14, exec_lo
	v_and_b32_e32 v46, 0xff, v30
	s_delay_alu instid0(VALU_DEP_1)
	v_cmpx_lt_i16_e32 0x7f, v46
	s_xor_b32 s14, exec_lo, s14
	s_cbranch_execz .LBB2_4241
; %bb.3769:                             ;   in Loop: Header=BB2_3198 Depth=4
	s_mov_b32 s76, -1
	s_mov_b32 s77, exec_lo
	v_cmpx_eq_u16_e32 0x80, v46
; %bb.3770:                             ;   in Loop: Header=BB2_3198 Depth=4
	s_xor_b32 s76, exec_lo, -1
; %bb.3771:                             ;   in Loop: Header=BB2_3198 Depth=4
	s_or_b32 exec_lo, exec_lo, s77
	s_delay_alu instid0(SALU_CYCLE_1)
	s_and_b32 s76, s76, exec_lo
                                        ; implicit-def: $vgpr46
	s_or_saveexec_b32 s14, s14
	v_bfrev_b32_e32 v45, 1
	s_xor_b32 exec_lo, exec_lo, s14
	s_cbranch_execnz .LBB2_4242
.LBB2_3772:                             ;   in Loop: Header=BB2_3198 Depth=4
	s_or_b32 exec_lo, exec_lo, s14
	s_and_saveexec_b32 s14, s76
	s_cbranch_execz .LBB2_3774
.LBB2_3773:                             ;   in Loop: Header=BB2_3198 Depth=4
	v_and_b32_e32 v45, 3, v30
	v_bfe_u32 v47, v8, 18, 5
	s_delay_alu instid0(VALU_DEP_2) | instskip(NEXT) | instid1(VALU_DEP_2)
	v_clz_i32_u32_e32 v18, v45
	v_cmp_eq_u32_e32 vcc_lo, 0, v47
	s_delay_alu instid0(VALU_DEP_2) | instskip(NEXT) | instid1(VALU_DEP_1)
	v_min_u32_e32 v46, 32, v18
	v_subrev_nc_u32_e32 v18, 29, v46
	v_sub_nc_u32_e32 v46, 30, v46
	s_delay_alu instid0(VALU_DEP_2) | instskip(SKIP_1) | instid1(VALU_DEP_3)
	v_lshlrev_b64_e32 v[18:19], v18, v[30:31]
	v_lshlrev_b32_e32 v19, 24, v30
	v_cndmask_b32_e32 v46, v47, v46, vcc_lo
	v_bfe_i32 v30, v30, 0, 8
	s_delay_alu instid0(VALU_DEP_3) | instskip(SKIP_1) | instid1(VALU_DEP_2)
	v_and_b32_e32 v19, 0x80000000, v19
	v_and_b32_e32 v18, 3, v18
	v_lshl_add_u32 v19, v46, 23, v19
	s_delay_alu instid0(VALU_DEP_2) | instskip(SKIP_1) | instid1(VALU_DEP_2)
	v_cndmask_b32_e32 v18, v45, v18, vcc_lo
	v_cmp_lt_i16_e32 vcc_lo, -1, v30
	v_lshl_or_b32 v18, v18, 21, v19
	v_cndmask_b32_e32 v30, 0xff800000, v111, vcc_lo
	v_and_b32_e32 v19, 0x7c0000, v8
	v_cmp_eq_u32_e32 vcc_lo, 0, v45
	s_delay_alu instid0(VALU_DEP_4) | instskip(NEXT) | instid1(VALU_DEP_4)
	v_add_nc_u32_e32 v18, 0x38000000, v18
	v_cndmask_b32_e32 v30, 0x7f800001, v30, vcc_lo
	s_delay_alu instid0(VALU_DEP_4) | instskip(NEXT) | instid1(VALU_DEP_2)
	v_cmp_eq_u32_e32 vcc_lo, 0x7c0000, v19
	v_cndmask_b32_e32 v45, v18, v30, vcc_lo
.LBB2_3774:                             ;   in Loop: Header=BB2_3198 Depth=4
	s_or_b32 exec_lo, exec_lo, s14
	s_delay_alu instid0(VALU_DEP_1) | instskip(SKIP_2) | instid1(VALU_DEP_2)
	v_dual_add_f32 v46, v44, v45 :: v_dual_mov_b32 v19, v3
	v_mov_b32_e32 v45, v3
                                        ; implicit-def: $vgpr75
	s_mov_b32 s14, exec_lo
	v_and_b32_e32 v18, 0x7f800000, v46
	v_and_b32_e32 v44, 0x7fffff, v46
	v_lshrrev_b32_e32 v30, 24, v46
	s_delay_alu instid0(VALU_DEP_3)
	v_cmpx_ne_u64_e32 0x7f800000, v[18:19]
	s_xor_b32 s76, exec_lo, s14
	s_cbranch_execz .LBB2_3788
; %bb.3775:                             ;   in Loop: Header=BB2_3198 Depth=4
	v_and_b32_e32 v18, 0x7fffffff, v46
	v_mov_b32_e32 v19, v3
	v_and_b32_e32 v30, 0x80, v30
                                        ; implicit-def: $vgpr75
	s_mov_b32 s14, exec_lo
	s_delay_alu instid0(VALU_DEP_2)
	v_cmpx_gt_u64_e32 0x47600001, v[18:19]
	s_xor_b32 s77, exec_lo, s14
	s_cbranch_execz .LBB2_3785
; %bb.3776:                             ;   in Loop: Header=BB2_3198 Depth=4
	v_mov_b32_e32 v75, 0
	s_mov_b32 s78, exec_lo
	v_cmpx_ne_u32_e32 0, v46
	s_cbranch_execz .LBB2_3784
; %bb.3777:                             ;   in Loop: Header=BB2_3198 Depth=4
	v_bfe_u32 v75, v46, 23, 8
	v_or_b32_e32 v46, 0x800000, v44
	s_delay_alu instid0(VALU_DEP_2) | instskip(SKIP_1) | instid1(VALU_DEP_2)
	v_sub_nc_u32_e32 v18, 0x71, v75
	v_cmp_gt_u32_e32 vcc_lo, 0x72, v75
	v_cndmask_b32_e32 v18, 0, v18, vcc_lo
	v_cmp_eq_u32_e32 vcc_lo, 0, v75
	v_cndmask_b32_e32 v44, v46, v44, vcc_lo
	s_delay_alu instid0(VALU_DEP_3) | instskip(NEXT) | instid1(VALU_DEP_1)
	v_cndmask_b32_e64 v78, v18, 0x70, vcc_lo
	v_dual_add_nc_u32 v18, 21, v78 :: v_dual_add_nc_u32 v47, 20, v78
	s_delay_alu instid0(VALU_DEP_1) | instskip(NEXT) | instid1(VALU_DEP_2)
	v_lshlrev_b64_e64 v[18:19], v18, -1
	v_lshlrev_b64_e64 v[46:47], v47, 1
	s_delay_alu instid0(VALU_DEP_2) | instskip(SKIP_1) | instid1(VALU_DEP_4)
	v_bfi_b32 v18, v18, 0, v44
	v_lshrrev_b64 v[44:45], v78, v[44:45]
	v_bfi_b32 v19, v19, 0, 0
	s_delay_alu instid0(VALU_DEP_1) | instskip(NEXT) | instid1(VALU_DEP_3)
	v_cmp_eq_u64_e64 s14, v[18:19], v[46:47]
	v_mov_b64_e32 v[46:47], v[44:45]
	s_and_saveexec_b32 s79, s14
; %bb.3778:                             ;   in Loop: Header=BB2_3198 Depth=4
	v_bfe_u32 v18, v44, 21, 1
	v_mov_b32_e32 v19, v3
	s_delay_alu instid0(VALU_DEP_1) | instskip(NEXT) | instid1(VALU_DEP_1)
	v_add_nc_u64_e32 v[18:19], v[44:45], v[18:19]
	v_add_nc_u64_e32 v[46:47], -1, v[18:19]
; %bb.3779:                             ;   in Loop: Header=BB2_3198 Depth=4
	s_or_b32 exec_lo, exec_lo, s79
	v_dual_mov_b32 v45, v3 :: v_dual_add_nc_u32 v18, 0xffffff81, v75
	v_lshrrev_b32_e32 v19, 23, v44
	s_mov_b32 s14, exec_lo
	s_delay_alu instid0(VALU_DEP_2) | instskip(NEXT) | instid1(VALU_DEP_1)
	v_cndmask_b32_e64 v18, v18, 0xffffff82, vcc_lo
	v_add3_u32 v47, v78, v18, v19
	v_and_b32_e32 v18, 0x1fffff, v46
                                        ; implicit-def: $vgpr46
	s_delay_alu instid0(VALU_DEP_1) | instskip(NEXT) | instid1(VALU_DEP_1)
	v_dual_add_nc_u32 v75, 14, v47 :: v_dual_add_nc_u32 v44, v18, v44
	v_cmpx_ne_u32_e32 0, v75
	s_xor_b32 s14, exec_lo, s14
; %bb.3780:                             ;   in Loop: Header=BB2_3198 Depth=4
	s_delay_alu instid0(VALU_DEP_2) | instskip(SKIP_1) | instid1(VALU_DEP_1)
	v_cmp_lt_u64_e32 vcc_lo, 0xffffff, v[44:45]
	v_add_nc_u32_e32 v18, 15, v47
	v_cndmask_b32_e32 v46, v75, v18, vcc_lo
	v_cndmask_b32_e64 v18, 0, 1, vcc_lo
	s_delay_alu instid0(VALU_DEP_1)
	v_lshrrev_b64 v[44:45], v18, v[44:45]
; %bb.3781:                             ;   in Loop: Header=BB2_3198 Depth=4
	s_and_not1_saveexec_b32 s14, s14
; %bb.3782:                             ;   in Loop: Header=BB2_3198 Depth=4
	s_delay_alu instid0(VALU_DEP_1)
	v_bfe_u32 v46, v44, 23, 1
; %bb.3783:                             ;   in Loop: Header=BB2_3198 Depth=4
	s_or_b32 exec_lo, exec_lo, s14
	s_delay_alu instid0(VALU_DEP_2) | instskip(NEXT) | instid1(VALU_DEP_2)
	v_lshrrev_b64 v[18:19], 21, v[44:45]
	v_cmp_gt_i32_e32 vcc_lo, 32, v46
	v_min_i32_e32 v44, 31, v46
	v_cmp_eq_u32_e64 s14, 0, v46
	s_delay_alu instid0(VALU_DEP_2) | instskip(SKIP_1) | instid1(VALU_DEP_2)
	v_dual_cndmask_b32 v19, 0, v19 :: v_dual_lshlrev_b32 v44, 2, v44
	v_cndmask_b32_e32 v18, 3, v18, vcc_lo
	v_and_b32_e32 v44, 0xfc, v44
	s_delay_alu instid0(VALU_DEP_2) | instskip(NEXT) | instid1(VALU_DEP_2)
	v_cmp_eq_u64_e32 vcc_lo, 0, v[18:19]
	v_and_or_b32 v18, v18, 3, v44
	s_and_b32 s14, s14, vcc_lo
	s_delay_alu instid0(VALU_DEP_1) | instid1(SALU_CYCLE_1)
	v_cndmask_b32_e64 v18, v18, 0, s14
	s_delay_alu instid0(VALU_DEP_1)
	v_or_b32_e32 v75, v18, v30
.LBB2_3784:                             ;   in Loop: Header=BB2_3198 Depth=4
	s_or_b32 exec_lo, exec_lo, s78
                                        ; implicit-def: $vgpr30
.LBB2_3785:                             ;   in Loop: Header=BB2_3198 Depth=4
	s_and_not1_saveexec_b32 s14, s77
; %bb.3786:                             ;   in Loop: Header=BB2_3198 Depth=4
	v_or_b32_e32 v75, 0x7b, v30
; %bb.3787:                             ;   in Loop: Header=BB2_3198 Depth=4
	s_or_b32 exec_lo, exec_lo, s14
                                        ; implicit-def: $vgpr46
                                        ; implicit-def: $vgpr44_vgpr45
                                        ; implicit-def: $vgpr30
.LBB2_3788:                             ;   in Loop: Header=BB2_3198 Depth=4
	s_and_not1_saveexec_b32 s14, s76
	s_cbranch_execz .LBB2_3794
; %bb.3789:                             ;   in Loop: Header=BB2_3198 Depth=4
	s_mov_b32 s76, exec_lo
                                        ; implicit-def: $vgpr75
	v_cmpx_ne_u64_e32 0, v[44:45]
	s_xor_b32 s76, exec_lo, s76
; %bb.3790:                             ;   in Loop: Header=BB2_3198 Depth=4
	v_or_b32_e32 v75, 0x7f, v30
                                        ; implicit-def: $vgpr46
; %bb.3791:                             ;   in Loop: Header=BB2_3198 Depth=4
	s_and_not1_saveexec_b32 s76, s76
; %bb.3792:                             ;   in Loop: Header=BB2_3198 Depth=4
	v_cmp_lt_i32_e32 vcc_lo, -1, v46
	v_cndmask_b32_e32 v75, 0xfc, v120, vcc_lo
; %bb.3793:                             ;   in Loop: Header=BB2_3198 Depth=4
	s_or_b32 exec_lo, exec_lo, s76
.LBB2_3794:                             ;   in Loop: Header=BB2_3198 Depth=4
	s_delay_alu instid0(SALU_CYCLE_1)
	s_or_b32 exec_lo, exec_lo, s14
	v_mov_b32_e32 v44, 0
	s_mov_b32 s14, exec_lo
	v_cmpx_lt_u32_e32 0xffffff, v2
	s_cbranch_execz .LBB2_3804
; %bb.3795:                             ;   in Loop: Header=BB2_3198 Depth=4
	v_lshrrev_b32_e32 v30, 24, v2
	v_bfrev_b32_e32 v44, 1
	s_mov_b32 s76, exec_lo
	s_delay_alu instid0(VALU_DEP_2)
	v_cmpx_ne_u32_e32 0x80, v30
	s_cbranch_execz .LBB2_3803
; %bb.3796:                             ;   in Loop: Header=BB2_3198 Depth=4
	v_and_b32_e32 v18, 0x7c000000, v2
	v_bfe_u32 v45, v2, 24, 2
	s_mov_b32 s77, exec_lo
                                        ; implicit-def: $vgpr44
	s_delay_alu instid0(VALU_DEP_2)
	v_cmpx_ne_u32_e32 0x7c000000, v18
	s_xor_b32 s77, exec_lo, s77
	s_cbranch_execz .LBB2_3800
; %bb.3797:                             ;   in Loop: Header=BB2_3198 Depth=4
	v_bfe_u32 v44, v2, 26, 5
	s_mov_b32 s78, exec_lo
	s_delay_alu instid0(VALU_DEP_1)
	v_cmpx_eq_u32_e32 0, v44
; %bb.3798:                             ;   in Loop: Header=BB2_3198 Depth=4
	v_clz_i32_u32_e32 v18, v45
	s_delay_alu instid0(VALU_DEP_1) | instskip(NEXT) | instid1(VALU_DEP_1)
	v_min_u32_e32 v44, 32, v18
	v_subrev_nc_u32_e32 v18, 29, v44
	s_delay_alu instid0(VALU_DEP_1) | instskip(NEXT) | instid1(VALU_DEP_1)
	v_lshlrev_b64_e32 v[18:19], v18, v[30:31]
	v_dual_sub_nc_u32 v44, 30, v44 :: v_dual_bitop2_b32 v45, 3, v18 bitop3:0x40
; %bb.3799:                             ;   in Loop: Header=BB2_3198 Depth=4
	s_or_b32 exec_lo, exec_lo, s78
	v_and_b32_e32 v2, 0x80000000, v2
	s_delay_alu instid0(VALU_DEP_1) | instskip(NEXT) | instid1(VALU_DEP_1)
	v_lshl_add_u32 v2, v44, 23, v2
	v_lshl_or_b32 v2, v45, 21, v2
                                        ; implicit-def: $vgpr45
	s_delay_alu instid0(VALU_DEP_1)
	v_add_nc_u32_e32 v44, 0x38000000, v2
.LBB2_3800:                             ;   in Loop: Header=BB2_3198 Depth=4
	s_and_not1_saveexec_b32 s77, s77
; %bb.3801:                             ;   in Loop: Header=BB2_3198 Depth=4
	v_cmp_lt_i32_e32 vcc_lo, -1, v2
	v_cndmask_b32_e32 v2, 0xff800000, v111, vcc_lo
	v_cmp_eq_u32_e32 vcc_lo, 0, v45
	s_delay_alu instid0(VALU_DEP_2)
	v_cndmask_b32_e32 v44, 0x7f800001, v2, vcc_lo
; %bb.3802:                             ;   in Loop: Header=BB2_3198 Depth=4
	s_or_b32 exec_lo, exec_lo, s77
.LBB2_3803:                             ;   in Loop: Header=BB2_3198 Depth=4
	s_delay_alu instid0(SALU_CYCLE_1)
	s_or_b32 exec_lo, exec_lo, s76
.LBB2_3804:                             ;   in Loop: Header=BB2_3198 Depth=4
	s_delay_alu instid0(SALU_CYCLE_1) | instskip(SKIP_3) | instid1(VALU_DEP_2)
	s_or_b32 exec_lo, exec_lo, s14
	v_bfe_u32 v30, v8, 24, 2
	v_bfe_u32 v46, v8, 26, 5
                                        ; implicit-def: $vgpr78
	s_mov_b32 s14, exec_lo
	v_clz_i32_u32_e32 v2, v30
	s_delay_alu instid0(VALU_DEP_2) | instskip(NEXT) | instid1(VALU_DEP_2)
	v_cmp_eq_u32_e32 vcc_lo, 0, v46
	v_min_u32_e32 v45, 32, v2
	v_lshrrev_b32_e32 v2, 24, v8
	s_delay_alu instid0(VALU_DEP_2) | instskip(NEXT) | instid1(VALU_DEP_1)
	v_subrev_nc_u32_e32 v18, 29, v45
	v_lshlrev_b64_e32 v[18:19], v18, v[2:3]
	v_sub_nc_u32_e32 v19, 30, v45
	v_and_b32_e32 v45, 0x80000000, v8
	s_delay_alu instid0(VALU_DEP_2) | instskip(NEXT) | instid1(VALU_DEP_1)
	v_dual_cndmask_b32 v19, v46, v19, vcc_lo :: v_dual_bitop2_b32 v18, 3, v18 bitop3:0x40
	v_lshl_add_u32 v19, v19, 23, v45
	s_delay_alu instid0(VALU_DEP_2) | instskip(SKIP_1) | instid1(VALU_DEP_2)
	v_cndmask_b32_e32 v18, v30, v18, vcc_lo
	v_cmp_lt_i32_e32 vcc_lo, -1, v8
	v_lshl_or_b32 v18, v18, 21, v19
	v_cndmask_b32_e32 v45, 0xff800000, v111, vcc_lo
	v_and_b32_e32 v19, 0x7c000000, v8
	v_cmp_eq_u32_e32 vcc_lo, 0, v30
	s_delay_alu instid0(VALU_DEP_4) | instskip(NEXT) | instid1(VALU_DEP_4)
	v_add_nc_u32_e32 v18, 0x38000000, v18
	v_cndmask_b32_e32 v30, 0x7f800001, v45, vcc_lo
	s_delay_alu instid0(VALU_DEP_4) | instskip(NEXT) | instid1(VALU_DEP_2)
	v_cmp_eq_u32_e32 vcc_lo, 0x7c000000, v19
	v_dual_mov_b32 v19, v3 :: v_dual_cndmask_b32 v18, v18, v30
	v_cmp_ne_u32_e32 vcc_lo, 0x80, v2
	s_delay_alu instid0(VALU_DEP_2) | instskip(SKIP_1) | instid1(VALU_DEP_2)
	v_cndmask_b32_e32 v2, 0x80000000, v18, vcc_lo
	v_cmp_lt_u32_e32 vcc_lo, 0xffffff, v8
	v_cndmask_b32_e32 v2, 0, v2, vcc_lo
	s_delay_alu instid0(VALU_DEP_1) | instskip(NEXT) | instid1(VALU_DEP_1)
	v_add_f32_e32 v44, v2, v44
	v_and_b32_e32 v18, 0x7f800000, v44
	v_and_b32_e32 v2, 0x7fffff, v44
	v_lshrrev_b32_e32 v30, 24, v44
	s_delay_alu instid0(VALU_DEP_3)
	v_cmpx_ne_u64_e32 0x7f800000, v[18:19]
	s_xor_b32 s76, exec_lo, s14
	s_cbranch_execz .LBB2_3818
; %bb.3805:                             ;   in Loop: Header=BB2_3198 Depth=4
	v_and_b32_e32 v18, 0x7fffffff, v44
	v_mov_b32_e32 v19, v3
	v_and_b32_e32 v30, 0x80, v30
                                        ; implicit-def: $vgpr78
	s_mov_b32 s14, exec_lo
	s_delay_alu instid0(VALU_DEP_2)
	v_cmpx_gt_u64_e32 0x47600001, v[18:19]
	s_xor_b32 s77, exec_lo, s14
	s_cbranch_execz .LBB2_3815
; %bb.3806:                             ;   in Loop: Header=BB2_3198 Depth=4
	v_mov_b32_e32 v78, 0
	s_mov_b32 s78, exec_lo
	v_cmpx_ne_u32_e32 0, v44
	s_cbranch_execz .LBB2_3814
; %bb.3807:                             ;   in Loop: Header=BB2_3198 Depth=4
	v_bfe_u32 v78, v44, 23, 8
	v_or_b32_e32 v44, 0x800000, v2
	s_delay_alu instid0(VALU_DEP_2) | instskip(SKIP_1) | instid1(VALU_DEP_2)
	v_sub_nc_u32_e32 v18, 0x71, v78
	v_cmp_gt_u32_e32 vcc_lo, 0x72, v78
	v_cndmask_b32_e32 v18, 0, v18, vcc_lo
	v_cmp_eq_u32_e32 vcc_lo, 0, v78
	s_delay_alu instid0(VALU_DEP_2) | instskip(NEXT) | instid1(VALU_DEP_1)
	v_cndmask_b32_e64 v93, v18, 0x70, vcc_lo
	v_dual_cndmask_b32 v2, v44, v2, vcc_lo :: v_dual_add_nc_u32 v18, 21, v93
	v_add_nc_u32_e32 v45, 20, v93
	s_delay_alu instid0(VALU_DEP_2) | instskip(NEXT) | instid1(VALU_DEP_2)
	v_lshlrev_b64_e64 v[18:19], v18, -1
	v_lshlrev_b64_e64 v[46:47], v45, 1
	s_delay_alu instid0(VALU_DEP_4) | instskip(NEXT) | instid1(VALU_DEP_3)
	v_lshrrev_b64 v[44:45], v93, v[2:3]
	v_bfi_b32 v19, v19, 0, 0
	s_delay_alu instid0(VALU_DEP_4) | instskip(NEXT) | instid1(VALU_DEP_1)
	v_bfi_b32 v18, v18, 0, v2
	v_cmp_eq_u64_e64 s14, v[18:19], v[46:47]
	s_delay_alu instid0(VALU_DEP_4)
	v_mov_b64_e32 v[46:47], v[44:45]
	s_and_saveexec_b32 s79, s14
; %bb.3808:                             ;   in Loop: Header=BB2_3198 Depth=4
	v_bfe_u32 v2, v44, 21, 1
	s_delay_alu instid0(VALU_DEP_1) | instskip(NEXT) | instid1(VALU_DEP_1)
	v_add_nc_u64_e32 v[18:19], v[44:45], v[2:3]
	v_add_nc_u64_e32 v[46:47], -1, v[18:19]
; %bb.3809:                             ;   in Loop: Header=BB2_3198 Depth=4
	s_or_b32 exec_lo, exec_lo, s79
	v_add_nc_u32_e32 v2, 0xffffff81, v78
	v_lshrrev_b32_e32 v18, 23, v44
	s_mov_b32 s14, exec_lo
	s_delay_alu instid0(VALU_DEP_2) | instskip(NEXT) | instid1(VALU_DEP_1)
	v_cndmask_b32_e64 v2, v2, 0xffffff82, vcc_lo
	v_add3_u32 v47, v93, v2, v18
	v_and_b32_e32 v2, 0x1fffff, v46
                                        ; implicit-def: $vgpr46
	s_delay_alu instid0(VALU_DEP_1) | instskip(NEXT) | instid1(VALU_DEP_1)
	v_dual_add_nc_u32 v78, 14, v47 :: v_dual_add_nc_u32 v2, v2, v44
                                        ; implicit-def: $vgpr44_vgpr45
	v_cmpx_ne_u32_e32 0, v78
	s_xor_b32 s14, exec_lo, s14
; %bb.3810:                             ;   in Loop: Header=BB2_3198 Depth=4
	s_delay_alu instid0(VALU_DEP_2) | instskip(SKIP_1) | instid1(VALU_DEP_1)
	v_cmp_lt_u64_e32 vcc_lo, 0xffffff, v[2:3]
	v_add_nc_u32_e32 v18, 15, v47
	v_cndmask_b32_e32 v46, v78, v18, vcc_lo
	v_cndmask_b32_e64 v18, 0, 1, vcc_lo
	s_delay_alu instid0(VALU_DEP_1)
	v_lshrrev_b64 v[44:45], v18, v[2:3]
; %bb.3811:                             ;   in Loop: Header=BB2_3198 Depth=4
	s_and_not1_saveexec_b32 s14, s14
; %bb.3812:                             ;   in Loop: Header=BB2_3198 Depth=4
	v_mov_b64_e32 v[44:45], v[2:3]
	v_bfe_u32 v46, v2, 23, 1
; %bb.3813:                             ;   in Loop: Header=BB2_3198 Depth=4
	s_or_b32 exec_lo, exec_lo, s14
	s_delay_alu instid0(VALU_DEP_2) | instskip(NEXT) | instid1(VALU_DEP_2)
	v_lshrrev_b64 v[18:19], 21, v[44:45]
	v_cmp_gt_i32_e32 vcc_lo, 32, v46
	v_min_i32_e32 v2, 31, v46
	v_cmp_eq_u32_e64 s14, 0, v46
	s_delay_alu instid0(VALU_DEP_2) | instskip(SKIP_1) | instid1(VALU_DEP_2)
	v_dual_cndmask_b32 v19, 0, v19 :: v_dual_lshlrev_b32 v2, 2, v2
	v_cndmask_b32_e32 v18, 3, v18, vcc_lo
	v_and_b32_e32 v2, 0xfc, v2
	s_delay_alu instid0(VALU_DEP_2) | instskip(NEXT) | instid1(VALU_DEP_2)
	v_cmp_eq_u64_e32 vcc_lo, 0, v[18:19]
	v_and_or_b32 v2, v18, 3, v2
	s_and_b32 s14, s14, vcc_lo
	s_delay_alu instid0(VALU_DEP_1) | instid1(SALU_CYCLE_1)
	v_cndmask_b32_e64 v2, v2, 0, s14
	s_delay_alu instid0(VALU_DEP_1)
	v_or_b32_e32 v78, v2, v30
.LBB2_3814:                             ;   in Loop: Header=BB2_3198 Depth=4
	s_or_b32 exec_lo, exec_lo, s78
                                        ; implicit-def: $vgpr30
.LBB2_3815:                             ;   in Loop: Header=BB2_3198 Depth=4
	s_and_not1_saveexec_b32 s14, s77
; %bb.3816:                             ;   in Loop: Header=BB2_3198 Depth=4
	v_or_b32_e32 v78, 0x7b, v30
; %bb.3817:                             ;   in Loop: Header=BB2_3198 Depth=4
	s_or_b32 exec_lo, exec_lo, s14
                                        ; implicit-def: $vgpr44
                                        ; implicit-def: $vgpr30
.LBB2_3818:                             ;   in Loop: Header=BB2_3198 Depth=4
	s_and_not1_saveexec_b32 s14, s76
	s_cbranch_execz .LBB2_3824
; %bb.3819:                             ;   in Loop: Header=BB2_3198 Depth=4
	s_mov_b32 s76, exec_lo
                                        ; implicit-def: $vgpr78
	v_cmpx_ne_u64_e32 0, v[2:3]
	s_xor_b32 s76, exec_lo, s76
; %bb.3820:                             ;   in Loop: Header=BB2_3198 Depth=4
	v_or_b32_e32 v78, 0x7f, v30
                                        ; implicit-def: $vgpr44
; %bb.3821:                             ;   in Loop: Header=BB2_3198 Depth=4
	s_and_not1_saveexec_b32 s76, s76
; %bb.3822:                             ;   in Loop: Header=BB2_3198 Depth=4
	v_cmp_lt_i32_e32 vcc_lo, -1, v44
	v_cndmask_b32_e32 v78, 0xfc, v120, vcc_lo
; %bb.3823:                             ;   in Loop: Header=BB2_3198 Depth=4
	s_or_b32 exec_lo, exec_lo, s76
.LBB2_3824:                             ;   in Loop: Header=BB2_3198 Depth=4
	s_delay_alu instid0(SALU_CYCLE_1) | instskip(SKIP_4) | instid1(VALU_DEP_2)
	s_or_b32 exec_lo, exec_lo, s14
	v_lshl_or_b32 v30, v57, 8, v56
	v_dual_lshlrev_b32 v2, 16, v90 :: v_dual_lshlrev_b32 v18, 24, v91
	v_mov_b32_e32 v46, 0
	s_mov_b32 s14, exec_lo
	v_or3_b32 v2, v2, v18, v30
	v_cmpx_ne_u32_e32 0, v56
	s_cbranch_execz .LBB2_3834
; %bb.3825:                             ;   in Loop: Header=BB2_3198 Depth=4
	v_bfrev_b32_e32 v46, 1
	s_mov_b32 s76, exec_lo
	v_cmpx_ne_u32_e32 0x80, v56
	s_cbranch_execz .LBB2_3833
; %bb.3826:                             ;   in Loop: Header=BB2_3198 Depth=4
	v_and_b32_e32 v18, 0x7c, v56
	v_and_b32_e32 v44, 3, v56
	s_mov_b32 s77, exec_lo
                                        ; implicit-def: $vgpr46
	s_delay_alu instid0(VALU_DEP_2)
	v_cmpx_ne_u32_e32 0x7c, v18
	s_xor_b32 s77, exec_lo, s77
	s_cbranch_execz .LBB2_3830
; %bb.3827:                             ;   in Loop: Header=BB2_3198 Depth=4
	v_bfe_u32 v45, v56, 2, 5
	s_mov_b32 s78, exec_lo
	s_delay_alu instid0(VALU_DEP_1)
	v_cmpx_eq_u32_e32 0, v45
; %bb.3828:                             ;   in Loop: Header=BB2_3198 Depth=4
	v_clz_i32_u32_e32 v18, v44
	s_delay_alu instid0(VALU_DEP_1) | instskip(NEXT) | instid1(VALU_DEP_1)
	v_min_u32_e32 v44, 32, v18
	v_subrev_nc_u32_e32 v18, 29, v44
	s_delay_alu instid0(VALU_DEP_1) | instskip(NEXT) | instid1(VALU_DEP_1)
	v_lshlrev_b64_e32 v[18:19], v18, v[2:3]
	v_dual_sub_nc_u32 v45, 30, v44 :: v_dual_bitop2_b32 v44, 3, v18 bitop3:0x40
; %bb.3829:                             ;   in Loop: Header=BB2_3198 Depth=4
	s_or_b32 exec_lo, exec_lo, s78
	v_lshlrev_b32_e32 v18, 24, v56
                                        ; implicit-def: $vgpr56
	s_delay_alu instid0(VALU_DEP_1) | instskip(NEXT) | instid1(VALU_DEP_1)
	v_and_b32_e32 v18, 0x80000000, v18
	v_lshl_add_u32 v18, v45, 23, v18
	s_delay_alu instid0(VALU_DEP_1) | instskip(NEXT) | instid1(VALU_DEP_1)
	v_lshl_or_b32 v18, v44, 21, v18
                                        ; implicit-def: $vgpr44
	v_add_nc_u32_e32 v46, 0x38000000, v18
.LBB2_3830:                             ;   in Loop: Header=BB2_3198 Depth=4
	s_and_not1_saveexec_b32 s77, s77
; %bb.3831:                             ;   in Loop: Header=BB2_3198 Depth=4
	v_and_b32_e32 v18, 0x80, v56
	s_delay_alu instid0(VALU_DEP_1) | instskip(SKIP_2) | instid1(VALU_DEP_2)
	v_cmp_eq_u32_e32 vcc_lo, 0, v18
	v_cndmask_b32_e32 v18, 0xff800000, v111, vcc_lo
	v_cmp_eq_u32_e32 vcc_lo, 0, v44
	v_cndmask_b32_e32 v46, 0x7f800001, v18, vcc_lo
; %bb.3832:                             ;   in Loop: Header=BB2_3198 Depth=4
	s_or_b32 exec_lo, exec_lo, s77
.LBB2_3833:                             ;   in Loop: Header=BB2_3198 Depth=4
	s_delay_alu instid0(SALU_CYCLE_1)
	s_or_b32 exec_lo, exec_lo, s76
.LBB2_3834:                             ;   in Loop: Header=BB2_3198 Depth=4
	s_delay_alu instid0(SALU_CYCLE_1) | instskip(SKIP_4) | instid1(VALU_DEP_2)
	s_or_b32 exec_lo, exec_lo, s14
	v_and_b32_e32 v45, 0xff, v9
	v_mov_b32_e32 v44, v9
	s_mov_b32 s76, 0
	s_mov_b32 s14, exec_lo
	v_cmpx_lt_i16_e32 0x7f, v45
	s_xor_b32 s14, exec_lo, s14
	s_cbranch_execz .LBB2_4243
; %bb.3835:                             ;   in Loop: Header=BB2_3198 Depth=4
	s_mov_b32 s76, -1
	s_mov_b32 s77, exec_lo
	v_cmpx_eq_u16_e32 0x80, v45
; %bb.3836:                             ;   in Loop: Header=BB2_3198 Depth=4
	s_xor_b32 s76, exec_lo, -1
; %bb.3837:                             ;   in Loop: Header=BB2_3198 Depth=4
	s_or_b32 exec_lo, exec_lo, s77
	s_delay_alu instid0(SALU_CYCLE_1)
	s_and_b32 s76, s76, exec_lo
                                        ; implicit-def: $vgpr45
	s_or_saveexec_b32 s14, s14
	v_bfrev_b32_e32 v47, 1
	s_xor_b32 exec_lo, exec_lo, s14
	s_cbranch_execnz .LBB2_4244
.LBB2_3838:                             ;   in Loop: Header=BB2_3198 Depth=4
	s_or_b32 exec_lo, exec_lo, s14
	v_mov_b32_e32 v45, v3
	s_and_saveexec_b32 s14, s76
	s_cbranch_execz .LBB2_3840
.LBB2_3839:                             ;   in Loop: Header=BB2_3198 Depth=4
	v_and_b32_e32 v47, 3, v9
	s_delay_alu instid0(VALU_DEP_1) | instskip(NEXT) | instid1(VALU_DEP_1)
	v_clz_i32_u32_e32 v18, v47
	v_min_u32_e32 v56, 32, v18
	s_delay_alu instid0(VALU_DEP_1) | instskip(NEXT) | instid1(VALU_DEP_1)
	v_subrev_nc_u32_e32 v18, 29, v56
	v_lshlrev_b64_e32 v[18:19], v18, v[44:45]
	v_bfe_u32 v45, v9, 2, 5
	v_dual_lshlrev_b32 v19, 24, v9 :: v_dual_sub_nc_u32 v56, 30, v56
	s_delay_alu instid0(VALU_DEP_2) | instskip(NEXT) | instid1(VALU_DEP_2)
	v_cmp_eq_u32_e32 vcc_lo, 0, v45
	v_and_b32_e32 v19, 0x80000000, v19
	s_delay_alu instid0(VALU_DEP_3) | instskip(SKIP_1) | instid1(VALU_DEP_2)
	v_dual_cndmask_b32 v45, v45, v56, vcc_lo :: v_dual_bitop2_b32 v18, 3, v18 bitop3:0x40
	v_bfe_i32 v56, v9, 0, 8
	v_cndmask_b32_e32 v18, v47, v18, vcc_lo
	s_delay_alu instid0(VALU_DEP_3) | instskip(NEXT) | instid1(VALU_DEP_3)
	v_lshl_add_u32 v19, v45, 23, v19
	v_cmp_lt_i16_e32 vcc_lo, -1, v56
	s_delay_alu instid0(VALU_DEP_2) | instskip(SKIP_3) | instid1(VALU_DEP_4)
	v_lshl_or_b32 v18, v18, 21, v19
	v_cndmask_b32_e32 v45, 0xff800000, v111, vcc_lo
	v_and_b32_e32 v19, 0x7c, v9
	v_cmp_eq_u32_e32 vcc_lo, 0, v47
	v_add_nc_u32_e32 v18, 0x38000000, v18
	s_delay_alu instid0(VALU_DEP_4) | instskip(NEXT) | instid1(VALU_DEP_4)
	v_cndmask_b32_e32 v45, 0x7f800001, v45, vcc_lo
	v_cmp_eq_u32_e32 vcc_lo, 0x7c, v19
	s_delay_alu instid0(VALU_DEP_2)
	v_cndmask_b32_e32 v47, v18, v45, vcc_lo
.LBB2_3840:                             ;   in Loop: Header=BB2_3198 Depth=4
	s_or_b32 exec_lo, exec_lo, s14
	s_delay_alu instid0(VALU_DEP_1) | instskip(SKIP_2) | instid1(VALU_DEP_2)
	v_dual_add_f32 v57, v46, v47 :: v_dual_mov_b32 v19, v3
	v_mov_b32_e32 v47, v3
                                        ; implicit-def: $vgpr56
	s_mov_b32 s14, exec_lo
	v_and_b32_e32 v18, 0x7f800000, v57
	v_and_b32_e32 v46, 0x7fffff, v57
	v_lshrrev_b32_e32 v45, 24, v57
	s_delay_alu instid0(VALU_DEP_3)
	v_cmpx_ne_u64_e32 0x7f800000, v[18:19]
	s_xor_b32 s76, exec_lo, s14
	s_cbranch_execz .LBB2_3854
; %bb.3841:                             ;   in Loop: Header=BB2_3198 Depth=4
	v_and_b32_e32 v18, 0x7fffffff, v57
	v_mov_b32_e32 v19, v3
	v_and_b32_e32 v45, 0x80, v45
                                        ; implicit-def: $vgpr56
	s_mov_b32 s14, exec_lo
	s_delay_alu instid0(VALU_DEP_2)
	v_cmpx_gt_u64_e32 0x47600001, v[18:19]
	s_xor_b32 s77, exec_lo, s14
	s_cbranch_execz .LBB2_3851
; %bb.3842:                             ;   in Loop: Header=BB2_3198 Depth=4
	v_mov_b32_e32 v56, 0
	s_mov_b32 s78, exec_lo
	v_cmpx_ne_u32_e32 0, v57
	s_cbranch_execz .LBB2_3850
; %bb.3843:                             ;   in Loop: Header=BB2_3198 Depth=4
	v_bfe_u32 v90, v57, 23, 8
	v_or_b32_e32 v56, 0x800000, v46
	s_delay_alu instid0(VALU_DEP_2) | instskip(SKIP_1) | instid1(VALU_DEP_2)
	v_sub_nc_u32_e32 v18, 0x71, v90
	v_cmp_gt_u32_e32 vcc_lo, 0x72, v90
	v_cndmask_b32_e32 v18, 0, v18, vcc_lo
	v_cmp_eq_u32_e32 vcc_lo, 0, v90
	s_delay_alu instid0(VALU_DEP_2) | instskip(NEXT) | instid1(VALU_DEP_1)
	v_cndmask_b32_e64 v91, v18, 0x70, vcc_lo
	v_dual_cndmask_b32 v46, v56, v46, vcc_lo :: v_dual_add_nc_u32 v18, 21, v91
	v_add_nc_u32_e32 v57, 20, v91
	s_delay_alu instid0(VALU_DEP_2) | instskip(NEXT) | instid1(VALU_DEP_2)
	v_lshlrev_b64_e64 v[18:19], v18, -1
	v_lshlrev_b64_e64 v[56:57], v57, 1
	s_delay_alu instid0(VALU_DEP_2) | instskip(SKIP_1) | instid1(VALU_DEP_4)
	v_bfi_b32 v18, v18, 0, v46
	v_lshrrev_b64 v[46:47], v91, v[46:47]
	v_bfi_b32 v19, v19, 0, 0
	s_delay_alu instid0(VALU_DEP_1) | instskip(NEXT) | instid1(VALU_DEP_3)
	v_cmp_eq_u64_e64 s14, v[18:19], v[56:57]
	v_mov_b64_e32 v[56:57], v[46:47]
	s_and_saveexec_b32 s79, s14
; %bb.3844:                             ;   in Loop: Header=BB2_3198 Depth=4
	v_bfe_u32 v18, v46, 21, 1
	v_mov_b32_e32 v19, v3
	s_delay_alu instid0(VALU_DEP_1) | instskip(NEXT) | instid1(VALU_DEP_1)
	v_add_nc_u64_e32 v[18:19], v[46:47], v[18:19]
	v_add_nc_u64_e32 v[56:57], -1, v[18:19]
; %bb.3845:                             ;   in Loop: Header=BB2_3198 Depth=4
	s_or_b32 exec_lo, exec_lo, s79
	v_dual_mov_b32 v47, v3 :: v_dual_add_nc_u32 v18, 0xffffff81, v90
	v_lshrrev_b32_e32 v19, 23, v46
	s_mov_b32 s14, exec_lo
	s_delay_alu instid0(VALU_DEP_2) | instskip(NEXT) | instid1(VALU_DEP_1)
	v_cndmask_b32_e64 v18, v18, 0xffffff82, vcc_lo
	v_add3_u32 v57, v91, v18, v19
	v_and_b32_e32 v18, 0x1fffff, v56
                                        ; implicit-def: $vgpr56
	s_delay_alu instid0(VALU_DEP_1) | instskip(NEXT) | instid1(VALU_DEP_1)
	v_dual_add_nc_u32 v90, 14, v57 :: v_dual_add_nc_u32 v46, v18, v46
	v_cmpx_ne_u32_e32 0, v90
	s_xor_b32 s14, exec_lo, s14
; %bb.3846:                             ;   in Loop: Header=BB2_3198 Depth=4
	s_delay_alu instid0(VALU_DEP_2) | instskip(SKIP_1) | instid1(VALU_DEP_1)
	v_cmp_lt_u64_e32 vcc_lo, 0xffffff, v[46:47]
	v_add_nc_u32_e32 v18, 15, v57
	v_cndmask_b32_e32 v56, v90, v18, vcc_lo
	v_cndmask_b32_e64 v18, 0, 1, vcc_lo
	s_delay_alu instid0(VALU_DEP_1)
	v_lshrrev_b64 v[46:47], v18, v[46:47]
; %bb.3847:                             ;   in Loop: Header=BB2_3198 Depth=4
	s_and_not1_saveexec_b32 s14, s14
; %bb.3848:                             ;   in Loop: Header=BB2_3198 Depth=4
	s_delay_alu instid0(VALU_DEP_1)
	v_bfe_u32 v56, v46, 23, 1
; %bb.3849:                             ;   in Loop: Header=BB2_3198 Depth=4
	s_or_b32 exec_lo, exec_lo, s14
	s_delay_alu instid0(VALU_DEP_2) | instskip(NEXT) | instid1(VALU_DEP_2)
	v_lshrrev_b64 v[18:19], 21, v[46:47]
	v_cmp_gt_i32_e32 vcc_lo, 32, v56
	v_min_i32_e32 v46, 31, v56
	v_cmp_eq_u32_e64 s14, 0, v56
	s_delay_alu instid0(VALU_DEP_2) | instskip(SKIP_1) | instid1(VALU_DEP_2)
	v_dual_cndmask_b32 v19, 0, v19 :: v_dual_lshlrev_b32 v46, 2, v46
	v_cndmask_b32_e32 v18, 3, v18, vcc_lo
	v_and_b32_e32 v46, 0xfc, v46
	s_delay_alu instid0(VALU_DEP_2) | instskip(NEXT) | instid1(VALU_DEP_2)
	v_cmp_eq_u64_e32 vcc_lo, 0, v[18:19]
	v_and_or_b32 v18, v18, 3, v46
	s_and_b32 s14, s14, vcc_lo
	s_delay_alu instid0(VALU_DEP_1) | instid1(SALU_CYCLE_1)
	v_cndmask_b32_e64 v18, v18, 0, s14
	s_delay_alu instid0(VALU_DEP_1)
	v_or_b32_e32 v56, v18, v45
.LBB2_3850:                             ;   in Loop: Header=BB2_3198 Depth=4
	s_or_b32 exec_lo, exec_lo, s78
                                        ; implicit-def: $vgpr45
.LBB2_3851:                             ;   in Loop: Header=BB2_3198 Depth=4
	s_and_not1_saveexec_b32 s14, s77
; %bb.3852:                             ;   in Loop: Header=BB2_3198 Depth=4
	v_or_b32_e32 v56, 0x7b, v45
; %bb.3853:                             ;   in Loop: Header=BB2_3198 Depth=4
	s_or_b32 exec_lo, exec_lo, s14
                                        ; implicit-def: $vgpr57
                                        ; implicit-def: $vgpr46_vgpr47
                                        ; implicit-def: $vgpr45
.LBB2_3854:                             ;   in Loop: Header=BB2_3198 Depth=4
	s_and_not1_saveexec_b32 s14, s76
	s_cbranch_execz .LBB2_3860
; %bb.3855:                             ;   in Loop: Header=BB2_3198 Depth=4
	s_mov_b32 s76, exec_lo
                                        ; implicit-def: $vgpr56
	v_cmpx_ne_u64_e32 0, v[46:47]
	s_xor_b32 s76, exec_lo, s76
; %bb.3856:                             ;   in Loop: Header=BB2_3198 Depth=4
	v_or_b32_e32 v56, 0x7f, v45
                                        ; implicit-def: $vgpr57
; %bb.3857:                             ;   in Loop: Header=BB2_3198 Depth=4
	s_and_not1_saveexec_b32 s76, s76
; %bb.3858:                             ;   in Loop: Header=BB2_3198 Depth=4
	v_cmp_lt_i32_e32 vcc_lo, -1, v57
	v_cndmask_b32_e32 v56, 0xfc, v120, vcc_lo
; %bb.3859:                             ;   in Loop: Header=BB2_3198 Depth=4
	s_or_b32 exec_lo, exec_lo, s76
.LBB2_3860:                             ;   in Loop: Header=BB2_3198 Depth=4
	s_delay_alu instid0(SALU_CYCLE_1) | instskip(SKIP_3) | instid1(VALU_DEP_2)
	s_or_b32 exec_lo, exec_lo, s14
	v_lshrrev_b16 v46, 8, v30
	v_mov_b32_e32 v45, 0
	s_mov_b32 s14, exec_lo
	v_cmpx_ne_u16_e32 0, v46
	s_cbranch_execz .LBB2_3870
; %bb.3861:                             ;   in Loop: Header=BB2_3198 Depth=4
	v_bfrev_b32_e32 v45, 1
	s_mov_b32 s76, exec_lo
	v_cmpx_ne_u16_e32 0x80, v46
	s_cbranch_execz .LBB2_3869
; %bb.3862:                             ;   in Loop: Header=BB2_3198 Depth=4
	v_and_b32_e32 v57, 0xffff, v46
	s_mov_b32 s77, exec_lo
                                        ; implicit-def: $vgpr45
	s_delay_alu instid0(VALU_DEP_1) | instskip(SKIP_1) | instid1(VALU_DEP_2)
	v_and_b32_e32 v18, 0x7c, v57
	v_and_b32_e32 v47, 3, v57
	v_cmpx_ne_u32_e32 0x7c, v18
	s_xor_b32 s77, exec_lo, s77
	s_cbranch_execz .LBB2_3866
; %bb.3863:                             ;   in Loop: Header=BB2_3198 Depth=4
	v_bfe_u32 v45, v57, 2, 5
	s_mov_b32 s78, exec_lo
	s_delay_alu instid0(VALU_DEP_1)
	v_cmpx_eq_u32_e32 0, v45
	s_cbranch_execz .LBB2_3865
; %bb.3864:                             ;   in Loop: Header=BB2_3198 Depth=4
	v_clz_i32_u32_e32 v18, v47
	s_delay_alu instid0(VALU_DEP_1) | instskip(SKIP_1) | instid1(VALU_DEP_2)
	v_min_u32_e32 v45, 32, v18
	v_mov_b32_e32 v47, v3
	v_subrev_nc_u32_e32 v18, 29, v45
	v_sub_nc_u32_e32 v45, 30, v45
	s_delay_alu instid0(VALU_DEP_2) | instskip(NEXT) | instid1(VALU_DEP_1)
	v_lshlrev_b64_e32 v[18:19], v18, v[46:47]
	v_and_b32_e32 v47, 3, v18
.LBB2_3865:                             ;   in Loop: Header=BB2_3198 Depth=4
	s_or_b32 exec_lo, exec_lo, s78
	v_lshlrev_b32_e32 v18, 16, v30
                                        ; implicit-def: $vgpr30
	s_delay_alu instid0(VALU_DEP_1) | instskip(NEXT) | instid1(VALU_DEP_1)
	v_and_b32_e32 v18, 0x80000000, v18
	v_lshl_add_u32 v18, v45, 23, v18
	s_delay_alu instid0(VALU_DEP_1) | instskip(NEXT) | instid1(VALU_DEP_1)
	v_lshl_or_b32 v18, v47, 21, v18
                                        ; implicit-def: $vgpr47
	v_add_nc_u32_e32 v45, 0x38000000, v18
.LBB2_3866:                             ;   in Loop: Header=BB2_3198 Depth=4
	s_and_not1_saveexec_b32 s77, s77
; %bb.3867:                             ;   in Loop: Header=BB2_3198 Depth=4
	v_cmp_lt_i16_e32 vcc_lo, -1, v30
	v_cndmask_b32_e32 v18, 0xff800000, v111, vcc_lo
	v_cmp_eq_u32_e32 vcc_lo, 0, v47
	s_delay_alu instid0(VALU_DEP_2)
	v_cndmask_b32_e32 v45, 0x7f800001, v18, vcc_lo
; %bb.3868:                             ;   in Loop: Header=BB2_3198 Depth=4
	s_or_b32 exec_lo, exec_lo, s77
.LBB2_3869:                             ;   in Loop: Header=BB2_3198 Depth=4
	s_delay_alu instid0(SALU_CYCLE_1)
	s_or_b32 exec_lo, exec_lo, s76
.LBB2_3870:                             ;   in Loop: Header=BB2_3198 Depth=4
	s_delay_alu instid0(SALU_CYCLE_1) | instskip(SKIP_3) | instid1(VALU_DEP_1)
	s_or_b32 exec_lo, exec_lo, s14
	v_lshrrev_b16 v46, 8, v44
	s_mov_b32 s76, 0
	s_mov_b32 s14, exec_lo
	v_cmpx_lt_i16_e32 0x7f, v46
	s_xor_b32 s14, exec_lo, s14
	s_cbranch_execz .LBB2_4245
; %bb.3871:                             ;   in Loop: Header=BB2_3198 Depth=4
	s_mov_b32 s76, -1
	s_mov_b32 s77, exec_lo
	v_cmpx_eq_u16_e32 0x80, v46
; %bb.3872:                             ;   in Loop: Header=BB2_3198 Depth=4
	s_xor_b32 s76, exec_lo, -1
; %bb.3873:                             ;   in Loop: Header=BB2_3198 Depth=4
	s_or_b32 exec_lo, exec_lo, s77
	s_delay_alu instid0(SALU_CYCLE_1)
	s_and_b32 s76, s76, exec_lo
	s_or_saveexec_b32 s14, s14
	v_bfrev_b32_e32 v30, 1
	s_xor_b32 exec_lo, exec_lo, s14
	s_cbranch_execnz .LBB2_4246
.LBB2_3874:                             ;   in Loop: Header=BB2_3198 Depth=4
	s_or_b32 exec_lo, exec_lo, s14
	s_and_saveexec_b32 s14, s76
	s_cbranch_execz .LBB2_3876
.LBB2_3875:                             ;   in Loop: Header=BB2_3198 Depth=4
	v_and_b32_e32 v30, 0xffff, v46
	s_delay_alu instid0(VALU_DEP_1) | instskip(NEXT) | instid1(VALU_DEP_1)
	v_dual_mov_b32 v47, v3 :: v_dual_bitop2_b32 v57, 3, v30 bitop3:0x40
	v_clz_i32_u32_e32 v18, v57
	s_delay_alu instid0(VALU_DEP_1) | instskip(NEXT) | instid1(VALU_DEP_1)
	v_min_u32_e32 v90, 32, v18
	v_subrev_nc_u32_e32 v18, 29, v90
	s_delay_alu instid0(VALU_DEP_1) | instskip(SKIP_3) | instid1(VALU_DEP_4)
	v_lshlrev_b64_e32 v[18:19], v18, v[46:47]
	v_sub_nc_u32_e32 v47, 30, v90
	v_lshlrev_b32_e32 v19, 24, v46
	v_bfe_u32 v46, v30, 2, 5
	v_and_b32_e32 v18, 3, v18
	s_delay_alu instid0(VALU_DEP_2) | instskip(SKIP_2) | instid1(VALU_DEP_4)
	v_cmp_eq_u32_e32 vcc_lo, 0, v46
	v_cndmask_b32_e32 v46, v46, v47, vcc_lo
	v_and_b32_e32 v19, 0x80000000, v19
	v_cndmask_b32_e32 v18, v57, v18, vcc_lo
	v_cmp_lt_i16_e32 vcc_lo, -1, v44
	s_delay_alu instid0(VALU_DEP_3) | instskip(SKIP_2) | instid1(VALU_DEP_3)
	v_lshl_add_u32 v19, v46, 23, v19
	v_cndmask_b32_e32 v44, 0xff800000, v111, vcc_lo
	v_cmp_eq_u32_e32 vcc_lo, 0, v57
	v_lshl_or_b32 v18, v18, 21, v19
	v_and_b32_e32 v19, 0x7c, v30
	s_delay_alu instid0(VALU_DEP_4) | instskip(NEXT) | instid1(VALU_DEP_3)
	v_cndmask_b32_e32 v30, 0x7f800001, v44, vcc_lo
	v_add_nc_u32_e32 v18, 0x38000000, v18
	s_delay_alu instid0(VALU_DEP_3) | instskip(NEXT) | instid1(VALU_DEP_2)
	v_cmp_eq_u32_e32 vcc_lo, 0x7c, v19
	v_cndmask_b32_e32 v30, v18, v30, vcc_lo
.LBB2_3876:                             ;   in Loop: Header=BB2_3198 Depth=4
	s_or_b32 exec_lo, exec_lo, s14
	s_delay_alu instid0(VALU_DEP_1) | instskip(SKIP_2) | instid1(VALU_DEP_2)
	v_dual_add_f32 v46, v45, v30 :: v_dual_mov_b32 v19, v3
	v_mov_b32_e32 v45, v3
                                        ; implicit-def: $vgpr57
	s_mov_b32 s14, exec_lo
	v_and_b32_e32 v18, 0x7f800000, v46
	v_and_b32_e32 v44, 0x7fffff, v46
	v_lshrrev_b32_e32 v30, 24, v46
	s_delay_alu instid0(VALU_DEP_3)
	v_cmpx_ne_u64_e32 0x7f800000, v[18:19]
	s_xor_b32 s76, exec_lo, s14
	s_cbranch_execz .LBB2_3890
; %bb.3877:                             ;   in Loop: Header=BB2_3198 Depth=4
	v_and_b32_e32 v18, 0x7fffffff, v46
	v_mov_b32_e32 v19, v3
	v_and_b32_e32 v30, 0x80, v30
                                        ; implicit-def: $vgpr57
	s_mov_b32 s14, exec_lo
	s_delay_alu instid0(VALU_DEP_2)
	v_cmpx_gt_u64_e32 0x47600001, v[18:19]
	s_xor_b32 s77, exec_lo, s14
	s_cbranch_execz .LBB2_3887
; %bb.3878:                             ;   in Loop: Header=BB2_3198 Depth=4
	v_mov_b32_e32 v57, 0
	s_mov_b32 s78, exec_lo
	v_cmpx_ne_u32_e32 0, v46
	s_cbranch_execz .LBB2_3886
; %bb.3879:                             ;   in Loop: Header=BB2_3198 Depth=4
	v_bfe_u32 v57, v46, 23, 8
	v_or_b32_e32 v46, 0x800000, v44
	s_delay_alu instid0(VALU_DEP_2) | instskip(SKIP_1) | instid1(VALU_DEP_2)
	v_sub_nc_u32_e32 v18, 0x71, v57
	v_cmp_gt_u32_e32 vcc_lo, 0x72, v57
	v_cndmask_b32_e32 v18, 0, v18, vcc_lo
	v_cmp_eq_u32_e32 vcc_lo, 0, v57
	v_cndmask_b32_e32 v44, v46, v44, vcc_lo
	s_delay_alu instid0(VALU_DEP_3) | instskip(NEXT) | instid1(VALU_DEP_1)
	v_cndmask_b32_e64 v90, v18, 0x70, vcc_lo
	v_dual_add_nc_u32 v18, 21, v90 :: v_dual_add_nc_u32 v47, 20, v90
	s_delay_alu instid0(VALU_DEP_1) | instskip(NEXT) | instid1(VALU_DEP_2)
	v_lshlrev_b64_e64 v[18:19], v18, -1
	v_lshlrev_b64_e64 v[46:47], v47, 1
	s_delay_alu instid0(VALU_DEP_2) | instskip(SKIP_1) | instid1(VALU_DEP_4)
	v_bfi_b32 v18, v18, 0, v44
	v_lshrrev_b64 v[44:45], v90, v[44:45]
	v_bfi_b32 v19, v19, 0, 0
	s_delay_alu instid0(VALU_DEP_1) | instskip(NEXT) | instid1(VALU_DEP_3)
	v_cmp_eq_u64_e64 s14, v[18:19], v[46:47]
	v_mov_b64_e32 v[46:47], v[44:45]
	s_and_saveexec_b32 s79, s14
; %bb.3880:                             ;   in Loop: Header=BB2_3198 Depth=4
	v_bfe_u32 v18, v44, 21, 1
	v_mov_b32_e32 v19, v3
	s_delay_alu instid0(VALU_DEP_1) | instskip(NEXT) | instid1(VALU_DEP_1)
	v_add_nc_u64_e32 v[18:19], v[44:45], v[18:19]
	v_add_nc_u64_e32 v[46:47], -1, v[18:19]
; %bb.3881:                             ;   in Loop: Header=BB2_3198 Depth=4
	s_or_b32 exec_lo, exec_lo, s79
	v_dual_mov_b32 v45, v3 :: v_dual_add_nc_u32 v18, 0xffffff81, v57
	v_lshrrev_b32_e32 v19, 23, v44
	s_mov_b32 s14, exec_lo
	s_delay_alu instid0(VALU_DEP_2) | instskip(NEXT) | instid1(VALU_DEP_1)
	v_cndmask_b32_e64 v18, v18, 0xffffff82, vcc_lo
	v_add3_u32 v47, v90, v18, v19
	v_and_b32_e32 v18, 0x1fffff, v46
                                        ; implicit-def: $vgpr46
	s_delay_alu instid0(VALU_DEP_1) | instskip(NEXT) | instid1(VALU_DEP_1)
	v_dual_add_nc_u32 v57, 14, v47 :: v_dual_add_nc_u32 v44, v18, v44
	v_cmpx_ne_u32_e32 0, v57
	s_xor_b32 s14, exec_lo, s14
; %bb.3882:                             ;   in Loop: Header=BB2_3198 Depth=4
	s_delay_alu instid0(VALU_DEP_2) | instskip(SKIP_1) | instid1(VALU_DEP_1)
	v_cmp_lt_u64_e32 vcc_lo, 0xffffff, v[44:45]
	v_add_nc_u32_e32 v18, 15, v47
	v_cndmask_b32_e32 v46, v57, v18, vcc_lo
	v_cndmask_b32_e64 v18, 0, 1, vcc_lo
	s_delay_alu instid0(VALU_DEP_1)
	v_lshrrev_b64 v[44:45], v18, v[44:45]
; %bb.3883:                             ;   in Loop: Header=BB2_3198 Depth=4
	s_and_not1_saveexec_b32 s14, s14
; %bb.3884:                             ;   in Loop: Header=BB2_3198 Depth=4
	s_delay_alu instid0(VALU_DEP_1)
	v_bfe_u32 v46, v44, 23, 1
; %bb.3885:                             ;   in Loop: Header=BB2_3198 Depth=4
	s_or_b32 exec_lo, exec_lo, s14
	s_delay_alu instid0(VALU_DEP_2) | instskip(NEXT) | instid1(VALU_DEP_2)
	v_lshrrev_b64 v[18:19], 21, v[44:45]
	v_cmp_gt_i32_e32 vcc_lo, 32, v46
	v_min_i32_e32 v44, 31, v46
	v_cmp_eq_u32_e64 s14, 0, v46
	s_delay_alu instid0(VALU_DEP_2) | instskip(SKIP_1) | instid1(VALU_DEP_2)
	v_dual_cndmask_b32 v19, 0, v19 :: v_dual_lshlrev_b32 v44, 2, v44
	v_cndmask_b32_e32 v18, 3, v18, vcc_lo
	v_and_b32_e32 v44, 0xfc, v44
	s_delay_alu instid0(VALU_DEP_2) | instskip(NEXT) | instid1(VALU_DEP_2)
	v_cmp_eq_u64_e32 vcc_lo, 0, v[18:19]
	v_and_or_b32 v18, v18, 3, v44
	s_and_b32 s14, s14, vcc_lo
	s_delay_alu instid0(VALU_DEP_1) | instid1(SALU_CYCLE_1)
	v_cndmask_b32_e64 v18, v18, 0, s14
	s_delay_alu instid0(VALU_DEP_1)
	v_or_b32_e32 v57, v18, v30
.LBB2_3886:                             ;   in Loop: Header=BB2_3198 Depth=4
	s_or_b32 exec_lo, exec_lo, s78
                                        ; implicit-def: $vgpr30
.LBB2_3887:                             ;   in Loop: Header=BB2_3198 Depth=4
	s_and_not1_saveexec_b32 s14, s77
; %bb.3888:                             ;   in Loop: Header=BB2_3198 Depth=4
	v_or_b32_e32 v57, 0x7b, v30
; %bb.3889:                             ;   in Loop: Header=BB2_3198 Depth=4
	s_or_b32 exec_lo, exec_lo, s14
                                        ; implicit-def: $vgpr46
                                        ; implicit-def: $vgpr44_vgpr45
                                        ; implicit-def: $vgpr30
.LBB2_3890:                             ;   in Loop: Header=BB2_3198 Depth=4
	s_and_not1_saveexec_b32 s14, s76
	s_cbranch_execz .LBB2_3896
; %bb.3891:                             ;   in Loop: Header=BB2_3198 Depth=4
	s_mov_b32 s76, exec_lo
                                        ; implicit-def: $vgpr57
	v_cmpx_ne_u64_e32 0, v[44:45]
	s_xor_b32 s76, exec_lo, s76
; %bb.3892:                             ;   in Loop: Header=BB2_3198 Depth=4
	v_or_b32_e32 v57, 0x7f, v30
                                        ; implicit-def: $vgpr46
; %bb.3893:                             ;   in Loop: Header=BB2_3198 Depth=4
	s_and_not1_saveexec_b32 s76, s76
; %bb.3894:                             ;   in Loop: Header=BB2_3198 Depth=4
	v_cmp_lt_i32_e32 vcc_lo, -1, v46
	v_cndmask_b32_e32 v57, 0xfc, v120, vcc_lo
; %bb.3895:                             ;   in Loop: Header=BB2_3198 Depth=4
	s_or_b32 exec_lo, exec_lo, s76
.LBB2_3896:                             ;   in Loop: Header=BB2_3198 Depth=4
	s_delay_alu instid0(SALU_CYCLE_1) | instskip(SKIP_2) | instid1(VALU_DEP_1)
	s_or_b32 exec_lo, exec_lo, s14
	v_dual_lshrrev_b32 v30, 16, v2 :: v_dual_mov_b32 v44, 0
	s_mov_b32 s14, exec_lo
	v_and_b32_e32 v45, 0xff, v30
	s_delay_alu instid0(VALU_DEP_1)
	v_cmpx_ne_u16_e32 0, v45
	s_cbranch_execz .LBB2_3906
; %bb.3897:                             ;   in Loop: Header=BB2_3198 Depth=4
	v_bfrev_b32_e32 v44, 1
	s_mov_b32 s76, exec_lo
	v_cmpx_ne_u16_e32 0x80, v45
	s_cbranch_execz .LBB2_3905
; %bb.3898:                             ;   in Loop: Header=BB2_3198 Depth=4
	v_and_b32_e32 v18, 0x7c0000, v2
	v_bfe_u32 v45, v2, 16, 2
	s_mov_b32 s77, exec_lo
                                        ; implicit-def: $vgpr44
	s_delay_alu instid0(VALU_DEP_2)
	v_cmpx_ne_u32_e32 0x7c0000, v18
	s_xor_b32 s77, exec_lo, s77
	s_cbranch_execz .LBB2_3902
; %bb.3899:                             ;   in Loop: Header=BB2_3198 Depth=4
	v_bfe_u32 v44, v2, 18, 5
	s_mov_b32 s78, exec_lo
	s_delay_alu instid0(VALU_DEP_1)
	v_cmpx_eq_u32_e32 0, v44
; %bb.3900:                             ;   in Loop: Header=BB2_3198 Depth=4
	v_clz_i32_u32_e32 v18, v45
	s_delay_alu instid0(VALU_DEP_1) | instskip(NEXT) | instid1(VALU_DEP_1)
	v_min_u32_e32 v44, 32, v18
	v_subrev_nc_u32_e32 v18, 29, v44
	s_delay_alu instid0(VALU_DEP_1) | instskip(NEXT) | instid1(VALU_DEP_1)
	v_lshlrev_b64_e32 v[18:19], v18, v[30:31]
	v_dual_sub_nc_u32 v44, 30, v44 :: v_dual_bitop2_b32 v45, 3, v18 bitop3:0x40
; %bb.3901:                             ;   in Loop: Header=BB2_3198 Depth=4
	s_or_b32 exec_lo, exec_lo, s78
	v_lshlrev_b32_e32 v18, 24, v30
                                        ; implicit-def: $vgpr30
	s_delay_alu instid0(VALU_DEP_1) | instskip(NEXT) | instid1(VALU_DEP_1)
	v_and_b32_e32 v18, 0x80000000, v18
	v_lshl_add_u32 v18, v44, 23, v18
	s_delay_alu instid0(VALU_DEP_1) | instskip(NEXT) | instid1(VALU_DEP_1)
	v_lshl_or_b32 v18, v45, 21, v18
                                        ; implicit-def: $vgpr45
	v_add_nc_u32_e32 v44, 0x38000000, v18
.LBB2_3902:                             ;   in Loop: Header=BB2_3198 Depth=4
	s_and_not1_saveexec_b32 s77, s77
; %bb.3903:                             ;   in Loop: Header=BB2_3198 Depth=4
	v_bfe_i32 v18, v30, 0, 8
	s_delay_alu instid0(VALU_DEP_1) | instskip(SKIP_2) | instid1(VALU_DEP_2)
	v_cmp_lt_i16_e32 vcc_lo, -1, v18
	v_cndmask_b32_e32 v18, 0xff800000, v111, vcc_lo
	v_cmp_eq_u32_e32 vcc_lo, 0, v45
	v_cndmask_b32_e32 v44, 0x7f800001, v18, vcc_lo
; %bb.3904:                             ;   in Loop: Header=BB2_3198 Depth=4
	s_or_b32 exec_lo, exec_lo, s77
.LBB2_3905:                             ;   in Loop: Header=BB2_3198 Depth=4
	s_delay_alu instid0(SALU_CYCLE_1)
	s_or_b32 exec_lo, exec_lo, s76
.LBB2_3906:                             ;   in Loop: Header=BB2_3198 Depth=4
	s_delay_alu instid0(SALU_CYCLE_1) | instskip(SKIP_3) | instid1(VALU_DEP_1)
	s_or_b32 exec_lo, exec_lo, s14
	v_lshrrev_b32_e32 v30, 16, v9
	s_mov_b32 s76, 0
	s_mov_b32 s14, exec_lo
	v_and_b32_e32 v46, 0xff, v30
	s_delay_alu instid0(VALU_DEP_1)
	v_cmpx_lt_i16_e32 0x7f, v46
	s_xor_b32 s14, exec_lo, s14
	s_cbranch_execz .LBB2_4247
; %bb.3907:                             ;   in Loop: Header=BB2_3198 Depth=4
	s_mov_b32 s76, -1
	s_mov_b32 s77, exec_lo
	v_cmpx_eq_u16_e32 0x80, v46
; %bb.3908:                             ;   in Loop: Header=BB2_3198 Depth=4
	s_xor_b32 s76, exec_lo, -1
; %bb.3909:                             ;   in Loop: Header=BB2_3198 Depth=4
	s_or_b32 exec_lo, exec_lo, s77
	s_delay_alu instid0(SALU_CYCLE_1)
	s_and_b32 s76, s76, exec_lo
                                        ; implicit-def: $vgpr46
	s_or_saveexec_b32 s14, s14
	v_bfrev_b32_e32 v45, 1
	s_xor_b32 exec_lo, exec_lo, s14
	s_cbranch_execnz .LBB2_4248
.LBB2_3910:                             ;   in Loop: Header=BB2_3198 Depth=4
	s_or_b32 exec_lo, exec_lo, s14
	s_and_saveexec_b32 s14, s76
	s_cbranch_execz .LBB2_3912
.LBB2_3911:                             ;   in Loop: Header=BB2_3198 Depth=4
	v_and_b32_e32 v45, 3, v30
	v_bfe_u32 v47, v9, 18, 5
	s_delay_alu instid0(VALU_DEP_2) | instskip(NEXT) | instid1(VALU_DEP_2)
	v_clz_i32_u32_e32 v18, v45
	v_cmp_eq_u32_e32 vcc_lo, 0, v47
	s_delay_alu instid0(VALU_DEP_2) | instskip(NEXT) | instid1(VALU_DEP_1)
	v_min_u32_e32 v46, 32, v18
	v_subrev_nc_u32_e32 v18, 29, v46
	v_sub_nc_u32_e32 v46, 30, v46
	s_delay_alu instid0(VALU_DEP_2) | instskip(SKIP_1) | instid1(VALU_DEP_3)
	v_lshlrev_b64_e32 v[18:19], v18, v[30:31]
	v_lshlrev_b32_e32 v19, 24, v30
	v_cndmask_b32_e32 v46, v47, v46, vcc_lo
	v_bfe_i32 v30, v30, 0, 8
	s_delay_alu instid0(VALU_DEP_3) | instskip(SKIP_1) | instid1(VALU_DEP_2)
	v_and_b32_e32 v19, 0x80000000, v19
	v_and_b32_e32 v18, 3, v18
	v_lshl_add_u32 v19, v46, 23, v19
	s_delay_alu instid0(VALU_DEP_2) | instskip(SKIP_1) | instid1(VALU_DEP_2)
	v_cndmask_b32_e32 v18, v45, v18, vcc_lo
	v_cmp_lt_i16_e32 vcc_lo, -1, v30
	v_lshl_or_b32 v18, v18, 21, v19
	v_cndmask_b32_e32 v30, 0xff800000, v111, vcc_lo
	v_and_b32_e32 v19, 0x7c0000, v9
	v_cmp_eq_u32_e32 vcc_lo, 0, v45
	s_delay_alu instid0(VALU_DEP_4) | instskip(NEXT) | instid1(VALU_DEP_4)
	v_add_nc_u32_e32 v18, 0x38000000, v18
	v_cndmask_b32_e32 v30, 0x7f800001, v30, vcc_lo
	s_delay_alu instid0(VALU_DEP_4) | instskip(NEXT) | instid1(VALU_DEP_2)
	v_cmp_eq_u32_e32 vcc_lo, 0x7c0000, v19
	v_cndmask_b32_e32 v45, v18, v30, vcc_lo
.LBB2_3912:                             ;   in Loop: Header=BB2_3198 Depth=4
	s_or_b32 exec_lo, exec_lo, s14
	s_delay_alu instid0(VALU_DEP_1) | instskip(SKIP_2) | instid1(VALU_DEP_2)
	v_dual_add_f32 v46, v44, v45 :: v_dual_mov_b32 v19, v3
	v_mov_b32_e32 v45, v3
                                        ; implicit-def: $vgpr90
	s_mov_b32 s14, exec_lo
	v_and_b32_e32 v18, 0x7f800000, v46
	v_and_b32_e32 v44, 0x7fffff, v46
	v_lshrrev_b32_e32 v30, 24, v46
	s_delay_alu instid0(VALU_DEP_3)
	v_cmpx_ne_u64_e32 0x7f800000, v[18:19]
	s_xor_b32 s76, exec_lo, s14
	s_cbranch_execz .LBB2_3926
; %bb.3913:                             ;   in Loop: Header=BB2_3198 Depth=4
	v_and_b32_e32 v18, 0x7fffffff, v46
	v_mov_b32_e32 v19, v3
	v_and_b32_e32 v30, 0x80, v30
                                        ; implicit-def: $vgpr90
	s_mov_b32 s14, exec_lo
	s_delay_alu instid0(VALU_DEP_2)
	v_cmpx_gt_u64_e32 0x47600001, v[18:19]
	s_xor_b32 s77, exec_lo, s14
	s_cbranch_execz .LBB2_3923
; %bb.3914:                             ;   in Loop: Header=BB2_3198 Depth=4
	v_mov_b32_e32 v90, 0
	s_mov_b32 s78, exec_lo
	v_cmpx_ne_u32_e32 0, v46
	s_cbranch_execz .LBB2_3922
; %bb.3915:                             ;   in Loop: Header=BB2_3198 Depth=4
	v_bfe_u32 v90, v46, 23, 8
	v_or_b32_e32 v46, 0x800000, v44
	s_delay_alu instid0(VALU_DEP_2) | instskip(SKIP_1) | instid1(VALU_DEP_2)
	v_sub_nc_u32_e32 v18, 0x71, v90
	v_cmp_gt_u32_e32 vcc_lo, 0x72, v90
	v_cndmask_b32_e32 v18, 0, v18, vcc_lo
	v_cmp_eq_u32_e32 vcc_lo, 0, v90
	s_delay_alu instid0(VALU_DEP_2) | instskip(NEXT) | instid1(VALU_DEP_1)
	v_cndmask_b32_e64 v91, v18, 0x70, vcc_lo
	v_dual_cndmask_b32 v44, v46, v44, vcc_lo :: v_dual_add_nc_u32 v18, 21, v91
	v_add_nc_u32_e32 v47, 20, v91
	s_delay_alu instid0(VALU_DEP_2) | instskip(NEXT) | instid1(VALU_DEP_2)
	v_lshlrev_b64_e64 v[18:19], v18, -1
	v_lshlrev_b64_e64 v[46:47], v47, 1
	s_delay_alu instid0(VALU_DEP_2) | instskip(SKIP_1) | instid1(VALU_DEP_4)
	v_bfi_b32 v18, v18, 0, v44
	v_lshrrev_b64 v[44:45], v91, v[44:45]
	v_bfi_b32 v19, v19, 0, 0
	s_delay_alu instid0(VALU_DEP_1) | instskip(NEXT) | instid1(VALU_DEP_3)
	v_cmp_eq_u64_e64 s14, v[18:19], v[46:47]
	v_mov_b64_e32 v[46:47], v[44:45]
	s_and_saveexec_b32 s79, s14
; %bb.3916:                             ;   in Loop: Header=BB2_3198 Depth=4
	v_bfe_u32 v18, v44, 21, 1
	v_mov_b32_e32 v19, v3
	s_delay_alu instid0(VALU_DEP_1) | instskip(NEXT) | instid1(VALU_DEP_1)
	v_add_nc_u64_e32 v[18:19], v[44:45], v[18:19]
	v_add_nc_u64_e32 v[46:47], -1, v[18:19]
; %bb.3917:                             ;   in Loop: Header=BB2_3198 Depth=4
	s_or_b32 exec_lo, exec_lo, s79
	v_dual_mov_b32 v45, v3 :: v_dual_add_nc_u32 v18, 0xffffff81, v90
	v_lshrrev_b32_e32 v19, 23, v44
	s_mov_b32 s14, exec_lo
	s_delay_alu instid0(VALU_DEP_2) | instskip(NEXT) | instid1(VALU_DEP_1)
	v_cndmask_b32_e64 v18, v18, 0xffffff82, vcc_lo
	v_add3_u32 v47, v91, v18, v19
	v_and_b32_e32 v18, 0x1fffff, v46
                                        ; implicit-def: $vgpr46
	s_delay_alu instid0(VALU_DEP_1) | instskip(NEXT) | instid1(VALU_DEP_1)
	v_dual_add_nc_u32 v90, 14, v47 :: v_dual_add_nc_u32 v44, v18, v44
	v_cmpx_ne_u32_e32 0, v90
	s_xor_b32 s14, exec_lo, s14
; %bb.3918:                             ;   in Loop: Header=BB2_3198 Depth=4
	s_delay_alu instid0(VALU_DEP_2) | instskip(SKIP_1) | instid1(VALU_DEP_1)
	v_cmp_lt_u64_e32 vcc_lo, 0xffffff, v[44:45]
	v_add_nc_u32_e32 v18, 15, v47
	v_cndmask_b32_e32 v46, v90, v18, vcc_lo
	v_cndmask_b32_e64 v18, 0, 1, vcc_lo
	s_delay_alu instid0(VALU_DEP_1)
	v_lshrrev_b64 v[44:45], v18, v[44:45]
; %bb.3919:                             ;   in Loop: Header=BB2_3198 Depth=4
	s_and_not1_saveexec_b32 s14, s14
; %bb.3920:                             ;   in Loop: Header=BB2_3198 Depth=4
	s_delay_alu instid0(VALU_DEP_1)
	v_bfe_u32 v46, v44, 23, 1
; %bb.3921:                             ;   in Loop: Header=BB2_3198 Depth=4
	s_or_b32 exec_lo, exec_lo, s14
	s_delay_alu instid0(VALU_DEP_2) | instskip(NEXT) | instid1(VALU_DEP_2)
	v_lshrrev_b64 v[18:19], 21, v[44:45]
	v_cmp_gt_i32_e32 vcc_lo, 32, v46
	v_min_i32_e32 v44, 31, v46
	v_cmp_eq_u32_e64 s14, 0, v46
	s_delay_alu instid0(VALU_DEP_2) | instskip(SKIP_1) | instid1(VALU_DEP_2)
	v_dual_cndmask_b32 v19, 0, v19 :: v_dual_lshlrev_b32 v44, 2, v44
	v_cndmask_b32_e32 v18, 3, v18, vcc_lo
	v_and_b32_e32 v44, 0xfc, v44
	s_delay_alu instid0(VALU_DEP_2) | instskip(NEXT) | instid1(VALU_DEP_2)
	v_cmp_eq_u64_e32 vcc_lo, 0, v[18:19]
	v_and_or_b32 v18, v18, 3, v44
	s_and_b32 s14, s14, vcc_lo
	s_delay_alu instid0(VALU_DEP_1) | instid1(SALU_CYCLE_1)
	v_cndmask_b32_e64 v18, v18, 0, s14
	s_delay_alu instid0(VALU_DEP_1)
	v_or_b32_e32 v90, v18, v30
.LBB2_3922:                             ;   in Loop: Header=BB2_3198 Depth=4
	s_or_b32 exec_lo, exec_lo, s78
                                        ; implicit-def: $vgpr30
.LBB2_3923:                             ;   in Loop: Header=BB2_3198 Depth=4
	s_and_not1_saveexec_b32 s14, s77
; %bb.3924:                             ;   in Loop: Header=BB2_3198 Depth=4
	v_or_b32_e32 v90, 0x7b, v30
; %bb.3925:                             ;   in Loop: Header=BB2_3198 Depth=4
	s_or_b32 exec_lo, exec_lo, s14
                                        ; implicit-def: $vgpr46
                                        ; implicit-def: $vgpr44_vgpr45
                                        ; implicit-def: $vgpr30
.LBB2_3926:                             ;   in Loop: Header=BB2_3198 Depth=4
	s_and_not1_saveexec_b32 s14, s76
	s_cbranch_execz .LBB2_3932
; %bb.3927:                             ;   in Loop: Header=BB2_3198 Depth=4
	s_mov_b32 s76, exec_lo
                                        ; implicit-def: $vgpr90
	v_cmpx_ne_u64_e32 0, v[44:45]
	s_xor_b32 s76, exec_lo, s76
; %bb.3928:                             ;   in Loop: Header=BB2_3198 Depth=4
	v_or_b32_e32 v90, 0x7f, v30
                                        ; implicit-def: $vgpr46
; %bb.3929:                             ;   in Loop: Header=BB2_3198 Depth=4
	s_and_not1_saveexec_b32 s76, s76
; %bb.3930:                             ;   in Loop: Header=BB2_3198 Depth=4
	v_cmp_lt_i32_e32 vcc_lo, -1, v46
	v_cndmask_b32_e32 v90, 0xfc, v120, vcc_lo
; %bb.3931:                             ;   in Loop: Header=BB2_3198 Depth=4
	s_or_b32 exec_lo, exec_lo, s76
.LBB2_3932:                             ;   in Loop: Header=BB2_3198 Depth=4
	s_delay_alu instid0(SALU_CYCLE_1)
	s_or_b32 exec_lo, exec_lo, s14
	v_mov_b32_e32 v44, 0
	s_mov_b32 s14, exec_lo
	v_cmpx_lt_u32_e32 0xffffff, v2
	s_cbranch_execz .LBB2_3942
; %bb.3933:                             ;   in Loop: Header=BB2_3198 Depth=4
	v_lshrrev_b32_e32 v30, 24, v2
	v_bfrev_b32_e32 v44, 1
	s_mov_b32 s76, exec_lo
	s_delay_alu instid0(VALU_DEP_2)
	v_cmpx_ne_u32_e32 0x80, v30
	s_cbranch_execz .LBB2_3941
; %bb.3934:                             ;   in Loop: Header=BB2_3198 Depth=4
	v_and_b32_e32 v18, 0x7c000000, v2
	v_bfe_u32 v45, v2, 24, 2
	s_mov_b32 s77, exec_lo
                                        ; implicit-def: $vgpr44
	s_delay_alu instid0(VALU_DEP_2)
	v_cmpx_ne_u32_e32 0x7c000000, v18
	s_xor_b32 s77, exec_lo, s77
	s_cbranch_execz .LBB2_3938
; %bb.3935:                             ;   in Loop: Header=BB2_3198 Depth=4
	v_bfe_u32 v44, v2, 26, 5
	s_mov_b32 s78, exec_lo
	s_delay_alu instid0(VALU_DEP_1)
	v_cmpx_eq_u32_e32 0, v44
; %bb.3936:                             ;   in Loop: Header=BB2_3198 Depth=4
	v_clz_i32_u32_e32 v18, v45
	s_delay_alu instid0(VALU_DEP_1) | instskip(NEXT) | instid1(VALU_DEP_1)
	v_min_u32_e32 v44, 32, v18
	v_subrev_nc_u32_e32 v18, 29, v44
	s_delay_alu instid0(VALU_DEP_1) | instskip(NEXT) | instid1(VALU_DEP_1)
	v_lshlrev_b64_e32 v[18:19], v18, v[30:31]
	v_dual_sub_nc_u32 v44, 30, v44 :: v_dual_bitop2_b32 v45, 3, v18 bitop3:0x40
; %bb.3937:                             ;   in Loop: Header=BB2_3198 Depth=4
	s_or_b32 exec_lo, exec_lo, s78
	v_and_b32_e32 v2, 0x80000000, v2
	s_delay_alu instid0(VALU_DEP_1) | instskip(NEXT) | instid1(VALU_DEP_1)
	v_lshl_add_u32 v2, v44, 23, v2
	v_lshl_or_b32 v2, v45, 21, v2
                                        ; implicit-def: $vgpr45
	s_delay_alu instid0(VALU_DEP_1)
	v_add_nc_u32_e32 v44, 0x38000000, v2
.LBB2_3938:                             ;   in Loop: Header=BB2_3198 Depth=4
	s_and_not1_saveexec_b32 s77, s77
; %bb.3939:                             ;   in Loop: Header=BB2_3198 Depth=4
	v_cmp_lt_i32_e32 vcc_lo, -1, v2
	v_cndmask_b32_e32 v2, 0xff800000, v111, vcc_lo
	v_cmp_eq_u32_e32 vcc_lo, 0, v45
	s_delay_alu instid0(VALU_DEP_2)
	v_cndmask_b32_e32 v44, 0x7f800001, v2, vcc_lo
; %bb.3940:                             ;   in Loop: Header=BB2_3198 Depth=4
	s_or_b32 exec_lo, exec_lo, s77
.LBB2_3941:                             ;   in Loop: Header=BB2_3198 Depth=4
	s_delay_alu instid0(SALU_CYCLE_1)
	s_or_b32 exec_lo, exec_lo, s76
.LBB2_3942:                             ;   in Loop: Header=BB2_3198 Depth=4
	s_delay_alu instid0(SALU_CYCLE_1) | instskip(SKIP_3) | instid1(VALU_DEP_2)
	s_or_b32 exec_lo, exec_lo, s14
	v_bfe_u32 v30, v9, 24, 2
	v_bfe_u32 v46, v9, 26, 5
	s_mov_b32 s14, exec_lo
	v_clz_i32_u32_e32 v2, v30
	s_delay_alu instid0(VALU_DEP_2) | instskip(NEXT) | instid1(VALU_DEP_2)
	v_cmp_eq_u32_e32 vcc_lo, 0, v46
	v_min_u32_e32 v45, 32, v2
	v_lshrrev_b32_e32 v2, 24, v9
	s_delay_alu instid0(VALU_DEP_2) | instskip(NEXT) | instid1(VALU_DEP_1)
	v_subrev_nc_u32_e32 v18, 29, v45
	v_lshlrev_b64_e32 v[18:19], v18, v[2:3]
	v_sub_nc_u32_e32 v19, 30, v45
	v_and_b32_e32 v45, 0x80000000, v9
	s_delay_alu instid0(VALU_DEP_2) | instskip(NEXT) | instid1(VALU_DEP_1)
	v_dual_cndmask_b32 v19, v46, v19, vcc_lo :: v_dual_bitop2_b32 v18, 3, v18 bitop3:0x40
	v_cndmask_b32_e32 v18, v30, v18, vcc_lo
	v_cmp_lt_i64_e32 vcc_lo, -1, v[8:9]
	s_delay_alu instid0(VALU_DEP_3) | instskip(NEXT) | instid1(VALU_DEP_1)
	v_lshl_add_u32 v19, v19, 23, v45
	v_lshl_or_b32 v18, v18, 21, v19
	v_cndmask_b32_e32 v45, 0xff800000, v111, vcc_lo
	v_and_b32_e32 v19, 0x7c000000, v9
	v_cmp_eq_u32_e32 vcc_lo, 0, v30
	s_delay_alu instid0(VALU_DEP_4) | instskip(NEXT) | instid1(VALU_DEP_4)
	v_add_nc_u32_e32 v18, 0x38000000, v18
	v_cndmask_b32_e32 v30, 0x7f800001, v45, vcc_lo
	s_delay_alu instid0(VALU_DEP_4) | instskip(NEXT) | instid1(VALU_DEP_2)
	v_cmp_eq_u32_e32 vcc_lo, 0x7c000000, v19
	v_dual_mov_b32 v19, v3 :: v_dual_cndmask_b32 v18, v18, v30
	v_cmp_ne_u32_e32 vcc_lo, 0x80, v2
                                        ; implicit-def: $vgpr30
	s_delay_alu instid0(VALU_DEP_2) | instskip(SKIP_1) | instid1(VALU_DEP_2)
	v_cndmask_b32_e32 v2, 0x80000000, v18, vcc_lo
	v_cmp_lt_u64_e32 vcc_lo, s[22:23], v[8:9]
	v_cndmask_b32_e32 v2, 0, v2, vcc_lo
	s_delay_alu instid0(VALU_DEP_1) | instskip(NEXT) | instid1(VALU_DEP_1)
	v_add_f32_e32 v8, v2, v44
	v_and_b32_e32 v18, 0x7f800000, v8
	v_and_b32_e32 v2, 0x7fffff, v8
	v_lshrrev_b32_e32 v9, 24, v8
	s_delay_alu instid0(VALU_DEP_3)
	v_cmpx_ne_u64_e32 0x7f800000, v[18:19]
	s_xor_b32 s76, exec_lo, s14
	s_cbranch_execz .LBB2_3956
; %bb.3943:                             ;   in Loop: Header=BB2_3198 Depth=4
	v_and_b32_e32 v18, 0x7fffffff, v8
	v_mov_b32_e32 v19, v3
	v_and_b32_e32 v46, 0x80, v9
                                        ; implicit-def: $vgpr30
	s_mov_b32 s14, exec_lo
	s_delay_alu instid0(VALU_DEP_2)
	v_cmpx_gt_u64_e32 0x47600001, v[18:19]
	s_xor_b32 s77, exec_lo, s14
	s_cbranch_execz .LBB2_3953
; %bb.3944:                             ;   in Loop: Header=BB2_3198 Depth=4
	v_mov_b32_e32 v30, 0
	s_mov_b32 s78, exec_lo
	v_cmpx_ne_u32_e32 0, v8
	s_cbranch_execz .LBB2_3952
; %bb.3945:                             ;   in Loop: Header=BB2_3198 Depth=4
	v_bfe_u32 v30, v8, 23, 8
	v_or_b32_e32 v18, 0x800000, v2
	s_delay_alu instid0(VALU_DEP_2) | instskip(SKIP_1) | instid1(VALU_DEP_2)
	v_sub_nc_u32_e32 v8, 0x71, v30
	v_cmp_gt_u32_e32 vcc_lo, 0x72, v30
	v_cndmask_b32_e32 v8, 0, v8, vcc_lo
	v_cmp_eq_u32_e32 vcc_lo, 0, v30
	s_delay_alu instid0(VALU_DEP_2) | instskip(NEXT) | instid1(VALU_DEP_1)
	v_cndmask_b32_e64 v47, v8, 0x70, vcc_lo
	v_dual_cndmask_b32 v2, v18, v2, vcc_lo :: v_dual_add_nc_u32 v8, 21, v47
	v_add_nc_u32_e32 v19, 20, v47
	s_delay_alu instid0(VALU_DEP_2) | instskip(NEXT) | instid1(VALU_DEP_2)
	v_lshlrev_b64_e64 v[8:9], v8, -1
	v_lshlrev_b64_e64 v[18:19], v19, 1
	s_delay_alu instid0(VALU_DEP_2) | instskip(NEXT) | instid1(VALU_DEP_3)
	v_bfi_b32 v45, v9, 0, 0
	v_bfi_b32 v44, v8, 0, v2
	v_lshrrev_b64 v[8:9], v47, v[2:3]
	s_delay_alu instid0(VALU_DEP_2) | instskip(NEXT) | instid1(VALU_DEP_2)
	v_cmp_eq_u64_e64 s14, v[44:45], v[18:19]
	v_mov_b64_e32 v[44:45], v[8:9]
	s_and_saveexec_b32 s79, s14
; %bb.3946:                             ;   in Loop: Header=BB2_3198 Depth=4
	v_bfe_u32 v2, v8, 21, 1
	s_delay_alu instid0(VALU_DEP_1) | instskip(NEXT) | instid1(VALU_DEP_1)
	v_add_nc_u64_e32 v[18:19], v[8:9], v[2:3]
	v_add_nc_u64_e32 v[44:45], -1, v[18:19]
; %bb.3947:                             ;   in Loop: Header=BB2_3198 Depth=4
	s_or_b32 exec_lo, exec_lo, s79
	v_add_nc_u32_e32 v2, 0xffffff81, v30
	v_lshrrev_b32_e32 v9, 23, v8
	s_mov_b32 s14, exec_lo
                                        ; implicit-def: $vgpr30
	s_delay_alu instid0(VALU_DEP_2) | instskip(NEXT) | instid1(VALU_DEP_1)
	v_cndmask_b32_e64 v2, v2, 0xffffff82, vcc_lo
	v_add3_u32 v45, v47, v2, v9
	v_and_b32_e32 v2, 0x1fffff, v44
	s_delay_alu instid0(VALU_DEP_1) | instskip(NEXT) | instid1(VALU_DEP_1)
	v_dual_add_nc_u32 v44, 14, v45 :: v_dual_add_nc_u32 v2, v2, v8
                                        ; implicit-def: $vgpr8_vgpr9
	v_cmpx_ne_u32_e32 0, v44
	s_xor_b32 s14, exec_lo, s14
; %bb.3948:                             ;   in Loop: Header=BB2_3198 Depth=4
	s_delay_alu instid0(VALU_DEP_2) | instskip(SKIP_1) | instid1(VALU_DEP_1)
	v_cmp_lt_u64_e32 vcc_lo, 0xffffff, v[2:3]
	v_add_nc_u32_e32 v8, 15, v45
	v_cndmask_b32_e32 v30, v44, v8, vcc_lo
	v_cndmask_b32_e64 v8, 0, 1, vcc_lo
	s_delay_alu instid0(VALU_DEP_1)
	v_lshrrev_b64 v[8:9], v8, v[2:3]
; %bb.3949:                             ;   in Loop: Header=BB2_3198 Depth=4
	s_and_not1_saveexec_b32 s14, s14
; %bb.3950:                             ;   in Loop: Header=BB2_3198 Depth=4
	v_mov_b64_e32 v[8:9], v[2:3]
	v_bfe_u32 v30, v2, 23, 1
; %bb.3951:                             ;   in Loop: Header=BB2_3198 Depth=4
	s_or_b32 exec_lo, exec_lo, s14
	s_delay_alu instid0(VALU_DEP_2) | instskip(NEXT) | instid1(VALU_DEP_2)
	v_lshrrev_b64 v[8:9], 21, v[8:9]
	v_cmp_gt_i32_e32 vcc_lo, 32, v30
	v_min_i32_e32 v2, 31, v30
	v_cmp_eq_u32_e64 s14, 0, v30
	s_delay_alu instid0(VALU_DEP_2) | instskip(SKIP_1) | instid1(VALU_DEP_2)
	v_dual_cndmask_b32 v9, 0, v9 :: v_dual_lshlrev_b32 v2, 2, v2
	v_cndmask_b32_e32 v8, 3, v8, vcc_lo
	v_and_b32_e32 v2, 0xfc, v2
	s_delay_alu instid0(VALU_DEP_2) | instskip(NEXT) | instid1(VALU_DEP_2)
	v_cmp_eq_u64_e32 vcc_lo, 0, v[8:9]
	v_and_or_b32 v2, v8, 3, v2
	s_and_b32 s14, s14, vcc_lo
	s_delay_alu instid0(VALU_DEP_1) | instid1(SALU_CYCLE_1)
	v_cndmask_b32_e64 v2, v2, 0, s14
	s_delay_alu instid0(VALU_DEP_1)
	v_or_b32_e32 v30, v2, v46
.LBB2_3952:                             ;   in Loop: Header=BB2_3198 Depth=4
	s_or_b32 exec_lo, exec_lo, s78
                                        ; implicit-def: $vgpr46
.LBB2_3953:                             ;   in Loop: Header=BB2_3198 Depth=4
	s_and_not1_saveexec_b32 s14, s77
; %bb.3954:                             ;   in Loop: Header=BB2_3198 Depth=4
	v_or_b32_e32 v30, 0x7b, v46
; %bb.3955:                             ;   in Loop: Header=BB2_3198 Depth=4
	s_or_b32 exec_lo, exec_lo, s14
                                        ; implicit-def: $vgpr8
                                        ; implicit-def: $vgpr9
.LBB2_3956:                             ;   in Loop: Header=BB2_3198 Depth=4
	s_and_not1_saveexec_b32 s14, s76
	s_cbranch_execz .LBB2_3962
; %bb.3957:                             ;   in Loop: Header=BB2_3198 Depth=4
	s_mov_b32 s76, exec_lo
                                        ; implicit-def: $vgpr30
	v_cmpx_ne_u64_e32 0, v[2:3]
	s_xor_b32 s76, exec_lo, s76
; %bb.3958:                             ;   in Loop: Header=BB2_3198 Depth=4
	v_or_b32_e32 v30, 0x7f, v9
                                        ; implicit-def: $vgpr8
; %bb.3959:                             ;   in Loop: Header=BB2_3198 Depth=4
	s_and_not1_saveexec_b32 s76, s76
; %bb.3960:                             ;   in Loop: Header=BB2_3198 Depth=4
	v_cmp_lt_i32_e32 vcc_lo, -1, v8
	v_cndmask_b32_e32 v30, 0xfc, v120, vcc_lo
; %bb.3961:                             ;   in Loop: Header=BB2_3198 Depth=4
	s_or_b32 exec_lo, exec_lo, s76
.LBB2_3962:                             ;   in Loop: Header=BB2_3198 Depth=4
	s_delay_alu instid0(SALU_CYCLE_1) | instskip(SKIP_3) | instid1(VALU_DEP_1)
	s_or_b32 exec_lo, exec_lo, s14
	v_lshl_or_b32 v46, v77, 8, v73
	v_dual_lshlrev_b32 v2, 16, v88 :: v_dual_lshlrev_b32 v8, 24, v89
	s_mov_b32 s14, exec_lo
	v_or3_b32 v2, v2, v8, v46
	v_mov_b32_e32 v8, 0
	v_cmpx_ne_u32_e32 0, v73
	s_cbranch_execz .LBB2_3972
; %bb.3963:                             ;   in Loop: Header=BB2_3198 Depth=4
	v_bfrev_b32_e32 v8, 1
	s_mov_b32 s76, exec_lo
	v_cmpx_ne_u32_e32 0x80, v73
	s_cbranch_execz .LBB2_3971
; %bb.3964:                             ;   in Loop: Header=BB2_3198 Depth=4
	v_and_b32_e32 v8, 0x7c, v73
	v_and_b32_e32 v9, 3, v73
	s_delay_alu instid0(VALU_DEP_2) | instskip(SKIP_1) | instid1(SALU_CYCLE_1)
	v_cmp_ne_u32_e32 vcc_lo, 0x7c, v8
                                        ; implicit-def: $vgpr8
	s_and_saveexec_b32 s77, vcc_lo
	s_xor_b32 s77, exec_lo, s77
	s_cbranch_execz .LBB2_3968
; %bb.3965:                             ;   in Loop: Header=BB2_3198 Depth=4
	v_bfe_u32 v8, v73, 2, 5
	s_mov_b32 s78, exec_lo
	s_delay_alu instid0(VALU_DEP_1)
	v_cmpx_eq_u32_e32 0, v8
; %bb.3966:                             ;   in Loop: Header=BB2_3198 Depth=4
	v_clz_i32_u32_e32 v8, v9
	s_delay_alu instid0(VALU_DEP_1) | instskip(NEXT) | instid1(VALU_DEP_1)
	v_min_u32_e32 v8, 32, v8
	v_subrev_nc_u32_e32 v9, 29, v8
	s_delay_alu instid0(VALU_DEP_1) | instskip(NEXT) | instid1(VALU_DEP_1)
	v_lshlrev_b64_e32 v[18:19], v9, v[2:3]
	v_dual_sub_nc_u32 v8, 30, v8 :: v_dual_bitop2_b32 v9, 3, v18 bitop3:0x40
; %bb.3967:                             ;   in Loop: Header=BB2_3198 Depth=4
	s_or_b32 exec_lo, exec_lo, s78
	v_lshlrev_b32_e32 v18, 24, v73
                                        ; implicit-def: $vgpr73
	s_delay_alu instid0(VALU_DEP_1) | instskip(NEXT) | instid1(VALU_DEP_1)
	v_and_b32_e32 v18, 0x80000000, v18
	v_lshl_add_u32 v8, v8, 23, v18
	s_delay_alu instid0(VALU_DEP_1) | instskip(NEXT) | instid1(VALU_DEP_1)
	v_lshl_or_b32 v8, v9, 21, v8
                                        ; implicit-def: $vgpr9
	v_add_nc_u32_e32 v8, 0x38000000, v8
.LBB2_3968:                             ;   in Loop: Header=BB2_3198 Depth=4
	s_and_not1_saveexec_b32 s77, s77
; %bb.3969:                             ;   in Loop: Header=BB2_3198 Depth=4
	v_and_b32_e32 v8, 0x80, v73
	s_delay_alu instid0(VALU_DEP_1) | instskip(SKIP_2) | instid1(VALU_DEP_2)
	v_cmp_eq_u32_e32 vcc_lo, 0, v8
	v_cndmask_b32_e32 v8, 0xff800000, v111, vcc_lo
	v_cmp_eq_u32_e32 vcc_lo, 0, v9
	v_cndmask_b32_e32 v8, 0x7f800001, v8, vcc_lo
; %bb.3970:                             ;   in Loop: Header=BB2_3198 Depth=4
	s_or_b32 exec_lo, exec_lo, s77
.LBB2_3971:                             ;   in Loop: Header=BB2_3198 Depth=4
	s_delay_alu instid0(SALU_CYCLE_1)
	s_or_b32 exec_lo, exec_lo, s76
.LBB2_3972:                             ;   in Loop: Header=BB2_3198 Depth=4
	s_delay_alu instid0(SALU_CYCLE_1) | instskip(SKIP_3) | instid1(VALU_DEP_1)
	s_or_b32 exec_lo, exec_lo, s14
	v_and_b32_e32 v44, 0xff, v10
	s_mov_b32 s76, 0
	s_mov_b32 s14, exec_lo
	v_cmpx_lt_i16_e32 0x7f, v44
	s_xor_b32 s14, exec_lo, s14
	s_cbranch_execz .LBB2_4249
; %bb.3973:                             ;   in Loop: Header=BB2_3198 Depth=4
	s_mov_b32 s76, -1
	s_mov_b32 s77, exec_lo
	v_cmpx_eq_u16_e32 0x80, v44
; %bb.3974:                             ;   in Loop: Header=BB2_3198 Depth=4
	s_xor_b32 s76, exec_lo, -1
; %bb.3975:                             ;   in Loop: Header=BB2_3198 Depth=4
	s_or_b32 exec_lo, exec_lo, s77
	s_delay_alu instid0(SALU_CYCLE_1)
	s_and_b32 s76, s76, exec_lo
                                        ; implicit-def: $vgpr44
	s_or_saveexec_b32 s14, s14
	v_bfrev_b32_e32 v9, 1
	s_xor_b32 exec_lo, exec_lo, s14
	s_cbranch_execnz .LBB2_4250
.LBB2_3976:                             ;   in Loop: Header=BB2_3198 Depth=4
	s_or_b32 exec_lo, exec_lo, s14
	s_and_saveexec_b32 s14, s76
	s_cbranch_execz .LBB2_3978
.LBB2_3977:                             ;   in Loop: Header=BB2_3198 Depth=4
	v_and_b32_e32 v9, 3, v10
	v_bfe_u32 v45, v10, 2, 5
	s_delay_alu instid0(VALU_DEP_2) | instskip(NEXT) | instid1(VALU_DEP_2)
	v_clz_i32_u32_e32 v18, v9
	v_cmp_eq_u32_e32 vcc_lo, 0, v45
	s_delay_alu instid0(VALU_DEP_2) | instskip(NEXT) | instid1(VALU_DEP_1)
	v_min_u32_e32 v44, 32, v18
	v_subrev_nc_u32_e32 v18, 29, v44
	s_delay_alu instid0(VALU_DEP_1) | instskip(SKIP_1) | instid1(VALU_DEP_1)
	v_lshlrev_b64_e32 v[18:19], v18, v[10:11]
	v_dual_lshlrev_b32 v19, 24, v10 :: v_dual_sub_nc_u32 v44, 30, v44
	v_and_b32_e32 v19, 0x80000000, v19
	s_delay_alu instid0(VALU_DEP_2) | instskip(SKIP_1) | instid1(VALU_DEP_2)
	v_dual_cndmask_b32 v44, v45, v44, vcc_lo :: v_dual_bitop2_b32 v18, 3, v18 bitop3:0x40
	v_bfe_i32 v45, v10, 0, 8
	v_cndmask_b32_e32 v18, v9, v18, vcc_lo
	s_delay_alu instid0(VALU_DEP_3) | instskip(NEXT) | instid1(VALU_DEP_3)
	v_lshl_add_u32 v19, v44, 23, v19
	v_cmp_lt_i16_e32 vcc_lo, -1, v45
	s_delay_alu instid0(VALU_DEP_2) | instskip(SKIP_3) | instid1(VALU_DEP_4)
	v_lshl_or_b32 v18, v18, 21, v19
	v_cndmask_b32_e32 v44, 0xff800000, v111, vcc_lo
	v_and_b32_e32 v19, 0x7c, v10
	v_cmp_eq_u32_e32 vcc_lo, 0, v9
	v_add_nc_u32_e32 v18, 0x38000000, v18
	s_delay_alu instid0(VALU_DEP_4) | instskip(NEXT) | instid1(VALU_DEP_4)
	v_cndmask_b32_e32 v9, 0x7f800001, v44, vcc_lo
	v_cmp_eq_u32_e32 vcc_lo, 0x7c, v19
	s_delay_alu instid0(VALU_DEP_2)
	v_cndmask_b32_e32 v9, v18, v9, vcc_lo
.LBB2_3978:                             ;   in Loop: Header=BB2_3198 Depth=4
	s_or_b32 exec_lo, exec_lo, s14
	s_delay_alu instid0(VALU_DEP_1) | instskip(SKIP_2) | instid1(VALU_DEP_2)
	v_dual_add_f32 v44, v8, v9 :: v_dual_mov_b32 v19, v3
	v_mov_b32_e32 v9, v3
                                        ; implicit-def: $vgpr73
	s_mov_b32 s14, exec_lo
	v_and_b32_e32 v18, 0x7f800000, v44
	v_and_b32_e32 v8, 0x7fffff, v44
	v_lshrrev_b32_e32 v45, 24, v44
	s_delay_alu instid0(VALU_DEP_3)
	v_cmpx_ne_u64_e32 0x7f800000, v[18:19]
	s_xor_b32 s76, exec_lo, s14
	s_cbranch_execz .LBB2_3992
; %bb.3979:                             ;   in Loop: Header=BB2_3198 Depth=4
	v_and_b32_e32 v18, 0x7fffffff, v44
	v_mov_b32_e32 v19, v3
	v_and_b32_e32 v47, 0x80, v45
                                        ; implicit-def: $vgpr73
	s_mov_b32 s14, exec_lo
	s_delay_alu instid0(VALU_DEP_2)
	v_cmpx_gt_u64_e32 0x47600001, v[18:19]
	s_xor_b32 s77, exec_lo, s14
	s_cbranch_execz .LBB2_3989
; %bb.3980:                             ;   in Loop: Header=BB2_3198 Depth=4
	v_mov_b32_e32 v73, 0
	s_mov_b32 s78, exec_lo
	v_cmpx_ne_u32_e32 0, v44
	s_cbranch_execz .LBB2_3988
; %bb.3981:                             ;   in Loop: Header=BB2_3198 Depth=4
	v_bfe_u32 v73, v44, 23, 8
	v_or_b32_e32 v44, 0x800000, v8
	s_delay_alu instid0(VALU_DEP_2) | instskip(SKIP_1) | instid1(VALU_DEP_2)
	v_sub_nc_u32_e32 v18, 0x71, v73
	v_cmp_gt_u32_e32 vcc_lo, 0x72, v73
	v_cndmask_b32_e32 v18, 0, v18, vcc_lo
	v_cmp_eq_u32_e32 vcc_lo, 0, v73
	s_delay_alu instid0(VALU_DEP_2) | instskip(NEXT) | instid1(VALU_DEP_1)
	v_cndmask_b32_e64 v77, v18, 0x70, vcc_lo
	v_dual_cndmask_b32 v8, v44, v8, vcc_lo :: v_dual_add_nc_u32 v18, 21, v77
	v_add_nc_u32_e32 v45, 20, v77
	s_delay_alu instid0(VALU_DEP_2) | instskip(NEXT) | instid1(VALU_DEP_2)
	v_lshlrev_b64_e64 v[18:19], v18, -1
	v_lshlrev_b64_e64 v[44:45], v45, 1
	s_delay_alu instid0(VALU_DEP_2) | instskip(SKIP_1) | instid1(VALU_DEP_4)
	v_bfi_b32 v18, v18, 0, v8
	v_lshrrev_b64 v[8:9], v77, v[8:9]
	v_bfi_b32 v19, v19, 0, 0
	s_delay_alu instid0(VALU_DEP_1) | instskip(NEXT) | instid1(VALU_DEP_3)
	v_cmp_eq_u64_e64 s14, v[18:19], v[44:45]
	v_mov_b64_e32 v[44:45], v[8:9]
	s_and_saveexec_b32 s79, s14
; %bb.3982:                             ;   in Loop: Header=BB2_3198 Depth=4
	v_bfe_u32 v18, v8, 21, 1
	v_mov_b32_e32 v19, v3
	s_delay_alu instid0(VALU_DEP_1) | instskip(NEXT) | instid1(VALU_DEP_1)
	v_add_nc_u64_e32 v[18:19], v[8:9], v[18:19]
	v_add_nc_u64_e32 v[44:45], -1, v[18:19]
; %bb.3983:                             ;   in Loop: Header=BB2_3198 Depth=4
	s_or_b32 exec_lo, exec_lo, s79
	v_add_nc_u32_e32 v9, 0xffffff81, v73
	v_lshrrev_b32_e32 v18, 23, v8
	s_mov_b32 s14, exec_lo
	s_delay_alu instid0(VALU_DEP_2) | instskip(NEXT) | instid1(VALU_DEP_1)
	v_cndmask_b32_e64 v9, v9, 0xffffff82, vcc_lo
	v_add3_u32 v45, v77, v9, v18
	v_and_b32_e32 v9, 0x1fffff, v44
                                        ; implicit-def: $vgpr44
	s_delay_alu instid0(VALU_DEP_1) | instskip(SKIP_1) | instid1(VALU_DEP_2)
	v_dual_add_nc_u32 v73, 14, v45 :: v_dual_add_nc_u32 v8, v9, v8
	v_mov_b32_e32 v9, v3
	v_cmpx_ne_u32_e32 0, v73
	s_xor_b32 s14, exec_lo, s14
; %bb.3984:                             ;   in Loop: Header=BB2_3198 Depth=4
	s_delay_alu instid0(VALU_DEP_2) | instskip(SKIP_1) | instid1(VALU_DEP_1)
	v_cmp_lt_u64_e32 vcc_lo, 0xffffff, v[8:9]
	v_add_nc_u32_e32 v18, 15, v45
	v_cndmask_b32_e32 v44, v73, v18, vcc_lo
	v_cndmask_b32_e64 v18, 0, 1, vcc_lo
	s_delay_alu instid0(VALU_DEP_1)
	v_lshrrev_b64 v[8:9], v18, v[8:9]
; %bb.3985:                             ;   in Loop: Header=BB2_3198 Depth=4
	s_and_not1_saveexec_b32 s14, s14
; %bb.3986:                             ;   in Loop: Header=BB2_3198 Depth=4
	s_delay_alu instid0(VALU_DEP_1)
	v_bfe_u32 v44, v8, 23, 1
; %bb.3987:                             ;   in Loop: Header=BB2_3198 Depth=4
	s_or_b32 exec_lo, exec_lo, s14
	s_delay_alu instid0(VALU_DEP_2) | instskip(NEXT) | instid1(VALU_DEP_2)
	v_lshrrev_b64 v[8:9], 21, v[8:9]
	v_cmp_gt_i32_e32 vcc_lo, 32, v44
	v_min_i32_e32 v18, 31, v44
	v_cmp_eq_u32_e64 s14, 0, v44
	s_delay_alu instid0(VALU_DEP_2) | instskip(SKIP_1) | instid1(VALU_DEP_2)
	v_dual_cndmask_b32 v9, 0, v9 :: v_dual_lshlrev_b32 v18, 2, v18
	v_cndmask_b32_e32 v8, 3, v8, vcc_lo
	v_and_b32_e32 v18, 0xfc, v18
	s_delay_alu instid0(VALU_DEP_2) | instskip(NEXT) | instid1(VALU_DEP_2)
	v_cmp_eq_u64_e32 vcc_lo, 0, v[8:9]
	v_and_or_b32 v8, v8, 3, v18
	s_and_b32 s14, s14, vcc_lo
	s_delay_alu instid0(VALU_DEP_1) | instid1(SALU_CYCLE_1)
	v_cndmask_b32_e64 v8, v8, 0, s14
	s_delay_alu instid0(VALU_DEP_1)
	v_or_b32_e32 v73, v8, v47
.LBB2_3988:                             ;   in Loop: Header=BB2_3198 Depth=4
	s_or_b32 exec_lo, exec_lo, s78
                                        ; implicit-def: $vgpr47
.LBB2_3989:                             ;   in Loop: Header=BB2_3198 Depth=4
	s_and_not1_saveexec_b32 s14, s77
; %bb.3990:                             ;   in Loop: Header=BB2_3198 Depth=4
	v_or_b32_e32 v73, 0x7b, v47
; %bb.3991:                             ;   in Loop: Header=BB2_3198 Depth=4
	s_or_b32 exec_lo, exec_lo, s14
                                        ; implicit-def: $vgpr44
                                        ; implicit-def: $vgpr8_vgpr9
                                        ; implicit-def: $vgpr45
.LBB2_3992:                             ;   in Loop: Header=BB2_3198 Depth=4
	s_and_not1_saveexec_b32 s14, s76
	s_cbranch_execz .LBB2_3998
; %bb.3993:                             ;   in Loop: Header=BB2_3198 Depth=4
	s_mov_b32 s76, exec_lo
                                        ; implicit-def: $vgpr73
	v_cmpx_ne_u64_e32 0, v[8:9]
	s_xor_b32 s76, exec_lo, s76
; %bb.3994:                             ;   in Loop: Header=BB2_3198 Depth=4
	v_or_b32_e32 v73, 0x7f, v45
                                        ; implicit-def: $vgpr44
; %bb.3995:                             ;   in Loop: Header=BB2_3198 Depth=4
	s_and_not1_saveexec_b32 s76, s76
; %bb.3996:                             ;   in Loop: Header=BB2_3198 Depth=4
	v_cmp_lt_i32_e32 vcc_lo, -1, v44
	v_cndmask_b32_e32 v73, 0xfc, v120, vcc_lo
; %bb.3997:                             ;   in Loop: Header=BB2_3198 Depth=4
	s_or_b32 exec_lo, exec_lo, s76
.LBB2_3998:                             ;   in Loop: Header=BB2_3198 Depth=4
	s_delay_alu instid0(SALU_CYCLE_1) | instskip(SKIP_3) | instid1(VALU_DEP_2)
	s_or_b32 exec_lo, exec_lo, s14
	v_lshrrev_b16 v8, 8, v46
	v_mov_b32_e32 v44, 0
	s_mov_b32 s14, exec_lo
	v_cmpx_ne_u16_e32 0, v8
	s_cbranch_execz .LBB2_4008
; %bb.3999:                             ;   in Loop: Header=BB2_3198 Depth=4
	v_bfrev_b32_e32 v44, 1
	s_mov_b32 s76, exec_lo
	v_cmpx_ne_u16_e32 0x80, v8
	s_cbranch_execz .LBB2_4007
; %bb.4000:                             ;   in Loop: Header=BB2_3198 Depth=4
	v_and_b32_e32 v45, 0xffff, v8
	s_mov_b32 s77, exec_lo
                                        ; implicit-def: $vgpr44
	s_delay_alu instid0(VALU_DEP_1) | instskip(SKIP_1) | instid1(VALU_DEP_2)
	v_and_b32_e32 v18, 0x7c, v45
	v_and_b32_e32 v9, 3, v45
	v_cmpx_ne_u32_e32 0x7c, v18
	s_xor_b32 s77, exec_lo, s77
	s_cbranch_execz .LBB2_4004
; %bb.4001:                             ;   in Loop: Header=BB2_3198 Depth=4
	v_bfe_u32 v44, v45, 2, 5
	s_mov_b32 s78, exec_lo
	s_delay_alu instid0(VALU_DEP_1)
	v_cmpx_eq_u32_e32 0, v44
; %bb.4002:                             ;   in Loop: Header=BB2_3198 Depth=4
	v_clz_i32_u32_e32 v9, v9
	s_delay_alu instid0(VALU_DEP_1) | instskip(NEXT) | instid1(VALU_DEP_1)
	v_min_u32_e32 v18, 32, v9
	v_dual_mov_b32 v9, v3 :: v_dual_sub_nc_u32 v44, 30, v18
	v_subrev_nc_u32_e32 v19, 29, v18
	s_delay_alu instid0(VALU_DEP_1) | instskip(NEXT) | instid1(VALU_DEP_1)
	v_lshlrev_b64_e32 v[8:9], v19, v[8:9]
	v_and_b32_e32 v9, 3, v8
; %bb.4003:                             ;   in Loop: Header=BB2_3198 Depth=4
	s_or_b32 exec_lo, exec_lo, s78
	v_lshlrev_b32_e32 v8, 16, v46
                                        ; implicit-def: $vgpr46
	s_delay_alu instid0(VALU_DEP_1) | instskip(NEXT) | instid1(VALU_DEP_1)
	v_and_b32_e32 v8, 0x80000000, v8
	v_lshl_add_u32 v8, v44, 23, v8
	s_delay_alu instid0(VALU_DEP_1) | instskip(NEXT) | instid1(VALU_DEP_1)
	v_lshl_or_b32 v8, v9, 21, v8
                                        ; implicit-def: $vgpr9
	v_add_nc_u32_e32 v44, 0x38000000, v8
.LBB2_4004:                             ;   in Loop: Header=BB2_3198 Depth=4
	s_and_not1_saveexec_b32 s77, s77
; %bb.4005:                             ;   in Loop: Header=BB2_3198 Depth=4
	v_cmp_lt_i16_e32 vcc_lo, -1, v46
	v_cndmask_b32_e32 v8, 0xff800000, v111, vcc_lo
	v_cmp_eq_u32_e32 vcc_lo, 0, v9
	s_delay_alu instid0(VALU_DEP_2)
	v_cndmask_b32_e32 v44, 0x7f800001, v8, vcc_lo
; %bb.4006:                             ;   in Loop: Header=BB2_3198 Depth=4
	s_or_b32 exec_lo, exec_lo, s77
.LBB2_4007:                             ;   in Loop: Header=BB2_3198 Depth=4
	s_delay_alu instid0(SALU_CYCLE_1)
	s_or_b32 exec_lo, exec_lo, s76
.LBB2_4008:                             ;   in Loop: Header=BB2_3198 Depth=4
	s_delay_alu instid0(SALU_CYCLE_1) | instskip(SKIP_3) | instid1(VALU_DEP_1)
	s_or_b32 exec_lo, exec_lo, s14
	v_lshrrev_b16 v8, 8, v10
	s_mov_b32 s76, 0
	s_mov_b32 s14, exec_lo
	v_cmpx_lt_i16_e32 0x7f, v8
	s_xor_b32 s14, exec_lo, s14
	s_cbranch_execz .LBB2_4251
; %bb.4009:                             ;   in Loop: Header=BB2_3198 Depth=4
	s_mov_b32 s76, -1
	s_mov_b32 s77, exec_lo
	v_cmpx_eq_u16_e32 0x80, v8
; %bb.4010:                             ;   in Loop: Header=BB2_3198 Depth=4
	s_xor_b32 s76, exec_lo, -1
; %bb.4011:                             ;   in Loop: Header=BB2_3198 Depth=4
	s_or_b32 exec_lo, exec_lo, s77
	s_delay_alu instid0(SALU_CYCLE_1)
	s_and_b32 s76, s76, exec_lo
	s_or_saveexec_b32 s14, s14
	v_bfrev_b32_e32 v9, 1
	s_xor_b32 exec_lo, exec_lo, s14
	s_cbranch_execnz .LBB2_4252
.LBB2_4012:                             ;   in Loop: Header=BB2_3198 Depth=4
	s_or_b32 exec_lo, exec_lo, s14
	s_and_saveexec_b32 s14, s76
	s_cbranch_execz .LBB2_4014
.LBB2_4013:                             ;   in Loop: Header=BB2_3198 Depth=4
	v_and_b32_e32 v45, 0xffff, v8
	s_delay_alu instid0(VALU_DEP_1) | instskip(NEXT) | instid1(VALU_DEP_1)
	v_and_b32_e32 v46, 3, v45
	v_clz_i32_u32_e32 v9, v46
	s_delay_alu instid0(VALU_DEP_1) | instskip(SKIP_1) | instid1(VALU_DEP_2)
	v_min_u32_e32 v47, 32, v9
	v_mov_b32_e32 v9, v3
	v_subrev_nc_u32_e32 v18, 29, v47
	s_delay_alu instid0(VALU_DEP_1) | instskip(SKIP_2) | instid1(VALU_DEP_2)
	v_lshlrev_b64_e32 v[18:19], v18, v[8:9]
	v_bfe_u32 v9, v45, 2, 5
	v_dual_lshlrev_b32 v8, 24, v8 :: v_dual_sub_nc_u32 v19, 30, v47
	v_cmp_eq_u32_e32 vcc_lo, 0, v9
	s_delay_alu instid0(VALU_DEP_2) | instskip(NEXT) | instid1(VALU_DEP_3)
	v_and_b32_e32 v8, 0x80000000, v8
	v_dual_cndmask_b32 v9, v9, v19, vcc_lo :: v_dual_bitop2_b32 v18, 3, v18 bitop3:0x40
	s_delay_alu instid0(VALU_DEP_1) | instskip(SKIP_1) | instid1(VALU_DEP_3)
	v_cndmask_b32_e32 v18, v46, v18, vcc_lo
	v_cmp_lt_i16_e32 vcc_lo, -1, v10
	v_lshl_add_u32 v8, v9, 23, v8
	v_cndmask_b32_e32 v9, 0xff800000, v111, vcc_lo
	v_cmp_eq_u32_e32 vcc_lo, 0, v46
	s_delay_alu instid0(VALU_DEP_3) | instskip(SKIP_1) | instid1(VALU_DEP_4)
	v_lshl_or_b32 v8, v18, 21, v8
	v_and_b32_e32 v18, 0x7c, v45
	v_cndmask_b32_e32 v9, 0x7f800001, v9, vcc_lo
	s_delay_alu instid0(VALU_DEP_3) | instskip(NEXT) | instid1(VALU_DEP_3)
	v_add_nc_u32_e32 v8, 0x38000000, v8
	v_cmp_eq_u32_e32 vcc_lo, 0x7c, v18
	s_delay_alu instid0(VALU_DEP_2)
	v_cndmask_b32_e32 v9, v8, v9, vcc_lo
.LBB2_4014:                             ;   in Loop: Header=BB2_3198 Depth=4
	s_or_b32 exec_lo, exec_lo, s14
	s_delay_alu instid0(VALU_DEP_1) | instskip(SKIP_2) | instid1(VALU_DEP_2)
	v_dual_add_f32 v44, v44, v9 :: v_dual_mov_b32 v19, v3
	v_mov_b32_e32 v9, v3
                                        ; implicit-def: $vgpr77
	s_mov_b32 s14, exec_lo
	v_and_b32_e32 v18, 0x7f800000, v44
	v_and_b32_e32 v8, 0x7fffff, v44
	v_lshrrev_b32_e32 v45, 24, v44
	s_delay_alu instid0(VALU_DEP_3)
	v_cmpx_ne_u64_e32 0x7f800000, v[18:19]
	s_xor_b32 s76, exec_lo, s14
	s_cbranch_execz .LBB2_4028
; %bb.4015:                             ;   in Loop: Header=BB2_3198 Depth=4
	v_and_b32_e32 v18, 0x7fffffff, v44
	v_mov_b32_e32 v19, v3
	v_and_b32_e32 v46, 0x80, v45
                                        ; implicit-def: $vgpr77
	s_mov_b32 s14, exec_lo
	s_delay_alu instid0(VALU_DEP_2)
	v_cmpx_gt_u64_e32 0x47600001, v[18:19]
	s_xor_b32 s77, exec_lo, s14
	s_cbranch_execz .LBB2_4025
; %bb.4016:                             ;   in Loop: Header=BB2_3198 Depth=4
	v_mov_b32_e32 v77, 0
	s_mov_b32 s78, exec_lo
	v_cmpx_ne_u32_e32 0, v44
	s_cbranch_execz .LBB2_4024
; %bb.4017:                             ;   in Loop: Header=BB2_3198 Depth=4
	v_bfe_u32 v47, v44, 23, 8
	v_or_b32_e32 v44, 0x800000, v8
	s_delay_alu instid0(VALU_DEP_2) | instskip(SKIP_1) | instid1(VALU_DEP_2)
	v_sub_nc_u32_e32 v18, 0x71, v47
	v_cmp_gt_u32_e32 vcc_lo, 0x72, v47
	v_cndmask_b32_e32 v18, 0, v18, vcc_lo
	v_cmp_eq_u32_e32 vcc_lo, 0, v47
	s_delay_alu instid0(VALU_DEP_2) | instskip(NEXT) | instid1(VALU_DEP_1)
	v_cndmask_b32_e64 v77, v18, 0x70, vcc_lo
	v_dual_cndmask_b32 v8, v44, v8, vcc_lo :: v_dual_add_nc_u32 v18, 21, v77
	v_add_nc_u32_e32 v45, 20, v77
	s_delay_alu instid0(VALU_DEP_2) | instskip(NEXT) | instid1(VALU_DEP_2)
	v_lshlrev_b64_e64 v[18:19], v18, -1
	v_lshlrev_b64_e64 v[44:45], v45, 1
	s_delay_alu instid0(VALU_DEP_2) | instskip(SKIP_1) | instid1(VALU_DEP_4)
	v_bfi_b32 v18, v18, 0, v8
	v_lshrrev_b64 v[8:9], v77, v[8:9]
	v_bfi_b32 v19, v19, 0, 0
	s_delay_alu instid0(VALU_DEP_1) | instskip(NEXT) | instid1(VALU_DEP_3)
	v_cmp_eq_u64_e64 s14, v[18:19], v[44:45]
	v_mov_b64_e32 v[44:45], v[8:9]
	s_and_saveexec_b32 s79, s14
; %bb.4018:                             ;   in Loop: Header=BB2_3198 Depth=4
	v_bfe_u32 v18, v8, 21, 1
	v_mov_b32_e32 v19, v3
	s_delay_alu instid0(VALU_DEP_1) | instskip(NEXT) | instid1(VALU_DEP_1)
	v_add_nc_u64_e32 v[18:19], v[8:9], v[18:19]
	v_add_nc_u64_e32 v[44:45], -1, v[18:19]
; %bb.4019:                             ;   in Loop: Header=BB2_3198 Depth=4
	s_or_b32 exec_lo, exec_lo, s79
	v_add_nc_u32_e32 v9, 0xffffff81, v47
	v_lshrrev_b32_e32 v18, 23, v8
	s_mov_b32 s14, exec_lo
	s_delay_alu instid0(VALU_DEP_2) | instskip(NEXT) | instid1(VALU_DEP_1)
	v_cndmask_b32_e64 v9, v9, 0xffffff82, vcc_lo
	v_add3_u32 v45, v77, v9, v18
	v_and_b32_e32 v9, 0x1fffff, v44
                                        ; implicit-def: $vgpr44
	s_delay_alu instid0(VALU_DEP_1) | instskip(SKIP_1) | instid1(VALU_DEP_2)
	v_dual_add_nc_u32 v47, 14, v45 :: v_dual_add_nc_u32 v8, v9, v8
	v_mov_b32_e32 v9, v3
	v_cmpx_ne_u32_e32 0, v47
	s_xor_b32 s14, exec_lo, s14
; %bb.4020:                             ;   in Loop: Header=BB2_3198 Depth=4
	s_delay_alu instid0(VALU_DEP_2) | instskip(SKIP_1) | instid1(VALU_DEP_1)
	v_cmp_lt_u64_e32 vcc_lo, 0xffffff, v[8:9]
	v_add_nc_u32_e32 v18, 15, v45
	v_cndmask_b32_e32 v44, v47, v18, vcc_lo
	v_cndmask_b32_e64 v18, 0, 1, vcc_lo
	s_delay_alu instid0(VALU_DEP_1)
	v_lshrrev_b64 v[8:9], v18, v[8:9]
; %bb.4021:                             ;   in Loop: Header=BB2_3198 Depth=4
	s_and_not1_saveexec_b32 s14, s14
; %bb.4022:                             ;   in Loop: Header=BB2_3198 Depth=4
	s_delay_alu instid0(VALU_DEP_1)
	v_bfe_u32 v44, v8, 23, 1
; %bb.4023:                             ;   in Loop: Header=BB2_3198 Depth=4
	s_or_b32 exec_lo, exec_lo, s14
	s_delay_alu instid0(VALU_DEP_2) | instskip(NEXT) | instid1(VALU_DEP_2)
	v_lshrrev_b64 v[8:9], 21, v[8:9]
	v_cmp_gt_i32_e32 vcc_lo, 32, v44
	v_min_i32_e32 v18, 31, v44
	v_cmp_eq_u32_e64 s14, 0, v44
	s_delay_alu instid0(VALU_DEP_2) | instskip(SKIP_1) | instid1(VALU_DEP_2)
	v_dual_cndmask_b32 v9, 0, v9 :: v_dual_lshlrev_b32 v18, 2, v18
	v_cndmask_b32_e32 v8, 3, v8, vcc_lo
	v_and_b32_e32 v18, 0xfc, v18
	s_delay_alu instid0(VALU_DEP_2) | instskip(NEXT) | instid1(VALU_DEP_2)
	v_cmp_eq_u64_e32 vcc_lo, 0, v[8:9]
	v_and_or_b32 v8, v8, 3, v18
	s_and_b32 s14, s14, vcc_lo
	s_delay_alu instid0(VALU_DEP_1) | instid1(SALU_CYCLE_1)
	v_cndmask_b32_e64 v8, v8, 0, s14
	s_delay_alu instid0(VALU_DEP_1)
	v_or_b32_e32 v77, v8, v46
.LBB2_4024:                             ;   in Loop: Header=BB2_3198 Depth=4
	s_or_b32 exec_lo, exec_lo, s78
                                        ; implicit-def: $vgpr46
.LBB2_4025:                             ;   in Loop: Header=BB2_3198 Depth=4
	s_and_not1_saveexec_b32 s14, s77
; %bb.4026:                             ;   in Loop: Header=BB2_3198 Depth=4
	v_or_b32_e32 v77, 0x7b, v46
; %bb.4027:                             ;   in Loop: Header=BB2_3198 Depth=4
	s_or_b32 exec_lo, exec_lo, s14
                                        ; implicit-def: $vgpr44
                                        ; implicit-def: $vgpr8_vgpr9
                                        ; implicit-def: $vgpr45
.LBB2_4028:                             ;   in Loop: Header=BB2_3198 Depth=4
	s_and_not1_saveexec_b32 s14, s76
	s_cbranch_execz .LBB2_4034
; %bb.4029:                             ;   in Loop: Header=BB2_3198 Depth=4
	s_mov_b32 s76, exec_lo
                                        ; implicit-def: $vgpr77
	v_cmpx_ne_u64_e32 0, v[8:9]
	s_xor_b32 s76, exec_lo, s76
; %bb.4030:                             ;   in Loop: Header=BB2_3198 Depth=4
	v_or_b32_e32 v77, 0x7f, v45
                                        ; implicit-def: $vgpr44
; %bb.4031:                             ;   in Loop: Header=BB2_3198 Depth=4
	s_and_not1_saveexec_b32 s76, s76
; %bb.4032:                             ;   in Loop: Header=BB2_3198 Depth=4
	v_cmp_lt_i32_e32 vcc_lo, -1, v44
	v_cndmask_b32_e32 v77, 0xfc, v120, vcc_lo
; %bb.4033:                             ;   in Loop: Header=BB2_3198 Depth=4
	s_or_b32 exec_lo, exec_lo, s76
.LBB2_4034:                             ;   in Loop: Header=BB2_3198 Depth=4
	s_delay_alu instid0(SALU_CYCLE_1) | instskip(SKIP_2) | instid1(VALU_DEP_1)
	s_or_b32 exec_lo, exec_lo, s14
	v_dual_mov_b32 v9, 0 :: v_dual_lshrrev_b32 v8, 16, v2
	s_mov_b32 s14, exec_lo
	v_and_b32_e32 v44, 0xff, v8
	s_delay_alu instid0(VALU_DEP_1)
	v_cmpx_ne_u16_e32 0, v44
	s_cbranch_execz .LBB2_4044
; %bb.4035:                             ;   in Loop: Header=BB2_3198 Depth=4
	v_bfrev_b32_e32 v9, 1
	s_mov_b32 s76, exec_lo
	v_cmpx_ne_u16_e32 0x80, v44
	s_cbranch_execz .LBB2_4043
; %bb.4036:                             ;   in Loop: Header=BB2_3198 Depth=4
	v_and_b32_e32 v9, 0x7c0000, v2
	v_bfe_u32 v44, v2, 16, 2
	s_delay_alu instid0(VALU_DEP_2) | instskip(SKIP_1) | instid1(SALU_CYCLE_1)
	v_cmp_ne_u32_e32 vcc_lo, 0x7c0000, v9
                                        ; implicit-def: $vgpr9
	s_and_saveexec_b32 s77, vcc_lo
	s_xor_b32 s77, exec_lo, s77
	s_cbranch_execz .LBB2_4040
; %bb.4037:                             ;   in Loop: Header=BB2_3198 Depth=4
	v_bfe_u32 v9, v2, 18, 5
	s_mov_b32 s78, exec_lo
	s_delay_alu instid0(VALU_DEP_1)
	v_cmpx_eq_u32_e32 0, v9
; %bb.4038:                             ;   in Loop: Header=BB2_3198 Depth=4
	v_clz_i32_u32_e32 v9, v44
	s_delay_alu instid0(VALU_DEP_1) | instskip(NEXT) | instid1(VALU_DEP_1)
	v_min_u32_e32 v9, 32, v9
	v_subrev_nc_u32_e32 v18, 29, v9
	s_delay_alu instid0(VALU_DEP_1) | instskip(NEXT) | instid1(VALU_DEP_1)
	v_lshlrev_b64_e32 v[18:19], v18, v[8:9]
	v_dual_sub_nc_u32 v9, 30, v9 :: v_dual_bitop2_b32 v44, 3, v18 bitop3:0x40
; %bb.4039:                             ;   in Loop: Header=BB2_3198 Depth=4
	s_or_b32 exec_lo, exec_lo, s78
	v_lshlrev_b32_e32 v8, 24, v8
	s_delay_alu instid0(VALU_DEP_1) | instskip(NEXT) | instid1(VALU_DEP_1)
	v_and_b32_e32 v8, 0x80000000, v8
	v_lshl_add_u32 v8, v9, 23, v8
	s_delay_alu instid0(VALU_DEP_1) | instskip(NEXT) | instid1(VALU_DEP_1)
	v_lshl_or_b32 v8, v44, 21, v8
                                        ; implicit-def: $vgpr44
	v_add_nc_u32_e32 v9, 0x38000000, v8
                                        ; implicit-def: $vgpr8
.LBB2_4040:                             ;   in Loop: Header=BB2_3198 Depth=4
	s_and_not1_saveexec_b32 s77, s77
; %bb.4041:                             ;   in Loop: Header=BB2_3198 Depth=4
	v_bfe_i32 v8, v8, 0, 8
	s_delay_alu instid0(VALU_DEP_1) | instskip(SKIP_2) | instid1(VALU_DEP_2)
	v_cmp_lt_i16_e32 vcc_lo, -1, v8
	v_cndmask_b32_e32 v8, 0xff800000, v111, vcc_lo
	v_cmp_eq_u32_e32 vcc_lo, 0, v44
	v_cndmask_b32_e32 v9, 0x7f800001, v8, vcc_lo
; %bb.4042:                             ;   in Loop: Header=BB2_3198 Depth=4
	s_or_b32 exec_lo, exec_lo, s77
.LBB2_4043:                             ;   in Loop: Header=BB2_3198 Depth=4
	s_delay_alu instid0(SALU_CYCLE_1)
	s_or_b32 exec_lo, exec_lo, s76
.LBB2_4044:                             ;   in Loop: Header=BB2_3198 Depth=4
	s_delay_alu instid0(SALU_CYCLE_1) | instskip(SKIP_3) | instid1(VALU_DEP_1)
	s_or_b32 exec_lo, exec_lo, s14
	v_lshrrev_b32_e32 v8, 16, v10
	s_mov_b32 s76, 0
	s_mov_b32 s14, exec_lo
	v_and_b32_e32 v45, 0xff, v8
	s_delay_alu instid0(VALU_DEP_1)
	v_cmpx_lt_i16_e32 0x7f, v45
	s_xor_b32 s14, exec_lo, s14
	s_cbranch_execz .LBB2_4253
; %bb.4045:                             ;   in Loop: Header=BB2_3198 Depth=4
	s_mov_b32 s76, -1
	s_mov_b32 s77, exec_lo
	v_cmpx_eq_u16_e32 0x80, v45
; %bb.4046:                             ;   in Loop: Header=BB2_3198 Depth=4
	s_xor_b32 s76, exec_lo, -1
; %bb.4047:                             ;   in Loop: Header=BB2_3198 Depth=4
	s_or_b32 exec_lo, exec_lo, s77
	s_delay_alu instid0(SALU_CYCLE_1)
	s_and_b32 s76, s76, exec_lo
                                        ; implicit-def: $vgpr45
	s_or_saveexec_b32 s14, s14
	v_bfrev_b32_e32 v44, 1
	s_xor_b32 exec_lo, exec_lo, s14
	s_cbranch_execnz .LBB2_4254
.LBB2_4048:                             ;   in Loop: Header=BB2_3198 Depth=4
	s_or_b32 exec_lo, exec_lo, s14
	s_and_saveexec_b32 s14, s76
	s_cbranch_execz .LBB2_4050
.LBB2_4049:                             ;   in Loop: Header=BB2_3198 Depth=4
	v_and_b32_e32 v44, 3, v8
	v_bfe_u32 v46, v10, 18, 5
	s_delay_alu instid0(VALU_DEP_2) | instskip(NEXT) | instid1(VALU_DEP_2)
	v_clz_i32_u32_e32 v18, v44
	v_cmp_eq_u32_e32 vcc_lo, 0, v46
	s_delay_alu instid0(VALU_DEP_2) | instskip(NEXT) | instid1(VALU_DEP_1)
	v_min_u32_e32 v45, 32, v18
	v_subrev_nc_u32_e32 v18, 29, v45
	s_delay_alu instid0(VALU_DEP_1) | instskip(SKIP_2) | instid1(VALU_DEP_2)
	v_lshlrev_b64_e32 v[18:19], v18, v[8:9]
	v_dual_lshlrev_b32 v19, 24, v8 :: v_dual_sub_nc_u32 v45, 30, v45
	v_bfe_i32 v8, v8, 0, 8
	v_and_b32_e32 v19, 0x80000000, v19
	s_delay_alu instid0(VALU_DEP_3) | instskip(NEXT) | instid1(VALU_DEP_1)
	v_dual_cndmask_b32 v45, v46, v45, vcc_lo :: v_dual_bitop2_b32 v18, 3, v18 bitop3:0x40
	v_cndmask_b32_e32 v18, v44, v18, vcc_lo
	s_delay_alu instid0(VALU_DEP_2) | instskip(SKIP_1) | instid1(VALU_DEP_2)
	v_lshl_add_u32 v19, v45, 23, v19
	v_cmp_lt_i16_e32 vcc_lo, -1, v8
	v_lshl_or_b32 v18, v18, 21, v19
	v_cndmask_b32_e32 v8, 0xff800000, v111, vcc_lo
	v_and_b32_e32 v19, 0x7c0000, v10
	v_cmp_eq_u32_e32 vcc_lo, 0, v44
	s_delay_alu instid0(VALU_DEP_4) | instskip(NEXT) | instid1(VALU_DEP_4)
	v_add_nc_u32_e32 v18, 0x38000000, v18
	v_cndmask_b32_e32 v8, 0x7f800001, v8, vcc_lo
	s_delay_alu instid0(VALU_DEP_4) | instskip(NEXT) | instid1(VALU_DEP_2)
	v_cmp_eq_u32_e32 vcc_lo, 0x7c0000, v19
	v_cndmask_b32_e32 v44, v18, v8, vcc_lo
.LBB2_4050:                             ;   in Loop: Header=BB2_3198 Depth=4
	s_or_b32 exec_lo, exec_lo, s14
	s_delay_alu instid0(VALU_DEP_1) | instskip(SKIP_2) | instid1(VALU_DEP_2)
	v_dual_add_f32 v44, v9, v44 :: v_dual_mov_b32 v19, v3
	v_mov_b32_e32 v9, v3
                                        ; implicit-def: $vgpr88
	s_mov_b32 s14, exec_lo
	v_and_b32_e32 v18, 0x7f800000, v44
	v_and_b32_e32 v8, 0x7fffff, v44
	v_lshrrev_b32_e32 v45, 24, v44
	s_delay_alu instid0(VALU_DEP_3)
	v_cmpx_ne_u64_e32 0x7f800000, v[18:19]
	s_xor_b32 s76, exec_lo, s14
	s_cbranch_execz .LBB2_4064
; %bb.4051:                             ;   in Loop: Header=BB2_3198 Depth=4
	v_and_b32_e32 v18, 0x7fffffff, v44
	v_mov_b32_e32 v19, v3
	v_and_b32_e32 v46, 0x80, v45
                                        ; implicit-def: $vgpr88
	s_mov_b32 s14, exec_lo
	s_delay_alu instid0(VALU_DEP_2)
	v_cmpx_gt_u64_e32 0x47600001, v[18:19]
	s_xor_b32 s77, exec_lo, s14
	s_cbranch_execz .LBB2_4061
; %bb.4052:                             ;   in Loop: Header=BB2_3198 Depth=4
	v_mov_b32_e32 v88, 0
	s_mov_b32 s78, exec_lo
	v_cmpx_ne_u32_e32 0, v44
	s_cbranch_execz .LBB2_4060
; %bb.4053:                             ;   in Loop: Header=BB2_3198 Depth=4
	v_bfe_u32 v47, v44, 23, 8
	v_or_b32_e32 v44, 0x800000, v8
	s_delay_alu instid0(VALU_DEP_2) | instskip(SKIP_1) | instid1(VALU_DEP_2)
	v_sub_nc_u32_e32 v18, 0x71, v47
	v_cmp_gt_u32_e32 vcc_lo, 0x72, v47
	v_cndmask_b32_e32 v18, 0, v18, vcc_lo
	v_cmp_eq_u32_e32 vcc_lo, 0, v47
	s_delay_alu instid0(VALU_DEP_2) | instskip(SKIP_1) | instid1(VALU_DEP_2)
	v_cndmask_b32_e64 v88, v18, 0x70, vcc_lo
	v_cndmask_b32_e32 v8, v44, v8, vcc_lo
	v_dual_add_nc_u32 v18, 21, v88 :: v_dual_add_nc_u32 v45, 20, v88
	s_delay_alu instid0(VALU_DEP_1) | instskip(NEXT) | instid1(VALU_DEP_2)
	v_lshlrev_b64_e64 v[18:19], v18, -1
	v_lshlrev_b64_e64 v[44:45], v45, 1
	s_delay_alu instid0(VALU_DEP_2) | instskip(SKIP_1) | instid1(VALU_DEP_4)
	v_bfi_b32 v18, v18, 0, v8
	v_lshrrev_b64 v[8:9], v88, v[8:9]
	v_bfi_b32 v19, v19, 0, 0
	s_delay_alu instid0(VALU_DEP_1) | instskip(NEXT) | instid1(VALU_DEP_3)
	v_cmp_eq_u64_e64 s14, v[18:19], v[44:45]
	v_mov_b64_e32 v[44:45], v[8:9]
	s_and_saveexec_b32 s79, s14
; %bb.4054:                             ;   in Loop: Header=BB2_3198 Depth=4
	v_bfe_u32 v18, v8, 21, 1
	v_mov_b32_e32 v19, v3
	s_delay_alu instid0(VALU_DEP_1) | instskip(NEXT) | instid1(VALU_DEP_1)
	v_add_nc_u64_e32 v[18:19], v[8:9], v[18:19]
	v_add_nc_u64_e32 v[44:45], -1, v[18:19]
; %bb.4055:                             ;   in Loop: Header=BB2_3198 Depth=4
	s_or_b32 exec_lo, exec_lo, s79
	v_add_nc_u32_e32 v9, 0xffffff81, v47
	v_lshrrev_b32_e32 v18, 23, v8
	s_mov_b32 s14, exec_lo
	s_delay_alu instid0(VALU_DEP_2) | instskip(NEXT) | instid1(VALU_DEP_1)
	v_cndmask_b32_e64 v9, v9, 0xffffff82, vcc_lo
	v_add3_u32 v45, v88, v9, v18
	v_and_b32_e32 v9, 0x1fffff, v44
                                        ; implicit-def: $vgpr44
	s_delay_alu instid0(VALU_DEP_1) | instskip(SKIP_1) | instid1(VALU_DEP_2)
	v_dual_add_nc_u32 v47, 14, v45 :: v_dual_add_nc_u32 v8, v9, v8
	v_mov_b32_e32 v9, v3
	v_cmpx_ne_u32_e32 0, v47
	s_xor_b32 s14, exec_lo, s14
; %bb.4056:                             ;   in Loop: Header=BB2_3198 Depth=4
	s_delay_alu instid0(VALU_DEP_2) | instskip(SKIP_1) | instid1(VALU_DEP_1)
	v_cmp_lt_u64_e32 vcc_lo, 0xffffff, v[8:9]
	v_add_nc_u32_e32 v18, 15, v45
	v_cndmask_b32_e32 v44, v47, v18, vcc_lo
	v_cndmask_b32_e64 v18, 0, 1, vcc_lo
	s_delay_alu instid0(VALU_DEP_1)
	v_lshrrev_b64 v[8:9], v18, v[8:9]
; %bb.4057:                             ;   in Loop: Header=BB2_3198 Depth=4
	s_and_not1_saveexec_b32 s14, s14
; %bb.4058:                             ;   in Loop: Header=BB2_3198 Depth=4
	s_delay_alu instid0(VALU_DEP_1)
	v_bfe_u32 v44, v8, 23, 1
; %bb.4059:                             ;   in Loop: Header=BB2_3198 Depth=4
	s_or_b32 exec_lo, exec_lo, s14
	s_delay_alu instid0(VALU_DEP_2) | instskip(NEXT) | instid1(VALU_DEP_2)
	v_lshrrev_b64 v[8:9], 21, v[8:9]
	v_cmp_gt_i32_e32 vcc_lo, 32, v44
	v_min_i32_e32 v18, 31, v44
	v_cmp_eq_u32_e64 s14, 0, v44
	s_delay_alu instid0(VALU_DEP_2) | instskip(SKIP_1) | instid1(VALU_DEP_2)
	v_dual_cndmask_b32 v9, 0, v9 :: v_dual_lshlrev_b32 v18, 2, v18
	v_cndmask_b32_e32 v8, 3, v8, vcc_lo
	v_and_b32_e32 v18, 0xfc, v18
	s_delay_alu instid0(VALU_DEP_2) | instskip(NEXT) | instid1(VALU_DEP_2)
	v_cmp_eq_u64_e32 vcc_lo, 0, v[8:9]
	v_and_or_b32 v8, v8, 3, v18
	s_and_b32 s14, s14, vcc_lo
	s_delay_alu instid0(VALU_DEP_1) | instid1(SALU_CYCLE_1)
	v_cndmask_b32_e64 v8, v8, 0, s14
	s_delay_alu instid0(VALU_DEP_1)
	v_or_b32_e32 v88, v8, v46
.LBB2_4060:                             ;   in Loop: Header=BB2_3198 Depth=4
	s_or_b32 exec_lo, exec_lo, s78
                                        ; implicit-def: $vgpr46
.LBB2_4061:                             ;   in Loop: Header=BB2_3198 Depth=4
	s_and_not1_saveexec_b32 s14, s77
; %bb.4062:                             ;   in Loop: Header=BB2_3198 Depth=4
	v_or_b32_e32 v88, 0x7b, v46
; %bb.4063:                             ;   in Loop: Header=BB2_3198 Depth=4
	s_or_b32 exec_lo, exec_lo, s14
                                        ; implicit-def: $vgpr44
                                        ; implicit-def: $vgpr8_vgpr9
                                        ; implicit-def: $vgpr45
.LBB2_4064:                             ;   in Loop: Header=BB2_3198 Depth=4
	s_and_not1_saveexec_b32 s14, s76
	s_cbranch_execz .LBB2_4070
; %bb.4065:                             ;   in Loop: Header=BB2_3198 Depth=4
	s_mov_b32 s76, exec_lo
                                        ; implicit-def: $vgpr88
	v_cmpx_ne_u64_e32 0, v[8:9]
	s_xor_b32 s76, exec_lo, s76
; %bb.4066:                             ;   in Loop: Header=BB2_3198 Depth=4
	v_or_b32_e32 v88, 0x7f, v45
                                        ; implicit-def: $vgpr44
; %bb.4067:                             ;   in Loop: Header=BB2_3198 Depth=4
	s_and_not1_saveexec_b32 s76, s76
; %bb.4068:                             ;   in Loop: Header=BB2_3198 Depth=4
	v_cmp_lt_i32_e32 vcc_lo, -1, v44
	v_cndmask_b32_e32 v88, 0xfc, v120, vcc_lo
; %bb.4069:                             ;   in Loop: Header=BB2_3198 Depth=4
	s_or_b32 exec_lo, exec_lo, s76
.LBB2_4070:                             ;   in Loop: Header=BB2_3198 Depth=4
	s_delay_alu instid0(SALU_CYCLE_1)
	s_or_b32 exec_lo, exec_lo, s14
	v_mov_b32_e32 v9, 0
	s_mov_b32 s14, exec_lo
	v_cmpx_lt_u32_e32 0xffffff, v2
	s_cbranch_execz .LBB2_4080
; %bb.4071:                             ;   in Loop: Header=BB2_3198 Depth=4
	v_lshrrev_b32_e32 v8, 24, v2
	v_bfrev_b32_e32 v9, 1
	s_mov_b32 s76, exec_lo
	s_delay_alu instid0(VALU_DEP_2)
	v_cmpx_ne_u32_e32 0x80, v8
	s_cbranch_execz .LBB2_4079
; %bb.4072:                             ;   in Loop: Header=BB2_3198 Depth=4
	v_and_b32_e32 v9, 0x7c000000, v2
	v_bfe_u32 v44, v2, 24, 2
	s_delay_alu instid0(VALU_DEP_2) | instskip(SKIP_1) | instid1(SALU_CYCLE_1)
	v_cmp_ne_u32_e32 vcc_lo, 0x7c000000, v9
                                        ; implicit-def: $vgpr9
	s_and_saveexec_b32 s77, vcc_lo
	s_xor_b32 s77, exec_lo, s77
	s_cbranch_execz .LBB2_4076
; %bb.4073:                             ;   in Loop: Header=BB2_3198 Depth=4
	v_bfe_u32 v9, v2, 26, 5
	s_mov_b32 s78, exec_lo
	s_delay_alu instid0(VALU_DEP_1)
	v_cmpx_eq_u32_e32 0, v9
; %bb.4074:                             ;   in Loop: Header=BB2_3198 Depth=4
	v_clz_i32_u32_e32 v9, v44
	s_delay_alu instid0(VALU_DEP_1) | instskip(NEXT) | instid1(VALU_DEP_1)
	v_min_u32_e32 v18, 32, v9
	v_subrev_nc_u32_e32 v9, 29, v18
	s_delay_alu instid0(VALU_DEP_1) | instskip(NEXT) | instid1(VALU_DEP_1)
	v_lshlrev_b64_e32 v[8:9], v9, v[8:9]
	v_dual_sub_nc_u32 v9, 30, v18 :: v_dual_bitop2_b32 v44, 3, v8 bitop3:0x40
; %bb.4075:                             ;   in Loop: Header=BB2_3198 Depth=4
	s_or_b32 exec_lo, exec_lo, s78
	v_and_b32_e32 v2, 0x80000000, v2
	s_delay_alu instid0(VALU_DEP_1) | instskip(NEXT) | instid1(VALU_DEP_1)
	v_lshl_add_u32 v2, v9, 23, v2
	v_lshl_or_b32 v2, v44, 21, v2
                                        ; implicit-def: $vgpr44
	s_delay_alu instid0(VALU_DEP_1)
	v_add_nc_u32_e32 v9, 0x38000000, v2
.LBB2_4076:                             ;   in Loop: Header=BB2_3198 Depth=4
	s_and_not1_saveexec_b32 s77, s77
; %bb.4077:                             ;   in Loop: Header=BB2_3198 Depth=4
	v_cmp_lt_i32_e32 vcc_lo, -1, v2
	v_cndmask_b32_e32 v2, 0xff800000, v111, vcc_lo
	v_cmp_eq_u32_e32 vcc_lo, 0, v44
	s_delay_alu instid0(VALU_DEP_2)
	v_cndmask_b32_e32 v9, 0x7f800001, v2, vcc_lo
; %bb.4078:                             ;   in Loop: Header=BB2_3198 Depth=4
	s_or_b32 exec_lo, exec_lo, s77
.LBB2_4079:                             ;   in Loop: Header=BB2_3198 Depth=4
	s_delay_alu instid0(SALU_CYCLE_1)
	s_or_b32 exec_lo, exec_lo, s76
.LBB2_4080:                             ;   in Loop: Header=BB2_3198 Depth=4
	s_delay_alu instid0(SALU_CYCLE_1) | instskip(SKIP_3) | instid1(VALU_DEP_2)
	s_or_b32 exec_lo, exec_lo, s14
	v_bfe_u32 v8, v10, 24, 2
	v_bfe_u32 v45, v10, 26, 5
                                        ; implicit-def: $vgpr89
	s_mov_b32 s14, exec_lo
	v_clz_i32_u32_e32 v2, v8
	s_delay_alu instid0(VALU_DEP_2) | instskip(NEXT) | instid1(VALU_DEP_2)
	v_cmp_eq_u32_e32 vcc_lo, 0, v45
	v_min_u32_e32 v44, 32, v2
	v_lshrrev_b32_e32 v2, 24, v10
	s_delay_alu instid0(VALU_DEP_2) | instskip(NEXT) | instid1(VALU_DEP_1)
	v_subrev_nc_u32_e32 v18, 29, v44
	v_lshlrev_b64_e32 v[18:19], v18, v[2:3]
	v_sub_nc_u32_e32 v19, 30, v44
	v_and_b32_e32 v44, 0x80000000, v10
	s_delay_alu instid0(VALU_DEP_2) | instskip(NEXT) | instid1(VALU_DEP_1)
	v_dual_cndmask_b32 v19, v45, v19, vcc_lo :: v_dual_bitop2_b32 v18, 3, v18 bitop3:0x40
	v_lshl_add_u32 v19, v19, 23, v44
	s_delay_alu instid0(VALU_DEP_2) | instskip(SKIP_1) | instid1(VALU_DEP_2)
	v_cndmask_b32_e32 v18, v8, v18, vcc_lo
	v_cmp_lt_i32_e32 vcc_lo, -1, v10
	v_lshl_or_b32 v18, v18, 21, v19
	v_cndmask_b32_e32 v44, 0xff800000, v111, vcc_lo
	v_and_b32_e32 v19, 0x7c000000, v10
	v_cmp_eq_u32_e32 vcc_lo, 0, v8
	s_delay_alu instid0(VALU_DEP_4) | instskip(NEXT) | instid1(VALU_DEP_4)
	v_add_nc_u32_e32 v18, 0x38000000, v18
	v_cndmask_b32_e32 v8, 0x7f800001, v44, vcc_lo
	s_delay_alu instid0(VALU_DEP_4) | instskip(NEXT) | instid1(VALU_DEP_2)
	v_cmp_eq_u32_e32 vcc_lo, 0x7c000000, v19
	v_dual_mov_b32 v19, v3 :: v_dual_cndmask_b32 v8, v18, v8
	v_cmp_ne_u32_e32 vcc_lo, 0x80, v2
	s_delay_alu instid0(VALU_DEP_2) | instskip(SKIP_1) | instid1(VALU_DEP_2)
	v_cndmask_b32_e32 v2, 0x80000000, v8, vcc_lo
	v_cmp_lt_u32_e32 vcc_lo, 0xffffff, v10
	v_cndmask_b32_e32 v2, 0, v2, vcc_lo
	s_delay_alu instid0(VALU_DEP_1) | instskip(NEXT) | instid1(VALU_DEP_1)
	v_add_f32_e32 v8, v2, v9
	v_and_b32_e32 v18, 0x7f800000, v8
	v_and_b32_e32 v2, 0x7fffff, v8
	v_lshrrev_b32_e32 v9, 24, v8
	s_delay_alu instid0(VALU_DEP_3)
	v_cmpx_ne_u64_e32 0x7f800000, v[18:19]
	s_xor_b32 s76, exec_lo, s14
	s_cbranch_execz .LBB2_4094
; %bb.4081:                             ;   in Loop: Header=BB2_3198 Depth=4
	v_and_b32_e32 v18, 0x7fffffff, v8
	v_mov_b32_e32 v19, v3
	v_and_b32_e32 v46, 0x80, v9
                                        ; implicit-def: $vgpr89
	s_mov_b32 s14, exec_lo
	s_delay_alu instid0(VALU_DEP_2)
	v_cmpx_gt_u64_e32 0x47600001, v[18:19]
	s_xor_b32 s77, exec_lo, s14
	s_cbranch_execz .LBB2_4091
; %bb.4082:                             ;   in Loop: Header=BB2_3198 Depth=4
	v_mov_b32_e32 v89, 0
	s_mov_b32 s78, exec_lo
	v_cmpx_ne_u32_e32 0, v8
	s_cbranch_execz .LBB2_4090
; %bb.4083:                             ;   in Loop: Header=BB2_3198 Depth=4
	v_bfe_u32 v47, v8, 23, 8
	v_or_b32_e32 v18, 0x800000, v2
	s_delay_alu instid0(VALU_DEP_2) | instskip(SKIP_1) | instid1(VALU_DEP_2)
	v_sub_nc_u32_e32 v8, 0x71, v47
	v_cmp_gt_u32_e32 vcc_lo, 0x72, v47
	v_cndmask_b32_e32 v8, 0, v8, vcc_lo
	v_cmp_eq_u32_e32 vcc_lo, 0, v47
	s_delay_alu instid0(VALU_DEP_2) | instskip(NEXT) | instid1(VALU_DEP_1)
	v_cndmask_b32_e64 v89, v8, 0x70, vcc_lo
	v_dual_cndmask_b32 v2, v18, v2, vcc_lo :: v_dual_add_nc_u32 v8, 21, v89
	v_add_nc_u32_e32 v19, 20, v89
	s_delay_alu instid0(VALU_DEP_2) | instskip(NEXT) | instid1(VALU_DEP_2)
	v_lshlrev_b64_e64 v[8:9], v8, -1
	v_lshlrev_b64_e64 v[18:19], v19, 1
	s_delay_alu instid0(VALU_DEP_2) | instskip(NEXT) | instid1(VALU_DEP_3)
	v_bfi_b32 v45, v9, 0, 0
	v_bfi_b32 v44, v8, 0, v2
	v_lshrrev_b64 v[8:9], v89, v[2:3]
	s_delay_alu instid0(VALU_DEP_2) | instskip(NEXT) | instid1(VALU_DEP_2)
	v_cmp_eq_u64_e64 s14, v[44:45], v[18:19]
	v_mov_b64_e32 v[44:45], v[8:9]
	s_and_saveexec_b32 s79, s14
; %bb.4084:                             ;   in Loop: Header=BB2_3198 Depth=4
	v_bfe_u32 v2, v8, 21, 1
	s_delay_alu instid0(VALU_DEP_1) | instskip(NEXT) | instid1(VALU_DEP_1)
	v_add_nc_u64_e32 v[18:19], v[8:9], v[2:3]
	v_add_nc_u64_e32 v[44:45], -1, v[18:19]
; %bb.4085:                             ;   in Loop: Header=BB2_3198 Depth=4
	s_or_b32 exec_lo, exec_lo, s79
	v_add_nc_u32_e32 v2, 0xffffff81, v47
	v_lshrrev_b32_e32 v9, 23, v8
	s_mov_b32 s14, exec_lo
	s_delay_alu instid0(VALU_DEP_2) | instskip(NEXT) | instid1(VALU_DEP_1)
	v_cndmask_b32_e64 v2, v2, 0xffffff82, vcc_lo
	v_add3_u32 v45, v89, v2, v9
	v_and_b32_e32 v2, 0x1fffff, v44
                                        ; implicit-def: $vgpr44
	s_delay_alu instid0(VALU_DEP_1) | instskip(NEXT) | instid1(VALU_DEP_1)
	v_dual_add_nc_u32 v47, 14, v45 :: v_dual_add_nc_u32 v2, v2, v8
                                        ; implicit-def: $vgpr8_vgpr9
	v_cmpx_ne_u32_e32 0, v47
	s_xor_b32 s14, exec_lo, s14
; %bb.4086:                             ;   in Loop: Header=BB2_3198 Depth=4
	s_delay_alu instid0(VALU_DEP_2) | instskip(SKIP_1) | instid1(VALU_DEP_1)
	v_cmp_lt_u64_e32 vcc_lo, 0xffffff, v[2:3]
	v_add_nc_u32_e32 v8, 15, v45
	v_cndmask_b32_e32 v44, v47, v8, vcc_lo
	v_cndmask_b32_e64 v8, 0, 1, vcc_lo
	s_delay_alu instid0(VALU_DEP_1)
	v_lshrrev_b64 v[8:9], v8, v[2:3]
; %bb.4087:                             ;   in Loop: Header=BB2_3198 Depth=4
	s_and_not1_saveexec_b32 s14, s14
; %bb.4088:                             ;   in Loop: Header=BB2_3198 Depth=4
	v_mov_b64_e32 v[8:9], v[2:3]
	v_bfe_u32 v44, v2, 23, 1
; %bb.4089:                             ;   in Loop: Header=BB2_3198 Depth=4
	s_or_b32 exec_lo, exec_lo, s14
	s_delay_alu instid0(VALU_DEP_2) | instskip(NEXT) | instid1(VALU_DEP_2)
	v_lshrrev_b64 v[8:9], 21, v[8:9]
	v_cmp_gt_i32_e32 vcc_lo, 32, v44
	v_min_i32_e32 v2, 31, v44
	v_cmp_eq_u32_e64 s14, 0, v44
	s_delay_alu instid0(VALU_DEP_2) | instskip(SKIP_1) | instid1(VALU_DEP_2)
	v_dual_cndmask_b32 v9, 0, v9 :: v_dual_lshlrev_b32 v2, 2, v2
	v_cndmask_b32_e32 v8, 3, v8, vcc_lo
	v_and_b32_e32 v2, 0xfc, v2
	s_delay_alu instid0(VALU_DEP_2) | instskip(NEXT) | instid1(VALU_DEP_2)
	v_cmp_eq_u64_e32 vcc_lo, 0, v[8:9]
	v_and_or_b32 v2, v8, 3, v2
	s_and_b32 s14, s14, vcc_lo
	s_delay_alu instid0(VALU_DEP_1) | instid1(SALU_CYCLE_1)
	v_cndmask_b32_e64 v2, v2, 0, s14
	s_delay_alu instid0(VALU_DEP_1)
	v_or_b32_e32 v89, v2, v46
.LBB2_4090:                             ;   in Loop: Header=BB2_3198 Depth=4
	s_or_b32 exec_lo, exec_lo, s78
                                        ; implicit-def: $vgpr46
.LBB2_4091:                             ;   in Loop: Header=BB2_3198 Depth=4
	s_and_not1_saveexec_b32 s14, s77
; %bb.4092:                             ;   in Loop: Header=BB2_3198 Depth=4
	v_or_b32_e32 v89, 0x7b, v46
; %bb.4093:                             ;   in Loop: Header=BB2_3198 Depth=4
	s_or_b32 exec_lo, exec_lo, s14
                                        ; implicit-def: $vgpr8
                                        ; implicit-def: $vgpr9
.LBB2_4094:                             ;   in Loop: Header=BB2_3198 Depth=4
	s_and_not1_saveexec_b32 s14, s76
	s_cbranch_execz .LBB2_4100
; %bb.4095:                             ;   in Loop: Header=BB2_3198 Depth=4
	s_mov_b32 s76, exec_lo
                                        ; implicit-def: $vgpr89
	v_cmpx_ne_u64_e32 0, v[2:3]
	s_xor_b32 s76, exec_lo, s76
; %bb.4096:                             ;   in Loop: Header=BB2_3198 Depth=4
	v_or_b32_e32 v89, 0x7f, v9
                                        ; implicit-def: $vgpr8
; %bb.4097:                             ;   in Loop: Header=BB2_3198 Depth=4
	s_and_not1_saveexec_b32 s76, s76
; %bb.4098:                             ;   in Loop: Header=BB2_3198 Depth=4
	v_cmp_lt_i32_e32 vcc_lo, -1, v8
	v_cndmask_b32_e32 v89, 0xfc, v120, vcc_lo
; %bb.4099:                             ;   in Loop: Header=BB2_3198 Depth=4
	s_or_b32 exec_lo, exec_lo, s76
.LBB2_4100:                             ;   in Loop: Header=BB2_3198 Depth=4
	s_delay_alu instid0(SALU_CYCLE_1) | instskip(SKIP_4) | instid1(VALU_DEP_2)
	s_or_b32 exec_lo, exec_lo, s14
	v_dual_lshlrev_b32 v2, 24, v79 :: v_dual_lshlrev_b32 v8, 16, v76
	v_lshl_or_b32 v74, v74, 8, v17
	v_mov_b32_e32 v44, 0
	s_mov_b32 s14, exec_lo
	v_or3_b32 v2, v8, v2, v74
	v_cmpx_ne_u32_e32 0, v17
	s_cbranch_execz .LBB2_4110
; %bb.4101:                             ;   in Loop: Header=BB2_3198 Depth=4
	v_bfrev_b32_e32 v44, 1
	s_mov_b32 s76, exec_lo
	v_cmpx_ne_u32_e32 0x80, v17
	s_cbranch_execz .LBB2_4109
; %bb.4102:                             ;   in Loop: Header=BB2_3198 Depth=4
	v_and_b32_e32 v9, 0x7c, v17
	v_and_b32_e32 v8, 3, v17
	s_mov_b32 s77, exec_lo
                                        ; implicit-def: $vgpr44
	s_delay_alu instid0(VALU_DEP_2)
	v_cmpx_ne_u32_e32 0x7c, v9
	s_xor_b32 s77, exec_lo, s77
	s_cbranch_execz .LBB2_4106
; %bb.4103:                             ;   in Loop: Header=BB2_3198 Depth=4
	v_bfe_u32 v9, v17, 2, 5
	s_mov_b32 s78, exec_lo
	s_delay_alu instid0(VALU_DEP_1)
	v_cmpx_eq_u32_e32 0, v9
; %bb.4104:                             ;   in Loop: Header=BB2_3198 Depth=4
	v_clz_i32_u32_e32 v8, v8
	s_delay_alu instid0(VALU_DEP_1) | instskip(NEXT) | instid1(VALU_DEP_1)
	v_min_u32_e32 v18, 32, v8
	v_subrev_nc_u32_e32 v8, 29, v18
	s_delay_alu instid0(VALU_DEP_1) | instskip(NEXT) | instid1(VALU_DEP_1)
	v_lshlrev_b64_e32 v[8:9], v8, v[2:3]
	v_dual_sub_nc_u32 v9, 30, v18 :: v_dual_bitop2_b32 v8, 3, v8 bitop3:0x40
; %bb.4105:                             ;   in Loop: Header=BB2_3198 Depth=4
	s_or_b32 exec_lo, exec_lo, s78
	v_lshlrev_b32_e32 v17, 24, v17
	s_delay_alu instid0(VALU_DEP_1) | instskip(NEXT) | instid1(VALU_DEP_1)
	v_and_b32_e32 v17, 0x80000000, v17
	v_lshl_add_u32 v9, v9, 23, v17
                                        ; implicit-def: $vgpr17
	s_delay_alu instid0(VALU_DEP_1) | instskip(NEXT) | instid1(VALU_DEP_1)
	v_lshl_or_b32 v8, v8, 21, v9
	v_add_nc_u32_e32 v44, 0x38000000, v8
                                        ; implicit-def: $vgpr8
.LBB2_4106:                             ;   in Loop: Header=BB2_3198 Depth=4
	s_and_not1_saveexec_b32 s77, s77
; %bb.4107:                             ;   in Loop: Header=BB2_3198 Depth=4
	v_and_b32_e32 v9, 0x80, v17
	s_delay_alu instid0(VALU_DEP_1) | instskip(SKIP_2) | instid1(VALU_DEP_2)
	v_cmp_eq_u32_e32 vcc_lo, 0, v9
	v_cndmask_b32_e32 v9, 0xff800000, v111, vcc_lo
	v_cmp_eq_u32_e32 vcc_lo, 0, v8
	v_cndmask_b32_e32 v44, 0x7f800001, v9, vcc_lo
; %bb.4108:                             ;   in Loop: Header=BB2_3198 Depth=4
	s_or_b32 exec_lo, exec_lo, s77
.LBB2_4109:                             ;   in Loop: Header=BB2_3198 Depth=4
	s_delay_alu instid0(SALU_CYCLE_1)
	s_or_b32 exec_lo, exec_lo, s76
.LBB2_4110:                             ;   in Loop: Header=BB2_3198 Depth=4
	s_delay_alu instid0(SALU_CYCLE_1) | instskip(SKIP_4) | instid1(VALU_DEP_2)
	s_or_b32 exec_lo, exec_lo, s14
	v_and_b32_e32 v9, 0xff, v11
	v_mov_b32_e32 v8, v11
	s_mov_b32 s76, 0
	s_mov_b32 s14, exec_lo
	v_cmpx_lt_i16_e32 0x7f, v9
	s_xor_b32 s14, exec_lo, s14
	s_cbranch_execz .LBB2_4255
; %bb.4111:                             ;   in Loop: Header=BB2_3198 Depth=4
	s_mov_b32 s76, -1
	s_mov_b32 s77, exec_lo
	v_cmpx_eq_u16_e32 0x80, v9
; %bb.4112:                             ;   in Loop: Header=BB2_3198 Depth=4
	s_xor_b32 s76, exec_lo, -1
; %bb.4113:                             ;   in Loop: Header=BB2_3198 Depth=4
	s_or_b32 exec_lo, exec_lo, s77
	s_delay_alu instid0(SALU_CYCLE_1)
	s_and_b32 s76, s76, exec_lo
                                        ; implicit-def: $vgpr9
	s_or_saveexec_b32 s14, s14
	v_bfrev_b32_e32 v17, 1
	s_xor_b32 exec_lo, exec_lo, s14
	s_cbranch_execnz .LBB2_4256
.LBB2_4114:                             ;   in Loop: Header=BB2_3198 Depth=4
	s_or_b32 exec_lo, exec_lo, s14
	v_mov_b32_e32 v9, v3
	s_and_saveexec_b32 s14, s76
	s_cbranch_execz .LBB2_4116
.LBB2_4115:                             ;   in Loop: Header=BB2_3198 Depth=4
	v_and_b32_e32 v17, 3, v11
	s_delay_alu instid0(VALU_DEP_1) | instskip(NEXT) | instid1(VALU_DEP_1)
	v_clz_i32_u32_e32 v18, v17
	v_min_u32_e32 v45, 32, v18
	s_delay_alu instid0(VALU_DEP_1) | instskip(NEXT) | instid1(VALU_DEP_1)
	v_subrev_nc_u32_e32 v18, 29, v45
	v_lshlrev_b64_e32 v[18:19], v18, v[8:9]
	v_bfe_u32 v19, v11, 2, 5
	v_dual_lshlrev_b32 v9, 24, v11 :: v_dual_sub_nc_u32 v45, 30, v45
	s_delay_alu instid0(VALU_DEP_2) | instskip(NEXT) | instid1(VALU_DEP_2)
	v_cmp_eq_u32_e32 vcc_lo, 0, v19
	v_and_b32_e32 v9, 0x80000000, v9
	s_delay_alu instid0(VALU_DEP_3) | instskip(SKIP_1) | instid1(VALU_DEP_2)
	v_dual_cndmask_b32 v19, v19, v45, vcc_lo :: v_dual_bitop2_b32 v18, 3, v18 bitop3:0x40
	v_bfe_i32 v45, v11, 0, 8
	v_cndmask_b32_e32 v18, v17, v18, vcc_lo
	s_delay_alu instid0(VALU_DEP_3) | instskip(NEXT) | instid1(VALU_DEP_3)
	v_lshl_add_u32 v9, v19, 23, v9
	v_cmp_lt_i16_e32 vcc_lo, -1, v45
	s_delay_alu instid0(VALU_DEP_2) | instskip(SKIP_3) | instid1(VALU_DEP_4)
	v_lshl_or_b32 v9, v18, 21, v9
	v_cndmask_b32_e32 v19, 0xff800000, v111, vcc_lo
	v_and_b32_e32 v18, 0x7c, v11
	v_cmp_eq_u32_e32 vcc_lo, 0, v17
	v_add_nc_u32_e32 v9, 0x38000000, v9
	s_delay_alu instid0(VALU_DEP_4) | instskip(NEXT) | instid1(VALU_DEP_4)
	v_cndmask_b32_e32 v17, 0x7f800001, v19, vcc_lo
	v_cmp_eq_u32_e32 vcc_lo, 0x7c, v18
	s_delay_alu instid0(VALU_DEP_2)
	v_cndmask_b32_e32 v17, v9, v17, vcc_lo
.LBB2_4116:                             ;   in Loop: Header=BB2_3198 Depth=4
	s_or_b32 exec_lo, exec_lo, s14
	s_delay_alu instid0(VALU_DEP_1) | instskip(SKIP_2) | instid1(VALU_DEP_2)
	v_dual_add_f32 v46, v44, v17 :: v_dual_mov_b32 v19, v3
	v_mov_b32_e32 v45, v3
                                        ; implicit-def: $vgpr17
	s_mov_b32 s14, exec_lo
	v_and_b32_e32 v18, 0x7f800000, v46
	v_and_b32_e32 v44, 0x7fffff, v46
	v_lshrrev_b32_e32 v9, 24, v46
	s_delay_alu instid0(VALU_DEP_3)
	v_cmpx_ne_u64_e32 0x7f800000, v[18:19]
	s_xor_b32 s76, exec_lo, s14
	s_cbranch_execz .LBB2_4130
; %bb.4117:                             ;   in Loop: Header=BB2_3198 Depth=4
	v_and_b32_e32 v18, 0x7fffffff, v46
	v_mov_b32_e32 v19, v3
	v_and_b32_e32 v9, 0x80, v9
                                        ; implicit-def: $vgpr17
	s_mov_b32 s14, exec_lo
	s_delay_alu instid0(VALU_DEP_2)
	v_cmpx_gt_u64_e32 0x47600001, v[18:19]
	s_xor_b32 s77, exec_lo, s14
	s_cbranch_execz .LBB2_4127
; %bb.4118:                             ;   in Loop: Header=BB2_3198 Depth=4
	v_mov_b32_e32 v17, 0
	s_mov_b32 s78, exec_lo
	v_cmpx_ne_u32_e32 0, v46
	s_cbranch_execz .LBB2_4126
; %bb.4119:                             ;   in Loop: Header=BB2_3198 Depth=4
	v_bfe_u32 v17, v46, 23, 8
	v_or_b32_e32 v46, 0x800000, v44
	s_delay_alu instid0(VALU_DEP_2) | instskip(SKIP_1) | instid1(VALU_DEP_2)
	v_sub_nc_u32_e32 v18, 0x71, v17
	v_cmp_gt_u32_e32 vcc_lo, 0x72, v17
	v_cndmask_b32_e32 v18, 0, v18, vcc_lo
	v_cmp_eq_u32_e32 vcc_lo, 0, v17
	s_delay_alu instid0(VALU_DEP_2) | instskip(SKIP_1) | instid1(VALU_DEP_2)
	v_cndmask_b32_e64 v76, v18, 0x70, vcc_lo
	v_cndmask_b32_e32 v44, v46, v44, vcc_lo
	v_dual_add_nc_u32 v18, 21, v76 :: v_dual_add_nc_u32 v47, 20, v76
	s_delay_alu instid0(VALU_DEP_1) | instskip(NEXT) | instid1(VALU_DEP_2)
	v_lshlrev_b64_e64 v[18:19], v18, -1
	v_lshlrev_b64_e64 v[46:47], v47, 1
	s_delay_alu instid0(VALU_DEP_2) | instskip(SKIP_1) | instid1(VALU_DEP_4)
	v_bfi_b32 v18, v18, 0, v44
	v_lshrrev_b64 v[44:45], v76, v[44:45]
	v_bfi_b32 v19, v19, 0, 0
	s_delay_alu instid0(VALU_DEP_1) | instskip(NEXT) | instid1(VALU_DEP_3)
	v_cmp_eq_u64_e64 s14, v[18:19], v[46:47]
	v_mov_b64_e32 v[46:47], v[44:45]
	s_and_saveexec_b32 s79, s14
; %bb.4120:                             ;   in Loop: Header=BB2_3198 Depth=4
	v_bfe_u32 v18, v44, 21, 1
	v_mov_b32_e32 v19, v3
	s_delay_alu instid0(VALU_DEP_1) | instskip(NEXT) | instid1(VALU_DEP_1)
	v_add_nc_u64_e32 v[18:19], v[44:45], v[18:19]
	v_add_nc_u64_e32 v[46:47], -1, v[18:19]
; %bb.4121:                             ;   in Loop: Header=BB2_3198 Depth=4
	s_or_b32 exec_lo, exec_lo, s79
	v_add_nc_u32_e32 v17, 0xffffff81, v17
	v_lshrrev_b32_e32 v18, 23, v44
	s_mov_b32 s14, exec_lo
	v_mov_b32_e32 v45, v3
	s_delay_alu instid0(VALU_DEP_3) | instskip(NEXT) | instid1(VALU_DEP_1)
	v_cndmask_b32_e64 v17, v17, 0xffffff82, vcc_lo
	v_add3_u32 v47, v76, v17, v18
	v_and_b32_e32 v17, 0x1fffff, v46
	s_delay_alu instid0(VALU_DEP_1) | instskip(NEXT) | instid1(VALU_DEP_1)
	v_dual_add_nc_u32 v46, 14, v47 :: v_dual_add_nc_u32 v44, v17, v44
                                        ; implicit-def: $vgpr17
	v_cmpx_ne_u32_e32 0, v46
	s_xor_b32 s14, exec_lo, s14
; %bb.4122:                             ;   in Loop: Header=BB2_3198 Depth=4
	s_delay_alu instid0(VALU_DEP_2) | instskip(SKIP_2) | instid1(VALU_DEP_2)
	v_cmp_lt_u64_e32 vcc_lo, 0xffffff, v[44:45]
	v_add_nc_u32_e32 v17, 15, v47
	v_cndmask_b32_e64 v18, 0, 1, vcc_lo
	v_cndmask_b32_e32 v17, v46, v17, vcc_lo
	s_delay_alu instid0(VALU_DEP_2)
	v_lshrrev_b64 v[44:45], v18, v[44:45]
; %bb.4123:                             ;   in Loop: Header=BB2_3198 Depth=4
	s_and_not1_saveexec_b32 s14, s14
; %bb.4124:                             ;   in Loop: Header=BB2_3198 Depth=4
	s_delay_alu instid0(VALU_DEP_1)
	v_bfe_u32 v17, v44, 23, 1
; %bb.4125:                             ;   in Loop: Header=BB2_3198 Depth=4
	s_or_b32 exec_lo, exec_lo, s14
	s_delay_alu instid0(VALU_DEP_2) | instskip(NEXT) | instid1(VALU_DEP_2)
	v_lshrrev_b64 v[18:19], 21, v[44:45]
	v_cmp_gt_i32_e32 vcc_lo, 32, v17
	v_min_i32_e32 v44, 31, v17
	v_cmp_eq_u32_e64 s14, 0, v17
	s_delay_alu instid0(VALU_DEP_2) | instskip(SKIP_1) | instid1(VALU_DEP_2)
	v_dual_cndmask_b32 v19, 0, v19 :: v_dual_lshlrev_b32 v44, 2, v44
	v_cndmask_b32_e32 v18, 3, v18, vcc_lo
	v_and_b32_e32 v44, 0xfc, v44
	s_delay_alu instid0(VALU_DEP_2) | instskip(NEXT) | instid1(VALU_DEP_2)
	v_cmp_eq_u64_e32 vcc_lo, 0, v[18:19]
	v_and_or_b32 v17, v18, 3, v44
	s_and_b32 s14, s14, vcc_lo
	s_delay_alu instid0(VALU_DEP_1) | instid1(SALU_CYCLE_1)
	v_cndmask_b32_e64 v17, v17, 0, s14
	s_delay_alu instid0(VALU_DEP_1)
	v_or_b32_e32 v17, v17, v9
.LBB2_4126:                             ;   in Loop: Header=BB2_3198 Depth=4
	s_or_b32 exec_lo, exec_lo, s78
                                        ; implicit-def: $vgpr9
.LBB2_4127:                             ;   in Loop: Header=BB2_3198 Depth=4
	s_and_not1_saveexec_b32 s14, s77
; %bb.4128:                             ;   in Loop: Header=BB2_3198 Depth=4
	v_or_b32_e32 v17, 0x7b, v9
; %bb.4129:                             ;   in Loop: Header=BB2_3198 Depth=4
	s_or_b32 exec_lo, exec_lo, s14
                                        ; implicit-def: $vgpr46
                                        ; implicit-def: $vgpr44_vgpr45
                                        ; implicit-def: $vgpr9
.LBB2_4130:                             ;   in Loop: Header=BB2_3198 Depth=4
	s_and_not1_saveexec_b32 s14, s76
	s_cbranch_execz .LBB2_4136
; %bb.4131:                             ;   in Loop: Header=BB2_3198 Depth=4
	s_mov_b32 s76, exec_lo
                                        ; implicit-def: $vgpr17
	v_cmpx_ne_u64_e32 0, v[44:45]
	s_xor_b32 s76, exec_lo, s76
; %bb.4132:                             ;   in Loop: Header=BB2_3198 Depth=4
	v_or_b32_e32 v17, 0x7f, v9
                                        ; implicit-def: $vgpr46
; %bb.4133:                             ;   in Loop: Header=BB2_3198 Depth=4
	s_and_not1_saveexec_b32 s76, s76
; %bb.4134:                             ;   in Loop: Header=BB2_3198 Depth=4
	v_cmp_lt_i32_e32 vcc_lo, -1, v46
	v_cndmask_b32_e32 v17, 0xfc, v120, vcc_lo
; %bb.4135:                             ;   in Loop: Header=BB2_3198 Depth=4
	s_or_b32 exec_lo, exec_lo, s76
.LBB2_4136:                             ;   in Loop: Header=BB2_3198 Depth=4
	s_delay_alu instid0(SALU_CYCLE_1) | instskip(SKIP_3) | instid1(VALU_DEP_2)
	s_or_b32 exec_lo, exec_lo, s14
	v_lshrrev_b16 v44, 8, v74
	v_mov_b32_e32 v9, 0
	s_mov_b32 s14, exec_lo
	v_cmpx_ne_u16_e32 0, v44
	s_cbranch_execz .LBB2_4146
; %bb.4137:                             ;   in Loop: Header=BB2_3198 Depth=4
	v_bfrev_b32_e32 v9, 1
	s_mov_b32 s76, exec_lo
	v_cmpx_ne_u16_e32 0x80, v44
	s_cbranch_execz .LBB2_4145
; %bb.4138:                             ;   in Loop: Header=BB2_3198 Depth=4
	v_and_b32_e32 v46, 0xffff, v44
	s_delay_alu instid0(VALU_DEP_1) | instskip(SKIP_1) | instid1(VALU_DEP_2)
	v_and_b32_e32 v9, 0x7c, v46
	v_and_b32_e32 v45, 3, v46
	v_cmp_ne_u32_e32 vcc_lo, 0x7c, v9
                                        ; implicit-def: $vgpr9
	s_and_saveexec_b32 s77, vcc_lo
	s_delay_alu instid0(SALU_CYCLE_1)
	s_xor_b32 s77, exec_lo, s77
	s_cbranch_execz .LBB2_4142
; %bb.4139:                             ;   in Loop: Header=BB2_3198 Depth=4
	v_bfe_u32 v9, v46, 2, 5
	s_mov_b32 s78, exec_lo
	s_delay_alu instid0(VALU_DEP_1)
	v_cmpx_eq_u32_e32 0, v9
	s_cbranch_execz .LBB2_4141
; %bb.4140:                             ;   in Loop: Header=BB2_3198 Depth=4
	v_clz_i32_u32_e32 v9, v45
	s_delay_alu instid0(VALU_DEP_1) | instskip(SKIP_1) | instid1(VALU_DEP_2)
	v_min_u32_e32 v9, 32, v9
	v_mov_b32_e32 v45, v3
	v_subrev_nc_u32_e32 v18, 29, v9
	v_sub_nc_u32_e32 v9, 30, v9
	s_delay_alu instid0(VALU_DEP_2) | instskip(NEXT) | instid1(VALU_DEP_1)
	v_lshlrev_b64_e32 v[18:19], v18, v[44:45]
	v_and_b32_e32 v45, 3, v18
.LBB2_4141:                             ;   in Loop: Header=BB2_3198 Depth=4
	s_or_b32 exec_lo, exec_lo, s78
	v_lshlrev_b32_e32 v18, 16, v74
                                        ; implicit-def: $vgpr74
	s_delay_alu instid0(VALU_DEP_1) | instskip(NEXT) | instid1(VALU_DEP_1)
	v_and_b32_e32 v18, 0x80000000, v18
	v_lshl_add_u32 v9, v9, 23, v18
	s_delay_alu instid0(VALU_DEP_1) | instskip(NEXT) | instid1(VALU_DEP_1)
	v_lshl_or_b32 v9, v45, 21, v9
                                        ; implicit-def: $vgpr45
	v_add_nc_u32_e32 v9, 0x38000000, v9
.LBB2_4142:                             ;   in Loop: Header=BB2_3198 Depth=4
	s_and_not1_saveexec_b32 s77, s77
; %bb.4143:                             ;   in Loop: Header=BB2_3198 Depth=4
	v_cmp_lt_i16_e32 vcc_lo, -1, v74
	v_cndmask_b32_e32 v9, 0xff800000, v111, vcc_lo
	v_cmp_eq_u32_e32 vcc_lo, 0, v45
	s_delay_alu instid0(VALU_DEP_2)
	v_cndmask_b32_e32 v9, 0x7f800001, v9, vcc_lo
; %bb.4144:                             ;   in Loop: Header=BB2_3198 Depth=4
	s_or_b32 exec_lo, exec_lo, s77
.LBB2_4145:                             ;   in Loop: Header=BB2_3198 Depth=4
	s_delay_alu instid0(SALU_CYCLE_1)
	s_or_b32 exec_lo, exec_lo, s76
.LBB2_4146:                             ;   in Loop: Header=BB2_3198 Depth=4
	s_delay_alu instid0(SALU_CYCLE_1) | instskip(SKIP_3) | instid1(VALU_DEP_1)
	s_or_b32 exec_lo, exec_lo, s14
	v_lshrrev_b16 v44, 8, v8
	s_mov_b32 s76, 0
	s_mov_b32 s14, exec_lo
	v_cmpx_lt_i16_e32 0x7f, v44
	s_xor_b32 s14, exec_lo, s14
	s_cbranch_execz .LBB2_4257
; %bb.4147:                             ;   in Loop: Header=BB2_3198 Depth=4
	s_mov_b32 s76, -1
	s_mov_b32 s77, exec_lo
	v_cmpx_eq_u16_e32 0x80, v44
; %bb.4148:                             ;   in Loop: Header=BB2_3198 Depth=4
	s_xor_b32 s76, exec_lo, -1
; %bb.4149:                             ;   in Loop: Header=BB2_3198 Depth=4
	s_or_b32 exec_lo, exec_lo, s77
	s_delay_alu instid0(SALU_CYCLE_1)
	s_and_b32 s76, s76, exec_lo
	s_or_saveexec_b32 s14, s14
	v_bfrev_b32_e32 v45, 1
	s_xor_b32 exec_lo, exec_lo, s14
	s_cbranch_execnz .LBB2_4258
.LBB2_4150:                             ;   in Loop: Header=BB2_3198 Depth=4
	s_or_b32 exec_lo, exec_lo, s14
	s_and_saveexec_b32 s14, s76
	s_cbranch_execz .LBB2_4152
.LBB2_4151:                             ;   in Loop: Header=BB2_3198 Depth=4
	v_and_b32_e32 v46, 0xffff, v44
	s_delay_alu instid0(VALU_DEP_1) | instskip(NEXT) | instid1(VALU_DEP_1)
	v_dual_mov_b32 v45, v3 :: v_dual_bitop2_b32 v47, 3, v46 bitop3:0x40
	v_clz_i32_u32_e32 v18, v47
	s_delay_alu instid0(VALU_DEP_1) | instskip(NEXT) | instid1(VALU_DEP_1)
	v_min_u32_e32 v74, 32, v18
	v_subrev_nc_u32_e32 v18, 29, v74
	s_delay_alu instid0(VALU_DEP_1) | instskip(SKIP_2) | instid1(VALU_DEP_2)
	v_lshlrev_b64_e32 v[18:19], v18, v[44:45]
	v_dual_lshlrev_b32 v19, 24, v44 :: v_dual_sub_nc_u32 v45, 30, v74
	v_bfe_u32 v44, v46, 2, 5
	v_and_b32_e32 v19, 0x80000000, v19
	s_delay_alu instid0(VALU_DEP_2) | instskip(NEXT) | instid1(VALU_DEP_4)
	v_cmp_eq_u32_e32 vcc_lo, 0, v44
	v_dual_cndmask_b32 v44, v44, v45, vcc_lo :: v_dual_bitop2_b32 v18, 3, v18 bitop3:0x40
	s_delay_alu instid0(VALU_DEP_1) | instskip(SKIP_1) | instid1(VALU_DEP_3)
	v_cndmask_b32_e32 v18, v47, v18, vcc_lo
	v_cmp_lt_i16_e32 vcc_lo, -1, v8
	v_lshl_add_u32 v19, v44, 23, v19
	v_cndmask_b32_e32 v8, 0xff800000, v111, vcc_lo
	v_cmp_eq_u32_e32 vcc_lo, 0, v47
	s_delay_alu instid0(VALU_DEP_3) | instskip(SKIP_1) | instid1(VALU_DEP_4)
	v_lshl_or_b32 v18, v18, 21, v19
	v_and_b32_e32 v19, 0x7c, v46
	v_cndmask_b32_e32 v8, 0x7f800001, v8, vcc_lo
	s_delay_alu instid0(VALU_DEP_3) | instskip(NEXT) | instid1(VALU_DEP_3)
	v_add_nc_u32_e32 v18, 0x38000000, v18
	v_cmp_eq_u32_e32 vcc_lo, 0x7c, v19
	s_delay_alu instid0(VALU_DEP_2)
	v_cndmask_b32_e32 v45, v18, v8, vcc_lo
.LBB2_4152:                             ;   in Loop: Header=BB2_3198 Depth=4
	s_or_b32 exec_lo, exec_lo, s14
	s_delay_alu instid0(VALU_DEP_1) | instskip(SKIP_2) | instid1(VALU_DEP_2)
	v_dual_add_f32 v44, v9, v45 :: v_dual_mov_b32 v19, v3
	v_mov_b32_e32 v9, v3
                                        ; implicit-def: $vgpr46
	s_mov_b32 s14, exec_lo
	v_and_b32_e32 v18, 0x7f800000, v44
	v_and_b32_e32 v8, 0x7fffff, v44
	v_lshrrev_b32_e32 v45, 24, v44
	s_delay_alu instid0(VALU_DEP_3)
	v_cmpx_ne_u64_e32 0x7f800000, v[18:19]
	s_xor_b32 s76, exec_lo, s14
	s_cbranch_execz .LBB2_4166
; %bb.4153:                             ;   in Loop: Header=BB2_3198 Depth=4
	v_and_b32_e32 v18, 0x7fffffff, v44
	v_mov_b32_e32 v19, v3
	v_and_b32_e32 v47, 0x80, v45
                                        ; implicit-def: $vgpr46
	s_mov_b32 s14, exec_lo
	s_delay_alu instid0(VALU_DEP_2)
	v_cmpx_gt_u64_e32 0x47600001, v[18:19]
	s_xor_b32 s77, exec_lo, s14
	s_cbranch_execz .LBB2_4163
; %bb.4154:                             ;   in Loop: Header=BB2_3198 Depth=4
	v_mov_b32_e32 v46, 0
	s_mov_b32 s78, exec_lo
	v_cmpx_ne_u32_e32 0, v44
	s_cbranch_execz .LBB2_4162
; %bb.4155:                             ;   in Loop: Header=BB2_3198 Depth=4
	v_bfe_u32 v46, v44, 23, 8
	v_or_b32_e32 v44, 0x800000, v8
	s_delay_alu instid0(VALU_DEP_2) | instskip(SKIP_1) | instid1(VALU_DEP_2)
	v_sub_nc_u32_e32 v18, 0x71, v46
	v_cmp_gt_u32_e32 vcc_lo, 0x72, v46
	v_cndmask_b32_e32 v18, 0, v18, vcc_lo
	v_cmp_eq_u32_e32 vcc_lo, 0, v46
	v_cndmask_b32_e32 v8, v44, v8, vcc_lo
	s_delay_alu instid0(VALU_DEP_3) | instskip(NEXT) | instid1(VALU_DEP_1)
	v_cndmask_b32_e64 v74, v18, 0x70, vcc_lo
	v_dual_add_nc_u32 v18, 21, v74 :: v_dual_add_nc_u32 v45, 20, v74
	s_delay_alu instid0(VALU_DEP_1) | instskip(NEXT) | instid1(VALU_DEP_2)
	v_lshlrev_b64_e64 v[18:19], v18, -1
	v_lshlrev_b64_e64 v[44:45], v45, 1
	s_delay_alu instid0(VALU_DEP_2) | instskip(SKIP_1) | instid1(VALU_DEP_4)
	v_bfi_b32 v18, v18, 0, v8
	v_lshrrev_b64 v[8:9], v74, v[8:9]
	v_bfi_b32 v19, v19, 0, 0
	s_delay_alu instid0(VALU_DEP_1) | instskip(NEXT) | instid1(VALU_DEP_3)
	v_cmp_eq_u64_e64 s14, v[18:19], v[44:45]
	v_mov_b64_e32 v[44:45], v[8:9]
	s_and_saveexec_b32 s79, s14
; %bb.4156:                             ;   in Loop: Header=BB2_3198 Depth=4
	v_bfe_u32 v18, v8, 21, 1
	v_mov_b32_e32 v19, v3
	s_delay_alu instid0(VALU_DEP_1) | instskip(NEXT) | instid1(VALU_DEP_1)
	v_add_nc_u64_e32 v[18:19], v[8:9], v[18:19]
	v_add_nc_u64_e32 v[44:45], -1, v[18:19]
; %bb.4157:                             ;   in Loop: Header=BB2_3198 Depth=4
	s_or_b32 exec_lo, exec_lo, s79
	v_add_nc_u32_e32 v9, 0xffffff81, v46
	v_lshrrev_b32_e32 v18, 23, v8
	s_mov_b32 s14, exec_lo
	s_delay_alu instid0(VALU_DEP_2) | instskip(NEXT) | instid1(VALU_DEP_1)
	v_cndmask_b32_e64 v9, v9, 0xffffff82, vcc_lo
	v_add3_u32 v45, v74, v9, v18
	v_and_b32_e32 v9, 0x1fffff, v44
                                        ; implicit-def: $vgpr44
	s_delay_alu instid0(VALU_DEP_1) | instskip(SKIP_1) | instid1(VALU_DEP_2)
	v_dual_add_nc_u32 v46, 14, v45 :: v_dual_add_nc_u32 v8, v9, v8
	v_mov_b32_e32 v9, v3
	v_cmpx_ne_u32_e32 0, v46
	s_xor_b32 s14, exec_lo, s14
; %bb.4158:                             ;   in Loop: Header=BB2_3198 Depth=4
	s_delay_alu instid0(VALU_DEP_2) | instskip(SKIP_1) | instid1(VALU_DEP_1)
	v_cmp_lt_u64_e32 vcc_lo, 0xffffff, v[8:9]
	v_add_nc_u32_e32 v18, 15, v45
	v_cndmask_b32_e32 v44, v46, v18, vcc_lo
	v_cndmask_b32_e64 v18, 0, 1, vcc_lo
	s_delay_alu instid0(VALU_DEP_1)
	v_lshrrev_b64 v[8:9], v18, v[8:9]
; %bb.4159:                             ;   in Loop: Header=BB2_3198 Depth=4
	s_and_not1_saveexec_b32 s14, s14
; %bb.4160:                             ;   in Loop: Header=BB2_3198 Depth=4
	s_delay_alu instid0(VALU_DEP_1)
	v_bfe_u32 v44, v8, 23, 1
; %bb.4161:                             ;   in Loop: Header=BB2_3198 Depth=4
	s_or_b32 exec_lo, exec_lo, s14
	s_delay_alu instid0(VALU_DEP_2) | instskip(NEXT) | instid1(VALU_DEP_2)
	v_lshrrev_b64 v[8:9], 21, v[8:9]
	v_cmp_gt_i32_e32 vcc_lo, 32, v44
	v_min_i32_e32 v18, 31, v44
	v_cmp_eq_u32_e64 s14, 0, v44
	s_delay_alu instid0(VALU_DEP_2) | instskip(SKIP_1) | instid1(VALU_DEP_2)
	v_dual_cndmask_b32 v9, 0, v9 :: v_dual_lshlrev_b32 v18, 2, v18
	v_cndmask_b32_e32 v8, 3, v8, vcc_lo
	v_and_b32_e32 v18, 0xfc, v18
	s_delay_alu instid0(VALU_DEP_2) | instskip(NEXT) | instid1(VALU_DEP_2)
	v_cmp_eq_u64_e32 vcc_lo, 0, v[8:9]
	v_and_or_b32 v8, v8, 3, v18
	s_and_b32 s14, s14, vcc_lo
	s_delay_alu instid0(VALU_DEP_1) | instid1(SALU_CYCLE_1)
	v_cndmask_b32_e64 v8, v8, 0, s14
	s_delay_alu instid0(VALU_DEP_1)
	v_or_b32_e32 v46, v8, v47
.LBB2_4162:                             ;   in Loop: Header=BB2_3198 Depth=4
	s_or_b32 exec_lo, exec_lo, s78
                                        ; implicit-def: $vgpr47
.LBB2_4163:                             ;   in Loop: Header=BB2_3198 Depth=4
	s_and_not1_saveexec_b32 s14, s77
; %bb.4164:                             ;   in Loop: Header=BB2_3198 Depth=4
	v_or_b32_e32 v46, 0x7b, v47
; %bb.4165:                             ;   in Loop: Header=BB2_3198 Depth=4
	s_or_b32 exec_lo, exec_lo, s14
                                        ; implicit-def: $vgpr44
                                        ; implicit-def: $vgpr8_vgpr9
                                        ; implicit-def: $vgpr45
.LBB2_4166:                             ;   in Loop: Header=BB2_3198 Depth=4
	s_and_not1_saveexec_b32 s14, s76
	s_cbranch_execz .LBB2_4172
; %bb.4167:                             ;   in Loop: Header=BB2_3198 Depth=4
	s_mov_b32 s76, exec_lo
                                        ; implicit-def: $vgpr46
	v_cmpx_ne_u64_e32 0, v[8:9]
	s_xor_b32 s76, exec_lo, s76
; %bb.4168:                             ;   in Loop: Header=BB2_3198 Depth=4
	v_or_b32_e32 v46, 0x7f, v45
                                        ; implicit-def: $vgpr44
; %bb.4169:                             ;   in Loop: Header=BB2_3198 Depth=4
	s_and_not1_saveexec_b32 s76, s76
; %bb.4170:                             ;   in Loop: Header=BB2_3198 Depth=4
	v_cmp_lt_i32_e32 vcc_lo, -1, v44
	v_cndmask_b32_e32 v46, 0xfc, v120, vcc_lo
; %bb.4171:                             ;   in Loop: Header=BB2_3198 Depth=4
	s_or_b32 exec_lo, exec_lo, s76
.LBB2_4172:                             ;   in Loop: Header=BB2_3198 Depth=4
	s_delay_alu instid0(SALU_CYCLE_1) | instskip(SKIP_2) | instid1(VALU_DEP_1)
	s_or_b32 exec_lo, exec_lo, s14
	v_dual_mov_b32 v9, 0 :: v_dual_lshrrev_b32 v8, 16, v2
	s_mov_b32 s14, exec_lo
	v_and_b32_e32 v44, 0xff, v8
	s_delay_alu instid0(VALU_DEP_1)
	v_cmpx_ne_u16_e32 0, v44
	s_cbranch_execz .LBB2_4182
; %bb.4173:                             ;   in Loop: Header=BB2_3198 Depth=4
	v_bfrev_b32_e32 v9, 1
	s_mov_b32 s76, exec_lo
	v_cmpx_ne_u16_e32 0x80, v44
	s_cbranch_execz .LBB2_4181
; %bb.4174:                             ;   in Loop: Header=BB2_3198 Depth=4
	v_and_b32_e32 v9, 0x7c0000, v2
	v_bfe_u32 v44, v2, 16, 2
	s_delay_alu instid0(VALU_DEP_2) | instskip(SKIP_1) | instid1(SALU_CYCLE_1)
	v_cmp_ne_u32_e32 vcc_lo, 0x7c0000, v9
                                        ; implicit-def: $vgpr9
	s_and_saveexec_b32 s77, vcc_lo
	s_xor_b32 s77, exec_lo, s77
	s_cbranch_execz .LBB2_4178
; %bb.4175:                             ;   in Loop: Header=BB2_3198 Depth=4
	v_bfe_u32 v9, v2, 18, 5
	s_mov_b32 s78, exec_lo
	s_delay_alu instid0(VALU_DEP_1)
	v_cmpx_eq_u32_e32 0, v9
; %bb.4176:                             ;   in Loop: Header=BB2_3198 Depth=4
	v_clz_i32_u32_e32 v9, v44
	s_delay_alu instid0(VALU_DEP_1) | instskip(NEXT) | instid1(VALU_DEP_1)
	v_min_u32_e32 v9, 32, v9
	v_subrev_nc_u32_e32 v18, 29, v9
	s_delay_alu instid0(VALU_DEP_1) | instskip(NEXT) | instid1(VALU_DEP_1)
	v_lshlrev_b64_e32 v[18:19], v18, v[8:9]
	v_dual_sub_nc_u32 v9, 30, v9 :: v_dual_bitop2_b32 v44, 3, v18 bitop3:0x40
; %bb.4177:                             ;   in Loop: Header=BB2_3198 Depth=4
	s_or_b32 exec_lo, exec_lo, s78
	v_lshlrev_b32_e32 v8, 24, v8
	s_delay_alu instid0(VALU_DEP_1) | instskip(NEXT) | instid1(VALU_DEP_1)
	v_and_b32_e32 v8, 0x80000000, v8
	v_lshl_add_u32 v8, v9, 23, v8
	s_delay_alu instid0(VALU_DEP_1) | instskip(NEXT) | instid1(VALU_DEP_1)
	v_lshl_or_b32 v8, v44, 21, v8
                                        ; implicit-def: $vgpr44
	v_add_nc_u32_e32 v9, 0x38000000, v8
                                        ; implicit-def: $vgpr8
.LBB2_4178:                             ;   in Loop: Header=BB2_3198 Depth=4
	s_and_not1_saveexec_b32 s77, s77
; %bb.4179:                             ;   in Loop: Header=BB2_3198 Depth=4
	v_bfe_i32 v8, v8, 0, 8
	s_delay_alu instid0(VALU_DEP_1) | instskip(SKIP_2) | instid1(VALU_DEP_2)
	v_cmp_lt_i16_e32 vcc_lo, -1, v8
	v_cndmask_b32_e32 v8, 0xff800000, v111, vcc_lo
	v_cmp_eq_u32_e32 vcc_lo, 0, v44
	v_cndmask_b32_e32 v9, 0x7f800001, v8, vcc_lo
; %bb.4180:                             ;   in Loop: Header=BB2_3198 Depth=4
	s_or_b32 exec_lo, exec_lo, s77
.LBB2_4181:                             ;   in Loop: Header=BB2_3198 Depth=4
	s_delay_alu instid0(SALU_CYCLE_1)
	s_or_b32 exec_lo, exec_lo, s76
.LBB2_4182:                             ;   in Loop: Header=BB2_3198 Depth=4
	s_delay_alu instid0(SALU_CYCLE_1) | instskip(SKIP_3) | instid1(VALU_DEP_1)
	s_or_b32 exec_lo, exec_lo, s14
	v_lshrrev_b32_e32 v8, 16, v11
	s_mov_b32 s76, 0
	s_mov_b32 s14, exec_lo
	v_and_b32_e32 v45, 0xff, v8
	s_delay_alu instid0(VALU_DEP_1)
	v_cmpx_lt_i16_e32 0x7f, v45
	s_xor_b32 s14, exec_lo, s14
	s_cbranch_execz .LBB2_4259
; %bb.4183:                             ;   in Loop: Header=BB2_3198 Depth=4
	s_mov_b32 s76, -1
	s_mov_b32 s77, exec_lo
	v_cmpx_eq_u16_e32 0x80, v45
; %bb.4184:                             ;   in Loop: Header=BB2_3198 Depth=4
	s_xor_b32 s76, exec_lo, -1
; %bb.4185:                             ;   in Loop: Header=BB2_3198 Depth=4
	s_or_b32 exec_lo, exec_lo, s77
	s_delay_alu instid0(SALU_CYCLE_1)
	s_and_b32 s76, s76, exec_lo
                                        ; implicit-def: $vgpr45
	s_or_saveexec_b32 s14, s14
	v_bfrev_b32_e32 v44, 1
	s_xor_b32 exec_lo, exec_lo, s14
	s_cbranch_execnz .LBB2_4260
.LBB2_4186:                             ;   in Loop: Header=BB2_3198 Depth=4
	s_or_b32 exec_lo, exec_lo, s14
	s_and_saveexec_b32 s14, s76
	s_cbranch_execz .LBB2_4188
.LBB2_4187:                             ;   in Loop: Header=BB2_3198 Depth=4
	v_and_b32_e32 v44, 3, v8
	v_bfe_u32 v47, v11, 18, 5
	s_delay_alu instid0(VALU_DEP_2) | instskip(NEXT) | instid1(VALU_DEP_2)
	v_clz_i32_u32_e32 v18, v44
	v_cmp_eq_u32_e32 vcc_lo, 0, v47
	s_delay_alu instid0(VALU_DEP_2) | instskip(NEXT) | instid1(VALU_DEP_1)
	v_min_u32_e32 v45, 32, v18
	v_subrev_nc_u32_e32 v18, 29, v45
	s_delay_alu instid0(VALU_DEP_1) | instskip(SKIP_2) | instid1(VALU_DEP_2)
	v_lshlrev_b64_e32 v[18:19], v18, v[8:9]
	v_dual_lshlrev_b32 v19, 24, v8 :: v_dual_sub_nc_u32 v45, 30, v45
	v_bfe_i32 v8, v8, 0, 8
	v_and_b32_e32 v19, 0x80000000, v19
	s_delay_alu instid0(VALU_DEP_3) | instskip(NEXT) | instid1(VALU_DEP_1)
	v_dual_cndmask_b32 v45, v47, v45, vcc_lo :: v_dual_bitop2_b32 v18, 3, v18 bitop3:0x40
	v_cndmask_b32_e32 v18, v44, v18, vcc_lo
	s_delay_alu instid0(VALU_DEP_2) | instskip(SKIP_1) | instid1(VALU_DEP_2)
	v_lshl_add_u32 v19, v45, 23, v19
	v_cmp_lt_i16_e32 vcc_lo, -1, v8
	v_lshl_or_b32 v18, v18, 21, v19
	v_cndmask_b32_e32 v8, 0xff800000, v111, vcc_lo
	v_and_b32_e32 v19, 0x7c0000, v11
	v_cmp_eq_u32_e32 vcc_lo, 0, v44
	s_delay_alu instid0(VALU_DEP_4) | instskip(NEXT) | instid1(VALU_DEP_4)
	v_add_nc_u32_e32 v18, 0x38000000, v18
	v_cndmask_b32_e32 v8, 0x7f800001, v8, vcc_lo
	s_delay_alu instid0(VALU_DEP_4) | instskip(NEXT) | instid1(VALU_DEP_2)
	v_cmp_eq_u32_e32 vcc_lo, 0x7c0000, v19
	v_cndmask_b32_e32 v44, v18, v8, vcc_lo
.LBB2_4188:                             ;   in Loop: Header=BB2_3198 Depth=4
	s_or_b32 exec_lo, exec_lo, s14
	s_delay_alu instid0(VALU_DEP_1) | instskip(SKIP_2) | instid1(VALU_DEP_2)
	v_dual_add_f32 v45, v9, v44 :: v_dual_mov_b32 v19, v3
	v_mov_b32_e32 v9, v3
                                        ; implicit-def: $vgpr44
	s_mov_b32 s14, exec_lo
	v_and_b32_e32 v18, 0x7f800000, v45
	v_and_b32_e32 v8, 0x7fffff, v45
	v_lshrrev_b32_e32 v47, 24, v45
	s_delay_alu instid0(VALU_DEP_3)
	v_cmpx_ne_u64_e32 0x7f800000, v[18:19]
	s_xor_b32 s76, exec_lo, s14
	s_cbranch_execz .LBB2_4202
; %bb.4189:                             ;   in Loop: Header=BB2_3198 Depth=4
	v_and_b32_e32 v18, 0x7fffffff, v45
	v_mov_b32_e32 v19, v3
	v_and_b32_e32 v47, 0x80, v47
                                        ; implicit-def: $vgpr44
	s_mov_b32 s14, exec_lo
	s_delay_alu instid0(VALU_DEP_2)
	v_cmpx_gt_u64_e32 0x47600001, v[18:19]
	s_xor_b32 s77, exec_lo, s14
	s_cbranch_execz .LBB2_4199
; %bb.4190:                             ;   in Loop: Header=BB2_3198 Depth=4
	v_mov_b32_e32 v44, 0
	s_mov_b32 s78, exec_lo
	v_cmpx_ne_u32_e32 0, v45
	s_cbranch_execz .LBB2_4198
; %bb.4191:                             ;   in Loop: Header=BB2_3198 Depth=4
	v_bfe_u32 v74, v45, 23, 8
	v_or_b32_e32 v44, 0x800000, v8
	s_delay_alu instid0(VALU_DEP_2) | instskip(SKIP_1) | instid1(VALU_DEP_2)
	v_sub_nc_u32_e32 v18, 0x71, v74
	v_cmp_gt_u32_e32 vcc_lo, 0x72, v74
	v_cndmask_b32_e32 v18, 0, v18, vcc_lo
	v_cmp_eq_u32_e32 vcc_lo, 0, v74
	s_delay_alu instid0(VALU_DEP_2) | instskip(SKIP_1) | instid1(VALU_DEP_2)
	v_cndmask_b32_e64 v76, v18, 0x70, vcc_lo
	v_cndmask_b32_e32 v8, v44, v8, vcc_lo
	v_dual_add_nc_u32 v18, 21, v76 :: v_dual_add_nc_u32 v45, 20, v76
	s_delay_alu instid0(VALU_DEP_1) | instskip(NEXT) | instid1(VALU_DEP_2)
	v_lshlrev_b64_e64 v[18:19], v18, -1
	v_lshlrev_b64_e64 v[44:45], v45, 1
	s_delay_alu instid0(VALU_DEP_2) | instskip(SKIP_1) | instid1(VALU_DEP_4)
	v_bfi_b32 v18, v18, 0, v8
	v_lshrrev_b64 v[8:9], v76, v[8:9]
	v_bfi_b32 v19, v19, 0, 0
	s_delay_alu instid0(VALU_DEP_1) | instskip(NEXT) | instid1(VALU_DEP_3)
	v_cmp_eq_u64_e64 s14, v[18:19], v[44:45]
	v_mov_b64_e32 v[44:45], v[8:9]
	s_and_saveexec_b32 s79, s14
; %bb.4192:                             ;   in Loop: Header=BB2_3198 Depth=4
	v_bfe_u32 v18, v8, 21, 1
	v_mov_b32_e32 v19, v3
	s_delay_alu instid0(VALU_DEP_1) | instskip(NEXT) | instid1(VALU_DEP_1)
	v_add_nc_u64_e32 v[18:19], v[8:9], v[18:19]
	v_add_nc_u64_e32 v[44:45], -1, v[18:19]
; %bb.4193:                             ;   in Loop: Header=BB2_3198 Depth=4
	s_or_b32 exec_lo, exec_lo, s79
	v_add_nc_u32_e32 v9, 0xffffff81, v74
	v_lshrrev_b32_e32 v18, 23, v8
	s_mov_b32 s14, exec_lo
	s_delay_alu instid0(VALU_DEP_2) | instskip(NEXT) | instid1(VALU_DEP_1)
	v_cndmask_b32_e64 v9, v9, 0xffffff82, vcc_lo
	v_add3_u32 v45, v76, v9, v18
	v_and_b32_e32 v9, 0x1fffff, v44
                                        ; implicit-def: $vgpr44
	s_delay_alu instid0(VALU_DEP_1) | instskip(SKIP_1) | instid1(VALU_DEP_2)
	v_dual_add_nc_u32 v74, 14, v45 :: v_dual_add_nc_u32 v8, v9, v8
	v_mov_b32_e32 v9, v3
	v_cmpx_ne_u32_e32 0, v74
	s_xor_b32 s14, exec_lo, s14
; %bb.4194:                             ;   in Loop: Header=BB2_3198 Depth=4
	s_delay_alu instid0(VALU_DEP_2) | instskip(SKIP_1) | instid1(VALU_DEP_1)
	v_cmp_lt_u64_e32 vcc_lo, 0xffffff, v[8:9]
	v_add_nc_u32_e32 v18, 15, v45
	v_cndmask_b32_e32 v44, v74, v18, vcc_lo
	v_cndmask_b32_e64 v18, 0, 1, vcc_lo
	s_delay_alu instid0(VALU_DEP_1)
	v_lshrrev_b64 v[8:9], v18, v[8:9]
; %bb.4195:                             ;   in Loop: Header=BB2_3198 Depth=4
	s_and_not1_saveexec_b32 s14, s14
; %bb.4196:                             ;   in Loop: Header=BB2_3198 Depth=4
	s_delay_alu instid0(VALU_DEP_1)
	v_bfe_u32 v44, v8, 23, 1
; %bb.4197:                             ;   in Loop: Header=BB2_3198 Depth=4
	s_or_b32 exec_lo, exec_lo, s14
	s_delay_alu instid0(VALU_DEP_2) | instskip(NEXT) | instid1(VALU_DEP_2)
	v_lshrrev_b64 v[8:9], 21, v[8:9]
	v_cmp_gt_i32_e32 vcc_lo, 32, v44
	v_min_i32_e32 v18, 31, v44
	v_cmp_eq_u32_e64 s14, 0, v44
	s_delay_alu instid0(VALU_DEP_2) | instskip(SKIP_1) | instid1(VALU_DEP_2)
	v_dual_cndmask_b32 v9, 0, v9 :: v_dual_lshlrev_b32 v18, 2, v18
	v_cndmask_b32_e32 v8, 3, v8, vcc_lo
	v_and_b32_e32 v18, 0xfc, v18
	s_delay_alu instid0(VALU_DEP_2) | instskip(NEXT) | instid1(VALU_DEP_2)
	v_cmp_eq_u64_e32 vcc_lo, 0, v[8:9]
	v_and_or_b32 v8, v8, 3, v18
	s_and_b32 s14, s14, vcc_lo
	s_delay_alu instid0(VALU_DEP_1) | instid1(SALU_CYCLE_1)
	v_cndmask_b32_e64 v8, v8, 0, s14
	s_delay_alu instid0(VALU_DEP_1)
	v_or_b32_e32 v44, v8, v47
.LBB2_4198:                             ;   in Loop: Header=BB2_3198 Depth=4
	s_or_b32 exec_lo, exec_lo, s78
                                        ; implicit-def: $vgpr47
.LBB2_4199:                             ;   in Loop: Header=BB2_3198 Depth=4
	s_and_not1_saveexec_b32 s14, s77
; %bb.4200:                             ;   in Loop: Header=BB2_3198 Depth=4
	v_or_b32_e32 v44, 0x7b, v47
; %bb.4201:                             ;   in Loop: Header=BB2_3198 Depth=4
	s_or_b32 exec_lo, exec_lo, s14
                                        ; implicit-def: $vgpr45
                                        ; implicit-def: $vgpr8_vgpr9
                                        ; implicit-def: $vgpr47
.LBB2_4202:                             ;   in Loop: Header=BB2_3198 Depth=4
	s_and_not1_saveexec_b32 s14, s76
	s_cbranch_execz .LBB2_4208
; %bb.4203:                             ;   in Loop: Header=BB2_3198 Depth=4
	s_mov_b32 s76, exec_lo
                                        ; implicit-def: $vgpr44
	v_cmpx_ne_u64_e32 0, v[8:9]
	s_xor_b32 s76, exec_lo, s76
; %bb.4204:                             ;   in Loop: Header=BB2_3198 Depth=4
	v_or_b32_e32 v44, 0x7f, v47
                                        ; implicit-def: $vgpr45
; %bb.4205:                             ;   in Loop: Header=BB2_3198 Depth=4
	s_and_not1_saveexec_b32 s76, s76
; %bb.4206:                             ;   in Loop: Header=BB2_3198 Depth=4
	v_cmp_lt_i32_e32 vcc_lo, -1, v45
	v_cndmask_b32_e32 v44, 0xfc, v120, vcc_lo
; %bb.4207:                             ;   in Loop: Header=BB2_3198 Depth=4
	s_or_b32 exec_lo, exec_lo, s76
.LBB2_4208:                             ;   in Loop: Header=BB2_3198 Depth=4
	s_delay_alu instid0(SALU_CYCLE_1)
	s_or_b32 exec_lo, exec_lo, s14
	v_mov_b32_e32 v9, 0
	s_mov_b32 s14, exec_lo
	v_cmpx_lt_u32_e32 0xffffff, v2
	s_cbranch_execz .LBB2_4218
; %bb.4209:                             ;   in Loop: Header=BB2_3198 Depth=4
	v_lshrrev_b32_e32 v8, 24, v2
	v_bfrev_b32_e32 v9, 1
	s_mov_b32 s76, exec_lo
	s_delay_alu instid0(VALU_DEP_2)
	v_cmpx_ne_u32_e32 0x80, v8
	s_cbranch_execz .LBB2_4217
; %bb.4210:                             ;   in Loop: Header=BB2_3198 Depth=4
	v_and_b32_e32 v9, 0x7c000000, v2
	v_bfe_u32 v45, v2, 24, 2
	s_delay_alu instid0(VALU_DEP_2) | instskip(SKIP_1) | instid1(SALU_CYCLE_1)
	v_cmp_ne_u32_e32 vcc_lo, 0x7c000000, v9
                                        ; implicit-def: $vgpr9
	s_and_saveexec_b32 s77, vcc_lo
	s_xor_b32 s77, exec_lo, s77
	s_cbranch_execz .LBB2_4214
; %bb.4211:                             ;   in Loop: Header=BB2_3198 Depth=4
	v_bfe_u32 v9, v2, 26, 5
	s_mov_b32 s78, exec_lo
	s_delay_alu instid0(VALU_DEP_1)
	v_cmpx_eq_u32_e32 0, v9
; %bb.4212:                             ;   in Loop: Header=BB2_3198 Depth=4
	v_clz_i32_u32_e32 v9, v45
	s_delay_alu instid0(VALU_DEP_1) | instskip(NEXT) | instid1(VALU_DEP_1)
	v_min_u32_e32 v18, 32, v9
	v_subrev_nc_u32_e32 v9, 29, v18
	s_delay_alu instid0(VALU_DEP_1) | instskip(NEXT) | instid1(VALU_DEP_1)
	v_lshlrev_b64_e32 v[8:9], v9, v[8:9]
	v_dual_sub_nc_u32 v9, 30, v18 :: v_dual_bitop2_b32 v45, 3, v8 bitop3:0x40
; %bb.4213:                             ;   in Loop: Header=BB2_3198 Depth=4
	s_or_b32 exec_lo, exec_lo, s78
	v_and_b32_e32 v2, 0x80000000, v2
	s_delay_alu instid0(VALU_DEP_1) | instskip(NEXT) | instid1(VALU_DEP_1)
	v_lshl_add_u32 v2, v9, 23, v2
	v_lshl_or_b32 v2, v45, 21, v2
                                        ; implicit-def: $vgpr45
	s_delay_alu instid0(VALU_DEP_1)
	v_add_nc_u32_e32 v9, 0x38000000, v2
.LBB2_4214:                             ;   in Loop: Header=BB2_3198 Depth=4
	s_and_not1_saveexec_b32 s77, s77
; %bb.4215:                             ;   in Loop: Header=BB2_3198 Depth=4
	v_cmp_lt_i32_e32 vcc_lo, -1, v2
	v_cndmask_b32_e32 v2, 0xff800000, v111, vcc_lo
	v_cmp_eq_u32_e32 vcc_lo, 0, v45
	s_delay_alu instid0(VALU_DEP_2)
	v_cndmask_b32_e32 v9, 0x7f800001, v2, vcc_lo
; %bb.4216:                             ;   in Loop: Header=BB2_3198 Depth=4
	s_or_b32 exec_lo, exec_lo, s77
.LBB2_4217:                             ;   in Loop: Header=BB2_3198 Depth=4
	s_delay_alu instid0(SALU_CYCLE_1)
	s_or_b32 exec_lo, exec_lo, s76
.LBB2_4218:                             ;   in Loop: Header=BB2_3198 Depth=4
	s_delay_alu instid0(SALU_CYCLE_1) | instskip(SKIP_2) | instid1(VALU_DEP_2)
	s_or_b32 exec_lo, exec_lo, s14
	v_bfe_u32 v8, v11, 24, 2
	v_bfe_u32 v47, v11, 26, 5
	v_clz_i32_u32_e32 v2, v8
	s_delay_alu instid0(VALU_DEP_2) | instskip(NEXT) | instid1(VALU_DEP_2)
	v_cmp_eq_u32_e32 vcc_lo, 0, v47
	v_min_u32_e32 v45, 32, v2
	v_lshrrev_b32_e32 v2, 24, v11
	s_delay_alu instid0(VALU_DEP_2) | instskip(NEXT) | instid1(VALU_DEP_1)
	v_subrev_nc_u32_e32 v18, 29, v45
	v_lshlrev_b64_e32 v[18:19], v18, v[2:3]
	v_sub_nc_u32_e32 v19, 30, v45
	v_and_b32_e32 v45, 0x80000000, v11
	s_delay_alu instid0(VALU_DEP_2) | instskip(NEXT) | instid1(VALU_DEP_1)
	v_dual_cndmask_b32 v19, v47, v19, vcc_lo :: v_dual_bitop2_b32 v18, 3, v18 bitop3:0x40
	v_lshl_add_u32 v19, v19, 23, v45
	s_delay_alu instid0(VALU_DEP_2) | instskip(SKIP_1) | instid1(VALU_DEP_2)
	v_cndmask_b32_e32 v18, v8, v18, vcc_lo
	v_cmp_lt_i64_e32 vcc_lo, -1, v[10:11]
	v_lshl_or_b32 v18, v18, 21, v19
	v_and_b32_e32 v19, 0x7c000000, v11
	v_cndmask_b32_e32 v45, 0xff800000, v111, vcc_lo
	v_cmp_eq_u32_e32 vcc_lo, 0, v8
	s_delay_alu instid0(VALU_DEP_4) | instskip(NEXT) | instid1(VALU_DEP_3)
	v_add_nc_u32_e32 v18, 0x38000000, v18
	v_cndmask_b32_e32 v8, 0x7f800001, v45, vcc_lo
	v_cmp_eq_u32_e32 vcc_lo, 0x7c000000, v19
	s_delay_alu instid0(VALU_DEP_2) | instskip(SKIP_1) | instid1(VALU_DEP_2)
	v_cndmask_b32_e32 v8, v18, v8, vcc_lo
	v_cmp_ne_u32_e32 vcc_lo, 0x80, v2
	v_cndmask_b32_e32 v2, 0x80000000, v8, vcc_lo
	v_cmp_lt_u64_e32 vcc_lo, s[22:23], v[10:11]
	v_mov_b32_e32 v11, v3
                                        ; implicit-def: $vgpr8
	s_delay_alu instid0(VALU_DEP_3) | instskip(NEXT) | instid1(VALU_DEP_1)
	v_cndmask_b32_e32 v2, 0, v2, vcc_lo
	v_add_f32_e32 v9, v2, v9
	s_delay_alu instid0(VALU_DEP_1) | instskip(SKIP_1) | instid1(VALU_DEP_2)
	v_and_b32_e32 v10, 0x7f800000, v9
	v_and_b32_e32 v2, 0x7fffff, v9
	v_cmp_ne_u64_e32 vcc_lo, 0x7f800000, v[10:11]
	v_lshrrev_b32_e32 v10, 24, v9
	s_and_saveexec_b32 s14, vcc_lo
	s_delay_alu instid0(SALU_CYCLE_1)
	s_xor_b32 s76, exec_lo, s14
	s_cbranch_execz .LBB2_4232
; %bb.4219:                             ;   in Loop: Header=BB2_3198 Depth=4
	v_and_b32_e32 v18, 0x7fffffff, v9
	v_mov_b32_e32 v19, v3
	v_and_b32_e32 v45, 0x80, v10
                                        ; implicit-def: $vgpr8
	s_mov_b32 s14, exec_lo
	s_delay_alu instid0(VALU_DEP_2)
	v_cmpx_gt_u64_e32 0x47600001, v[18:19]
	s_xor_b32 s77, exec_lo, s14
	s_cbranch_execz .LBB2_4229
; %bb.4220:                             ;   in Loop: Header=BB2_3198 Depth=4
	v_mov_b32_e32 v8, 0
	s_mov_b32 s78, exec_lo
	v_cmpx_ne_u32_e32 0, v9
	s_cbranch_execz .LBB2_4228
; %bb.4221:                             ;   in Loop: Header=BB2_3198 Depth=4
	v_bfe_u32 v47, v9, 23, 8
	v_or_b32_e32 v10, 0x800000, v2
	s_delay_alu instid0(VALU_DEP_2) | instskip(SKIP_1) | instid1(VALU_DEP_2)
	v_sub_nc_u32_e32 v8, 0x71, v47
	v_cmp_gt_u32_e32 vcc_lo, 0x72, v47
	v_cndmask_b32_e32 v8, 0, v8, vcc_lo
	v_cmp_eq_u32_e32 vcc_lo, 0, v47
	s_delay_alu instid0(VALU_DEP_2) | instskip(SKIP_1) | instid1(VALU_DEP_2)
	v_cndmask_b32_e64 v74, v8, 0x70, vcc_lo
	v_cndmask_b32_e32 v2, v10, v2, vcc_lo
	v_dual_add_nc_u32 v8, 21, v74 :: v_dual_add_nc_u32 v11, 20, v74
	s_delay_alu instid0(VALU_DEP_1) | instskip(NEXT) | instid1(VALU_DEP_2)
	v_lshlrev_b64_e64 v[8:9], v8, -1
	v_lshlrev_b64_e64 v[10:11], v11, 1
	s_delay_alu instid0(VALU_DEP_2) | instskip(NEXT) | instid1(VALU_DEP_3)
	v_bfi_b32 v19, v9, 0, 0
	v_bfi_b32 v18, v8, 0, v2
	v_lshrrev_b64 v[8:9], v74, v[2:3]
	s_delay_alu instid0(VALU_DEP_2) | instskip(NEXT) | instid1(VALU_DEP_2)
	v_cmp_eq_u64_e64 s14, v[18:19], v[10:11]
	v_mov_b64_e32 v[10:11], v[8:9]
	s_and_saveexec_b32 s79, s14
; %bb.4222:                             ;   in Loop: Header=BB2_3198 Depth=4
	v_bfe_u32 v2, v8, 21, 1
	s_delay_alu instid0(VALU_DEP_1) | instskip(NEXT) | instid1(VALU_DEP_1)
	v_add_nc_u64_e32 v[10:11], v[8:9], v[2:3]
	v_add_nc_u64_e32 v[10:11], -1, v[10:11]
; %bb.4223:                             ;   in Loop: Header=BB2_3198 Depth=4
	s_or_b32 exec_lo, exec_lo, s79
	v_add_nc_u32_e32 v2, 0xffffff81, v47
	v_lshrrev_b32_e32 v9, 23, v8
	s_mov_b32 s14, exec_lo
	s_delay_alu instid0(VALU_DEP_2) | instskip(NEXT) | instid1(VALU_DEP_1)
	v_cndmask_b32_e64 v2, v2, 0xffffff82, vcc_lo
	v_add3_u32 v11, v74, v2, v9
	v_and_b32_e32 v2, 0x1fffff, v10
                                        ; implicit-def: $vgpr10
	s_delay_alu instid0(VALU_DEP_1) | instskip(NEXT) | instid1(VALU_DEP_1)
	v_dual_add_nc_u32 v47, 14, v11 :: v_dual_add_nc_u32 v2, v2, v8
                                        ; implicit-def: $vgpr8_vgpr9
	v_cmpx_ne_u32_e32 0, v47
	s_xor_b32 s14, exec_lo, s14
; %bb.4224:                             ;   in Loop: Header=BB2_3198 Depth=4
	s_delay_alu instid0(VALU_DEP_2) | instskip(SKIP_1) | instid1(VALU_DEP_1)
	v_cmp_lt_u64_e32 vcc_lo, 0xffffff, v[2:3]
	v_add_nc_u32_e32 v8, 15, v11
	v_cndmask_b32_e32 v10, v47, v8, vcc_lo
	v_cndmask_b32_e64 v8, 0, 1, vcc_lo
	s_delay_alu instid0(VALU_DEP_1)
	v_lshrrev_b64 v[8:9], v8, v[2:3]
; %bb.4225:                             ;   in Loop: Header=BB2_3198 Depth=4
	s_and_not1_saveexec_b32 s14, s14
; %bb.4226:                             ;   in Loop: Header=BB2_3198 Depth=4
	v_mov_b64_e32 v[8:9], v[2:3]
	v_bfe_u32 v10, v2, 23, 1
; %bb.4227:                             ;   in Loop: Header=BB2_3198 Depth=4
	s_or_b32 exec_lo, exec_lo, s14
	s_delay_alu instid0(VALU_DEP_2) | instskip(NEXT) | instid1(VALU_DEP_2)
	v_lshrrev_b64 v[8:9], 21, v[8:9]
	v_cmp_gt_i32_e32 vcc_lo, 32, v10
	v_min_i32_e32 v2, 31, v10
	v_cmp_eq_u32_e64 s14, 0, v10
	s_delay_alu instid0(VALU_DEP_2) | instskip(SKIP_1) | instid1(VALU_DEP_2)
	v_dual_cndmask_b32 v9, 0, v9 :: v_dual_lshlrev_b32 v2, 2, v2
	v_cndmask_b32_e32 v8, 3, v8, vcc_lo
	v_and_b32_e32 v2, 0xfc, v2
	s_delay_alu instid0(VALU_DEP_2) | instskip(NEXT) | instid1(VALU_DEP_2)
	v_cmp_eq_u64_e32 vcc_lo, 0, v[8:9]
	v_and_or_b32 v2, v8, 3, v2
	s_and_b32 s14, s14, vcc_lo
	s_delay_alu instid0(VALU_DEP_1) | instid1(SALU_CYCLE_1)
	v_cndmask_b32_e64 v2, v2, 0, s14
	s_delay_alu instid0(VALU_DEP_1)
	v_or_b32_e32 v8, v2, v45
.LBB2_4228:                             ;   in Loop: Header=BB2_3198 Depth=4
	s_or_b32 exec_lo, exec_lo, s78
                                        ; implicit-def: $vgpr45
.LBB2_4229:                             ;   in Loop: Header=BB2_3198 Depth=4
	s_and_not1_saveexec_b32 s14, s77
; %bb.4230:                             ;   in Loop: Header=BB2_3198 Depth=4
	v_or_b32_e32 v8, 0x7b, v45
; %bb.4231:                             ;   in Loop: Header=BB2_3198 Depth=4
	s_or_b32 exec_lo, exec_lo, s14
                                        ; implicit-def: $vgpr9
                                        ; implicit-def: $vgpr10
.LBB2_4232:                             ;   in Loop: Header=BB2_3198 Depth=4
	s_and_not1_saveexec_b32 s14, s76
	s_cbranch_execz .LBB2_3197
; %bb.4233:                             ;   in Loop: Header=BB2_3198 Depth=4
	s_mov_b32 s76, exec_lo
                                        ; implicit-def: $vgpr8
	v_cmpx_ne_u64_e32 0, v[2:3]
	s_xor_b32 s76, exec_lo, s76
; %bb.4234:                             ;   in Loop: Header=BB2_3198 Depth=4
	v_or_b32_e32 v8, 0x7f, v10
                                        ; implicit-def: $vgpr9
; %bb.4235:                             ;   in Loop: Header=BB2_3198 Depth=4
	s_and_not1_saveexec_b32 s76, s76
	s_cbranch_execz .LBB2_3196
; %bb.4236:                             ;   in Loop: Header=BB2_3198 Depth=4
	v_cmp_lt_i32_e32 vcc_lo, -1, v9
	v_cndmask_b32_e32 v8, 0xfc, v120, vcc_lo
	s_branch .LBB2_3196
.LBB2_4237:                             ;   in Loop: Header=BB2_3198 Depth=4
	s_or_saveexec_b32 s14, s14
	v_bfrev_b32_e32 v16, 1
	s_xor_b32 exec_lo, exec_lo, s14
	s_cbranch_execz .LBB2_3700
.LBB2_4238:                             ;   in Loop: Header=BB2_3198 Depth=4
	v_cmp_ne_u16_e32 vcc_lo, 0, v45
	v_mov_b32_e32 v16, 0
	s_and_not1_b32 s76, s76, exec_lo
	s_and_b32 s77, vcc_lo, exec_lo
	s_delay_alu instid0(SALU_CYCLE_1)
	s_or_b32 s76, s76, s77
	s_or_b32 exec_lo, exec_lo, s14
	s_and_saveexec_b32 s14, s76
	s_cbranch_execnz .LBB2_3701
	s_branch .LBB2_3702
.LBB2_4239:                             ;   in Loop: Header=BB2_3198 Depth=4
	s_or_saveexec_b32 s14, s14
	v_bfrev_b32_e32 v30, 1
	s_xor_b32 exec_lo, exec_lo, s14
	s_cbranch_execz .LBB2_3736
.LBB2_4240:                             ;   in Loop: Header=BB2_3198 Depth=4
	v_cmp_ne_u16_e32 vcc_lo, 0, v44
	v_mov_b32_e32 v30, 0
	s_and_not1_b32 s76, s76, exec_lo
	s_and_b32 s77, vcc_lo, exec_lo
	s_delay_alu instid0(SALU_CYCLE_1)
	s_or_b32 s76, s76, s77
	s_or_b32 exec_lo, exec_lo, s14
	s_and_saveexec_b32 s14, s76
	s_cbranch_execnz .LBB2_3737
	s_branch .LBB2_3738
.LBB2_4241:                             ;   in Loop: Header=BB2_3198 Depth=4
	s_or_saveexec_b32 s14, s14
	v_bfrev_b32_e32 v45, 1
	s_xor_b32 exec_lo, exec_lo, s14
	s_cbranch_execz .LBB2_3772
.LBB2_4242:                             ;   in Loop: Header=BB2_3198 Depth=4
	v_cmp_ne_u16_e32 vcc_lo, 0, v46
	v_mov_b32_e32 v45, 0
	s_and_not1_b32 s76, s76, exec_lo
	s_and_b32 s77, vcc_lo, exec_lo
	s_delay_alu instid0(SALU_CYCLE_1)
	s_or_b32 s76, s76, s77
	s_or_b32 exec_lo, exec_lo, s14
	s_and_saveexec_b32 s14, s76
	s_cbranch_execnz .LBB2_3773
	s_branch .LBB2_3774
.LBB2_4243:                             ;   in Loop: Header=BB2_3198 Depth=4
	s_or_saveexec_b32 s14, s14
	v_bfrev_b32_e32 v47, 1
	s_xor_b32 exec_lo, exec_lo, s14
	s_cbranch_execz .LBB2_3838
.LBB2_4244:                             ;   in Loop: Header=BB2_3198 Depth=4
	v_cmp_ne_u16_e32 vcc_lo, 0, v45
	v_mov_b32_e32 v47, 0
	s_and_not1_b32 s76, s76, exec_lo
	s_and_b32 s77, vcc_lo, exec_lo
	s_delay_alu instid0(SALU_CYCLE_1)
	s_or_b32 s76, s76, s77
	s_or_b32 exec_lo, exec_lo, s14
	v_mov_b32_e32 v45, v3
	s_and_saveexec_b32 s14, s76
	s_cbranch_execnz .LBB2_3839
	s_branch .LBB2_3840
.LBB2_4245:                             ;   in Loop: Header=BB2_3198 Depth=4
	s_or_saveexec_b32 s14, s14
	v_bfrev_b32_e32 v30, 1
	s_xor_b32 exec_lo, exec_lo, s14
	s_cbranch_execz .LBB2_3874
.LBB2_4246:                             ;   in Loop: Header=BB2_3198 Depth=4
	v_cmp_ne_u16_e32 vcc_lo, 0, v46
	v_mov_b32_e32 v30, 0
	s_and_not1_b32 s76, s76, exec_lo
	s_and_b32 s77, vcc_lo, exec_lo
	s_delay_alu instid0(SALU_CYCLE_1)
	s_or_b32 s76, s76, s77
	s_or_b32 exec_lo, exec_lo, s14
	s_and_saveexec_b32 s14, s76
	s_cbranch_execnz .LBB2_3875
	s_branch .LBB2_3876
.LBB2_4247:                             ;   in Loop: Header=BB2_3198 Depth=4
	s_or_saveexec_b32 s14, s14
	v_bfrev_b32_e32 v45, 1
	s_xor_b32 exec_lo, exec_lo, s14
	s_cbranch_execz .LBB2_3910
.LBB2_4248:                             ;   in Loop: Header=BB2_3198 Depth=4
	v_cmp_ne_u16_e32 vcc_lo, 0, v46
	v_mov_b32_e32 v45, 0
	s_and_not1_b32 s76, s76, exec_lo
	s_and_b32 s77, vcc_lo, exec_lo
	s_delay_alu instid0(SALU_CYCLE_1)
	s_or_b32 s76, s76, s77
	s_or_b32 exec_lo, exec_lo, s14
	s_and_saveexec_b32 s14, s76
	s_cbranch_execnz .LBB2_3911
	s_branch .LBB2_3912
.LBB2_4249:                             ;   in Loop: Header=BB2_3198 Depth=4
	s_or_saveexec_b32 s14, s14
	v_bfrev_b32_e32 v9, 1
	s_xor_b32 exec_lo, exec_lo, s14
	s_cbranch_execz .LBB2_3976
.LBB2_4250:                             ;   in Loop: Header=BB2_3198 Depth=4
	v_cmp_ne_u16_e32 vcc_lo, 0, v44
	v_mov_b32_e32 v9, 0
	s_and_not1_b32 s76, s76, exec_lo
	s_and_b32 s77, vcc_lo, exec_lo
	s_delay_alu instid0(SALU_CYCLE_1)
	s_or_b32 s76, s76, s77
	s_or_b32 exec_lo, exec_lo, s14
	s_and_saveexec_b32 s14, s76
	s_cbranch_execnz .LBB2_3977
	s_branch .LBB2_3978
.LBB2_4251:                             ;   in Loop: Header=BB2_3198 Depth=4
	s_or_saveexec_b32 s14, s14
	v_bfrev_b32_e32 v9, 1
	s_xor_b32 exec_lo, exec_lo, s14
	s_cbranch_execz .LBB2_4012
.LBB2_4252:                             ;   in Loop: Header=BB2_3198 Depth=4
	v_cmp_ne_u16_e32 vcc_lo, 0, v8
	v_mov_b32_e32 v9, 0
	s_and_not1_b32 s76, s76, exec_lo
	s_and_b32 s77, vcc_lo, exec_lo
	s_delay_alu instid0(SALU_CYCLE_1)
	s_or_b32 s76, s76, s77
	s_or_b32 exec_lo, exec_lo, s14
	s_and_saveexec_b32 s14, s76
	s_cbranch_execnz .LBB2_4013
	s_branch .LBB2_4014
.LBB2_4253:                             ;   in Loop: Header=BB2_3198 Depth=4
	s_or_saveexec_b32 s14, s14
	v_bfrev_b32_e32 v44, 1
	s_xor_b32 exec_lo, exec_lo, s14
	s_cbranch_execz .LBB2_4048
.LBB2_4254:                             ;   in Loop: Header=BB2_3198 Depth=4
	v_cmp_ne_u16_e32 vcc_lo, 0, v45
	v_mov_b32_e32 v44, 0
	s_and_not1_b32 s76, s76, exec_lo
	s_and_b32 s77, vcc_lo, exec_lo
	s_delay_alu instid0(SALU_CYCLE_1)
	s_or_b32 s76, s76, s77
	s_or_b32 exec_lo, exec_lo, s14
	s_and_saveexec_b32 s14, s76
	s_cbranch_execnz .LBB2_4049
	s_branch .LBB2_4050
.LBB2_4255:                             ;   in Loop: Header=BB2_3198 Depth=4
	s_or_saveexec_b32 s14, s14
	v_bfrev_b32_e32 v17, 1
	s_xor_b32 exec_lo, exec_lo, s14
	s_cbranch_execz .LBB2_4114
.LBB2_4256:                             ;   in Loop: Header=BB2_3198 Depth=4
	v_cmp_ne_u16_e32 vcc_lo, 0, v9
	v_mov_b32_e32 v17, 0
	s_and_not1_b32 s76, s76, exec_lo
	s_and_b32 s77, vcc_lo, exec_lo
	s_delay_alu instid0(SALU_CYCLE_1)
	s_or_b32 s76, s76, s77
	s_or_b32 exec_lo, exec_lo, s14
	v_mov_b32_e32 v9, v3
	s_and_saveexec_b32 s14, s76
	s_cbranch_execnz .LBB2_4115
	s_branch .LBB2_4116
.LBB2_4257:                             ;   in Loop: Header=BB2_3198 Depth=4
	s_or_saveexec_b32 s14, s14
	v_bfrev_b32_e32 v45, 1
	s_xor_b32 exec_lo, exec_lo, s14
	s_cbranch_execz .LBB2_4150
.LBB2_4258:                             ;   in Loop: Header=BB2_3198 Depth=4
	v_cmp_ne_u16_e32 vcc_lo, 0, v44
	v_mov_b32_e32 v45, 0
	s_and_not1_b32 s76, s76, exec_lo
	s_and_b32 s77, vcc_lo, exec_lo
	s_delay_alu instid0(SALU_CYCLE_1)
	s_or_b32 s76, s76, s77
	s_or_b32 exec_lo, exec_lo, s14
	s_and_saveexec_b32 s14, s76
	s_cbranch_execnz .LBB2_4151
	s_branch .LBB2_4152
.LBB2_4259:                             ;   in Loop: Header=BB2_3198 Depth=4
	s_or_saveexec_b32 s14, s14
	v_bfrev_b32_e32 v44, 1
	s_xor_b32 exec_lo, exec_lo, s14
	s_cbranch_execz .LBB2_4186
.LBB2_4260:                             ;   in Loop: Header=BB2_3198 Depth=4
	v_cmp_ne_u16_e32 vcc_lo, 0, v45
	v_mov_b32_e32 v44, 0
	s_and_not1_b32 s76, s76, exec_lo
	s_and_b32 s77, vcc_lo, exec_lo
	s_delay_alu instid0(SALU_CYCLE_1)
	s_or_b32 s76, s76, s77
	s_or_b32 exec_lo, exec_lo, s14
	s_and_saveexec_b32 s14, s76
	s_cbranch_execnz .LBB2_4187
	s_branch .LBB2_4188
.LBB2_4261:                             ;   in Loop: Header=BB2_2050 Depth=3
	s_or_b32 exec_lo, exec_lo, s73
.LBB2_4262:                             ;   in Loop: Header=BB2_2050 Depth=3
	s_delay_alu instid0(SALU_CYCLE_1) | instskip(NEXT) | instid1(VALU_DEP_2)
	s_or_b32 exec_lo, exec_lo, s72
	v_cmp_lt_i32_e32 vcc_lo, 0, v62
	v_dual_cndmask_b32 v9, 0, v32, vcc_lo :: v_dual_bitop2_b32 v2, 15, v58 bitop3:0x40
	s_delay_alu instid0(VALU_DEP_1) | instskip(NEXT) | instid1(VALU_DEP_1)
	v_dual_sub_nc_u32 v8, v59, v2 :: v_dual_cndmask_b32 v93, v59, v2, s13
	v_dual_cndmask_b32 v2, 0, v8, s13 :: v_dual_sub_nc_u32 v8, v9, v62
	s_delay_alu instid0(VALU_DEP_2) | instskip(NEXT) | instid1(VALU_DEP_2)
	v_cmp_ne_u32_e32 vcc_lo, 0, v93
	v_add3_u32 v30, v61, v103, v2
	s_delay_alu instid0(VALU_DEP_3)
	v_lshl_add_u32 v16, v8, 5, v60
	s_and_b32 s14, vcc_lo, exec_lo
.LBB2_4263:                             ;   in Loop: Header=BB2_2050 Depth=3
	s_or_b32 exec_lo, exec_lo, s15
	s_and_saveexec_b32 s72, s14
	s_cbranch_execz .LBB2_4990
.LBB2_4264:                             ;   in Loop: Header=BB2_2050 Depth=3
	v_dual_ashrrev_i32 v2, 31, v16 :: v_dual_ashrrev_i32 v8, 31, v93
	s_mov_b32 s73, exec_lo
	s_delay_alu instid0(VALU_DEP_1) | instskip(NEXT) | instid1(VALU_DEP_1)
	v_dual_lshrrev_b32 v2, 27, v2 :: v_dual_lshrrev_b32 v8, 24, v8
	v_dual_add_nc_u32 v2, v16, v2 :: v_dual_add_nc_u32 v8, v93, v8
	s_delay_alu instid0(VALU_DEP_1) | instskip(NEXT) | instid1(VALU_DEP_1)
	v_dual_ashrrev_i32 v17, 5, v2 :: v_dual_ashrrev_i32 v94, 8, v8
	v_sub_nc_u32_e32 v103, v94, v17
	s_delay_alu instid0(VALU_DEP_1)
	v_cmpx_lt_i32_e32 0, v103
	s_cbranch_execz .LBB2_4900
; %bb.4265:                             ;   in Loop: Header=BB2_2050 Depth=3
	v_and_b32_e32 v2, 0xffffffe0, v2
	s_trap 2
	ds_load_b64 v[10:11], v0
	v_lshlrev_b32_e32 v8, 8, v17
	v_add_nc_u64_e32 v[116:117], 0xe0, v[116:117]
	v_sub_nc_u32_e32 v2, v16, v2
	s_mov_b32 s74, 0
	s_delay_alu instid0(VALU_DEP_1) | instskip(NEXT) | instid1(VALU_DEP_1)
	v_add3_u32 v18, v30, v2, v8
	v_ashrrev_i32_e32 v19, 31, v18
	s_delay_alu instid0(VALU_DEP_1)
	v_add_nc_u64_e32 v[8:9], v[18:19], v[114:115]
	v_add_nc_u64_e32 v[114:115], v[116:117], v[18:19]
	s_wait_dscnt 0x0
	v_add_nc_u64_e32 v[10:11], v[10:11], v[18:19]
	s_branch .LBB2_4268
.LBB2_4266:                             ;   in Loop: Header=BB2_4268 Depth=4
	s_or_b32 exec_lo, exec_lo, s14
.LBB2_4267:                             ;   in Loop: Header=BB2_4268 Depth=4
	s_delay_alu instid0(SALU_CYCLE_1)
	s_or_b32 exec_lo, exec_lo, s13
	v_sub_nc_u32_e32 v103, v103, v32
	s_clause 0x7
	flat_store_b8 v[114:115], v90 offset:-224 th:TH_STORE_NT
	flat_store_b8 v[114:115], v62 offset:-192 th:TH_STORE_NT
	flat_store_b8 v[114:115], v60 offset:-160 th:TH_STORE_NT
	flat_store_b8 v[114:115], v58 offset:-128 th:TH_STORE_NT
	flat_store_b8 v[114:115], v46 offset:-96 th:TH_STORE_NT
	flat_store_b8 v[114:115], v44 offset:-64 th:TH_STORE_NT
	flat_store_b8 v[114:115], v41 offset:-32 th:TH_STORE_NT
	flat_store_b8 v[114:115], v117 th:TH_STORE_NT
	v_add_nc_u64_e32 v[8:9], v[8:9], v[54:55]
	v_add_nc_u64_e32 v[10:11], v[10:11], v[54:55]
	s_wait_xcnt 0x0
	v_add_nc_u64_e32 v[114:115], v[114:115], v[54:55]
	v_cmp_gt_i32_e32 vcc_lo, 1, v103
	s_or_b32 s74, vcc_lo, s74
	s_delay_alu instid0(SALU_CYCLE_1)
	s_and_not1_b32 exec_lo, exec_lo, s74
	s_cbranch_execz .LBB2_4899
.LBB2_4268:                             ;   Parent Loop BB2_47 Depth=1
                                        ;     Parent Loop BB2_2047 Depth=2
                                        ;       Parent Loop BB2_2050 Depth=3
                                        ; =>      This Inner Loop Header: Depth=4
	s_trap 2
	ds_load_b64 v[18:19], v0
	s_mov_b32 s75, 0
	s_wait_dscnt 0x0
	v_and_b32_e32 v2, 0xff, v18
	v_readfirstlane_b32 s14, v18
	v_readfirstlane_b32 s15, v19
	s_delay_alu instid0(VALU_DEP_3)
	v_cmp_eq_u32_e32 vcc_lo, 0, v2
	s_cbranch_vccnz .LBB2_4276
; %bb.4269:                             ;   in Loop: Header=BB2_4268 Depth=4
	s_bfe_i32 s13, s14, 0x80000
	s_delay_alu instid0(SALU_CYCLE_1) | instskip(NEXT) | instid1(SALU_CYCLE_1)
	s_and_b32 s75, 0xffff, s13
	s_cmp_eq_u32 s75, 0xff80
	s_brev_b32 s75, 1
	s_cbranch_scc1 .LBB2_4276
; %bb.4270:                             ;   in Loop: Header=BB2_4268 Depth=4
	s_and_b32 s75, s14, 0x7c
	s_and_b32 s76, s14, 3
	s_cmp_lg_u32 s75, 0x7c
	s_mov_b32 s77, -1
                                        ; implicit-def: $sgpr75
	s_cbranch_scc0 .LBB2_4274
; %bb.4271:                             ;   in Loop: Header=BB2_4268 Depth=4
	s_bfe_u32 s75, s14, 0x50002
	s_mov_b32 s77, s76
	s_cmp_lg_u32 s75, 0
	s_cbranch_scc1 .LBB2_4273
; %bb.4272:                             ;   in Loop: Header=BB2_4268 Depth=4
	s_clz_i32_u32 s75, s76
	s_delay_alu instid0(SALU_CYCLE_1) | instskip(NEXT) | instid1(SALU_CYCLE_1)
	s_min_u32 s75, s75, 32
	s_sub_co_i32 s77, s75, 29
	s_sub_co_i32 s75, 30, s75
	s_lshl_b64 s[14:15], s[14:15], s77
	s_delay_alu instid0(SALU_CYCLE_1)
	s_and_b32 s77, s14, 3
.LBB2_4273:                             ;   in Loop: Header=BB2_4268 Depth=4
	s_sext_i32_i16 s14, s13
	s_lshl_b32 s15, s75, 23
	s_and_b32 s14, s14, 0x80000000
	s_lshl_b32 s75, s77, 21
	s_add_co_i32 s15, s15, s14
	s_mov_b32 s77, 0
	s_or_b32 s14, s15, s75
	s_delay_alu instid0(SALU_CYCLE_1)
	s_add_co_i32 s75, s14, 0x38000000
.LBB2_4274:                             ;   in Loop: Header=BB2_4268 Depth=4
	s_and_b32 vcc_lo, exec_lo, s77
	s_cbranch_vccz .LBB2_4276
; %bb.4275:                             ;   in Loop: Header=BB2_4268 Depth=4
	s_sext_i32_i16 s13, s13
	s_delay_alu instid0(SALU_CYCLE_1)
	s_cmp_gt_i32 s13, -1
	s_cselect_b32 s13, s47, 0xff800000
	s_cmp_eq_u32 s76, 0
	s_cselect_b32 s75, s13, 0x7f800001
.LBB2_4276:                             ;   in Loop: Header=BB2_4268 Depth=4
	flat_load_i8 v2, v[8:9] th:TH_LOAD_NT
	v_mov_b32_e32 v117, 0
	s_mov_b32 s13, exec_lo
	s_wait_loadcnt_dscnt 0x0
	v_cmpx_ne_u16_e32 0, v2
	s_cbranch_execz .LBB2_4286
; %bb.4277:                             ;   in Loop: Header=BB2_4268 Depth=4
	v_bfrev_b32_e32 v117, 1
	s_mov_b32 s14, exec_lo
	v_cmpx_ne_u16_e32 0xff80, v2
	s_cbranch_execz .LBB2_4285
; %bb.4278:                             ;   in Loop: Header=BB2_4268 Depth=4
	v_and_b32_e32 v18, 0x7c, v2
	v_and_b32_e32 v116, 3, v2
	s_mov_b32 s15, exec_lo
                                        ; implicit-def: $vgpr117
	s_delay_alu instid0(VALU_DEP_2)
	v_cmpx_ne_u32_e32 0x7c, v18
	s_xor_b32 s15, exec_lo, s15
	s_cbranch_execz .LBB2_4282
; %bb.4279:                             ;   in Loop: Header=BB2_4268 Depth=4
	v_and_b32_e32 v18, 0xff, v2
	s_mov_b32 s76, exec_lo
	s_delay_alu instid0(VALU_DEP_1) | instskip(NEXT) | instid1(VALU_DEP_1)
	v_bfe_u32 v117, v18, 2, 5
	v_cmpx_eq_u32_e32 0, v117
; %bb.4280:                             ;   in Loop: Header=BB2_4268 Depth=4
	v_clz_i32_u32_e32 v18, v116
	s_delay_alu instid0(VALU_DEP_1) | instskip(NEXT) | instid1(VALU_DEP_1)
	v_min_u32_e32 v116, 32, v18
	v_subrev_nc_u32_e32 v18, 29, v116
	s_delay_alu instid0(VALU_DEP_1) | instskip(NEXT) | instid1(VALU_DEP_1)
	v_lshlrev_b64_e32 v[18:19], v18, v[2:3]
	v_dual_sub_nc_u32 v117, 30, v116 :: v_dual_bitop2_b32 v116, 3, v18 bitop3:0x40
; %bb.4281:                             ;   in Loop: Header=BB2_4268 Depth=4
	s_or_b32 exec_lo, exec_lo, s76
	v_bfe_i32 v2, v2, 0, 16
	s_delay_alu instid0(VALU_DEP_1) | instskip(NEXT) | instid1(VALU_DEP_1)
	v_and_b32_e32 v2, 0x80000000, v2
	v_lshl_add_u32 v2, v117, 23, v2
	s_delay_alu instid0(VALU_DEP_1) | instskip(NEXT) | instid1(VALU_DEP_1)
	v_lshl_or_b32 v2, v116, 21, v2
                                        ; implicit-def: $vgpr116
	v_add_nc_u32_e32 v117, 0x38000000, v2
.LBB2_4282:                             ;   in Loop: Header=BB2_4268 Depth=4
	s_and_not1_saveexec_b32 s15, s15
; %bb.4283:                             ;   in Loop: Header=BB2_4268 Depth=4
	v_cmp_lt_i16_e32 vcc_lo, -1, v2
	v_cndmask_b32_e32 v2, 0xff800000, v111, vcc_lo
	v_cmp_eq_u32_e32 vcc_lo, 0, v116
	s_delay_alu instid0(VALU_DEP_2)
	v_cndmask_b32_e32 v117, 0x7f800001, v2, vcc_lo
; %bb.4284:                             ;   in Loop: Header=BB2_4268 Depth=4
	s_or_b32 exec_lo, exec_lo, s15
.LBB2_4285:                             ;   in Loop: Header=BB2_4268 Depth=4
	s_delay_alu instid0(SALU_CYCLE_1)
	s_or_b32 exec_lo, exec_lo, s14
.LBB2_4286:                             ;   in Loop: Header=BB2_4268 Depth=4
	s_delay_alu instid0(SALU_CYCLE_1) | instskip(NEXT) | instid1(VALU_DEP_1)
	s_or_b32 exec_lo, exec_lo, s13
	v_dual_mul_f32 v116, s75, v117 :: v_dual_mov_b32 v19, v3
                                        ; implicit-def: $vgpr62
	s_mov_b32 s13, exec_lo
	s_delay_alu instid0(VALU_DEP_1) | instskip(SKIP_1) | instid1(VALU_DEP_2)
	v_and_b32_e32 v18, 0x7f800000, v116
	v_and_b32_e32 v2, 0x7fffff, v116
	v_cmpx_ne_u64_e32 0x7f800000, v[18:19]
	s_xor_b32 s14, exec_lo, s13
	s_cbranch_execz .LBB2_4304
; %bb.4287:                             ;   in Loop: Header=BB2_4268 Depth=4
	v_dual_mov_b32 v19, v3 :: v_dual_lshrrev_b32 v117, 24, v116
	v_and_b32_e32 v18, 0x7fffffff, v116
                                        ; implicit-def: $vgpr62
	s_mov_b32 s13, exec_lo
	s_delay_alu instid0(VALU_DEP_2) | instskip(NEXT) | instid1(VALU_DEP_2)
	v_and_b32_e32 v40, 0x80, v117
	v_cmpx_gt_u64_e32 0x47600001, v[18:19]
	s_xor_b32 s15, exec_lo, s13
	s_cbranch_execz .LBB2_4301
; %bb.4288:                             ;   in Loop: Header=BB2_4268 Depth=4
	v_mov_b32_e32 v62, 0
	s_mov_b32 s76, exec_lo
	v_cmpx_ne_u32_e32 0, v116
	s_cbranch_execz .LBB2_4300
; %bb.4289:                             ;   in Loop: Header=BB2_4268 Depth=4
	v_bfe_u32 v41, v116, 23, 8
	v_or_b32_e32 v116, 0x800000, v2
	s_delay_alu instid0(VALU_DEP_2) | instskip(SKIP_1) | instid1(VALU_DEP_2)
	v_sub_nc_u32_e32 v18, 0x71, v41
	v_cmp_gt_u32_e32 vcc_lo, 0x72, v41
	v_cndmask_b32_e32 v18, 0, v18, vcc_lo
	v_cmp_eq_u32_e32 vcc_lo, 0, v41
	s_delay_alu instid0(VALU_DEP_2) | instskip(SKIP_1) | instid1(VALU_DEP_2)
	v_cndmask_b32_e64 v42, v18, 0x70, vcc_lo
	v_cndmask_b32_e32 v2, v116, v2, vcc_lo
	v_dual_add_nc_u32 v18, 21, v42 :: v_dual_add_nc_u32 v117, 20, v42
	s_delay_alu instid0(VALU_DEP_1) | instskip(NEXT) | instid1(VALU_DEP_2)
	v_lshlrev_b64_e64 v[18:19], v18, -1
	v_lshlrev_b64_e64 v[118:119], v117, 1
	s_delay_alu instid0(VALU_DEP_4) | instskip(NEXT) | instid1(VALU_DEP_3)
	v_lshrrev_b64 v[116:117], v42, v[2:3]
	v_bfi_b32 v19, v19, 0, 0
	s_delay_alu instid0(VALU_DEP_4) | instskip(NEXT) | instid1(VALU_DEP_1)
	v_bfi_b32 v18, v18, 0, v2
	v_cmp_eq_u64_e64 s13, v[18:19], v[118:119]
	s_delay_alu instid0(VALU_DEP_4)
	v_mov_b64_e32 v[118:119], v[116:117]
	s_and_saveexec_b32 s77, s13
; %bb.4290:                             ;   in Loop: Header=BB2_4268 Depth=4
	v_bfe_u32 v2, v116, 21, 1
	s_delay_alu instid0(VALU_DEP_1) | instskip(NEXT) | instid1(VALU_DEP_1)
	v_add_nc_u64_e32 v[18:19], v[116:117], v[2:3]
	v_add_nc_u64_e32 v[118:119], -1, v[18:19]
; %bb.4291:                             ;   in Loop: Header=BB2_4268 Depth=4
	s_or_b32 exec_lo, exec_lo, s77
	v_add_nc_u32_e32 v2, 0xffffff81, v41
	v_lshrrev_b32_e32 v18, 23, v116
	s_mov_b32 s13, exec_lo
	s_delay_alu instid0(VALU_DEP_2) | instskip(NEXT) | instid1(VALU_DEP_1)
	v_cndmask_b32_e64 v2, v2, 0xffffff82, vcc_lo
	v_add3_u32 v119, v42, v2, v18
	v_and_b32_e32 v2, 0x1fffff, v118
                                        ; implicit-def: $vgpr118
	s_delay_alu instid0(VALU_DEP_1) | instskip(NEXT) | instid1(VALU_DEP_1)
	v_dual_add_nc_u32 v41, 14, v119 :: v_dual_add_nc_u32 v2, v2, v116
                                        ; implicit-def: $vgpr116_vgpr117
	v_cmpx_ne_u32_e32 0, v41
	s_xor_b32 s13, exec_lo, s13
; %bb.4292:                             ;   in Loop: Header=BB2_4268 Depth=4
	s_delay_alu instid0(VALU_DEP_2) | instskip(SKIP_1) | instid1(VALU_DEP_1)
	v_cmp_lt_u64_e32 vcc_lo, 0xffffff, v[2:3]
	v_add_nc_u32_e32 v18, 15, v119
	v_cndmask_b32_e32 v118, v41, v18, vcc_lo
	v_cndmask_b32_e64 v18, 0, 1, vcc_lo
	s_delay_alu instid0(VALU_DEP_1)
	v_lshrrev_b64 v[116:117], v18, v[2:3]
; %bb.4293:                             ;   in Loop: Header=BB2_4268 Depth=4
	s_and_not1_saveexec_b32 s13, s13
; %bb.4294:                             ;   in Loop: Header=BB2_4268 Depth=4
	v_mov_b64_e32 v[116:117], v[2:3]
	v_bfe_u32 v118, v2, 23, 1
; %bb.4295:                             ;   in Loop: Header=BB2_4268 Depth=4
	s_or_b32 exec_lo, exec_lo, s13
	s_delay_alu instid0(VALU_DEP_2) | instskip(NEXT) | instid1(VALU_DEP_2)
	v_lshrrev_b64 v[18:19], 21, v[116:117]
	v_cmp_gt_i32_e32 vcc_lo, 32, v118
	v_cmp_ne_u32_e64 s13, 0, v118
                                        ; implicit-def: $vgpr62
	s_delay_alu instid0(VALU_DEP_3) | instskip(NEXT) | instid1(VALU_DEP_1)
	v_dual_cndmask_b32 v117, 0, v19 :: v_dual_cndmask_b32 v116, 3, v18
	v_cmp_ne_u64_e32 vcc_lo, 0, v[116:117]
	s_or_b32 s13, s13, vcc_lo
	s_delay_alu instid0(SALU_CYCLE_1) | instskip(NEXT) | instid1(SALU_CYCLE_1)
	s_and_saveexec_b32 s77, s13
	s_xor_b32 s13, exec_lo, s77
; %bb.4296:                             ;   in Loop: Header=BB2_4268 Depth=4
	v_min_i32_e32 v2, 31, v118
	s_delay_alu instid0(VALU_DEP_1) | instskip(NEXT) | instid1(VALU_DEP_1)
	v_lshl_or_b32 v2, v2, 2, v40
                                        ; implicit-def: $vgpr40
	v_and_or_b32 v62, v116, 3, v2
; %bb.4297:                             ;   in Loop: Header=BB2_4268 Depth=4
	s_and_not1_saveexec_b32 s13, s13
; %bb.4298:                             ;   in Loop: Header=BB2_4268 Depth=4
	v_mov_b32_e32 v62, v40
; %bb.4299:                             ;   in Loop: Header=BB2_4268 Depth=4
	s_or_b32 exec_lo, exec_lo, s13
.LBB2_4300:                             ;   in Loop: Header=BB2_4268 Depth=4
	s_delay_alu instid0(SALU_CYCLE_1)
	s_or_b32 exec_lo, exec_lo, s76
                                        ; implicit-def: $vgpr40
.LBB2_4301:                             ;   in Loop: Header=BB2_4268 Depth=4
	s_and_not1_saveexec_b32 s13, s15
; %bb.4302:                             ;   in Loop: Header=BB2_4268 Depth=4
	v_or_b32_e32 v62, 0x7b, v40
; %bb.4303:                             ;   in Loop: Header=BB2_4268 Depth=4
	s_or_b32 exec_lo, exec_lo, s13
                                        ; implicit-def: $vgpr116
.LBB2_4304:                             ;   in Loop: Header=BB2_4268 Depth=4
	s_and_not1_saveexec_b32 s13, s14
	s_cbranch_execz .LBB2_4310
; %bb.4305:                             ;   in Loop: Header=BB2_4268 Depth=4
	s_mov_b32 s14, exec_lo
                                        ; implicit-def: $vgpr62
	v_cmpx_ne_u64_e32 0, v[2:3]
	s_xor_b32 s14, exec_lo, s14
; %bb.4306:                             ;   in Loop: Header=BB2_4268 Depth=4
	v_lshrrev_b32_e32 v2, 24, v116
                                        ; implicit-def: $vgpr116
	s_delay_alu instid0(VALU_DEP_1)
	v_or_b32_e32 v62, 0x7f, v2
; %bb.4307:                             ;   in Loop: Header=BB2_4268 Depth=4
	s_and_not1_saveexec_b32 s14, s14
; %bb.4308:                             ;   in Loop: Header=BB2_4268 Depth=4
	v_cmp_lt_i32_e32 vcc_lo, -1, v116
	v_cndmask_b32_e64 v62, -4, 0x7c, vcc_lo
; %bb.4309:                             ;   in Loop: Header=BB2_4268 Depth=4
	s_or_b32 exec_lo, exec_lo, s14
.LBB2_4310:                             ;   in Loop: Header=BB2_4268 Depth=4
	s_delay_alu instid0(SALU_CYCLE_1)
	s_or_b32 exec_lo, exec_lo, s13
	flat_load_i8 v2, v[8:9] offset:32 th:TH_LOAD_NT
	v_mov_b32_e32 v117, 0
	s_mov_b32 s13, exec_lo
	s_wait_loadcnt_dscnt 0x0
	v_cmpx_ne_u16_e32 0, v2
	s_cbranch_execz .LBB2_4320
; %bb.4311:                             ;   in Loop: Header=BB2_4268 Depth=4
	v_bfrev_b32_e32 v117, 1
	s_mov_b32 s14, exec_lo
	v_cmpx_ne_u16_e32 0xff80, v2
	s_cbranch_execz .LBB2_4319
; %bb.4312:                             ;   in Loop: Header=BB2_4268 Depth=4
	v_and_b32_e32 v18, 0x7c, v2
	v_and_b32_e32 v116, 3, v2
	s_mov_b32 s15, exec_lo
                                        ; implicit-def: $vgpr117
	s_delay_alu instid0(VALU_DEP_2)
	v_cmpx_ne_u32_e32 0x7c, v18
	s_xor_b32 s15, exec_lo, s15
	s_cbranch_execz .LBB2_4316
; %bb.4313:                             ;   in Loop: Header=BB2_4268 Depth=4
	v_and_b32_e32 v18, 0xff, v2
	s_mov_b32 s76, exec_lo
	s_delay_alu instid0(VALU_DEP_1) | instskip(NEXT) | instid1(VALU_DEP_1)
	v_bfe_u32 v117, v18, 2, 5
	v_cmpx_eq_u32_e32 0, v117
; %bb.4314:                             ;   in Loop: Header=BB2_4268 Depth=4
	v_clz_i32_u32_e32 v18, v116
	s_delay_alu instid0(VALU_DEP_1) | instskip(NEXT) | instid1(VALU_DEP_1)
	v_min_u32_e32 v116, 32, v18
	v_subrev_nc_u32_e32 v18, 29, v116
	s_delay_alu instid0(VALU_DEP_1) | instskip(NEXT) | instid1(VALU_DEP_1)
	v_lshlrev_b64_e32 v[18:19], v18, v[2:3]
	v_dual_sub_nc_u32 v117, 30, v116 :: v_dual_bitop2_b32 v116, 3, v18 bitop3:0x40
; %bb.4315:                             ;   in Loop: Header=BB2_4268 Depth=4
	s_or_b32 exec_lo, exec_lo, s76
	v_bfe_i32 v2, v2, 0, 16
	s_delay_alu instid0(VALU_DEP_1) | instskip(NEXT) | instid1(VALU_DEP_1)
	v_and_b32_e32 v2, 0x80000000, v2
	v_lshl_add_u32 v2, v117, 23, v2
	s_delay_alu instid0(VALU_DEP_1) | instskip(NEXT) | instid1(VALU_DEP_1)
	v_lshl_or_b32 v2, v116, 21, v2
                                        ; implicit-def: $vgpr116
	v_add_nc_u32_e32 v117, 0x38000000, v2
.LBB2_4316:                             ;   in Loop: Header=BB2_4268 Depth=4
	s_and_not1_saveexec_b32 s15, s15
; %bb.4317:                             ;   in Loop: Header=BB2_4268 Depth=4
	v_cmp_lt_i16_e32 vcc_lo, -1, v2
	v_cndmask_b32_e32 v2, 0xff800000, v111, vcc_lo
	v_cmp_eq_u32_e32 vcc_lo, 0, v116
	s_delay_alu instid0(VALU_DEP_2)
	v_cndmask_b32_e32 v117, 0x7f800001, v2, vcc_lo
; %bb.4318:                             ;   in Loop: Header=BB2_4268 Depth=4
	s_or_b32 exec_lo, exec_lo, s15
.LBB2_4319:                             ;   in Loop: Header=BB2_4268 Depth=4
	s_delay_alu instid0(SALU_CYCLE_1)
	s_or_b32 exec_lo, exec_lo, s14
.LBB2_4320:                             ;   in Loop: Header=BB2_4268 Depth=4
	s_delay_alu instid0(SALU_CYCLE_1) | instskip(NEXT) | instid1(VALU_DEP_1)
	s_or_b32 exec_lo, exec_lo, s13
	v_dual_mul_f32 v116, s75, v117 :: v_dual_mov_b32 v19, v3
                                        ; implicit-def: $vgpr60
	s_mov_b32 s13, exec_lo
	s_delay_alu instid0(VALU_DEP_1) | instskip(SKIP_1) | instid1(VALU_DEP_2)
	v_and_b32_e32 v18, 0x7f800000, v116
	v_and_b32_e32 v2, 0x7fffff, v116
	v_cmpx_ne_u64_e32 0x7f800000, v[18:19]
	s_xor_b32 s14, exec_lo, s13
	s_cbranch_execz .LBB2_4338
; %bb.4321:                             ;   in Loop: Header=BB2_4268 Depth=4
	v_dual_mov_b32 v19, v3 :: v_dual_lshrrev_b32 v117, 24, v116
	v_and_b32_e32 v18, 0x7fffffff, v116
                                        ; implicit-def: $vgpr60
	s_mov_b32 s13, exec_lo
	s_delay_alu instid0(VALU_DEP_2) | instskip(NEXT) | instid1(VALU_DEP_2)
	v_and_b32_e32 v40, 0x80, v117
	v_cmpx_gt_u64_e32 0x47600001, v[18:19]
	s_xor_b32 s15, exec_lo, s13
	s_cbranch_execz .LBB2_4335
; %bb.4322:                             ;   in Loop: Header=BB2_4268 Depth=4
	v_mov_b32_e32 v60, 0
	s_mov_b32 s76, exec_lo
	v_cmpx_ne_u32_e32 0, v116
	s_cbranch_execz .LBB2_4334
; %bb.4323:                             ;   in Loop: Header=BB2_4268 Depth=4
	v_bfe_u32 v41, v116, 23, 8
	v_or_b32_e32 v116, 0x800000, v2
	s_delay_alu instid0(VALU_DEP_2) | instskip(SKIP_1) | instid1(VALU_DEP_2)
	v_sub_nc_u32_e32 v18, 0x71, v41
	v_cmp_gt_u32_e32 vcc_lo, 0x72, v41
	v_cndmask_b32_e32 v18, 0, v18, vcc_lo
	v_cmp_eq_u32_e32 vcc_lo, 0, v41
	s_delay_alu instid0(VALU_DEP_2) | instskip(SKIP_1) | instid1(VALU_DEP_2)
	v_cndmask_b32_e64 v42, v18, 0x70, vcc_lo
	v_cndmask_b32_e32 v2, v116, v2, vcc_lo
	v_dual_add_nc_u32 v18, 21, v42 :: v_dual_add_nc_u32 v117, 20, v42
	s_delay_alu instid0(VALU_DEP_1) | instskip(NEXT) | instid1(VALU_DEP_2)
	v_lshlrev_b64_e64 v[18:19], v18, -1
	v_lshlrev_b64_e64 v[118:119], v117, 1
	s_delay_alu instid0(VALU_DEP_4) | instskip(NEXT) | instid1(VALU_DEP_3)
	v_lshrrev_b64 v[116:117], v42, v[2:3]
	v_bfi_b32 v19, v19, 0, 0
	s_delay_alu instid0(VALU_DEP_4) | instskip(NEXT) | instid1(VALU_DEP_1)
	v_bfi_b32 v18, v18, 0, v2
	v_cmp_eq_u64_e64 s13, v[18:19], v[118:119]
	s_delay_alu instid0(VALU_DEP_4)
	v_mov_b64_e32 v[118:119], v[116:117]
	s_and_saveexec_b32 s77, s13
; %bb.4324:                             ;   in Loop: Header=BB2_4268 Depth=4
	v_bfe_u32 v2, v116, 21, 1
	s_delay_alu instid0(VALU_DEP_1) | instskip(NEXT) | instid1(VALU_DEP_1)
	v_add_nc_u64_e32 v[18:19], v[116:117], v[2:3]
	v_add_nc_u64_e32 v[118:119], -1, v[18:19]
; %bb.4325:                             ;   in Loop: Header=BB2_4268 Depth=4
	s_or_b32 exec_lo, exec_lo, s77
	v_add_nc_u32_e32 v2, 0xffffff81, v41
	v_lshrrev_b32_e32 v18, 23, v116
	s_mov_b32 s13, exec_lo
	s_delay_alu instid0(VALU_DEP_2) | instskip(NEXT) | instid1(VALU_DEP_1)
	v_cndmask_b32_e64 v2, v2, 0xffffff82, vcc_lo
	v_add3_u32 v119, v42, v2, v18
	v_and_b32_e32 v2, 0x1fffff, v118
                                        ; implicit-def: $vgpr118
	s_delay_alu instid0(VALU_DEP_1) | instskip(NEXT) | instid1(VALU_DEP_1)
	v_dual_add_nc_u32 v41, 14, v119 :: v_dual_add_nc_u32 v2, v2, v116
                                        ; implicit-def: $vgpr116_vgpr117
	v_cmpx_ne_u32_e32 0, v41
	s_xor_b32 s13, exec_lo, s13
; %bb.4326:                             ;   in Loop: Header=BB2_4268 Depth=4
	s_delay_alu instid0(VALU_DEP_2) | instskip(SKIP_1) | instid1(VALU_DEP_1)
	v_cmp_lt_u64_e32 vcc_lo, 0xffffff, v[2:3]
	v_add_nc_u32_e32 v18, 15, v119
	v_cndmask_b32_e32 v118, v41, v18, vcc_lo
	v_cndmask_b32_e64 v18, 0, 1, vcc_lo
	s_delay_alu instid0(VALU_DEP_1)
	v_lshrrev_b64 v[116:117], v18, v[2:3]
; %bb.4327:                             ;   in Loop: Header=BB2_4268 Depth=4
	s_and_not1_saveexec_b32 s13, s13
; %bb.4328:                             ;   in Loop: Header=BB2_4268 Depth=4
	v_mov_b64_e32 v[116:117], v[2:3]
	v_bfe_u32 v118, v2, 23, 1
; %bb.4329:                             ;   in Loop: Header=BB2_4268 Depth=4
	s_or_b32 exec_lo, exec_lo, s13
	s_delay_alu instid0(VALU_DEP_2) | instskip(NEXT) | instid1(VALU_DEP_2)
	v_lshrrev_b64 v[18:19], 21, v[116:117]
	v_cmp_gt_i32_e32 vcc_lo, 32, v118
	v_cmp_ne_u32_e64 s13, 0, v118
                                        ; implicit-def: $vgpr60
	s_delay_alu instid0(VALU_DEP_3) | instskip(NEXT) | instid1(VALU_DEP_1)
	v_dual_cndmask_b32 v117, 0, v19 :: v_dual_cndmask_b32 v116, 3, v18
	v_cmp_ne_u64_e32 vcc_lo, 0, v[116:117]
	s_or_b32 s13, s13, vcc_lo
	s_delay_alu instid0(SALU_CYCLE_1) | instskip(NEXT) | instid1(SALU_CYCLE_1)
	s_and_saveexec_b32 s77, s13
	s_xor_b32 s13, exec_lo, s77
; %bb.4330:                             ;   in Loop: Header=BB2_4268 Depth=4
	v_min_i32_e32 v2, 31, v118
	s_delay_alu instid0(VALU_DEP_1) | instskip(NEXT) | instid1(VALU_DEP_1)
	v_lshl_or_b32 v2, v2, 2, v40
                                        ; implicit-def: $vgpr40
	v_and_or_b32 v60, v116, 3, v2
; %bb.4331:                             ;   in Loop: Header=BB2_4268 Depth=4
	s_and_not1_saveexec_b32 s13, s13
; %bb.4332:                             ;   in Loop: Header=BB2_4268 Depth=4
	v_mov_b32_e32 v60, v40
; %bb.4333:                             ;   in Loop: Header=BB2_4268 Depth=4
	s_or_b32 exec_lo, exec_lo, s13
.LBB2_4334:                             ;   in Loop: Header=BB2_4268 Depth=4
	s_delay_alu instid0(SALU_CYCLE_1)
	s_or_b32 exec_lo, exec_lo, s76
                                        ; implicit-def: $vgpr40
.LBB2_4335:                             ;   in Loop: Header=BB2_4268 Depth=4
	s_and_not1_saveexec_b32 s13, s15
; %bb.4336:                             ;   in Loop: Header=BB2_4268 Depth=4
	v_or_b32_e32 v60, 0x7b, v40
; %bb.4337:                             ;   in Loop: Header=BB2_4268 Depth=4
	s_or_b32 exec_lo, exec_lo, s13
                                        ; implicit-def: $vgpr116
.LBB2_4338:                             ;   in Loop: Header=BB2_4268 Depth=4
	s_and_not1_saveexec_b32 s13, s14
	s_cbranch_execz .LBB2_4344
; %bb.4339:                             ;   in Loop: Header=BB2_4268 Depth=4
	s_mov_b32 s14, exec_lo
                                        ; implicit-def: $vgpr60
	v_cmpx_ne_u64_e32 0, v[2:3]
	s_xor_b32 s14, exec_lo, s14
; %bb.4340:                             ;   in Loop: Header=BB2_4268 Depth=4
	v_lshrrev_b32_e32 v2, 24, v116
                                        ; implicit-def: $vgpr116
	s_delay_alu instid0(VALU_DEP_1)
	v_or_b32_e32 v60, 0x7f, v2
; %bb.4341:                             ;   in Loop: Header=BB2_4268 Depth=4
	s_and_not1_saveexec_b32 s14, s14
; %bb.4342:                             ;   in Loop: Header=BB2_4268 Depth=4
	v_cmp_lt_i32_e32 vcc_lo, -1, v116
	v_cndmask_b32_e64 v60, -4, 0x7c, vcc_lo
; %bb.4343:                             ;   in Loop: Header=BB2_4268 Depth=4
	s_or_b32 exec_lo, exec_lo, s14
.LBB2_4344:                             ;   in Loop: Header=BB2_4268 Depth=4
	s_delay_alu instid0(SALU_CYCLE_1)
	s_or_b32 exec_lo, exec_lo, s13
	flat_load_i8 v2, v[8:9] offset:64 th:TH_LOAD_NT
	v_mov_b32_e32 v117, 0
	s_mov_b32 s13, exec_lo
	s_wait_loadcnt_dscnt 0x0
	v_cmpx_ne_u16_e32 0, v2
	s_cbranch_execz .LBB2_4354
; %bb.4345:                             ;   in Loop: Header=BB2_4268 Depth=4
	v_bfrev_b32_e32 v117, 1
	s_mov_b32 s14, exec_lo
	v_cmpx_ne_u16_e32 0xff80, v2
	s_cbranch_execz .LBB2_4353
; %bb.4346:                             ;   in Loop: Header=BB2_4268 Depth=4
	v_and_b32_e32 v18, 0x7c, v2
	v_and_b32_e32 v116, 3, v2
	s_mov_b32 s15, exec_lo
                                        ; implicit-def: $vgpr117
	s_delay_alu instid0(VALU_DEP_2)
	v_cmpx_ne_u32_e32 0x7c, v18
	s_xor_b32 s15, exec_lo, s15
	s_cbranch_execz .LBB2_4350
; %bb.4347:                             ;   in Loop: Header=BB2_4268 Depth=4
	v_and_b32_e32 v18, 0xff, v2
	s_mov_b32 s76, exec_lo
	s_delay_alu instid0(VALU_DEP_1) | instskip(NEXT) | instid1(VALU_DEP_1)
	v_bfe_u32 v117, v18, 2, 5
	v_cmpx_eq_u32_e32 0, v117
; %bb.4348:                             ;   in Loop: Header=BB2_4268 Depth=4
	v_clz_i32_u32_e32 v18, v116
	s_delay_alu instid0(VALU_DEP_1) | instskip(NEXT) | instid1(VALU_DEP_1)
	v_min_u32_e32 v116, 32, v18
	v_subrev_nc_u32_e32 v18, 29, v116
	s_delay_alu instid0(VALU_DEP_1) | instskip(NEXT) | instid1(VALU_DEP_1)
	v_lshlrev_b64_e32 v[18:19], v18, v[2:3]
	v_dual_sub_nc_u32 v117, 30, v116 :: v_dual_bitop2_b32 v116, 3, v18 bitop3:0x40
; %bb.4349:                             ;   in Loop: Header=BB2_4268 Depth=4
	s_or_b32 exec_lo, exec_lo, s76
	v_bfe_i32 v2, v2, 0, 16
	s_delay_alu instid0(VALU_DEP_1) | instskip(NEXT) | instid1(VALU_DEP_1)
	v_and_b32_e32 v2, 0x80000000, v2
	v_lshl_add_u32 v2, v117, 23, v2
	s_delay_alu instid0(VALU_DEP_1) | instskip(NEXT) | instid1(VALU_DEP_1)
	v_lshl_or_b32 v2, v116, 21, v2
                                        ; implicit-def: $vgpr116
	v_add_nc_u32_e32 v117, 0x38000000, v2
.LBB2_4350:                             ;   in Loop: Header=BB2_4268 Depth=4
	s_and_not1_saveexec_b32 s15, s15
; %bb.4351:                             ;   in Loop: Header=BB2_4268 Depth=4
	v_cmp_lt_i16_e32 vcc_lo, -1, v2
	v_cndmask_b32_e32 v2, 0xff800000, v111, vcc_lo
	v_cmp_eq_u32_e32 vcc_lo, 0, v116
	s_delay_alu instid0(VALU_DEP_2)
	v_cndmask_b32_e32 v117, 0x7f800001, v2, vcc_lo
; %bb.4352:                             ;   in Loop: Header=BB2_4268 Depth=4
	s_or_b32 exec_lo, exec_lo, s15
.LBB2_4353:                             ;   in Loop: Header=BB2_4268 Depth=4
	s_delay_alu instid0(SALU_CYCLE_1)
	s_or_b32 exec_lo, exec_lo, s14
.LBB2_4354:                             ;   in Loop: Header=BB2_4268 Depth=4
	s_delay_alu instid0(SALU_CYCLE_1) | instskip(NEXT) | instid1(VALU_DEP_1)
	s_or_b32 exec_lo, exec_lo, s13
	v_dual_mul_f32 v116, s75, v117 :: v_dual_mov_b32 v19, v3
                                        ; implicit-def: $vgpr58
	s_mov_b32 s13, exec_lo
	s_delay_alu instid0(VALU_DEP_1) | instskip(SKIP_1) | instid1(VALU_DEP_2)
	v_and_b32_e32 v18, 0x7f800000, v116
	v_and_b32_e32 v2, 0x7fffff, v116
	v_cmpx_ne_u64_e32 0x7f800000, v[18:19]
	s_xor_b32 s14, exec_lo, s13
	s_cbranch_execz .LBB2_4372
; %bb.4355:                             ;   in Loop: Header=BB2_4268 Depth=4
	v_dual_mov_b32 v19, v3 :: v_dual_lshrrev_b32 v117, 24, v116
	v_and_b32_e32 v18, 0x7fffffff, v116
                                        ; implicit-def: $vgpr58
	s_mov_b32 s13, exec_lo
	s_delay_alu instid0(VALU_DEP_2) | instskip(NEXT) | instid1(VALU_DEP_2)
	v_and_b32_e32 v40, 0x80, v117
	v_cmpx_gt_u64_e32 0x47600001, v[18:19]
	s_xor_b32 s15, exec_lo, s13
	s_cbranch_execz .LBB2_4369
; %bb.4356:                             ;   in Loop: Header=BB2_4268 Depth=4
	v_mov_b32_e32 v58, 0
	s_mov_b32 s76, exec_lo
	v_cmpx_ne_u32_e32 0, v116
	s_cbranch_execz .LBB2_4368
; %bb.4357:                             ;   in Loop: Header=BB2_4268 Depth=4
	v_bfe_u32 v41, v116, 23, 8
	v_or_b32_e32 v116, 0x800000, v2
	s_delay_alu instid0(VALU_DEP_2) | instskip(SKIP_1) | instid1(VALU_DEP_2)
	v_sub_nc_u32_e32 v18, 0x71, v41
	v_cmp_gt_u32_e32 vcc_lo, 0x72, v41
	v_cndmask_b32_e32 v18, 0, v18, vcc_lo
	v_cmp_eq_u32_e32 vcc_lo, 0, v41
	s_delay_alu instid0(VALU_DEP_2) | instskip(SKIP_1) | instid1(VALU_DEP_2)
	v_cndmask_b32_e64 v42, v18, 0x70, vcc_lo
	v_cndmask_b32_e32 v2, v116, v2, vcc_lo
	v_dual_add_nc_u32 v18, 21, v42 :: v_dual_add_nc_u32 v117, 20, v42
	s_delay_alu instid0(VALU_DEP_1) | instskip(NEXT) | instid1(VALU_DEP_2)
	v_lshlrev_b64_e64 v[18:19], v18, -1
	v_lshlrev_b64_e64 v[118:119], v117, 1
	s_delay_alu instid0(VALU_DEP_4) | instskip(NEXT) | instid1(VALU_DEP_3)
	v_lshrrev_b64 v[116:117], v42, v[2:3]
	v_bfi_b32 v19, v19, 0, 0
	s_delay_alu instid0(VALU_DEP_4) | instskip(NEXT) | instid1(VALU_DEP_1)
	v_bfi_b32 v18, v18, 0, v2
	v_cmp_eq_u64_e64 s13, v[18:19], v[118:119]
	s_delay_alu instid0(VALU_DEP_4)
	v_mov_b64_e32 v[118:119], v[116:117]
	s_and_saveexec_b32 s77, s13
; %bb.4358:                             ;   in Loop: Header=BB2_4268 Depth=4
	v_bfe_u32 v2, v116, 21, 1
	s_delay_alu instid0(VALU_DEP_1) | instskip(NEXT) | instid1(VALU_DEP_1)
	v_add_nc_u64_e32 v[18:19], v[116:117], v[2:3]
	v_add_nc_u64_e32 v[118:119], -1, v[18:19]
; %bb.4359:                             ;   in Loop: Header=BB2_4268 Depth=4
	s_or_b32 exec_lo, exec_lo, s77
	v_add_nc_u32_e32 v2, 0xffffff81, v41
	v_lshrrev_b32_e32 v18, 23, v116
	s_mov_b32 s13, exec_lo
	s_delay_alu instid0(VALU_DEP_2) | instskip(NEXT) | instid1(VALU_DEP_1)
	v_cndmask_b32_e64 v2, v2, 0xffffff82, vcc_lo
	v_add3_u32 v119, v42, v2, v18
	v_and_b32_e32 v2, 0x1fffff, v118
                                        ; implicit-def: $vgpr118
	s_delay_alu instid0(VALU_DEP_1) | instskip(NEXT) | instid1(VALU_DEP_1)
	v_dual_add_nc_u32 v41, 14, v119 :: v_dual_add_nc_u32 v2, v2, v116
                                        ; implicit-def: $vgpr116_vgpr117
	v_cmpx_ne_u32_e32 0, v41
	s_xor_b32 s13, exec_lo, s13
; %bb.4360:                             ;   in Loop: Header=BB2_4268 Depth=4
	s_delay_alu instid0(VALU_DEP_2) | instskip(SKIP_1) | instid1(VALU_DEP_1)
	v_cmp_lt_u64_e32 vcc_lo, 0xffffff, v[2:3]
	v_add_nc_u32_e32 v18, 15, v119
	v_cndmask_b32_e32 v118, v41, v18, vcc_lo
	v_cndmask_b32_e64 v18, 0, 1, vcc_lo
	s_delay_alu instid0(VALU_DEP_1)
	v_lshrrev_b64 v[116:117], v18, v[2:3]
; %bb.4361:                             ;   in Loop: Header=BB2_4268 Depth=4
	s_and_not1_saveexec_b32 s13, s13
; %bb.4362:                             ;   in Loop: Header=BB2_4268 Depth=4
	v_mov_b64_e32 v[116:117], v[2:3]
	v_bfe_u32 v118, v2, 23, 1
; %bb.4363:                             ;   in Loop: Header=BB2_4268 Depth=4
	s_or_b32 exec_lo, exec_lo, s13
	s_delay_alu instid0(VALU_DEP_2) | instskip(NEXT) | instid1(VALU_DEP_2)
	v_lshrrev_b64 v[18:19], 21, v[116:117]
	v_cmp_gt_i32_e32 vcc_lo, 32, v118
	v_cmp_ne_u32_e64 s13, 0, v118
                                        ; implicit-def: $vgpr58
	s_delay_alu instid0(VALU_DEP_3) | instskip(NEXT) | instid1(VALU_DEP_1)
	v_dual_cndmask_b32 v117, 0, v19 :: v_dual_cndmask_b32 v116, 3, v18
	v_cmp_ne_u64_e32 vcc_lo, 0, v[116:117]
	s_or_b32 s13, s13, vcc_lo
	s_delay_alu instid0(SALU_CYCLE_1) | instskip(NEXT) | instid1(SALU_CYCLE_1)
	s_and_saveexec_b32 s77, s13
	s_xor_b32 s13, exec_lo, s77
; %bb.4364:                             ;   in Loop: Header=BB2_4268 Depth=4
	v_min_i32_e32 v2, 31, v118
	s_delay_alu instid0(VALU_DEP_1) | instskip(NEXT) | instid1(VALU_DEP_1)
	v_lshl_or_b32 v2, v2, 2, v40
                                        ; implicit-def: $vgpr40
	v_and_or_b32 v58, v116, 3, v2
; %bb.4365:                             ;   in Loop: Header=BB2_4268 Depth=4
	s_and_not1_saveexec_b32 s13, s13
; %bb.4366:                             ;   in Loop: Header=BB2_4268 Depth=4
	v_mov_b32_e32 v58, v40
; %bb.4367:                             ;   in Loop: Header=BB2_4268 Depth=4
	s_or_b32 exec_lo, exec_lo, s13
.LBB2_4368:                             ;   in Loop: Header=BB2_4268 Depth=4
	s_delay_alu instid0(SALU_CYCLE_1)
	s_or_b32 exec_lo, exec_lo, s76
                                        ; implicit-def: $vgpr40
.LBB2_4369:                             ;   in Loop: Header=BB2_4268 Depth=4
	s_and_not1_saveexec_b32 s13, s15
; %bb.4370:                             ;   in Loop: Header=BB2_4268 Depth=4
	v_or_b32_e32 v58, 0x7b, v40
; %bb.4371:                             ;   in Loop: Header=BB2_4268 Depth=4
	s_or_b32 exec_lo, exec_lo, s13
                                        ; implicit-def: $vgpr116
.LBB2_4372:                             ;   in Loop: Header=BB2_4268 Depth=4
	s_and_not1_saveexec_b32 s13, s14
	s_cbranch_execz .LBB2_4378
; %bb.4373:                             ;   in Loop: Header=BB2_4268 Depth=4
	s_mov_b32 s14, exec_lo
                                        ; implicit-def: $vgpr58
	v_cmpx_ne_u64_e32 0, v[2:3]
	s_xor_b32 s14, exec_lo, s14
; %bb.4374:                             ;   in Loop: Header=BB2_4268 Depth=4
	v_lshrrev_b32_e32 v2, 24, v116
                                        ; implicit-def: $vgpr116
	s_delay_alu instid0(VALU_DEP_1)
	v_or_b32_e32 v58, 0x7f, v2
; %bb.4375:                             ;   in Loop: Header=BB2_4268 Depth=4
	s_and_not1_saveexec_b32 s14, s14
; %bb.4376:                             ;   in Loop: Header=BB2_4268 Depth=4
	v_cmp_lt_i32_e32 vcc_lo, -1, v116
	v_cndmask_b32_e64 v58, -4, 0x7c, vcc_lo
; %bb.4377:                             ;   in Loop: Header=BB2_4268 Depth=4
	s_or_b32 exec_lo, exec_lo, s14
.LBB2_4378:                             ;   in Loop: Header=BB2_4268 Depth=4
	s_delay_alu instid0(SALU_CYCLE_1)
	s_or_b32 exec_lo, exec_lo, s13
	flat_load_i8 v2, v[8:9] offset:96 th:TH_LOAD_NT
	v_mov_b32_e32 v117, 0
	s_mov_b32 s13, exec_lo
	s_wait_loadcnt_dscnt 0x0
	v_cmpx_ne_u16_e32 0, v2
	s_cbranch_execz .LBB2_4388
; %bb.4379:                             ;   in Loop: Header=BB2_4268 Depth=4
	v_bfrev_b32_e32 v117, 1
	s_mov_b32 s14, exec_lo
	v_cmpx_ne_u16_e32 0xff80, v2
	s_cbranch_execz .LBB2_4387
; %bb.4380:                             ;   in Loop: Header=BB2_4268 Depth=4
	v_and_b32_e32 v18, 0x7c, v2
	v_and_b32_e32 v116, 3, v2
	s_mov_b32 s15, exec_lo
                                        ; implicit-def: $vgpr117
	s_delay_alu instid0(VALU_DEP_2)
	v_cmpx_ne_u32_e32 0x7c, v18
	s_xor_b32 s15, exec_lo, s15
	s_cbranch_execz .LBB2_4384
; %bb.4381:                             ;   in Loop: Header=BB2_4268 Depth=4
	v_and_b32_e32 v18, 0xff, v2
	s_mov_b32 s76, exec_lo
	s_delay_alu instid0(VALU_DEP_1) | instskip(NEXT) | instid1(VALU_DEP_1)
	v_bfe_u32 v117, v18, 2, 5
	v_cmpx_eq_u32_e32 0, v117
; %bb.4382:                             ;   in Loop: Header=BB2_4268 Depth=4
	v_clz_i32_u32_e32 v18, v116
	s_delay_alu instid0(VALU_DEP_1) | instskip(NEXT) | instid1(VALU_DEP_1)
	v_min_u32_e32 v116, 32, v18
	v_subrev_nc_u32_e32 v18, 29, v116
	s_delay_alu instid0(VALU_DEP_1) | instskip(NEXT) | instid1(VALU_DEP_1)
	v_lshlrev_b64_e32 v[18:19], v18, v[2:3]
	v_dual_sub_nc_u32 v117, 30, v116 :: v_dual_bitop2_b32 v116, 3, v18 bitop3:0x40
; %bb.4383:                             ;   in Loop: Header=BB2_4268 Depth=4
	s_or_b32 exec_lo, exec_lo, s76
	v_bfe_i32 v2, v2, 0, 16
	s_delay_alu instid0(VALU_DEP_1) | instskip(NEXT) | instid1(VALU_DEP_1)
	v_and_b32_e32 v2, 0x80000000, v2
	v_lshl_add_u32 v2, v117, 23, v2
	s_delay_alu instid0(VALU_DEP_1) | instskip(NEXT) | instid1(VALU_DEP_1)
	v_lshl_or_b32 v2, v116, 21, v2
                                        ; implicit-def: $vgpr116
	v_add_nc_u32_e32 v117, 0x38000000, v2
.LBB2_4384:                             ;   in Loop: Header=BB2_4268 Depth=4
	s_and_not1_saveexec_b32 s15, s15
; %bb.4385:                             ;   in Loop: Header=BB2_4268 Depth=4
	v_cmp_lt_i16_e32 vcc_lo, -1, v2
	v_cndmask_b32_e32 v2, 0xff800000, v111, vcc_lo
	v_cmp_eq_u32_e32 vcc_lo, 0, v116
	s_delay_alu instid0(VALU_DEP_2)
	v_cndmask_b32_e32 v117, 0x7f800001, v2, vcc_lo
; %bb.4386:                             ;   in Loop: Header=BB2_4268 Depth=4
	s_or_b32 exec_lo, exec_lo, s15
.LBB2_4387:                             ;   in Loop: Header=BB2_4268 Depth=4
	s_delay_alu instid0(SALU_CYCLE_1)
	s_or_b32 exec_lo, exec_lo, s14
.LBB2_4388:                             ;   in Loop: Header=BB2_4268 Depth=4
	s_delay_alu instid0(SALU_CYCLE_1) | instskip(NEXT) | instid1(VALU_DEP_1)
	s_or_b32 exec_lo, exec_lo, s13
	v_dual_mul_f32 v116, s75, v117 :: v_dual_mov_b32 v19, v3
                                        ; implicit-def: $vgpr46
	s_mov_b32 s13, exec_lo
	s_delay_alu instid0(VALU_DEP_1) | instskip(SKIP_1) | instid1(VALU_DEP_2)
	v_and_b32_e32 v18, 0x7f800000, v116
	v_and_b32_e32 v2, 0x7fffff, v116
	v_cmpx_ne_u64_e32 0x7f800000, v[18:19]
	s_xor_b32 s14, exec_lo, s13
	s_cbranch_execz .LBB2_4406
; %bb.4389:                             ;   in Loop: Header=BB2_4268 Depth=4
	v_dual_mov_b32 v19, v3 :: v_dual_lshrrev_b32 v117, 24, v116
	v_and_b32_e32 v18, 0x7fffffff, v116
                                        ; implicit-def: $vgpr46
	s_mov_b32 s13, exec_lo
	s_delay_alu instid0(VALU_DEP_2) | instskip(NEXT) | instid1(VALU_DEP_2)
	v_and_b32_e32 v40, 0x80, v117
	v_cmpx_gt_u64_e32 0x47600001, v[18:19]
	s_xor_b32 s15, exec_lo, s13
	s_cbranch_execz .LBB2_4403
; %bb.4390:                             ;   in Loop: Header=BB2_4268 Depth=4
	v_mov_b32_e32 v46, 0
	s_mov_b32 s76, exec_lo
	v_cmpx_ne_u32_e32 0, v116
	s_cbranch_execz .LBB2_4402
; %bb.4391:                             ;   in Loop: Header=BB2_4268 Depth=4
	v_bfe_u32 v41, v116, 23, 8
	v_or_b32_e32 v116, 0x800000, v2
	s_delay_alu instid0(VALU_DEP_2) | instskip(SKIP_1) | instid1(VALU_DEP_2)
	v_sub_nc_u32_e32 v18, 0x71, v41
	v_cmp_gt_u32_e32 vcc_lo, 0x72, v41
	v_cndmask_b32_e32 v18, 0, v18, vcc_lo
	v_cmp_eq_u32_e32 vcc_lo, 0, v41
	s_delay_alu instid0(VALU_DEP_2) | instskip(SKIP_1) | instid1(VALU_DEP_2)
	v_cndmask_b32_e64 v42, v18, 0x70, vcc_lo
	v_cndmask_b32_e32 v2, v116, v2, vcc_lo
	v_dual_add_nc_u32 v18, 21, v42 :: v_dual_add_nc_u32 v117, 20, v42
	s_delay_alu instid0(VALU_DEP_1) | instskip(NEXT) | instid1(VALU_DEP_2)
	v_lshlrev_b64_e64 v[18:19], v18, -1
	v_lshlrev_b64_e64 v[118:119], v117, 1
	s_delay_alu instid0(VALU_DEP_4) | instskip(NEXT) | instid1(VALU_DEP_3)
	v_lshrrev_b64 v[116:117], v42, v[2:3]
	v_bfi_b32 v19, v19, 0, 0
	s_delay_alu instid0(VALU_DEP_4) | instskip(NEXT) | instid1(VALU_DEP_1)
	v_bfi_b32 v18, v18, 0, v2
	v_cmp_eq_u64_e64 s13, v[18:19], v[118:119]
	s_delay_alu instid0(VALU_DEP_4)
	v_mov_b64_e32 v[118:119], v[116:117]
	s_and_saveexec_b32 s77, s13
; %bb.4392:                             ;   in Loop: Header=BB2_4268 Depth=4
	v_bfe_u32 v2, v116, 21, 1
	s_delay_alu instid0(VALU_DEP_1) | instskip(NEXT) | instid1(VALU_DEP_1)
	v_add_nc_u64_e32 v[18:19], v[116:117], v[2:3]
	v_add_nc_u64_e32 v[118:119], -1, v[18:19]
; %bb.4393:                             ;   in Loop: Header=BB2_4268 Depth=4
	s_or_b32 exec_lo, exec_lo, s77
	v_add_nc_u32_e32 v2, 0xffffff81, v41
	v_lshrrev_b32_e32 v18, 23, v116
	s_mov_b32 s13, exec_lo
	s_delay_alu instid0(VALU_DEP_2) | instskip(NEXT) | instid1(VALU_DEP_1)
	v_cndmask_b32_e64 v2, v2, 0xffffff82, vcc_lo
	v_add3_u32 v119, v42, v2, v18
	v_and_b32_e32 v2, 0x1fffff, v118
                                        ; implicit-def: $vgpr118
	s_delay_alu instid0(VALU_DEP_1) | instskip(NEXT) | instid1(VALU_DEP_1)
	v_dual_add_nc_u32 v41, 14, v119 :: v_dual_add_nc_u32 v2, v2, v116
                                        ; implicit-def: $vgpr116_vgpr117
	v_cmpx_ne_u32_e32 0, v41
	s_xor_b32 s13, exec_lo, s13
; %bb.4394:                             ;   in Loop: Header=BB2_4268 Depth=4
	s_delay_alu instid0(VALU_DEP_2) | instskip(SKIP_1) | instid1(VALU_DEP_1)
	v_cmp_lt_u64_e32 vcc_lo, 0xffffff, v[2:3]
	v_add_nc_u32_e32 v18, 15, v119
	v_cndmask_b32_e32 v118, v41, v18, vcc_lo
	v_cndmask_b32_e64 v18, 0, 1, vcc_lo
	s_delay_alu instid0(VALU_DEP_1)
	v_lshrrev_b64 v[116:117], v18, v[2:3]
; %bb.4395:                             ;   in Loop: Header=BB2_4268 Depth=4
	s_and_not1_saveexec_b32 s13, s13
; %bb.4396:                             ;   in Loop: Header=BB2_4268 Depth=4
	v_mov_b64_e32 v[116:117], v[2:3]
	v_bfe_u32 v118, v2, 23, 1
; %bb.4397:                             ;   in Loop: Header=BB2_4268 Depth=4
	s_or_b32 exec_lo, exec_lo, s13
	s_delay_alu instid0(VALU_DEP_2) | instskip(NEXT) | instid1(VALU_DEP_2)
	v_lshrrev_b64 v[18:19], 21, v[116:117]
	v_cmp_gt_i32_e32 vcc_lo, 32, v118
	v_cmp_ne_u32_e64 s13, 0, v118
                                        ; implicit-def: $vgpr46
	s_delay_alu instid0(VALU_DEP_3) | instskip(NEXT) | instid1(VALU_DEP_1)
	v_dual_cndmask_b32 v117, 0, v19 :: v_dual_cndmask_b32 v116, 3, v18
	v_cmp_ne_u64_e32 vcc_lo, 0, v[116:117]
	s_or_b32 s13, s13, vcc_lo
	s_delay_alu instid0(SALU_CYCLE_1) | instskip(NEXT) | instid1(SALU_CYCLE_1)
	s_and_saveexec_b32 s77, s13
	s_xor_b32 s13, exec_lo, s77
; %bb.4398:                             ;   in Loop: Header=BB2_4268 Depth=4
	v_min_i32_e32 v2, 31, v118
	s_delay_alu instid0(VALU_DEP_1) | instskip(NEXT) | instid1(VALU_DEP_1)
	v_lshl_or_b32 v2, v2, 2, v40
                                        ; implicit-def: $vgpr40
	v_and_or_b32 v46, v116, 3, v2
; %bb.4399:                             ;   in Loop: Header=BB2_4268 Depth=4
	s_and_not1_saveexec_b32 s13, s13
; %bb.4400:                             ;   in Loop: Header=BB2_4268 Depth=4
	v_mov_b32_e32 v46, v40
; %bb.4401:                             ;   in Loop: Header=BB2_4268 Depth=4
	s_or_b32 exec_lo, exec_lo, s13
.LBB2_4402:                             ;   in Loop: Header=BB2_4268 Depth=4
	s_delay_alu instid0(SALU_CYCLE_1)
	s_or_b32 exec_lo, exec_lo, s76
                                        ; implicit-def: $vgpr40
.LBB2_4403:                             ;   in Loop: Header=BB2_4268 Depth=4
	s_and_not1_saveexec_b32 s13, s15
; %bb.4404:                             ;   in Loop: Header=BB2_4268 Depth=4
	v_or_b32_e32 v46, 0x7b, v40
; %bb.4405:                             ;   in Loop: Header=BB2_4268 Depth=4
	s_or_b32 exec_lo, exec_lo, s13
                                        ; implicit-def: $vgpr116
.LBB2_4406:                             ;   in Loop: Header=BB2_4268 Depth=4
	s_and_not1_saveexec_b32 s13, s14
	s_cbranch_execz .LBB2_4412
; %bb.4407:                             ;   in Loop: Header=BB2_4268 Depth=4
	s_mov_b32 s14, exec_lo
                                        ; implicit-def: $vgpr46
	v_cmpx_ne_u64_e32 0, v[2:3]
	s_xor_b32 s14, exec_lo, s14
; %bb.4408:                             ;   in Loop: Header=BB2_4268 Depth=4
	v_lshrrev_b32_e32 v2, 24, v116
                                        ; implicit-def: $vgpr116
	s_delay_alu instid0(VALU_DEP_1)
	v_or_b32_e32 v46, 0x7f, v2
; %bb.4409:                             ;   in Loop: Header=BB2_4268 Depth=4
	s_and_not1_saveexec_b32 s14, s14
; %bb.4410:                             ;   in Loop: Header=BB2_4268 Depth=4
	v_cmp_lt_i32_e32 vcc_lo, -1, v116
	v_cndmask_b32_e64 v46, -4, 0x7c, vcc_lo
; %bb.4411:                             ;   in Loop: Header=BB2_4268 Depth=4
	s_or_b32 exec_lo, exec_lo, s14
.LBB2_4412:                             ;   in Loop: Header=BB2_4268 Depth=4
	s_delay_alu instid0(SALU_CYCLE_1)
	s_or_b32 exec_lo, exec_lo, s13
	flat_load_i8 v2, v[8:9] offset:128 th:TH_LOAD_NT
	v_mov_b32_e32 v117, 0
	s_mov_b32 s13, exec_lo
	s_wait_loadcnt_dscnt 0x0
	v_cmpx_ne_u16_e32 0, v2
	s_cbranch_execz .LBB2_4422
; %bb.4413:                             ;   in Loop: Header=BB2_4268 Depth=4
	v_bfrev_b32_e32 v117, 1
	s_mov_b32 s14, exec_lo
	v_cmpx_ne_u16_e32 0xff80, v2
	s_cbranch_execz .LBB2_4421
; %bb.4414:                             ;   in Loop: Header=BB2_4268 Depth=4
	v_and_b32_e32 v18, 0x7c, v2
	v_and_b32_e32 v116, 3, v2
	s_mov_b32 s15, exec_lo
                                        ; implicit-def: $vgpr117
	s_delay_alu instid0(VALU_DEP_2)
	v_cmpx_ne_u32_e32 0x7c, v18
	s_xor_b32 s15, exec_lo, s15
	s_cbranch_execz .LBB2_4418
; %bb.4415:                             ;   in Loop: Header=BB2_4268 Depth=4
	v_and_b32_e32 v18, 0xff, v2
	s_mov_b32 s76, exec_lo
	s_delay_alu instid0(VALU_DEP_1) | instskip(NEXT) | instid1(VALU_DEP_1)
	v_bfe_u32 v117, v18, 2, 5
	v_cmpx_eq_u32_e32 0, v117
; %bb.4416:                             ;   in Loop: Header=BB2_4268 Depth=4
	v_clz_i32_u32_e32 v18, v116
	s_delay_alu instid0(VALU_DEP_1) | instskip(NEXT) | instid1(VALU_DEP_1)
	v_min_u32_e32 v116, 32, v18
	v_subrev_nc_u32_e32 v18, 29, v116
	s_delay_alu instid0(VALU_DEP_1) | instskip(NEXT) | instid1(VALU_DEP_1)
	v_lshlrev_b64_e32 v[18:19], v18, v[2:3]
	v_dual_sub_nc_u32 v117, 30, v116 :: v_dual_bitop2_b32 v116, 3, v18 bitop3:0x40
; %bb.4417:                             ;   in Loop: Header=BB2_4268 Depth=4
	s_or_b32 exec_lo, exec_lo, s76
	v_bfe_i32 v2, v2, 0, 16
	s_delay_alu instid0(VALU_DEP_1) | instskip(NEXT) | instid1(VALU_DEP_1)
	v_and_b32_e32 v2, 0x80000000, v2
	v_lshl_add_u32 v2, v117, 23, v2
	s_delay_alu instid0(VALU_DEP_1) | instskip(NEXT) | instid1(VALU_DEP_1)
	v_lshl_or_b32 v2, v116, 21, v2
                                        ; implicit-def: $vgpr116
	v_add_nc_u32_e32 v117, 0x38000000, v2
.LBB2_4418:                             ;   in Loop: Header=BB2_4268 Depth=4
	s_and_not1_saveexec_b32 s15, s15
; %bb.4419:                             ;   in Loop: Header=BB2_4268 Depth=4
	v_cmp_lt_i16_e32 vcc_lo, -1, v2
	v_cndmask_b32_e32 v2, 0xff800000, v111, vcc_lo
	v_cmp_eq_u32_e32 vcc_lo, 0, v116
	s_delay_alu instid0(VALU_DEP_2)
	v_cndmask_b32_e32 v117, 0x7f800001, v2, vcc_lo
; %bb.4420:                             ;   in Loop: Header=BB2_4268 Depth=4
	s_or_b32 exec_lo, exec_lo, s15
.LBB2_4421:                             ;   in Loop: Header=BB2_4268 Depth=4
	s_delay_alu instid0(SALU_CYCLE_1)
	s_or_b32 exec_lo, exec_lo, s14
.LBB2_4422:                             ;   in Loop: Header=BB2_4268 Depth=4
	s_delay_alu instid0(SALU_CYCLE_1) | instskip(NEXT) | instid1(VALU_DEP_1)
	s_or_b32 exec_lo, exec_lo, s13
	v_dual_mul_f32 v116, s75, v117 :: v_dual_mov_b32 v19, v3
                                        ; implicit-def: $vgpr44
	s_mov_b32 s13, exec_lo
	s_delay_alu instid0(VALU_DEP_1) | instskip(SKIP_1) | instid1(VALU_DEP_2)
	v_and_b32_e32 v18, 0x7f800000, v116
	v_and_b32_e32 v2, 0x7fffff, v116
	v_cmpx_ne_u64_e32 0x7f800000, v[18:19]
	s_xor_b32 s14, exec_lo, s13
	s_cbranch_execz .LBB2_4440
; %bb.4423:                             ;   in Loop: Header=BB2_4268 Depth=4
	v_dual_mov_b32 v19, v3 :: v_dual_lshrrev_b32 v117, 24, v116
	v_and_b32_e32 v18, 0x7fffffff, v116
                                        ; implicit-def: $vgpr44
	s_mov_b32 s13, exec_lo
	s_delay_alu instid0(VALU_DEP_2) | instskip(NEXT) | instid1(VALU_DEP_2)
	v_and_b32_e32 v40, 0x80, v117
	v_cmpx_gt_u64_e32 0x47600001, v[18:19]
	s_xor_b32 s15, exec_lo, s13
	s_cbranch_execz .LBB2_4437
; %bb.4424:                             ;   in Loop: Header=BB2_4268 Depth=4
	v_mov_b32_e32 v44, 0
	s_mov_b32 s76, exec_lo
	v_cmpx_ne_u32_e32 0, v116
	s_cbranch_execz .LBB2_4436
; %bb.4425:                             ;   in Loop: Header=BB2_4268 Depth=4
	v_bfe_u32 v41, v116, 23, 8
	v_or_b32_e32 v116, 0x800000, v2
	s_delay_alu instid0(VALU_DEP_2) | instskip(SKIP_1) | instid1(VALU_DEP_2)
	v_sub_nc_u32_e32 v18, 0x71, v41
	v_cmp_gt_u32_e32 vcc_lo, 0x72, v41
	v_cndmask_b32_e32 v18, 0, v18, vcc_lo
	v_cmp_eq_u32_e32 vcc_lo, 0, v41
	s_delay_alu instid0(VALU_DEP_2) | instskip(SKIP_1) | instid1(VALU_DEP_2)
	v_cndmask_b32_e64 v42, v18, 0x70, vcc_lo
	v_cndmask_b32_e32 v2, v116, v2, vcc_lo
	v_dual_add_nc_u32 v18, 21, v42 :: v_dual_add_nc_u32 v117, 20, v42
	s_delay_alu instid0(VALU_DEP_1) | instskip(NEXT) | instid1(VALU_DEP_2)
	v_lshlrev_b64_e64 v[18:19], v18, -1
	v_lshlrev_b64_e64 v[118:119], v117, 1
	s_delay_alu instid0(VALU_DEP_4) | instskip(NEXT) | instid1(VALU_DEP_3)
	v_lshrrev_b64 v[116:117], v42, v[2:3]
	v_bfi_b32 v19, v19, 0, 0
	s_delay_alu instid0(VALU_DEP_4) | instskip(NEXT) | instid1(VALU_DEP_1)
	v_bfi_b32 v18, v18, 0, v2
	v_cmp_eq_u64_e64 s13, v[18:19], v[118:119]
	s_delay_alu instid0(VALU_DEP_4)
	v_mov_b64_e32 v[118:119], v[116:117]
	s_and_saveexec_b32 s77, s13
; %bb.4426:                             ;   in Loop: Header=BB2_4268 Depth=4
	v_bfe_u32 v2, v116, 21, 1
	s_delay_alu instid0(VALU_DEP_1) | instskip(NEXT) | instid1(VALU_DEP_1)
	v_add_nc_u64_e32 v[18:19], v[116:117], v[2:3]
	v_add_nc_u64_e32 v[118:119], -1, v[18:19]
; %bb.4427:                             ;   in Loop: Header=BB2_4268 Depth=4
	s_or_b32 exec_lo, exec_lo, s77
	v_add_nc_u32_e32 v2, 0xffffff81, v41
	v_lshrrev_b32_e32 v18, 23, v116
	s_mov_b32 s13, exec_lo
	s_delay_alu instid0(VALU_DEP_2) | instskip(NEXT) | instid1(VALU_DEP_1)
	v_cndmask_b32_e64 v2, v2, 0xffffff82, vcc_lo
	v_add3_u32 v119, v42, v2, v18
	v_and_b32_e32 v2, 0x1fffff, v118
                                        ; implicit-def: $vgpr118
	s_delay_alu instid0(VALU_DEP_1) | instskip(NEXT) | instid1(VALU_DEP_1)
	v_dual_add_nc_u32 v41, 14, v119 :: v_dual_add_nc_u32 v2, v2, v116
                                        ; implicit-def: $vgpr116_vgpr117
	v_cmpx_ne_u32_e32 0, v41
	s_xor_b32 s13, exec_lo, s13
; %bb.4428:                             ;   in Loop: Header=BB2_4268 Depth=4
	s_delay_alu instid0(VALU_DEP_2) | instskip(SKIP_1) | instid1(VALU_DEP_1)
	v_cmp_lt_u64_e32 vcc_lo, 0xffffff, v[2:3]
	v_add_nc_u32_e32 v18, 15, v119
	v_cndmask_b32_e32 v118, v41, v18, vcc_lo
	v_cndmask_b32_e64 v18, 0, 1, vcc_lo
	s_delay_alu instid0(VALU_DEP_1)
	v_lshrrev_b64 v[116:117], v18, v[2:3]
; %bb.4429:                             ;   in Loop: Header=BB2_4268 Depth=4
	s_and_not1_saveexec_b32 s13, s13
; %bb.4430:                             ;   in Loop: Header=BB2_4268 Depth=4
	v_mov_b64_e32 v[116:117], v[2:3]
	v_bfe_u32 v118, v2, 23, 1
; %bb.4431:                             ;   in Loop: Header=BB2_4268 Depth=4
	s_or_b32 exec_lo, exec_lo, s13
	s_delay_alu instid0(VALU_DEP_2) | instskip(NEXT) | instid1(VALU_DEP_2)
	v_lshrrev_b64 v[18:19], 21, v[116:117]
	v_cmp_gt_i32_e32 vcc_lo, 32, v118
	v_cmp_ne_u32_e64 s13, 0, v118
                                        ; implicit-def: $vgpr44
	s_delay_alu instid0(VALU_DEP_3) | instskip(NEXT) | instid1(VALU_DEP_1)
	v_dual_cndmask_b32 v117, 0, v19 :: v_dual_cndmask_b32 v116, 3, v18
	v_cmp_ne_u64_e32 vcc_lo, 0, v[116:117]
	s_or_b32 s13, s13, vcc_lo
	s_delay_alu instid0(SALU_CYCLE_1) | instskip(NEXT) | instid1(SALU_CYCLE_1)
	s_and_saveexec_b32 s77, s13
	s_xor_b32 s13, exec_lo, s77
; %bb.4432:                             ;   in Loop: Header=BB2_4268 Depth=4
	v_min_i32_e32 v2, 31, v118
	s_delay_alu instid0(VALU_DEP_1) | instskip(NEXT) | instid1(VALU_DEP_1)
	v_lshl_or_b32 v2, v2, 2, v40
                                        ; implicit-def: $vgpr40
	v_and_or_b32 v44, v116, 3, v2
; %bb.4433:                             ;   in Loop: Header=BB2_4268 Depth=4
	s_and_not1_saveexec_b32 s13, s13
; %bb.4434:                             ;   in Loop: Header=BB2_4268 Depth=4
	v_mov_b32_e32 v44, v40
; %bb.4435:                             ;   in Loop: Header=BB2_4268 Depth=4
	s_or_b32 exec_lo, exec_lo, s13
.LBB2_4436:                             ;   in Loop: Header=BB2_4268 Depth=4
	s_delay_alu instid0(SALU_CYCLE_1)
	s_or_b32 exec_lo, exec_lo, s76
                                        ; implicit-def: $vgpr40
.LBB2_4437:                             ;   in Loop: Header=BB2_4268 Depth=4
	s_and_not1_saveexec_b32 s13, s15
; %bb.4438:                             ;   in Loop: Header=BB2_4268 Depth=4
	v_or_b32_e32 v44, 0x7b, v40
; %bb.4439:                             ;   in Loop: Header=BB2_4268 Depth=4
	s_or_b32 exec_lo, exec_lo, s13
                                        ; implicit-def: $vgpr116
.LBB2_4440:                             ;   in Loop: Header=BB2_4268 Depth=4
	s_and_not1_saveexec_b32 s13, s14
	s_cbranch_execz .LBB2_4446
; %bb.4441:                             ;   in Loop: Header=BB2_4268 Depth=4
	s_mov_b32 s14, exec_lo
                                        ; implicit-def: $vgpr44
	v_cmpx_ne_u64_e32 0, v[2:3]
	s_xor_b32 s14, exec_lo, s14
; %bb.4442:                             ;   in Loop: Header=BB2_4268 Depth=4
	v_lshrrev_b32_e32 v2, 24, v116
                                        ; implicit-def: $vgpr116
	s_delay_alu instid0(VALU_DEP_1)
	v_or_b32_e32 v44, 0x7f, v2
; %bb.4443:                             ;   in Loop: Header=BB2_4268 Depth=4
	s_and_not1_saveexec_b32 s14, s14
; %bb.4444:                             ;   in Loop: Header=BB2_4268 Depth=4
	v_cmp_lt_i32_e32 vcc_lo, -1, v116
	v_cndmask_b32_e64 v44, -4, 0x7c, vcc_lo
; %bb.4445:                             ;   in Loop: Header=BB2_4268 Depth=4
	s_or_b32 exec_lo, exec_lo, s14
.LBB2_4446:                             ;   in Loop: Header=BB2_4268 Depth=4
	s_delay_alu instid0(SALU_CYCLE_1)
	s_or_b32 exec_lo, exec_lo, s13
	flat_load_i8 v2, v[8:9] offset:160 th:TH_LOAD_NT
	v_mov_b32_e32 v117, 0
	s_mov_b32 s13, exec_lo
	s_wait_loadcnt_dscnt 0x0
	v_cmpx_ne_u16_e32 0, v2
	s_cbranch_execz .LBB2_4456
; %bb.4447:                             ;   in Loop: Header=BB2_4268 Depth=4
	v_bfrev_b32_e32 v117, 1
	s_mov_b32 s14, exec_lo
	v_cmpx_ne_u16_e32 0xff80, v2
	s_cbranch_execz .LBB2_4455
; %bb.4448:                             ;   in Loop: Header=BB2_4268 Depth=4
	v_and_b32_e32 v18, 0x7c, v2
	v_and_b32_e32 v116, 3, v2
	s_mov_b32 s15, exec_lo
                                        ; implicit-def: $vgpr117
	s_delay_alu instid0(VALU_DEP_2)
	v_cmpx_ne_u32_e32 0x7c, v18
	s_xor_b32 s15, exec_lo, s15
	s_cbranch_execz .LBB2_4452
; %bb.4449:                             ;   in Loop: Header=BB2_4268 Depth=4
	v_and_b32_e32 v18, 0xff, v2
	s_mov_b32 s76, exec_lo
	s_delay_alu instid0(VALU_DEP_1) | instskip(NEXT) | instid1(VALU_DEP_1)
	v_bfe_u32 v117, v18, 2, 5
	v_cmpx_eq_u32_e32 0, v117
; %bb.4450:                             ;   in Loop: Header=BB2_4268 Depth=4
	v_clz_i32_u32_e32 v18, v116
	s_delay_alu instid0(VALU_DEP_1) | instskip(NEXT) | instid1(VALU_DEP_1)
	v_min_u32_e32 v116, 32, v18
	v_subrev_nc_u32_e32 v18, 29, v116
	s_delay_alu instid0(VALU_DEP_1) | instskip(NEXT) | instid1(VALU_DEP_1)
	v_lshlrev_b64_e32 v[18:19], v18, v[2:3]
	v_dual_sub_nc_u32 v117, 30, v116 :: v_dual_bitop2_b32 v116, 3, v18 bitop3:0x40
; %bb.4451:                             ;   in Loop: Header=BB2_4268 Depth=4
	s_or_b32 exec_lo, exec_lo, s76
	v_bfe_i32 v2, v2, 0, 16
	s_delay_alu instid0(VALU_DEP_1) | instskip(NEXT) | instid1(VALU_DEP_1)
	v_and_b32_e32 v2, 0x80000000, v2
	v_lshl_add_u32 v2, v117, 23, v2
	s_delay_alu instid0(VALU_DEP_1) | instskip(NEXT) | instid1(VALU_DEP_1)
	v_lshl_or_b32 v2, v116, 21, v2
                                        ; implicit-def: $vgpr116
	v_add_nc_u32_e32 v117, 0x38000000, v2
.LBB2_4452:                             ;   in Loop: Header=BB2_4268 Depth=4
	s_and_not1_saveexec_b32 s15, s15
; %bb.4453:                             ;   in Loop: Header=BB2_4268 Depth=4
	v_cmp_lt_i16_e32 vcc_lo, -1, v2
	v_cndmask_b32_e32 v2, 0xff800000, v111, vcc_lo
	v_cmp_eq_u32_e32 vcc_lo, 0, v116
	s_delay_alu instid0(VALU_DEP_2)
	v_cndmask_b32_e32 v117, 0x7f800001, v2, vcc_lo
; %bb.4454:                             ;   in Loop: Header=BB2_4268 Depth=4
	s_or_b32 exec_lo, exec_lo, s15
.LBB2_4455:                             ;   in Loop: Header=BB2_4268 Depth=4
	s_delay_alu instid0(SALU_CYCLE_1)
	s_or_b32 exec_lo, exec_lo, s14
.LBB2_4456:                             ;   in Loop: Header=BB2_4268 Depth=4
	s_delay_alu instid0(SALU_CYCLE_1) | instskip(NEXT) | instid1(VALU_DEP_1)
	s_or_b32 exec_lo, exec_lo, s13
	v_dual_mul_f32 v116, s75, v117 :: v_dual_mov_b32 v19, v3
                                        ; implicit-def: $vgpr42
	s_mov_b32 s13, exec_lo
	s_delay_alu instid0(VALU_DEP_1) | instskip(SKIP_1) | instid1(VALU_DEP_2)
	v_and_b32_e32 v18, 0x7f800000, v116
	v_and_b32_e32 v2, 0x7fffff, v116
	v_cmpx_ne_u64_e32 0x7f800000, v[18:19]
	s_xor_b32 s14, exec_lo, s13
	s_cbranch_execz .LBB2_4474
; %bb.4457:                             ;   in Loop: Header=BB2_4268 Depth=4
	v_dual_mov_b32 v19, v3 :: v_dual_lshrrev_b32 v117, 24, v116
	v_and_b32_e32 v18, 0x7fffffff, v116
                                        ; implicit-def: $vgpr42
	s_mov_b32 s13, exec_lo
	s_delay_alu instid0(VALU_DEP_2) | instskip(NEXT) | instid1(VALU_DEP_2)
	v_and_b32_e32 v40, 0x80, v117
	v_cmpx_gt_u64_e32 0x47600001, v[18:19]
	s_xor_b32 s15, exec_lo, s13
	s_cbranch_execz .LBB2_4471
; %bb.4458:                             ;   in Loop: Header=BB2_4268 Depth=4
	v_mov_b32_e32 v42, 0
	s_mov_b32 s76, exec_lo
	v_cmpx_ne_u32_e32 0, v116
	s_cbranch_execz .LBB2_4470
; %bb.4459:                             ;   in Loop: Header=BB2_4268 Depth=4
	v_bfe_u32 v41, v116, 23, 8
	v_or_b32_e32 v116, 0x800000, v2
	s_delay_alu instid0(VALU_DEP_2) | instskip(SKIP_1) | instid1(VALU_DEP_2)
	v_sub_nc_u32_e32 v18, 0x71, v41
	v_cmp_gt_u32_e32 vcc_lo, 0x72, v41
	v_cndmask_b32_e32 v18, 0, v18, vcc_lo
	v_cmp_eq_u32_e32 vcc_lo, 0, v41
	s_delay_alu instid0(VALU_DEP_2) | instskip(SKIP_1) | instid1(VALU_DEP_2)
	v_cndmask_b32_e64 v42, v18, 0x70, vcc_lo
	v_cndmask_b32_e32 v2, v116, v2, vcc_lo
	v_dual_add_nc_u32 v18, 21, v42 :: v_dual_add_nc_u32 v117, 20, v42
	s_delay_alu instid0(VALU_DEP_1) | instskip(NEXT) | instid1(VALU_DEP_2)
	v_lshlrev_b64_e64 v[18:19], v18, -1
	v_lshlrev_b64_e64 v[118:119], v117, 1
	s_delay_alu instid0(VALU_DEP_4) | instskip(NEXT) | instid1(VALU_DEP_3)
	v_lshrrev_b64 v[116:117], v42, v[2:3]
	v_bfi_b32 v19, v19, 0, 0
	s_delay_alu instid0(VALU_DEP_4) | instskip(NEXT) | instid1(VALU_DEP_1)
	v_bfi_b32 v18, v18, 0, v2
	v_cmp_eq_u64_e64 s13, v[18:19], v[118:119]
	s_delay_alu instid0(VALU_DEP_4)
	v_mov_b64_e32 v[118:119], v[116:117]
	s_and_saveexec_b32 s77, s13
; %bb.4460:                             ;   in Loop: Header=BB2_4268 Depth=4
	v_bfe_u32 v2, v116, 21, 1
	s_delay_alu instid0(VALU_DEP_1) | instskip(NEXT) | instid1(VALU_DEP_1)
	v_add_nc_u64_e32 v[18:19], v[116:117], v[2:3]
	v_add_nc_u64_e32 v[118:119], -1, v[18:19]
; %bb.4461:                             ;   in Loop: Header=BB2_4268 Depth=4
	s_or_b32 exec_lo, exec_lo, s77
	v_add_nc_u32_e32 v2, 0xffffff81, v41
	v_lshrrev_b32_e32 v18, 23, v116
	s_mov_b32 s13, exec_lo
	s_delay_alu instid0(VALU_DEP_2) | instskip(NEXT) | instid1(VALU_DEP_1)
	v_cndmask_b32_e64 v2, v2, 0xffffff82, vcc_lo
	v_add3_u32 v119, v42, v2, v18
	v_and_b32_e32 v2, 0x1fffff, v118
                                        ; implicit-def: $vgpr118
	s_delay_alu instid0(VALU_DEP_1) | instskip(NEXT) | instid1(VALU_DEP_1)
	v_dual_add_nc_u32 v41, 14, v119 :: v_dual_add_nc_u32 v2, v2, v116
                                        ; implicit-def: $vgpr116_vgpr117
	v_cmpx_ne_u32_e32 0, v41
	s_xor_b32 s13, exec_lo, s13
; %bb.4462:                             ;   in Loop: Header=BB2_4268 Depth=4
	s_delay_alu instid0(VALU_DEP_2) | instskip(SKIP_1) | instid1(VALU_DEP_1)
	v_cmp_lt_u64_e32 vcc_lo, 0xffffff, v[2:3]
	v_add_nc_u32_e32 v18, 15, v119
	v_cndmask_b32_e32 v118, v41, v18, vcc_lo
	v_cndmask_b32_e64 v18, 0, 1, vcc_lo
	s_delay_alu instid0(VALU_DEP_1)
	v_lshrrev_b64 v[116:117], v18, v[2:3]
; %bb.4463:                             ;   in Loop: Header=BB2_4268 Depth=4
	s_and_not1_saveexec_b32 s13, s13
; %bb.4464:                             ;   in Loop: Header=BB2_4268 Depth=4
	v_mov_b64_e32 v[116:117], v[2:3]
	v_bfe_u32 v118, v2, 23, 1
; %bb.4465:                             ;   in Loop: Header=BB2_4268 Depth=4
	s_or_b32 exec_lo, exec_lo, s13
	s_delay_alu instid0(VALU_DEP_2) | instskip(NEXT) | instid1(VALU_DEP_2)
	v_lshrrev_b64 v[18:19], 21, v[116:117]
	v_cmp_gt_i32_e32 vcc_lo, 32, v118
	v_cmp_ne_u32_e64 s13, 0, v118
                                        ; implicit-def: $vgpr42
	s_delay_alu instid0(VALU_DEP_3) | instskip(NEXT) | instid1(VALU_DEP_1)
	v_dual_cndmask_b32 v117, 0, v19 :: v_dual_cndmask_b32 v116, 3, v18
	v_cmp_ne_u64_e32 vcc_lo, 0, v[116:117]
	s_or_b32 s13, s13, vcc_lo
	s_delay_alu instid0(SALU_CYCLE_1) | instskip(NEXT) | instid1(SALU_CYCLE_1)
	s_and_saveexec_b32 s77, s13
	s_xor_b32 s13, exec_lo, s77
; %bb.4466:                             ;   in Loop: Header=BB2_4268 Depth=4
	v_min_i32_e32 v2, 31, v118
	s_delay_alu instid0(VALU_DEP_1) | instskip(NEXT) | instid1(VALU_DEP_1)
	v_lshl_or_b32 v2, v2, 2, v40
                                        ; implicit-def: $vgpr40
	v_and_or_b32 v42, v116, 3, v2
; %bb.4467:                             ;   in Loop: Header=BB2_4268 Depth=4
	s_and_not1_saveexec_b32 s13, s13
; %bb.4468:                             ;   in Loop: Header=BB2_4268 Depth=4
	v_mov_b32_e32 v42, v40
; %bb.4469:                             ;   in Loop: Header=BB2_4268 Depth=4
	s_or_b32 exec_lo, exec_lo, s13
.LBB2_4470:                             ;   in Loop: Header=BB2_4268 Depth=4
	s_delay_alu instid0(SALU_CYCLE_1)
	s_or_b32 exec_lo, exec_lo, s76
                                        ; implicit-def: $vgpr40
.LBB2_4471:                             ;   in Loop: Header=BB2_4268 Depth=4
	s_and_not1_saveexec_b32 s13, s15
; %bb.4472:                             ;   in Loop: Header=BB2_4268 Depth=4
	v_or_b32_e32 v42, 0x7b, v40
; %bb.4473:                             ;   in Loop: Header=BB2_4268 Depth=4
	s_or_b32 exec_lo, exec_lo, s13
                                        ; implicit-def: $vgpr116
.LBB2_4474:                             ;   in Loop: Header=BB2_4268 Depth=4
	s_and_not1_saveexec_b32 s13, s14
	s_cbranch_execz .LBB2_4480
; %bb.4475:                             ;   in Loop: Header=BB2_4268 Depth=4
	s_mov_b32 s14, exec_lo
                                        ; implicit-def: $vgpr42
	v_cmpx_ne_u64_e32 0, v[2:3]
	s_xor_b32 s14, exec_lo, s14
; %bb.4476:                             ;   in Loop: Header=BB2_4268 Depth=4
	v_lshrrev_b32_e32 v2, 24, v116
                                        ; implicit-def: $vgpr116
	s_delay_alu instid0(VALU_DEP_1)
	v_or_b32_e32 v42, 0x7f, v2
; %bb.4477:                             ;   in Loop: Header=BB2_4268 Depth=4
	s_and_not1_saveexec_b32 s14, s14
; %bb.4478:                             ;   in Loop: Header=BB2_4268 Depth=4
	v_cmp_lt_i32_e32 vcc_lo, -1, v116
	v_cndmask_b32_e64 v42, -4, 0x7c, vcc_lo
; %bb.4479:                             ;   in Loop: Header=BB2_4268 Depth=4
	s_or_b32 exec_lo, exec_lo, s14
.LBB2_4480:                             ;   in Loop: Header=BB2_4268 Depth=4
	s_delay_alu instid0(SALU_CYCLE_1)
	s_or_b32 exec_lo, exec_lo, s13
	flat_load_i8 v2, v[8:9] offset:192 th:TH_LOAD_NT
	v_mov_b32_e32 v117, 0
	s_mov_b32 s13, exec_lo
	s_wait_loadcnt_dscnt 0x0
	v_cmpx_ne_u16_e32 0, v2
	s_cbranch_execz .LBB2_4490
; %bb.4481:                             ;   in Loop: Header=BB2_4268 Depth=4
	v_bfrev_b32_e32 v117, 1
	s_mov_b32 s14, exec_lo
	v_cmpx_ne_u16_e32 0xff80, v2
	s_cbranch_execz .LBB2_4489
; %bb.4482:                             ;   in Loop: Header=BB2_4268 Depth=4
	v_and_b32_e32 v18, 0x7c, v2
	v_and_b32_e32 v116, 3, v2
	s_mov_b32 s15, exec_lo
                                        ; implicit-def: $vgpr117
	s_delay_alu instid0(VALU_DEP_2)
	v_cmpx_ne_u32_e32 0x7c, v18
	s_xor_b32 s15, exec_lo, s15
	s_cbranch_execz .LBB2_4486
; %bb.4483:                             ;   in Loop: Header=BB2_4268 Depth=4
	v_and_b32_e32 v18, 0xff, v2
	s_mov_b32 s76, exec_lo
	s_delay_alu instid0(VALU_DEP_1) | instskip(NEXT) | instid1(VALU_DEP_1)
	v_bfe_u32 v117, v18, 2, 5
	v_cmpx_eq_u32_e32 0, v117
; %bb.4484:                             ;   in Loop: Header=BB2_4268 Depth=4
	v_clz_i32_u32_e32 v18, v116
	s_delay_alu instid0(VALU_DEP_1) | instskip(NEXT) | instid1(VALU_DEP_1)
	v_min_u32_e32 v116, 32, v18
	v_subrev_nc_u32_e32 v18, 29, v116
	s_delay_alu instid0(VALU_DEP_1) | instskip(NEXT) | instid1(VALU_DEP_1)
	v_lshlrev_b64_e32 v[18:19], v18, v[2:3]
	v_dual_sub_nc_u32 v117, 30, v116 :: v_dual_bitop2_b32 v116, 3, v18 bitop3:0x40
; %bb.4485:                             ;   in Loop: Header=BB2_4268 Depth=4
	s_or_b32 exec_lo, exec_lo, s76
	v_bfe_i32 v2, v2, 0, 16
	s_delay_alu instid0(VALU_DEP_1) | instskip(NEXT) | instid1(VALU_DEP_1)
	v_and_b32_e32 v2, 0x80000000, v2
	v_lshl_add_u32 v2, v117, 23, v2
	s_delay_alu instid0(VALU_DEP_1) | instskip(NEXT) | instid1(VALU_DEP_1)
	v_lshl_or_b32 v2, v116, 21, v2
                                        ; implicit-def: $vgpr116
	v_add_nc_u32_e32 v117, 0x38000000, v2
.LBB2_4486:                             ;   in Loop: Header=BB2_4268 Depth=4
	s_and_not1_saveexec_b32 s15, s15
; %bb.4487:                             ;   in Loop: Header=BB2_4268 Depth=4
	v_cmp_lt_i16_e32 vcc_lo, -1, v2
	v_cndmask_b32_e32 v2, 0xff800000, v111, vcc_lo
	v_cmp_eq_u32_e32 vcc_lo, 0, v116
	s_delay_alu instid0(VALU_DEP_2)
	v_cndmask_b32_e32 v117, 0x7f800001, v2, vcc_lo
; %bb.4488:                             ;   in Loop: Header=BB2_4268 Depth=4
	s_or_b32 exec_lo, exec_lo, s15
.LBB2_4489:                             ;   in Loop: Header=BB2_4268 Depth=4
	s_delay_alu instid0(SALU_CYCLE_1)
	s_or_b32 exec_lo, exec_lo, s14
.LBB2_4490:                             ;   in Loop: Header=BB2_4268 Depth=4
	s_delay_alu instid0(SALU_CYCLE_1) | instskip(NEXT) | instid1(VALU_DEP_1)
	s_or_b32 exec_lo, exec_lo, s13
	v_dual_mul_f32 v116, s75, v117 :: v_dual_mov_b32 v19, v3
                                        ; implicit-def: $vgpr40
	s_mov_b32 s13, exec_lo
	s_delay_alu instid0(VALU_DEP_1) | instskip(SKIP_1) | instid1(VALU_DEP_2)
	v_and_b32_e32 v18, 0x7f800000, v116
	v_and_b32_e32 v2, 0x7fffff, v116
	v_cmpx_ne_u64_e32 0x7f800000, v[18:19]
	s_xor_b32 s14, exec_lo, s13
	s_cbranch_execz .LBB2_4508
; %bb.4491:                             ;   in Loop: Header=BB2_4268 Depth=4
	v_dual_mov_b32 v19, v3 :: v_dual_lshrrev_b32 v117, 24, v116
	v_and_b32_e32 v18, 0x7fffffff, v116
                                        ; implicit-def: $vgpr40
	s_mov_b32 s13, exec_lo
	s_delay_alu instid0(VALU_DEP_2) | instskip(NEXT) | instid1(VALU_DEP_2)
	v_and_b32_e32 v41, 0x80, v117
	v_cmpx_gt_u64_e32 0x47600001, v[18:19]
	s_xor_b32 s15, exec_lo, s13
	s_cbranch_execz .LBB2_4505
; %bb.4492:                             ;   in Loop: Header=BB2_4268 Depth=4
	v_mov_b32_e32 v40, 0
	s_mov_b32 s76, exec_lo
	v_cmpx_ne_u32_e32 0, v116
	s_cbranch_execz .LBB2_4504
; %bb.4493:                             ;   in Loop: Header=BB2_4268 Depth=4
	v_bfe_u32 v40, v116, 23, 8
	v_or_b32_e32 v116, 0x800000, v2
	s_delay_alu instid0(VALU_DEP_2) | instskip(SKIP_1) | instid1(VALU_DEP_2)
	v_sub_nc_u32_e32 v18, 0x71, v40
	v_cmp_gt_u32_e32 vcc_lo, 0x72, v40
	v_cndmask_b32_e32 v18, 0, v18, vcc_lo
	v_cmp_eq_u32_e32 vcc_lo, 0, v40
	s_delay_alu instid0(VALU_DEP_2) | instskip(NEXT) | instid1(VALU_DEP_1)
	v_cndmask_b32_e64 v43, v18, 0x70, vcc_lo
	v_dual_cndmask_b32 v2, v116, v2, vcc_lo :: v_dual_add_nc_u32 v18, 21, v43
	v_add_nc_u32_e32 v117, 20, v43
	s_delay_alu instid0(VALU_DEP_2) | instskip(NEXT) | instid1(VALU_DEP_2)
	v_lshlrev_b64_e64 v[18:19], v18, -1
	v_lshlrev_b64_e64 v[118:119], v117, 1
	s_delay_alu instid0(VALU_DEP_4) | instskip(NEXT) | instid1(VALU_DEP_3)
	v_lshrrev_b64 v[116:117], v43, v[2:3]
	v_bfi_b32 v19, v19, 0, 0
	s_delay_alu instid0(VALU_DEP_4) | instskip(NEXT) | instid1(VALU_DEP_1)
	v_bfi_b32 v18, v18, 0, v2
	v_cmp_eq_u64_e64 s13, v[18:19], v[118:119]
	s_delay_alu instid0(VALU_DEP_4)
	v_mov_b64_e32 v[118:119], v[116:117]
	s_and_saveexec_b32 s77, s13
; %bb.4494:                             ;   in Loop: Header=BB2_4268 Depth=4
	v_bfe_u32 v2, v116, 21, 1
	s_delay_alu instid0(VALU_DEP_1) | instskip(NEXT) | instid1(VALU_DEP_1)
	v_add_nc_u64_e32 v[18:19], v[116:117], v[2:3]
	v_add_nc_u64_e32 v[118:119], -1, v[18:19]
; %bb.4495:                             ;   in Loop: Header=BB2_4268 Depth=4
	s_or_b32 exec_lo, exec_lo, s77
	v_add_nc_u32_e32 v2, 0xffffff81, v40
	v_lshrrev_b32_e32 v18, 23, v116
	s_mov_b32 s13, exec_lo
	s_delay_alu instid0(VALU_DEP_2) | instskip(NEXT) | instid1(VALU_DEP_1)
	v_cndmask_b32_e64 v2, v2, 0xffffff82, vcc_lo
	v_add3_u32 v119, v43, v2, v18
	v_and_b32_e32 v2, 0x1fffff, v118
                                        ; implicit-def: $vgpr118
	s_delay_alu instid0(VALU_DEP_1) | instskip(NEXT) | instid1(VALU_DEP_1)
	v_dual_add_nc_u32 v40, 14, v119 :: v_dual_add_nc_u32 v2, v2, v116
                                        ; implicit-def: $vgpr116_vgpr117
	v_cmpx_ne_u32_e32 0, v40
	s_xor_b32 s13, exec_lo, s13
; %bb.4496:                             ;   in Loop: Header=BB2_4268 Depth=4
	s_delay_alu instid0(VALU_DEP_2) | instskip(SKIP_1) | instid1(VALU_DEP_1)
	v_cmp_lt_u64_e32 vcc_lo, 0xffffff, v[2:3]
	v_add_nc_u32_e32 v18, 15, v119
	v_cndmask_b32_e32 v118, v40, v18, vcc_lo
	v_cndmask_b32_e64 v18, 0, 1, vcc_lo
	s_delay_alu instid0(VALU_DEP_1)
	v_lshrrev_b64 v[116:117], v18, v[2:3]
; %bb.4497:                             ;   in Loop: Header=BB2_4268 Depth=4
	s_and_not1_saveexec_b32 s13, s13
; %bb.4498:                             ;   in Loop: Header=BB2_4268 Depth=4
	v_mov_b64_e32 v[116:117], v[2:3]
	v_bfe_u32 v118, v2, 23, 1
; %bb.4499:                             ;   in Loop: Header=BB2_4268 Depth=4
	s_or_b32 exec_lo, exec_lo, s13
	s_delay_alu instid0(VALU_DEP_2) | instskip(NEXT) | instid1(VALU_DEP_2)
	v_lshrrev_b64 v[18:19], 21, v[116:117]
	v_cmp_gt_i32_e32 vcc_lo, 32, v118
	v_cmp_ne_u32_e64 s13, 0, v118
                                        ; implicit-def: $vgpr40
	s_delay_alu instid0(VALU_DEP_3) | instskip(NEXT) | instid1(VALU_DEP_1)
	v_dual_cndmask_b32 v117, 0, v19 :: v_dual_cndmask_b32 v116, 3, v18
	v_cmp_ne_u64_e32 vcc_lo, 0, v[116:117]
	s_or_b32 s13, s13, vcc_lo
	s_delay_alu instid0(SALU_CYCLE_1) | instskip(NEXT) | instid1(SALU_CYCLE_1)
	s_and_saveexec_b32 s77, s13
	s_xor_b32 s13, exec_lo, s77
; %bb.4500:                             ;   in Loop: Header=BB2_4268 Depth=4
	v_min_i32_e32 v2, 31, v118
	s_delay_alu instid0(VALU_DEP_1) | instskip(NEXT) | instid1(VALU_DEP_1)
	v_lshl_or_b32 v2, v2, 2, v41
                                        ; implicit-def: $vgpr41
	v_and_or_b32 v40, v116, 3, v2
; %bb.4501:                             ;   in Loop: Header=BB2_4268 Depth=4
	s_and_not1_saveexec_b32 s13, s13
; %bb.4502:                             ;   in Loop: Header=BB2_4268 Depth=4
	v_mov_b32_e32 v40, v41
; %bb.4503:                             ;   in Loop: Header=BB2_4268 Depth=4
	s_or_b32 exec_lo, exec_lo, s13
.LBB2_4504:                             ;   in Loop: Header=BB2_4268 Depth=4
	s_delay_alu instid0(SALU_CYCLE_1)
	s_or_b32 exec_lo, exec_lo, s76
                                        ; implicit-def: $vgpr41
.LBB2_4505:                             ;   in Loop: Header=BB2_4268 Depth=4
	s_and_not1_saveexec_b32 s13, s15
; %bb.4506:                             ;   in Loop: Header=BB2_4268 Depth=4
	v_or_b32_e32 v40, 0x7b, v41
; %bb.4507:                             ;   in Loop: Header=BB2_4268 Depth=4
	s_or_b32 exec_lo, exec_lo, s13
                                        ; implicit-def: $vgpr116
.LBB2_4508:                             ;   in Loop: Header=BB2_4268 Depth=4
	s_and_not1_saveexec_b32 s13, s14
	s_cbranch_execz .LBB2_4514
; %bb.4509:                             ;   in Loop: Header=BB2_4268 Depth=4
	s_mov_b32 s14, exec_lo
                                        ; implicit-def: $vgpr40
	v_cmpx_ne_u64_e32 0, v[2:3]
	s_xor_b32 s14, exec_lo, s14
; %bb.4510:                             ;   in Loop: Header=BB2_4268 Depth=4
	v_lshrrev_b32_e32 v2, 24, v116
                                        ; implicit-def: $vgpr116
	s_delay_alu instid0(VALU_DEP_1)
	v_or_b32_e32 v40, 0x7f, v2
; %bb.4511:                             ;   in Loop: Header=BB2_4268 Depth=4
	s_and_not1_saveexec_b32 s14, s14
; %bb.4512:                             ;   in Loop: Header=BB2_4268 Depth=4
	v_cmp_lt_i32_e32 vcc_lo, -1, v116
	v_cndmask_b32_e64 v40, -4, 0x7c, vcc_lo
; %bb.4513:                             ;   in Loop: Header=BB2_4268 Depth=4
	s_or_b32 exec_lo, exec_lo, s14
.LBB2_4514:                             ;   in Loop: Header=BB2_4268 Depth=4
	s_delay_alu instid0(SALU_CYCLE_1)
	s_or_b32 exec_lo, exec_lo, s13
	flat_load_i8 v2, v[8:9] offset:224 th:TH_LOAD_NT
	v_mov_b32_e32 v117, 0
	s_mov_b32 s13, exec_lo
	s_wait_loadcnt_dscnt 0x0
	v_cmpx_ne_u16_e32 0, v2
	s_cbranch_execz .LBB2_4524
; %bb.4515:                             ;   in Loop: Header=BB2_4268 Depth=4
	v_bfrev_b32_e32 v117, 1
	s_mov_b32 s14, exec_lo
	v_cmpx_ne_u16_e32 0xff80, v2
	s_cbranch_execz .LBB2_4523
; %bb.4516:                             ;   in Loop: Header=BB2_4268 Depth=4
	v_and_b32_e32 v18, 0x7c, v2
	v_and_b32_e32 v116, 3, v2
	s_mov_b32 s15, exec_lo
                                        ; implicit-def: $vgpr117
	s_delay_alu instid0(VALU_DEP_2)
	v_cmpx_ne_u32_e32 0x7c, v18
	s_xor_b32 s15, exec_lo, s15
	s_cbranch_execz .LBB2_4520
; %bb.4517:                             ;   in Loop: Header=BB2_4268 Depth=4
	v_and_b32_e32 v18, 0xff, v2
	s_mov_b32 s76, exec_lo
	s_delay_alu instid0(VALU_DEP_1) | instskip(NEXT) | instid1(VALU_DEP_1)
	v_bfe_u32 v117, v18, 2, 5
	v_cmpx_eq_u32_e32 0, v117
; %bb.4518:                             ;   in Loop: Header=BB2_4268 Depth=4
	v_clz_i32_u32_e32 v18, v116
	s_delay_alu instid0(VALU_DEP_1) | instskip(NEXT) | instid1(VALU_DEP_1)
	v_min_u32_e32 v116, 32, v18
	v_subrev_nc_u32_e32 v18, 29, v116
	s_delay_alu instid0(VALU_DEP_1) | instskip(NEXT) | instid1(VALU_DEP_1)
	v_lshlrev_b64_e32 v[18:19], v18, v[2:3]
	v_dual_sub_nc_u32 v117, 30, v116 :: v_dual_bitop2_b32 v116, 3, v18 bitop3:0x40
; %bb.4519:                             ;   in Loop: Header=BB2_4268 Depth=4
	s_or_b32 exec_lo, exec_lo, s76
	v_bfe_i32 v2, v2, 0, 16
	s_delay_alu instid0(VALU_DEP_1) | instskip(NEXT) | instid1(VALU_DEP_1)
	v_and_b32_e32 v2, 0x80000000, v2
	v_lshl_add_u32 v2, v117, 23, v2
	s_delay_alu instid0(VALU_DEP_1) | instskip(NEXT) | instid1(VALU_DEP_1)
	v_lshl_or_b32 v2, v116, 21, v2
                                        ; implicit-def: $vgpr116
	v_add_nc_u32_e32 v117, 0x38000000, v2
.LBB2_4520:                             ;   in Loop: Header=BB2_4268 Depth=4
	s_and_not1_saveexec_b32 s15, s15
; %bb.4521:                             ;   in Loop: Header=BB2_4268 Depth=4
	v_cmp_lt_i16_e32 vcc_lo, -1, v2
	v_cndmask_b32_e32 v2, 0xff800000, v111, vcc_lo
	v_cmp_eq_u32_e32 vcc_lo, 0, v116
	s_delay_alu instid0(VALU_DEP_2)
	v_cndmask_b32_e32 v117, 0x7f800001, v2, vcc_lo
; %bb.4522:                             ;   in Loop: Header=BB2_4268 Depth=4
	s_or_b32 exec_lo, exec_lo, s15
.LBB2_4523:                             ;   in Loop: Header=BB2_4268 Depth=4
	s_delay_alu instid0(SALU_CYCLE_1)
	s_or_b32 exec_lo, exec_lo, s14
.LBB2_4524:                             ;   in Loop: Header=BB2_4268 Depth=4
	s_delay_alu instid0(SALU_CYCLE_1) | instskip(NEXT) | instid1(VALU_DEP_1)
	s_or_b32 exec_lo, exec_lo, s13
	v_dual_mul_f32 v117, s75, v117 :: v_dual_mov_b32 v19, v3
                                        ; implicit-def: $vgpr116
	s_mov_b32 s13, exec_lo
	s_delay_alu instid0(VALU_DEP_1) | instskip(SKIP_1) | instid1(VALU_DEP_2)
	v_and_b32_e32 v18, 0x7f800000, v117
	v_and_b32_e32 v2, 0x7fffff, v117
	v_cmpx_ne_u64_e32 0x7f800000, v[18:19]
	s_xor_b32 s14, exec_lo, s13
	s_cbranch_execz .LBB2_4542
; %bb.4525:                             ;   in Loop: Header=BB2_4268 Depth=4
	v_dual_mov_b32 v19, v3 :: v_dual_lshrrev_b32 v116, 24, v117
	v_and_b32_e32 v18, 0x7fffffff, v117
	s_mov_b32 s13, exec_lo
	s_delay_alu instid0(VALU_DEP_2) | instskip(NEXT) | instid1(VALU_DEP_2)
	v_and_b32_e32 v41, 0x80, v116
                                        ; implicit-def: $vgpr116
	v_cmpx_gt_u64_e32 0x47600001, v[18:19]
	s_xor_b32 s15, exec_lo, s13
	s_cbranch_execz .LBB2_4539
; %bb.4526:                             ;   in Loop: Header=BB2_4268 Depth=4
	v_mov_b32_e32 v116, 0
	s_mov_b32 s75, exec_lo
	v_cmpx_ne_u32_e32 0, v117
	s_cbranch_execz .LBB2_4538
; %bb.4527:                             ;   in Loop: Header=BB2_4268 Depth=4
	v_bfe_u32 v43, v117, 23, 8
	v_or_b32_e32 v116, 0x800000, v2
	s_delay_alu instid0(VALU_DEP_2) | instskip(SKIP_1) | instid1(VALU_DEP_2)
	v_sub_nc_u32_e32 v18, 0x71, v43
	v_cmp_gt_u32_e32 vcc_lo, 0x72, v43
	v_cndmask_b32_e32 v18, 0, v18, vcc_lo
	v_cmp_eq_u32_e32 vcc_lo, 0, v43
	s_delay_alu instid0(VALU_DEP_2) | instskip(NEXT) | instid1(VALU_DEP_1)
	v_cndmask_b32_e64 v45, v18, 0x70, vcc_lo
	v_dual_cndmask_b32 v2, v116, v2, vcc_lo :: v_dual_add_nc_u32 v18, 21, v45
	v_add_nc_u32_e32 v117, 20, v45
	s_delay_alu instid0(VALU_DEP_2) | instskip(NEXT) | instid1(VALU_DEP_2)
	v_lshlrev_b64_e64 v[18:19], v18, -1
	v_lshlrev_b64_e64 v[118:119], v117, 1
	s_delay_alu instid0(VALU_DEP_4) | instskip(NEXT) | instid1(VALU_DEP_3)
	v_lshrrev_b64 v[116:117], v45, v[2:3]
	v_bfi_b32 v19, v19, 0, 0
	s_delay_alu instid0(VALU_DEP_4) | instskip(NEXT) | instid1(VALU_DEP_1)
	v_bfi_b32 v18, v18, 0, v2
	v_cmp_eq_u64_e64 s13, v[18:19], v[118:119]
	s_delay_alu instid0(VALU_DEP_4)
	v_mov_b64_e32 v[118:119], v[116:117]
	s_and_saveexec_b32 s76, s13
; %bb.4528:                             ;   in Loop: Header=BB2_4268 Depth=4
	v_bfe_u32 v2, v116, 21, 1
	s_delay_alu instid0(VALU_DEP_1) | instskip(NEXT) | instid1(VALU_DEP_1)
	v_add_nc_u64_e32 v[18:19], v[116:117], v[2:3]
	v_add_nc_u64_e32 v[118:119], -1, v[18:19]
; %bb.4529:                             ;   in Loop: Header=BB2_4268 Depth=4
	s_or_b32 exec_lo, exec_lo, s76
	v_add_nc_u32_e32 v2, 0xffffff81, v43
	v_lshrrev_b32_e32 v18, 23, v116
	s_mov_b32 s13, exec_lo
                                        ; implicit-def: $vgpr43
	s_delay_alu instid0(VALU_DEP_2) | instskip(NEXT) | instid1(VALU_DEP_1)
	v_cndmask_b32_e64 v2, v2, 0xffffff82, vcc_lo
	v_add3_u32 v119, v45, v2, v18
	v_and_b32_e32 v2, 0x1fffff, v118
	s_delay_alu instid0(VALU_DEP_1) | instskip(NEXT) | instid1(VALU_DEP_1)
	v_dual_add_nc_u32 v118, 14, v119 :: v_dual_add_nc_u32 v2, v2, v116
                                        ; implicit-def: $vgpr116_vgpr117
	v_cmpx_ne_u32_e32 0, v118
	s_xor_b32 s13, exec_lo, s13
; %bb.4530:                             ;   in Loop: Header=BB2_4268 Depth=4
	s_delay_alu instid0(VALU_DEP_2) | instskip(SKIP_1) | instid1(VALU_DEP_1)
	v_cmp_lt_u64_e32 vcc_lo, 0xffffff, v[2:3]
	v_add_nc_u32_e32 v18, 15, v119
	v_cndmask_b32_e32 v43, v118, v18, vcc_lo
	v_cndmask_b32_e64 v18, 0, 1, vcc_lo
	s_delay_alu instid0(VALU_DEP_1)
	v_lshrrev_b64 v[116:117], v18, v[2:3]
; %bb.4531:                             ;   in Loop: Header=BB2_4268 Depth=4
	s_and_not1_saveexec_b32 s13, s13
; %bb.4532:                             ;   in Loop: Header=BB2_4268 Depth=4
	v_mov_b64_e32 v[116:117], v[2:3]
	v_bfe_u32 v43, v2, 23, 1
; %bb.4533:                             ;   in Loop: Header=BB2_4268 Depth=4
	s_or_b32 exec_lo, exec_lo, s13
	s_delay_alu instid0(VALU_DEP_2) | instskip(NEXT) | instid1(VALU_DEP_2)
	v_lshrrev_b64 v[18:19], 21, v[116:117]
	v_cmp_gt_i32_e32 vcc_lo, 32, v43
	v_cmp_ne_u32_e64 s13, 0, v43
                                        ; implicit-def: $vgpr116
	s_delay_alu instid0(VALU_DEP_3) | instskip(NEXT) | instid1(VALU_DEP_1)
	v_dual_cndmask_b32 v119, 0, v19 :: v_dual_cndmask_b32 v118, 3, v18
	v_cmp_ne_u64_e32 vcc_lo, 0, v[118:119]
	s_or_b32 s13, s13, vcc_lo
	s_delay_alu instid0(SALU_CYCLE_1) | instskip(NEXT) | instid1(SALU_CYCLE_1)
	s_and_saveexec_b32 s76, s13
	s_xor_b32 s13, exec_lo, s76
; %bb.4534:                             ;   in Loop: Header=BB2_4268 Depth=4
	v_min_i32_e32 v2, 31, v43
	s_delay_alu instid0(VALU_DEP_1) | instskip(NEXT) | instid1(VALU_DEP_1)
	v_lshl_or_b32 v2, v2, 2, v41
                                        ; implicit-def: $vgpr41
	v_and_or_b32 v116, v118, 3, v2
; %bb.4535:                             ;   in Loop: Header=BB2_4268 Depth=4
	s_and_not1_saveexec_b32 s13, s13
; %bb.4536:                             ;   in Loop: Header=BB2_4268 Depth=4
	v_mov_b32_e32 v116, v41
; %bb.4537:                             ;   in Loop: Header=BB2_4268 Depth=4
	s_or_b32 exec_lo, exec_lo, s13
.LBB2_4538:                             ;   in Loop: Header=BB2_4268 Depth=4
	s_delay_alu instid0(SALU_CYCLE_1)
	s_or_b32 exec_lo, exec_lo, s75
                                        ; implicit-def: $vgpr41
.LBB2_4539:                             ;   in Loop: Header=BB2_4268 Depth=4
	s_and_not1_saveexec_b32 s13, s15
; %bb.4540:                             ;   in Loop: Header=BB2_4268 Depth=4
	v_or_b32_e32 v116, 0x7b, v41
; %bb.4541:                             ;   in Loop: Header=BB2_4268 Depth=4
	s_or_b32 exec_lo, exec_lo, s13
                                        ; implicit-def: $vgpr117
.LBB2_4542:                             ;   in Loop: Header=BB2_4268 Depth=4
	s_and_not1_saveexec_b32 s13, s14
	s_cbranch_execz .LBB2_4548
; %bb.4543:                             ;   in Loop: Header=BB2_4268 Depth=4
	s_mov_b32 s14, exec_lo
                                        ; implicit-def: $vgpr116
	v_cmpx_ne_u64_e32 0, v[2:3]
	s_xor_b32 s14, exec_lo, s14
; %bb.4544:                             ;   in Loop: Header=BB2_4268 Depth=4
	v_lshrrev_b32_e32 v2, 24, v117
                                        ; implicit-def: $vgpr117
	s_delay_alu instid0(VALU_DEP_1)
	v_or_b32_e32 v116, 0x7f, v2
; %bb.4545:                             ;   in Loop: Header=BB2_4268 Depth=4
	s_and_not1_saveexec_b32 s14, s14
; %bb.4546:                             ;   in Loop: Header=BB2_4268 Depth=4
	v_cmp_lt_i32_e32 vcc_lo, -1, v117
	v_cndmask_b32_e64 v116, -4, 0x7c, vcc_lo
; %bb.4547:                             ;   in Loop: Header=BB2_4268 Depth=4
	s_or_b32 exec_lo, exec_lo, s14
.LBB2_4548:                             ;   in Loop: Header=BB2_4268 Depth=4
	s_delay_alu instid0(SALU_CYCLE_1)
	s_or_b32 exec_lo, exec_lo, s13
	s_clause 0x7
	flat_load_i8 v2, v[10:11] th:TH_LOAD_NT
	flat_load_i8 v88, v[10:11] offset:32 th:TH_LOAD_NT
	flat_load_i8 v78, v[10:11] offset:64 th:TH_LOAD_NT
	;; [unrolled: 1-line block ×7, first 2 shown]
	v_and_b32_e32 v43, 0xff, v62
	v_dual_mov_b32 v117, 0 :: v_dual_mov_b32 v119, 0
	s_mov_b32 s13, exec_lo
	s_wait_xcnt 0x0
	s_delay_alu instid0(VALU_DEP_2)
	v_cmpx_ne_u16_e32 0, v43
	s_cbranch_execz .LBB2_4558
; %bb.4549:                             ;   in Loop: Header=BB2_4268 Depth=4
	v_bfrev_b32_e32 v119, 1
	s_mov_b32 s14, exec_lo
	v_cmpx_ne_u16_e32 0x80, v43
	s_cbranch_execz .LBB2_4557
; %bb.4550:                             ;   in Loop: Header=BB2_4268 Depth=4
	v_and_b32_e32 v18, 0x7c, v62
	v_and_b32_e32 v41, 3, v62
	s_mov_b32 s15, exec_lo
                                        ; implicit-def: $vgpr119
	s_delay_alu instid0(VALU_DEP_2)
	v_cmpx_ne_u32_e32 0x7c, v18
	s_xor_b32 s15, exec_lo, s15
	s_cbranch_execz .LBB2_4554
; %bb.4551:                             ;   in Loop: Header=BB2_4268 Depth=4
	v_bfe_u32 v119, v43, 2, 5
	s_mov_b32 s75, exec_lo
	s_delay_alu instid0(VALU_DEP_1)
	v_cmpx_eq_u32_e32 0, v119
	s_cbranch_execz .LBB2_4553
; %bb.4552:                             ;   in Loop: Header=BB2_4268 Depth=4
	v_clz_i32_u32_e32 v18, v41
	s_delay_alu instid0(VALU_DEP_1) | instskip(SKIP_1) | instid1(VALU_DEP_2)
	v_min_u32_e32 v119, 32, v18
	v_mov_b32_e32 v63, v3
	v_subrev_nc_u32_e32 v18, 29, v119
	v_sub_nc_u32_e32 v119, 30, v119
	s_delay_alu instid0(VALU_DEP_2) | instskip(NEXT) | instid1(VALU_DEP_1)
	v_lshlrev_b64_e32 v[18:19], v18, v[62:63]
	v_and_b32_e32 v41, 3, v18
.LBB2_4553:                             ;   in Loop: Header=BB2_4268 Depth=4
	s_or_b32 exec_lo, exec_lo, s75
	v_lshlrev_b32_e32 v18, 24, v62
                                        ; implicit-def: $vgpr62
	s_delay_alu instid0(VALU_DEP_1) | instskip(NEXT) | instid1(VALU_DEP_1)
	v_and_b32_e32 v18, 0x80000000, v18
	v_lshl_add_u32 v18, v119, 23, v18
	s_delay_alu instid0(VALU_DEP_1) | instskip(NEXT) | instid1(VALU_DEP_1)
	v_lshl_or_b32 v18, v41, 21, v18
                                        ; implicit-def: $vgpr41
	v_add_nc_u32_e32 v119, 0x38000000, v18
.LBB2_4554:                             ;   in Loop: Header=BB2_4268 Depth=4
	s_and_not1_saveexec_b32 s15, s15
; %bb.4555:                             ;   in Loop: Header=BB2_4268 Depth=4
	v_bfe_i32 v18, v62, 0, 8
	s_delay_alu instid0(VALU_DEP_1) | instskip(SKIP_2) | instid1(VALU_DEP_2)
	v_cmp_lt_i16_e32 vcc_lo, -1, v18
	v_cndmask_b32_e32 v18, 0xff800000, v111, vcc_lo
	v_cmp_eq_u32_e32 vcc_lo, 0, v41
	v_cndmask_b32_e32 v119, 0x7f800001, v18, vcc_lo
; %bb.4556:                             ;   in Loop: Header=BB2_4268 Depth=4
	s_or_b32 exec_lo, exec_lo, s15
.LBB2_4557:                             ;   in Loop: Header=BB2_4268 Depth=4
	s_delay_alu instid0(SALU_CYCLE_1)
	s_or_b32 exec_lo, exec_lo, s14
.LBB2_4558:                             ;   in Loop: Header=BB2_4268 Depth=4
	s_delay_alu instid0(SALU_CYCLE_1) | instskip(NEXT) | instid1(SALU_CYCLE_1)
	s_or_b32 exec_lo, exec_lo, s13
	s_mov_b32 s13, exec_lo
	s_wait_loadcnt_dscnt 0x707
	v_cmpx_ne_u16_e32 0, v2
	s_cbranch_execz .LBB2_4568
; %bb.4559:                             ;   in Loop: Header=BB2_4268 Depth=4
	v_bfrev_b32_e32 v117, 1
	s_mov_b32 s14, exec_lo
	v_cmpx_ne_u16_e32 0xff80, v2
	s_cbranch_execz .LBB2_4567
; %bb.4560:                             ;   in Loop: Header=BB2_4268 Depth=4
	v_and_b32_e32 v18, 0x7c, v2
	v_and_b32_e32 v41, 3, v2
	s_mov_b32 s15, exec_lo
                                        ; implicit-def: $vgpr117
	s_delay_alu instid0(VALU_DEP_2)
	v_cmpx_ne_u32_e32 0x7c, v18
	s_xor_b32 s15, exec_lo, s15
	s_cbranch_execz .LBB2_4564
; %bb.4561:                             ;   in Loop: Header=BB2_4268 Depth=4
	v_and_b32_e32 v18, 0xff, v2
	s_mov_b32 s75, exec_lo
	s_delay_alu instid0(VALU_DEP_1) | instskip(NEXT) | instid1(VALU_DEP_1)
	v_bfe_u32 v117, v18, 2, 5
	v_cmpx_eq_u32_e32 0, v117
; %bb.4562:                             ;   in Loop: Header=BB2_4268 Depth=4
	v_clz_i32_u32_e32 v18, v41
	s_delay_alu instid0(VALU_DEP_1) | instskip(NEXT) | instid1(VALU_DEP_1)
	v_min_u32_e32 v117, 32, v18
	v_subrev_nc_u32_e32 v18, 29, v117
	s_delay_alu instid0(VALU_DEP_1) | instskip(NEXT) | instid1(VALU_DEP_1)
	v_lshlrev_b64_e32 v[18:19], v18, v[2:3]
	v_dual_sub_nc_u32 v117, 30, v117 :: v_dual_bitop2_b32 v41, 3, v18 bitop3:0x40
; %bb.4563:                             ;   in Loop: Header=BB2_4268 Depth=4
	s_or_b32 exec_lo, exec_lo, s75
	v_bfe_i32 v2, v2, 0, 16
	s_delay_alu instid0(VALU_DEP_1) | instskip(NEXT) | instid1(VALU_DEP_1)
	v_and_b32_e32 v2, 0x80000000, v2
	v_lshl_add_u32 v2, v117, 23, v2
	s_delay_alu instid0(VALU_DEP_1) | instskip(NEXT) | instid1(VALU_DEP_1)
	v_lshl_or_b32 v2, v41, 21, v2
                                        ; implicit-def: $vgpr41
	v_add_nc_u32_e32 v117, 0x38000000, v2
.LBB2_4564:                             ;   in Loop: Header=BB2_4268 Depth=4
	s_and_not1_saveexec_b32 s15, s15
; %bb.4565:                             ;   in Loop: Header=BB2_4268 Depth=4
	v_cmp_lt_i16_e32 vcc_lo, -1, v2
	v_cndmask_b32_e32 v2, 0xff800000, v111, vcc_lo
	v_cmp_eq_u32_e32 vcc_lo, 0, v41
	s_delay_alu instid0(VALU_DEP_2)
	v_cndmask_b32_e32 v117, 0x7f800001, v2, vcc_lo
; %bb.4566:                             ;   in Loop: Header=BB2_4268 Depth=4
	s_or_b32 exec_lo, exec_lo, s15
.LBB2_4567:                             ;   in Loop: Header=BB2_4268 Depth=4
	s_delay_alu instid0(SALU_CYCLE_1)
	s_or_b32 exec_lo, exec_lo, s14
.LBB2_4568:                             ;   in Loop: Header=BB2_4268 Depth=4
	s_delay_alu instid0(SALU_CYCLE_1) | instskip(NEXT) | instid1(VALU_DEP_1)
	s_or_b32 exec_lo, exec_lo, s13
	v_add_f32_e32 v119, v119, v117
	v_mov_b32_e32 v19, v3
                                        ; implicit-def: $vgpr90
	s_mov_b32 s13, exec_lo
	s_delay_alu instid0(VALU_DEP_2) | instskip(SKIP_1) | instid1(VALU_DEP_2)
	v_and_b32_e32 v18, 0x7f800000, v119
	v_and_b32_e32 v2, 0x7fffff, v119
	v_cmpx_ne_u64_e32 0x7f800000, v[18:19]
	s_xor_b32 s14, exec_lo, s13
	s_cbranch_execz .LBB2_4586
; %bb.4569:                             ;   in Loop: Header=BB2_4268 Depth=4
	v_dual_mov_b32 v19, v3 :: v_dual_lshrrev_b32 v117, 24, v119
	v_and_b32_e32 v18, 0x7fffffff, v119
                                        ; implicit-def: $vgpr90
	s_mov_b32 s13, exec_lo
	s_delay_alu instid0(VALU_DEP_2) | instskip(NEXT) | instid1(VALU_DEP_2)
	v_and_b32_e32 v117, 0x80, v117
	v_cmpx_gt_u64_e32 0x47600001, v[18:19]
	s_xor_b32 s15, exec_lo, s13
	s_cbranch_execz .LBB2_4583
; %bb.4570:                             ;   in Loop: Header=BB2_4268 Depth=4
	v_mov_b32_e32 v90, 0
	s_mov_b32 s75, exec_lo
	v_cmpx_ne_u32_e32 0, v119
	s_cbranch_execz .LBB2_4582
; %bb.4571:                             ;   in Loop: Header=BB2_4268 Depth=4
	v_bfe_u32 v119, v119, 23, 8
	v_or_b32_e32 v43, 0x800000, v2
	s_delay_alu instid0(VALU_DEP_2) | instskip(SKIP_1) | instid1(VALU_DEP_2)
	v_sub_nc_u32_e32 v18, 0x71, v119
	v_cmp_gt_u32_e32 vcc_lo, 0x72, v119
	v_cndmask_b32_e32 v18, 0, v18, vcc_lo
	v_cmp_eq_u32_e32 vcc_lo, 0, v119
	s_delay_alu instid0(VALU_DEP_2) | instskip(NEXT) | instid1(VALU_DEP_1)
	v_cndmask_b32_e64 v41, v18, 0x70, vcc_lo
	v_dual_cndmask_b32 v2, v43, v2, vcc_lo :: v_dual_add_nc_u32 v18, 21, v41
	v_add_nc_u32_e32 v45, 20, v41
	s_delay_alu instid0(VALU_DEP_2) | instskip(NEXT) | instid1(VALU_DEP_3)
	v_lshrrev_b64 v[62:63], v41, v[2:3]
	v_lshlrev_b64_e64 v[18:19], v18, -1
	s_delay_alu instid0(VALU_DEP_3) | instskip(NEXT) | instid1(VALU_DEP_2)
	v_lshlrev_b64_e64 v[90:91], v45, 1
	v_bfi_b32 v19, v19, 0, 0
	s_delay_alu instid0(VALU_DEP_3) | instskip(NEXT) | instid1(VALU_DEP_1)
	v_bfi_b32 v18, v18, 0, v2
	v_cmp_eq_u64_e64 s13, v[18:19], v[90:91]
	v_mov_b64_e32 v[90:91], v[62:63]
	s_and_saveexec_b32 s76, s13
; %bb.4572:                             ;   in Loop: Header=BB2_4268 Depth=4
	v_bfe_u32 v2, v62, 21, 1
	s_delay_alu instid0(VALU_DEP_1) | instskip(NEXT) | instid1(VALU_DEP_1)
	v_add_nc_u64_e32 v[18:19], v[62:63], v[2:3]
	v_add_nc_u64_e32 v[90:91], -1, v[18:19]
; %bb.4573:                             ;   in Loop: Header=BB2_4268 Depth=4
	s_or_b32 exec_lo, exec_lo, s76
	v_add_nc_u32_e32 v2, 0xffffff81, v119
	v_lshrrev_b32_e32 v18, 23, v62
	s_mov_b32 s13, exec_lo
                                        ; implicit-def: $vgpr119
	s_delay_alu instid0(VALU_DEP_2) | instskip(NEXT) | instid1(VALU_DEP_1)
	v_cndmask_b32_e64 v2, v2, 0xffffff82, vcc_lo
	v_add3_u32 v41, v41, v2, v18
	v_and_b32_e32 v2, 0x1fffff, v90
	s_delay_alu instid0(VALU_DEP_1) | instskip(NEXT) | instid1(VALU_DEP_1)
	v_dual_add_nc_u32 v43, 14, v41 :: v_dual_add_nc_u32 v2, v2, v62
                                        ; implicit-def: $vgpr62_vgpr63
	v_cmpx_ne_u32_e32 0, v43
	s_xor_b32 s13, exec_lo, s13
; %bb.4574:                             ;   in Loop: Header=BB2_4268 Depth=4
	s_delay_alu instid0(VALU_DEP_2) | instskip(SKIP_1) | instid1(VALU_DEP_1)
	v_cmp_lt_u64_e32 vcc_lo, 0xffffff, v[2:3]
	v_add_nc_u32_e32 v18, 15, v41
	v_cndmask_b32_e32 v119, v43, v18, vcc_lo
	v_cndmask_b32_e64 v18, 0, 1, vcc_lo
	s_delay_alu instid0(VALU_DEP_1)
	v_lshrrev_b64 v[62:63], v18, v[2:3]
; %bb.4575:                             ;   in Loop: Header=BB2_4268 Depth=4
	s_and_not1_saveexec_b32 s13, s13
; %bb.4576:                             ;   in Loop: Header=BB2_4268 Depth=4
	v_mov_b64_e32 v[62:63], v[2:3]
	v_bfe_u32 v119, v2, 23, 1
; %bb.4577:                             ;   in Loop: Header=BB2_4268 Depth=4
	s_or_b32 exec_lo, exec_lo, s13
	s_delay_alu instid0(VALU_DEP_2) | instskip(NEXT) | instid1(VALU_DEP_2)
	v_lshrrev_b64 v[18:19], 21, v[62:63]
	v_cmp_gt_i32_e32 vcc_lo, 32, v119
	v_cmp_ne_u32_e64 s13, 0, v119
                                        ; implicit-def: $vgpr90
	s_delay_alu instid0(VALU_DEP_3) | instskip(NEXT) | instid1(VALU_DEP_1)
	v_dual_cndmask_b32 v63, 0, v19 :: v_dual_cndmask_b32 v62, 3, v18
	v_cmp_ne_u64_e32 vcc_lo, 0, v[62:63]
	s_or_b32 s13, s13, vcc_lo
	s_delay_alu instid0(SALU_CYCLE_1) | instskip(NEXT) | instid1(SALU_CYCLE_1)
	s_and_saveexec_b32 s76, s13
	s_xor_b32 s13, exec_lo, s76
; %bb.4578:                             ;   in Loop: Header=BB2_4268 Depth=4
	v_min_i32_e32 v2, 31, v119
	s_delay_alu instid0(VALU_DEP_1) | instskip(NEXT) | instid1(VALU_DEP_1)
	v_lshl_or_b32 v2, v2, 2, v117
                                        ; implicit-def: $vgpr117
	v_and_or_b32 v90, v62, 3, v2
; %bb.4579:                             ;   in Loop: Header=BB2_4268 Depth=4
	s_and_not1_saveexec_b32 s13, s13
; %bb.4580:                             ;   in Loop: Header=BB2_4268 Depth=4
	v_mov_b32_e32 v90, v117
; %bb.4581:                             ;   in Loop: Header=BB2_4268 Depth=4
	s_or_b32 exec_lo, exec_lo, s13
.LBB2_4582:                             ;   in Loop: Header=BB2_4268 Depth=4
	s_delay_alu instid0(SALU_CYCLE_1)
	s_or_b32 exec_lo, exec_lo, s75
                                        ; implicit-def: $vgpr117
.LBB2_4583:                             ;   in Loop: Header=BB2_4268 Depth=4
	s_and_not1_saveexec_b32 s13, s15
; %bb.4584:                             ;   in Loop: Header=BB2_4268 Depth=4
	v_or_b32_e32 v90, 0x7b, v117
; %bb.4585:                             ;   in Loop: Header=BB2_4268 Depth=4
	s_or_b32 exec_lo, exec_lo, s13
                                        ; implicit-def: $vgpr119
.LBB2_4586:                             ;   in Loop: Header=BB2_4268 Depth=4
	s_and_not1_saveexec_b32 s13, s14
	s_cbranch_execz .LBB2_4592
; %bb.4587:                             ;   in Loop: Header=BB2_4268 Depth=4
	s_mov_b32 s14, exec_lo
                                        ; implicit-def: $vgpr90
	v_cmpx_ne_u64_e32 0, v[2:3]
	s_xor_b32 s14, exec_lo, s14
; %bb.4588:                             ;   in Loop: Header=BB2_4268 Depth=4
	v_lshrrev_b32_e32 v2, 24, v119
                                        ; implicit-def: $vgpr119
	s_delay_alu instid0(VALU_DEP_1)
	v_or_b32_e32 v90, 0x7f, v2
; %bb.4589:                             ;   in Loop: Header=BB2_4268 Depth=4
	s_and_not1_saveexec_b32 s14, s14
; %bb.4590:                             ;   in Loop: Header=BB2_4268 Depth=4
	v_cmp_lt_i32_e32 vcc_lo, -1, v119
	v_cndmask_b32_e64 v90, -4, 0x7c, vcc_lo
; %bb.4591:                             ;   in Loop: Header=BB2_4268 Depth=4
	s_or_b32 exec_lo, exec_lo, s14
.LBB2_4592:                             ;   in Loop: Header=BB2_4268 Depth=4
	s_delay_alu instid0(SALU_CYCLE_1) | instskip(SKIP_3) | instid1(VALU_DEP_2)
	s_or_b32 exec_lo, exec_lo, s13
	v_and_b32_e32 v41, 0xff, v60
	v_dual_mov_b32 v2, 0 :: v_dual_mov_b32 v117, 0
	s_mov_b32 s13, exec_lo
	v_cmpx_ne_u16_e32 0, v41
	s_cbranch_execz .LBB2_4602
; %bb.4593:                             ;   in Loop: Header=BB2_4268 Depth=4
	v_bfrev_b32_e32 v117, 1
	s_mov_b32 s14, exec_lo
	v_cmpx_ne_u16_e32 0x80, v41
	s_cbranch_execz .LBB2_4601
; %bb.4594:                             ;   in Loop: Header=BB2_4268 Depth=4
	v_and_b32_e32 v18, 0x7c, v60
	v_and_b32_e32 v119, 3, v60
	s_mov_b32 s15, exec_lo
                                        ; implicit-def: $vgpr117
	s_delay_alu instid0(VALU_DEP_2)
	v_cmpx_ne_u32_e32 0x7c, v18
	s_xor_b32 s15, exec_lo, s15
	s_cbranch_execz .LBB2_4598
; %bb.4595:                             ;   in Loop: Header=BB2_4268 Depth=4
	v_bfe_u32 v117, v41, 2, 5
	s_mov_b32 s75, exec_lo
	s_delay_alu instid0(VALU_DEP_1)
	v_cmpx_eq_u32_e32 0, v117
	s_cbranch_execz .LBB2_4597
; %bb.4596:                             ;   in Loop: Header=BB2_4268 Depth=4
	v_clz_i32_u32_e32 v18, v119
	s_delay_alu instid0(VALU_DEP_1) | instskip(SKIP_1) | instid1(VALU_DEP_2)
	v_min_u32_e32 v117, 32, v18
	v_mov_b32_e32 v61, v3
	v_subrev_nc_u32_e32 v18, 29, v117
	v_sub_nc_u32_e32 v117, 30, v117
	s_delay_alu instid0(VALU_DEP_2) | instskip(NEXT) | instid1(VALU_DEP_1)
	v_lshlrev_b64_e32 v[18:19], v18, v[60:61]
	v_and_b32_e32 v119, 3, v18
.LBB2_4597:                             ;   in Loop: Header=BB2_4268 Depth=4
	s_or_b32 exec_lo, exec_lo, s75
	v_lshlrev_b32_e32 v18, 24, v60
                                        ; implicit-def: $vgpr60
	s_delay_alu instid0(VALU_DEP_1) | instskip(NEXT) | instid1(VALU_DEP_1)
	v_and_b32_e32 v18, 0x80000000, v18
	v_lshl_add_u32 v18, v117, 23, v18
	s_delay_alu instid0(VALU_DEP_1) | instskip(NEXT) | instid1(VALU_DEP_1)
	v_lshl_or_b32 v18, v119, 21, v18
                                        ; implicit-def: $vgpr119
	v_add_nc_u32_e32 v117, 0x38000000, v18
.LBB2_4598:                             ;   in Loop: Header=BB2_4268 Depth=4
	s_and_not1_saveexec_b32 s15, s15
; %bb.4599:                             ;   in Loop: Header=BB2_4268 Depth=4
	v_bfe_i32 v18, v60, 0, 8
	s_delay_alu instid0(VALU_DEP_1) | instskip(SKIP_2) | instid1(VALU_DEP_2)
	v_cmp_lt_i16_e32 vcc_lo, -1, v18
	v_cndmask_b32_e32 v18, 0xff800000, v111, vcc_lo
	v_cmp_eq_u32_e32 vcc_lo, 0, v119
	v_cndmask_b32_e32 v117, 0x7f800001, v18, vcc_lo
; %bb.4600:                             ;   in Loop: Header=BB2_4268 Depth=4
	s_or_b32 exec_lo, exec_lo, s15
.LBB2_4601:                             ;   in Loop: Header=BB2_4268 Depth=4
	s_delay_alu instid0(SALU_CYCLE_1)
	s_or_b32 exec_lo, exec_lo, s14
.LBB2_4602:                             ;   in Loop: Header=BB2_4268 Depth=4
	s_delay_alu instid0(SALU_CYCLE_1) | instskip(NEXT) | instid1(SALU_CYCLE_1)
	s_or_b32 exec_lo, exec_lo, s13
	s_mov_b32 s13, exec_lo
	s_wait_loadcnt_dscnt 0x606
	v_cmpx_ne_u16_e32 0, v88
	s_cbranch_execz .LBB2_4612
; %bb.4603:                             ;   in Loop: Header=BB2_4268 Depth=4
	v_bfrev_b32_e32 v2, 1
	s_mov_b32 s14, exec_lo
	v_cmpx_ne_u16_e32 0xff80, v88
	s_cbranch_execz .LBB2_4611
; %bb.4604:                             ;   in Loop: Header=BB2_4268 Depth=4
	v_and_b32_e32 v2, 0x7c, v88
	v_and_b32_e32 v119, 3, v88
	s_delay_alu instid0(VALU_DEP_2) | instskip(SKIP_1) | instid1(SALU_CYCLE_1)
	v_cmp_ne_u32_e32 vcc_lo, 0x7c, v2
                                        ; implicit-def: $vgpr2
	s_and_saveexec_b32 s15, vcc_lo
	s_xor_b32 s15, exec_lo, s15
	s_cbranch_execz .LBB2_4608
; %bb.4605:                             ;   in Loop: Header=BB2_4268 Depth=4
	v_and_b32_e32 v2, 0xff, v88
	s_mov_b32 s75, exec_lo
	s_delay_alu instid0(VALU_DEP_1) | instskip(NEXT) | instid1(VALU_DEP_1)
	v_bfe_u32 v2, v2, 2, 5
	v_cmpx_eq_u32_e32 0, v2
	s_cbranch_execz .LBB2_4607
; %bb.4606:                             ;   in Loop: Header=BB2_4268 Depth=4
	v_clz_i32_u32_e32 v2, v119
	s_delay_alu instid0(VALU_DEP_1) | instskip(SKIP_1) | instid1(VALU_DEP_2)
	v_min_u32_e32 v2, 32, v2
	v_mov_b32_e32 v89, v3
	v_subrev_nc_u32_e32 v18, 29, v2
	v_sub_nc_u32_e32 v2, 30, v2
	s_delay_alu instid0(VALU_DEP_2) | instskip(NEXT) | instid1(VALU_DEP_1)
	v_lshlrev_b64_e32 v[18:19], v18, v[88:89]
	v_and_b32_e32 v119, 3, v18
.LBB2_4607:                             ;   in Loop: Header=BB2_4268 Depth=4
	s_or_b32 exec_lo, exec_lo, s75
	v_bfe_i32 v18, v88, 0, 16
                                        ; implicit-def: $vgpr88
	s_delay_alu instid0(VALU_DEP_1) | instskip(NEXT) | instid1(VALU_DEP_1)
	v_and_b32_e32 v18, 0x80000000, v18
	v_lshl_add_u32 v2, v2, 23, v18
	s_delay_alu instid0(VALU_DEP_1) | instskip(NEXT) | instid1(VALU_DEP_1)
	v_lshl_or_b32 v2, v119, 21, v2
                                        ; implicit-def: $vgpr119
	v_add_nc_u32_e32 v2, 0x38000000, v2
.LBB2_4608:                             ;   in Loop: Header=BB2_4268 Depth=4
	s_and_not1_saveexec_b32 s15, s15
; %bb.4609:                             ;   in Loop: Header=BB2_4268 Depth=4
	v_cmp_lt_i16_e32 vcc_lo, -1, v88
	v_cndmask_b32_e32 v2, 0xff800000, v111, vcc_lo
	v_cmp_eq_u32_e32 vcc_lo, 0, v119
	s_delay_alu instid0(VALU_DEP_2)
	v_cndmask_b32_e32 v2, 0x7f800001, v2, vcc_lo
; %bb.4610:                             ;   in Loop: Header=BB2_4268 Depth=4
	s_or_b32 exec_lo, exec_lo, s15
.LBB2_4611:                             ;   in Loop: Header=BB2_4268 Depth=4
	s_delay_alu instid0(SALU_CYCLE_1)
	s_or_b32 exec_lo, exec_lo, s14
.LBB2_4612:                             ;   in Loop: Header=BB2_4268 Depth=4
	s_delay_alu instid0(SALU_CYCLE_1) | instskip(NEXT) | instid1(VALU_DEP_1)
	s_or_b32 exec_lo, exec_lo, s13
	v_dual_add_f32 v119, v117, v2 :: v_dual_mov_b32 v19, v3
                                        ; implicit-def: $vgpr62
	s_mov_b32 s13, exec_lo
	s_delay_alu instid0(VALU_DEP_1) | instskip(SKIP_1) | instid1(VALU_DEP_2)
	v_and_b32_e32 v18, 0x7f800000, v119
	v_and_b32_e32 v2, 0x7fffff, v119
	v_cmpx_ne_u64_e32 0x7f800000, v[18:19]
	s_xor_b32 s14, exec_lo, s13
	s_cbranch_execz .LBB2_4630
; %bb.4613:                             ;   in Loop: Header=BB2_4268 Depth=4
	v_dual_mov_b32 v19, v3 :: v_dual_lshrrev_b32 v117, 24, v119
	v_and_b32_e32 v18, 0x7fffffff, v119
                                        ; implicit-def: $vgpr62
	s_mov_b32 s13, exec_lo
	s_delay_alu instid0(VALU_DEP_2) | instskip(NEXT) | instid1(VALU_DEP_2)
	v_and_b32_e32 v117, 0x80, v117
	v_cmpx_gt_u64_e32 0x47600001, v[18:19]
	s_xor_b32 s15, exec_lo, s13
	s_cbranch_execz .LBB2_4627
; %bb.4614:                             ;   in Loop: Header=BB2_4268 Depth=4
	v_mov_b32_e32 v62, 0
	s_mov_b32 s75, exec_lo
	v_cmpx_ne_u32_e32 0, v119
	s_cbranch_execz .LBB2_4626
; %bb.4615:                             ;   in Loop: Header=BB2_4268 Depth=4
	v_bfe_u32 v119, v119, 23, 8
	v_or_b32_e32 v43, 0x800000, v2
	s_delay_alu instid0(VALU_DEP_2) | instskip(SKIP_1) | instid1(VALU_DEP_2)
	v_sub_nc_u32_e32 v18, 0x71, v119
	v_cmp_gt_u32_e32 vcc_lo, 0x72, v119
	v_cndmask_b32_e32 v18, 0, v18, vcc_lo
	v_cmp_eq_u32_e32 vcc_lo, 0, v119
	s_delay_alu instid0(VALU_DEP_2) | instskip(NEXT) | instid1(VALU_DEP_1)
	v_cndmask_b32_e64 v41, v18, 0x70, vcc_lo
	v_dual_cndmask_b32 v2, v43, v2, vcc_lo :: v_dual_add_nc_u32 v18, 21, v41
	v_add_nc_u32_e32 v45, 20, v41
	s_delay_alu instid0(VALU_DEP_2) | instskip(NEXT) | instid1(VALU_DEP_3)
	v_lshrrev_b64 v[60:61], v41, v[2:3]
	v_lshlrev_b64_e64 v[18:19], v18, -1
	s_delay_alu instid0(VALU_DEP_3) | instskip(NEXT) | instid1(VALU_DEP_2)
	v_lshlrev_b64_e64 v[62:63], v45, 1
	v_bfi_b32 v19, v19, 0, 0
	s_delay_alu instid0(VALU_DEP_3) | instskip(NEXT) | instid1(VALU_DEP_1)
	v_bfi_b32 v18, v18, 0, v2
	v_cmp_eq_u64_e64 s13, v[18:19], v[62:63]
	v_mov_b64_e32 v[62:63], v[60:61]
	s_and_saveexec_b32 s76, s13
; %bb.4616:                             ;   in Loop: Header=BB2_4268 Depth=4
	v_bfe_u32 v2, v60, 21, 1
	s_delay_alu instid0(VALU_DEP_1) | instskip(NEXT) | instid1(VALU_DEP_1)
	v_add_nc_u64_e32 v[18:19], v[60:61], v[2:3]
	v_add_nc_u64_e32 v[62:63], -1, v[18:19]
; %bb.4617:                             ;   in Loop: Header=BB2_4268 Depth=4
	s_or_b32 exec_lo, exec_lo, s76
	v_add_nc_u32_e32 v2, 0xffffff81, v119
	v_lshrrev_b32_e32 v18, 23, v60
	s_mov_b32 s13, exec_lo
                                        ; implicit-def: $vgpr119
	s_delay_alu instid0(VALU_DEP_2) | instskip(NEXT) | instid1(VALU_DEP_1)
	v_cndmask_b32_e64 v2, v2, 0xffffff82, vcc_lo
	v_add3_u32 v41, v41, v2, v18
	v_and_b32_e32 v2, 0x1fffff, v62
	s_delay_alu instid0(VALU_DEP_1) | instskip(NEXT) | instid1(VALU_DEP_1)
	v_dual_add_nc_u32 v43, 14, v41 :: v_dual_add_nc_u32 v2, v2, v60
                                        ; implicit-def: $vgpr60_vgpr61
	v_cmpx_ne_u32_e32 0, v43
	s_xor_b32 s13, exec_lo, s13
; %bb.4618:                             ;   in Loop: Header=BB2_4268 Depth=4
	s_delay_alu instid0(VALU_DEP_2) | instskip(SKIP_1) | instid1(VALU_DEP_1)
	v_cmp_lt_u64_e32 vcc_lo, 0xffffff, v[2:3]
	v_add_nc_u32_e32 v18, 15, v41
	v_cndmask_b32_e32 v119, v43, v18, vcc_lo
	v_cndmask_b32_e64 v18, 0, 1, vcc_lo
	s_delay_alu instid0(VALU_DEP_1)
	v_lshrrev_b64 v[60:61], v18, v[2:3]
; %bb.4619:                             ;   in Loop: Header=BB2_4268 Depth=4
	s_and_not1_saveexec_b32 s13, s13
; %bb.4620:                             ;   in Loop: Header=BB2_4268 Depth=4
	v_mov_b64_e32 v[60:61], v[2:3]
	v_bfe_u32 v119, v2, 23, 1
; %bb.4621:                             ;   in Loop: Header=BB2_4268 Depth=4
	s_or_b32 exec_lo, exec_lo, s13
	s_delay_alu instid0(VALU_DEP_2) | instskip(NEXT) | instid1(VALU_DEP_2)
	v_lshrrev_b64 v[18:19], 21, v[60:61]
	v_cmp_gt_i32_e32 vcc_lo, 32, v119
	v_cmp_ne_u32_e64 s13, 0, v119
                                        ; implicit-def: $vgpr62
	s_delay_alu instid0(VALU_DEP_3) | instskip(NEXT) | instid1(VALU_DEP_1)
	v_dual_cndmask_b32 v61, 0, v19 :: v_dual_cndmask_b32 v60, 3, v18
	v_cmp_ne_u64_e32 vcc_lo, 0, v[60:61]
	s_or_b32 s13, s13, vcc_lo
	s_delay_alu instid0(SALU_CYCLE_1) | instskip(NEXT) | instid1(SALU_CYCLE_1)
	s_and_saveexec_b32 s76, s13
	s_xor_b32 s13, exec_lo, s76
; %bb.4622:                             ;   in Loop: Header=BB2_4268 Depth=4
	v_min_i32_e32 v2, 31, v119
	s_delay_alu instid0(VALU_DEP_1) | instskip(NEXT) | instid1(VALU_DEP_1)
	v_lshl_or_b32 v2, v2, 2, v117
                                        ; implicit-def: $vgpr117
	v_and_or_b32 v62, v60, 3, v2
; %bb.4623:                             ;   in Loop: Header=BB2_4268 Depth=4
	s_and_not1_saveexec_b32 s13, s13
; %bb.4624:                             ;   in Loop: Header=BB2_4268 Depth=4
	v_mov_b32_e32 v62, v117
; %bb.4625:                             ;   in Loop: Header=BB2_4268 Depth=4
	s_or_b32 exec_lo, exec_lo, s13
.LBB2_4626:                             ;   in Loop: Header=BB2_4268 Depth=4
	s_delay_alu instid0(SALU_CYCLE_1)
	s_or_b32 exec_lo, exec_lo, s75
                                        ; implicit-def: $vgpr117
.LBB2_4627:                             ;   in Loop: Header=BB2_4268 Depth=4
	s_and_not1_saveexec_b32 s13, s15
; %bb.4628:                             ;   in Loop: Header=BB2_4268 Depth=4
	v_or_b32_e32 v62, 0x7b, v117
; %bb.4629:                             ;   in Loop: Header=BB2_4268 Depth=4
	s_or_b32 exec_lo, exec_lo, s13
                                        ; implicit-def: $vgpr119
.LBB2_4630:                             ;   in Loop: Header=BB2_4268 Depth=4
	s_and_not1_saveexec_b32 s13, s14
	s_cbranch_execz .LBB2_4636
; %bb.4631:                             ;   in Loop: Header=BB2_4268 Depth=4
	s_mov_b32 s14, exec_lo
                                        ; implicit-def: $vgpr62
	v_cmpx_ne_u64_e32 0, v[2:3]
	s_xor_b32 s14, exec_lo, s14
; %bb.4632:                             ;   in Loop: Header=BB2_4268 Depth=4
	v_lshrrev_b32_e32 v2, 24, v119
                                        ; implicit-def: $vgpr119
	s_delay_alu instid0(VALU_DEP_1)
	v_or_b32_e32 v62, 0x7f, v2
; %bb.4633:                             ;   in Loop: Header=BB2_4268 Depth=4
	s_and_not1_saveexec_b32 s14, s14
; %bb.4634:                             ;   in Loop: Header=BB2_4268 Depth=4
	v_cmp_lt_i32_e32 vcc_lo, -1, v119
	v_cndmask_b32_e64 v62, -4, 0x7c, vcc_lo
; %bb.4635:                             ;   in Loop: Header=BB2_4268 Depth=4
	s_or_b32 exec_lo, exec_lo, s14
.LBB2_4636:                             ;   in Loop: Header=BB2_4268 Depth=4
	s_delay_alu instid0(SALU_CYCLE_1) | instskip(SKIP_3) | instid1(VALU_DEP_2)
	s_or_b32 exec_lo, exec_lo, s13
	v_and_b32_e32 v41, 0xff, v58
	v_dual_mov_b32 v2, 0 :: v_dual_mov_b32 v117, 0
	s_mov_b32 s13, exec_lo
	v_cmpx_ne_u16_e32 0, v41
	s_cbranch_execz .LBB2_4646
; %bb.4637:                             ;   in Loop: Header=BB2_4268 Depth=4
	v_bfrev_b32_e32 v117, 1
	s_mov_b32 s14, exec_lo
	v_cmpx_ne_u16_e32 0x80, v41
	s_cbranch_execz .LBB2_4645
; %bb.4638:                             ;   in Loop: Header=BB2_4268 Depth=4
	v_and_b32_e32 v18, 0x7c, v58
	v_and_b32_e32 v119, 3, v58
	s_mov_b32 s15, exec_lo
                                        ; implicit-def: $vgpr117
	s_delay_alu instid0(VALU_DEP_2)
	v_cmpx_ne_u32_e32 0x7c, v18
	s_xor_b32 s15, exec_lo, s15
	s_cbranch_execz .LBB2_4642
; %bb.4639:                             ;   in Loop: Header=BB2_4268 Depth=4
	v_bfe_u32 v117, v41, 2, 5
	s_mov_b32 s75, exec_lo
	s_delay_alu instid0(VALU_DEP_1)
	v_cmpx_eq_u32_e32 0, v117
	s_cbranch_execz .LBB2_4641
; %bb.4640:                             ;   in Loop: Header=BB2_4268 Depth=4
	v_clz_i32_u32_e32 v18, v119
	s_delay_alu instid0(VALU_DEP_1) | instskip(SKIP_1) | instid1(VALU_DEP_2)
	v_min_u32_e32 v117, 32, v18
	v_mov_b32_e32 v59, v3
	v_subrev_nc_u32_e32 v18, 29, v117
	v_sub_nc_u32_e32 v117, 30, v117
	s_delay_alu instid0(VALU_DEP_2) | instskip(NEXT) | instid1(VALU_DEP_1)
	v_lshlrev_b64_e32 v[18:19], v18, v[58:59]
	v_and_b32_e32 v119, 3, v18
.LBB2_4641:                             ;   in Loop: Header=BB2_4268 Depth=4
	s_or_b32 exec_lo, exec_lo, s75
	v_lshlrev_b32_e32 v18, 24, v58
                                        ; implicit-def: $vgpr58
	s_delay_alu instid0(VALU_DEP_1) | instskip(NEXT) | instid1(VALU_DEP_1)
	v_and_b32_e32 v18, 0x80000000, v18
	v_lshl_add_u32 v18, v117, 23, v18
	s_delay_alu instid0(VALU_DEP_1) | instskip(NEXT) | instid1(VALU_DEP_1)
	v_lshl_or_b32 v18, v119, 21, v18
                                        ; implicit-def: $vgpr119
	v_add_nc_u32_e32 v117, 0x38000000, v18
.LBB2_4642:                             ;   in Loop: Header=BB2_4268 Depth=4
	s_and_not1_saveexec_b32 s15, s15
; %bb.4643:                             ;   in Loop: Header=BB2_4268 Depth=4
	v_bfe_i32 v18, v58, 0, 8
	s_delay_alu instid0(VALU_DEP_1) | instskip(SKIP_2) | instid1(VALU_DEP_2)
	v_cmp_lt_i16_e32 vcc_lo, -1, v18
	v_cndmask_b32_e32 v18, 0xff800000, v111, vcc_lo
	v_cmp_eq_u32_e32 vcc_lo, 0, v119
	v_cndmask_b32_e32 v117, 0x7f800001, v18, vcc_lo
; %bb.4644:                             ;   in Loop: Header=BB2_4268 Depth=4
	s_or_b32 exec_lo, exec_lo, s15
.LBB2_4645:                             ;   in Loop: Header=BB2_4268 Depth=4
	s_delay_alu instid0(SALU_CYCLE_1)
	s_or_b32 exec_lo, exec_lo, s14
.LBB2_4646:                             ;   in Loop: Header=BB2_4268 Depth=4
	s_delay_alu instid0(SALU_CYCLE_1) | instskip(NEXT) | instid1(SALU_CYCLE_1)
	s_or_b32 exec_lo, exec_lo, s13
	s_mov_b32 s13, exec_lo
	s_wait_loadcnt_dscnt 0x505
	v_cmpx_ne_u16_e32 0, v78
	s_cbranch_execz .LBB2_4656
; %bb.4647:                             ;   in Loop: Header=BB2_4268 Depth=4
	v_bfrev_b32_e32 v2, 1
	s_mov_b32 s14, exec_lo
	v_cmpx_ne_u16_e32 0xff80, v78
	s_cbranch_execz .LBB2_4655
; %bb.4648:                             ;   in Loop: Header=BB2_4268 Depth=4
	v_and_b32_e32 v2, 0x7c, v78
	v_and_b32_e32 v119, 3, v78
	s_delay_alu instid0(VALU_DEP_2) | instskip(SKIP_1) | instid1(SALU_CYCLE_1)
	v_cmp_ne_u32_e32 vcc_lo, 0x7c, v2
                                        ; implicit-def: $vgpr2
	s_and_saveexec_b32 s15, vcc_lo
	s_xor_b32 s15, exec_lo, s15
	s_cbranch_execz .LBB2_4652
; %bb.4649:                             ;   in Loop: Header=BB2_4268 Depth=4
	v_and_b32_e32 v2, 0xff, v78
	s_mov_b32 s75, exec_lo
	s_delay_alu instid0(VALU_DEP_1) | instskip(NEXT) | instid1(VALU_DEP_1)
	v_bfe_u32 v2, v2, 2, 5
	v_cmpx_eq_u32_e32 0, v2
	s_cbranch_execz .LBB2_4651
; %bb.4650:                             ;   in Loop: Header=BB2_4268 Depth=4
	v_clz_i32_u32_e32 v2, v119
	s_delay_alu instid0(VALU_DEP_1) | instskip(SKIP_1) | instid1(VALU_DEP_2)
	v_min_u32_e32 v2, 32, v2
	v_mov_b32_e32 v79, v3
	v_subrev_nc_u32_e32 v18, 29, v2
	v_sub_nc_u32_e32 v2, 30, v2
	s_delay_alu instid0(VALU_DEP_2) | instskip(NEXT) | instid1(VALU_DEP_1)
	v_lshlrev_b64_e32 v[18:19], v18, v[78:79]
	v_and_b32_e32 v119, 3, v18
.LBB2_4651:                             ;   in Loop: Header=BB2_4268 Depth=4
	s_or_b32 exec_lo, exec_lo, s75
	v_bfe_i32 v18, v78, 0, 16
                                        ; implicit-def: $vgpr78
	s_delay_alu instid0(VALU_DEP_1) | instskip(NEXT) | instid1(VALU_DEP_1)
	v_and_b32_e32 v18, 0x80000000, v18
	v_lshl_add_u32 v2, v2, 23, v18
	s_delay_alu instid0(VALU_DEP_1) | instskip(NEXT) | instid1(VALU_DEP_1)
	v_lshl_or_b32 v2, v119, 21, v2
                                        ; implicit-def: $vgpr119
	v_add_nc_u32_e32 v2, 0x38000000, v2
.LBB2_4652:                             ;   in Loop: Header=BB2_4268 Depth=4
	s_and_not1_saveexec_b32 s15, s15
; %bb.4653:                             ;   in Loop: Header=BB2_4268 Depth=4
	v_cmp_lt_i16_e32 vcc_lo, -1, v78
	v_cndmask_b32_e32 v2, 0xff800000, v111, vcc_lo
	v_cmp_eq_u32_e32 vcc_lo, 0, v119
	s_delay_alu instid0(VALU_DEP_2)
	v_cndmask_b32_e32 v2, 0x7f800001, v2, vcc_lo
; %bb.4654:                             ;   in Loop: Header=BB2_4268 Depth=4
	s_or_b32 exec_lo, exec_lo, s15
.LBB2_4655:                             ;   in Loop: Header=BB2_4268 Depth=4
	s_delay_alu instid0(SALU_CYCLE_1)
	s_or_b32 exec_lo, exec_lo, s14
.LBB2_4656:                             ;   in Loop: Header=BB2_4268 Depth=4
	s_delay_alu instid0(SALU_CYCLE_1) | instskip(NEXT) | instid1(VALU_DEP_1)
	s_or_b32 exec_lo, exec_lo, s13
	v_dual_add_f32 v119, v117, v2 :: v_dual_mov_b32 v19, v3
                                        ; implicit-def: $vgpr60
	s_mov_b32 s13, exec_lo
	s_delay_alu instid0(VALU_DEP_1) | instskip(SKIP_1) | instid1(VALU_DEP_2)
	v_and_b32_e32 v18, 0x7f800000, v119
	v_and_b32_e32 v2, 0x7fffff, v119
	v_cmpx_ne_u64_e32 0x7f800000, v[18:19]
	s_xor_b32 s14, exec_lo, s13
	s_cbranch_execz .LBB2_4674
; %bb.4657:                             ;   in Loop: Header=BB2_4268 Depth=4
	v_dual_mov_b32 v19, v3 :: v_dual_lshrrev_b32 v117, 24, v119
	v_and_b32_e32 v18, 0x7fffffff, v119
                                        ; implicit-def: $vgpr60
	s_mov_b32 s13, exec_lo
	s_delay_alu instid0(VALU_DEP_2) | instskip(NEXT) | instid1(VALU_DEP_2)
	v_and_b32_e32 v117, 0x80, v117
	v_cmpx_gt_u64_e32 0x47600001, v[18:19]
	s_xor_b32 s15, exec_lo, s13
	s_cbranch_execz .LBB2_4671
; %bb.4658:                             ;   in Loop: Header=BB2_4268 Depth=4
	v_mov_b32_e32 v60, 0
	s_mov_b32 s75, exec_lo
	v_cmpx_ne_u32_e32 0, v119
	s_cbranch_execz .LBB2_4670
; %bb.4659:                             ;   in Loop: Header=BB2_4268 Depth=4
	v_bfe_u32 v119, v119, 23, 8
	v_or_b32_e32 v43, 0x800000, v2
	s_delay_alu instid0(VALU_DEP_2) | instskip(SKIP_1) | instid1(VALU_DEP_2)
	v_sub_nc_u32_e32 v18, 0x71, v119
	v_cmp_gt_u32_e32 vcc_lo, 0x72, v119
	v_cndmask_b32_e32 v18, 0, v18, vcc_lo
	v_cmp_eq_u32_e32 vcc_lo, 0, v119
	s_delay_alu instid0(VALU_DEP_2) | instskip(NEXT) | instid1(VALU_DEP_1)
	v_cndmask_b32_e64 v41, v18, 0x70, vcc_lo
	v_dual_cndmask_b32 v2, v43, v2, vcc_lo :: v_dual_add_nc_u32 v18, 21, v41
	v_add_nc_u32_e32 v45, 20, v41
	s_delay_alu instid0(VALU_DEP_2) | instskip(NEXT) | instid1(VALU_DEP_3)
	v_lshrrev_b64 v[58:59], v41, v[2:3]
	v_lshlrev_b64_e64 v[18:19], v18, -1
	s_delay_alu instid0(VALU_DEP_3) | instskip(NEXT) | instid1(VALU_DEP_2)
	v_lshlrev_b64_e64 v[60:61], v45, 1
	v_bfi_b32 v19, v19, 0, 0
	s_delay_alu instid0(VALU_DEP_3) | instskip(NEXT) | instid1(VALU_DEP_1)
	v_bfi_b32 v18, v18, 0, v2
	v_cmp_eq_u64_e64 s13, v[18:19], v[60:61]
	v_mov_b64_e32 v[60:61], v[58:59]
	s_and_saveexec_b32 s76, s13
; %bb.4660:                             ;   in Loop: Header=BB2_4268 Depth=4
	v_bfe_u32 v2, v58, 21, 1
	s_delay_alu instid0(VALU_DEP_1) | instskip(NEXT) | instid1(VALU_DEP_1)
	v_add_nc_u64_e32 v[18:19], v[58:59], v[2:3]
	v_add_nc_u64_e32 v[60:61], -1, v[18:19]
; %bb.4661:                             ;   in Loop: Header=BB2_4268 Depth=4
	s_or_b32 exec_lo, exec_lo, s76
	v_add_nc_u32_e32 v2, 0xffffff81, v119
	v_lshrrev_b32_e32 v18, 23, v58
	s_mov_b32 s13, exec_lo
                                        ; implicit-def: $vgpr119
	s_delay_alu instid0(VALU_DEP_2) | instskip(NEXT) | instid1(VALU_DEP_1)
	v_cndmask_b32_e64 v2, v2, 0xffffff82, vcc_lo
	v_add3_u32 v41, v41, v2, v18
	v_and_b32_e32 v2, 0x1fffff, v60
	s_delay_alu instid0(VALU_DEP_1) | instskip(NEXT) | instid1(VALU_DEP_1)
	v_dual_add_nc_u32 v43, 14, v41 :: v_dual_add_nc_u32 v2, v2, v58
                                        ; implicit-def: $vgpr58_vgpr59
	v_cmpx_ne_u32_e32 0, v43
	s_xor_b32 s13, exec_lo, s13
; %bb.4662:                             ;   in Loop: Header=BB2_4268 Depth=4
	s_delay_alu instid0(VALU_DEP_2) | instskip(SKIP_1) | instid1(VALU_DEP_1)
	v_cmp_lt_u64_e32 vcc_lo, 0xffffff, v[2:3]
	v_add_nc_u32_e32 v18, 15, v41
	v_cndmask_b32_e32 v119, v43, v18, vcc_lo
	v_cndmask_b32_e64 v18, 0, 1, vcc_lo
	s_delay_alu instid0(VALU_DEP_1)
	v_lshrrev_b64 v[58:59], v18, v[2:3]
; %bb.4663:                             ;   in Loop: Header=BB2_4268 Depth=4
	s_and_not1_saveexec_b32 s13, s13
; %bb.4664:                             ;   in Loop: Header=BB2_4268 Depth=4
	v_mov_b64_e32 v[58:59], v[2:3]
	v_bfe_u32 v119, v2, 23, 1
; %bb.4665:                             ;   in Loop: Header=BB2_4268 Depth=4
	s_or_b32 exec_lo, exec_lo, s13
	s_delay_alu instid0(VALU_DEP_2) | instskip(NEXT) | instid1(VALU_DEP_2)
	v_lshrrev_b64 v[18:19], 21, v[58:59]
	v_cmp_gt_i32_e32 vcc_lo, 32, v119
	v_cmp_ne_u32_e64 s13, 0, v119
                                        ; implicit-def: $vgpr60
	s_delay_alu instid0(VALU_DEP_3) | instskip(NEXT) | instid1(VALU_DEP_1)
	v_dual_cndmask_b32 v59, 0, v19 :: v_dual_cndmask_b32 v58, 3, v18
	v_cmp_ne_u64_e32 vcc_lo, 0, v[58:59]
	s_or_b32 s13, s13, vcc_lo
	s_delay_alu instid0(SALU_CYCLE_1) | instskip(NEXT) | instid1(SALU_CYCLE_1)
	s_and_saveexec_b32 s76, s13
	s_xor_b32 s13, exec_lo, s76
; %bb.4666:                             ;   in Loop: Header=BB2_4268 Depth=4
	v_min_i32_e32 v2, 31, v119
	s_delay_alu instid0(VALU_DEP_1) | instskip(NEXT) | instid1(VALU_DEP_1)
	v_lshl_or_b32 v2, v2, 2, v117
                                        ; implicit-def: $vgpr117
	v_and_or_b32 v60, v58, 3, v2
; %bb.4667:                             ;   in Loop: Header=BB2_4268 Depth=4
	s_and_not1_saveexec_b32 s13, s13
; %bb.4668:                             ;   in Loop: Header=BB2_4268 Depth=4
	v_mov_b32_e32 v60, v117
; %bb.4669:                             ;   in Loop: Header=BB2_4268 Depth=4
	s_or_b32 exec_lo, exec_lo, s13
.LBB2_4670:                             ;   in Loop: Header=BB2_4268 Depth=4
	s_delay_alu instid0(SALU_CYCLE_1)
	s_or_b32 exec_lo, exec_lo, s75
                                        ; implicit-def: $vgpr117
.LBB2_4671:                             ;   in Loop: Header=BB2_4268 Depth=4
	s_and_not1_saveexec_b32 s13, s15
; %bb.4672:                             ;   in Loop: Header=BB2_4268 Depth=4
	v_or_b32_e32 v60, 0x7b, v117
; %bb.4673:                             ;   in Loop: Header=BB2_4268 Depth=4
	s_or_b32 exec_lo, exec_lo, s13
                                        ; implicit-def: $vgpr119
.LBB2_4674:                             ;   in Loop: Header=BB2_4268 Depth=4
	s_and_not1_saveexec_b32 s13, s14
	s_cbranch_execz .LBB2_4680
; %bb.4675:                             ;   in Loop: Header=BB2_4268 Depth=4
	s_mov_b32 s14, exec_lo
                                        ; implicit-def: $vgpr60
	v_cmpx_ne_u64_e32 0, v[2:3]
	s_xor_b32 s14, exec_lo, s14
; %bb.4676:                             ;   in Loop: Header=BB2_4268 Depth=4
	v_lshrrev_b32_e32 v2, 24, v119
                                        ; implicit-def: $vgpr119
	s_delay_alu instid0(VALU_DEP_1)
	v_or_b32_e32 v60, 0x7f, v2
; %bb.4677:                             ;   in Loop: Header=BB2_4268 Depth=4
	s_and_not1_saveexec_b32 s14, s14
; %bb.4678:                             ;   in Loop: Header=BB2_4268 Depth=4
	v_cmp_lt_i32_e32 vcc_lo, -1, v119
	v_cndmask_b32_e64 v60, -4, 0x7c, vcc_lo
; %bb.4679:                             ;   in Loop: Header=BB2_4268 Depth=4
	s_or_b32 exec_lo, exec_lo, s14
.LBB2_4680:                             ;   in Loop: Header=BB2_4268 Depth=4
	s_delay_alu instid0(SALU_CYCLE_1) | instskip(SKIP_3) | instid1(VALU_DEP_2)
	s_or_b32 exec_lo, exec_lo, s13
	v_and_b32_e32 v41, 0xff, v46
	v_dual_mov_b32 v2, 0 :: v_dual_mov_b32 v117, 0
	s_mov_b32 s13, exec_lo
	v_cmpx_ne_u16_e32 0, v41
	s_cbranch_execz .LBB2_4690
; %bb.4681:                             ;   in Loop: Header=BB2_4268 Depth=4
	v_bfrev_b32_e32 v117, 1
	s_mov_b32 s14, exec_lo
	v_cmpx_ne_u16_e32 0x80, v41
	s_cbranch_execz .LBB2_4689
; %bb.4682:                             ;   in Loop: Header=BB2_4268 Depth=4
	v_and_b32_e32 v18, 0x7c, v46
	v_and_b32_e32 v119, 3, v46
	s_mov_b32 s15, exec_lo
                                        ; implicit-def: $vgpr117
	s_delay_alu instid0(VALU_DEP_2)
	v_cmpx_ne_u32_e32 0x7c, v18
	s_xor_b32 s15, exec_lo, s15
	s_cbranch_execz .LBB2_4686
; %bb.4683:                             ;   in Loop: Header=BB2_4268 Depth=4
	v_bfe_u32 v117, v41, 2, 5
	s_mov_b32 s75, exec_lo
	s_delay_alu instid0(VALU_DEP_1)
	v_cmpx_eq_u32_e32 0, v117
	s_cbranch_execz .LBB2_4685
; %bb.4684:                             ;   in Loop: Header=BB2_4268 Depth=4
	v_clz_i32_u32_e32 v18, v119
	s_delay_alu instid0(VALU_DEP_1) | instskip(SKIP_1) | instid1(VALU_DEP_2)
	v_min_u32_e32 v117, 32, v18
	v_mov_b32_e32 v47, v3
	v_subrev_nc_u32_e32 v18, 29, v117
	v_sub_nc_u32_e32 v117, 30, v117
	s_delay_alu instid0(VALU_DEP_2) | instskip(NEXT) | instid1(VALU_DEP_1)
	v_lshlrev_b64_e32 v[18:19], v18, v[46:47]
	v_and_b32_e32 v119, 3, v18
.LBB2_4685:                             ;   in Loop: Header=BB2_4268 Depth=4
	s_or_b32 exec_lo, exec_lo, s75
	v_lshlrev_b32_e32 v18, 24, v46
                                        ; implicit-def: $vgpr46
	s_delay_alu instid0(VALU_DEP_1) | instskip(NEXT) | instid1(VALU_DEP_1)
	v_and_b32_e32 v18, 0x80000000, v18
	v_lshl_add_u32 v18, v117, 23, v18
	s_delay_alu instid0(VALU_DEP_1) | instskip(NEXT) | instid1(VALU_DEP_1)
	v_lshl_or_b32 v18, v119, 21, v18
                                        ; implicit-def: $vgpr119
	v_add_nc_u32_e32 v117, 0x38000000, v18
.LBB2_4686:                             ;   in Loop: Header=BB2_4268 Depth=4
	s_and_not1_saveexec_b32 s15, s15
; %bb.4687:                             ;   in Loop: Header=BB2_4268 Depth=4
	v_bfe_i32 v18, v46, 0, 8
	s_delay_alu instid0(VALU_DEP_1) | instskip(SKIP_2) | instid1(VALU_DEP_2)
	v_cmp_lt_i16_e32 vcc_lo, -1, v18
	v_cndmask_b32_e32 v18, 0xff800000, v111, vcc_lo
	v_cmp_eq_u32_e32 vcc_lo, 0, v119
	v_cndmask_b32_e32 v117, 0x7f800001, v18, vcc_lo
; %bb.4688:                             ;   in Loop: Header=BB2_4268 Depth=4
	s_or_b32 exec_lo, exec_lo, s15
.LBB2_4689:                             ;   in Loop: Header=BB2_4268 Depth=4
	s_delay_alu instid0(SALU_CYCLE_1)
	s_or_b32 exec_lo, exec_lo, s14
.LBB2_4690:                             ;   in Loop: Header=BB2_4268 Depth=4
	s_delay_alu instid0(SALU_CYCLE_1) | instskip(NEXT) | instid1(SALU_CYCLE_1)
	s_or_b32 exec_lo, exec_lo, s13
	s_mov_b32 s13, exec_lo
	s_wait_loadcnt_dscnt 0x404
	v_cmpx_ne_u16_e32 0, v76
	s_cbranch_execz .LBB2_4700
; %bb.4691:                             ;   in Loop: Header=BB2_4268 Depth=4
	v_bfrev_b32_e32 v2, 1
	s_mov_b32 s14, exec_lo
	v_cmpx_ne_u16_e32 0xff80, v76
	s_cbranch_execz .LBB2_4699
; %bb.4692:                             ;   in Loop: Header=BB2_4268 Depth=4
	v_and_b32_e32 v2, 0x7c, v76
	v_and_b32_e32 v119, 3, v76
	s_delay_alu instid0(VALU_DEP_2) | instskip(SKIP_1) | instid1(SALU_CYCLE_1)
	v_cmp_ne_u32_e32 vcc_lo, 0x7c, v2
                                        ; implicit-def: $vgpr2
	s_and_saveexec_b32 s15, vcc_lo
	s_xor_b32 s15, exec_lo, s15
	s_cbranch_execz .LBB2_4696
; %bb.4693:                             ;   in Loop: Header=BB2_4268 Depth=4
	v_and_b32_e32 v2, 0xff, v76
	s_mov_b32 s75, exec_lo
	s_delay_alu instid0(VALU_DEP_1) | instskip(NEXT) | instid1(VALU_DEP_1)
	v_bfe_u32 v2, v2, 2, 5
	v_cmpx_eq_u32_e32 0, v2
	s_cbranch_execz .LBB2_4695
; %bb.4694:                             ;   in Loop: Header=BB2_4268 Depth=4
	v_clz_i32_u32_e32 v2, v119
	s_delay_alu instid0(VALU_DEP_1) | instskip(SKIP_1) | instid1(VALU_DEP_2)
	v_min_u32_e32 v2, 32, v2
	v_mov_b32_e32 v77, v3
	v_subrev_nc_u32_e32 v18, 29, v2
	v_sub_nc_u32_e32 v2, 30, v2
	s_delay_alu instid0(VALU_DEP_2) | instskip(NEXT) | instid1(VALU_DEP_1)
	v_lshlrev_b64_e32 v[18:19], v18, v[76:77]
	v_and_b32_e32 v119, 3, v18
.LBB2_4695:                             ;   in Loop: Header=BB2_4268 Depth=4
	s_or_b32 exec_lo, exec_lo, s75
	v_bfe_i32 v18, v76, 0, 16
                                        ; implicit-def: $vgpr76
	s_delay_alu instid0(VALU_DEP_1) | instskip(NEXT) | instid1(VALU_DEP_1)
	v_and_b32_e32 v18, 0x80000000, v18
	v_lshl_add_u32 v2, v2, 23, v18
	s_delay_alu instid0(VALU_DEP_1) | instskip(NEXT) | instid1(VALU_DEP_1)
	v_lshl_or_b32 v2, v119, 21, v2
                                        ; implicit-def: $vgpr119
	v_add_nc_u32_e32 v2, 0x38000000, v2
.LBB2_4696:                             ;   in Loop: Header=BB2_4268 Depth=4
	s_and_not1_saveexec_b32 s15, s15
; %bb.4697:                             ;   in Loop: Header=BB2_4268 Depth=4
	v_cmp_lt_i16_e32 vcc_lo, -1, v76
	v_cndmask_b32_e32 v2, 0xff800000, v111, vcc_lo
	v_cmp_eq_u32_e32 vcc_lo, 0, v119
	s_delay_alu instid0(VALU_DEP_2)
	v_cndmask_b32_e32 v2, 0x7f800001, v2, vcc_lo
; %bb.4698:                             ;   in Loop: Header=BB2_4268 Depth=4
	s_or_b32 exec_lo, exec_lo, s15
.LBB2_4699:                             ;   in Loop: Header=BB2_4268 Depth=4
	s_delay_alu instid0(SALU_CYCLE_1)
	s_or_b32 exec_lo, exec_lo, s14
.LBB2_4700:                             ;   in Loop: Header=BB2_4268 Depth=4
	s_delay_alu instid0(SALU_CYCLE_1) | instskip(NEXT) | instid1(VALU_DEP_1)
	s_or_b32 exec_lo, exec_lo, s13
	v_dual_add_f32 v119, v117, v2 :: v_dual_mov_b32 v19, v3
                                        ; implicit-def: $vgpr58
	s_mov_b32 s13, exec_lo
	s_delay_alu instid0(VALU_DEP_1) | instskip(SKIP_1) | instid1(VALU_DEP_2)
	v_and_b32_e32 v18, 0x7f800000, v119
	v_and_b32_e32 v2, 0x7fffff, v119
	v_cmpx_ne_u64_e32 0x7f800000, v[18:19]
	s_xor_b32 s14, exec_lo, s13
	s_cbranch_execz .LBB2_4718
; %bb.4701:                             ;   in Loop: Header=BB2_4268 Depth=4
	v_dual_mov_b32 v19, v3 :: v_dual_lshrrev_b32 v117, 24, v119
	v_and_b32_e32 v18, 0x7fffffff, v119
                                        ; implicit-def: $vgpr58
	s_mov_b32 s13, exec_lo
	s_delay_alu instid0(VALU_DEP_2) | instskip(NEXT) | instid1(VALU_DEP_2)
	v_and_b32_e32 v117, 0x80, v117
	v_cmpx_gt_u64_e32 0x47600001, v[18:19]
	s_xor_b32 s15, exec_lo, s13
	s_cbranch_execz .LBB2_4715
; %bb.4702:                             ;   in Loop: Header=BB2_4268 Depth=4
	v_mov_b32_e32 v58, 0
	s_mov_b32 s75, exec_lo
	v_cmpx_ne_u32_e32 0, v119
	s_cbranch_execz .LBB2_4714
; %bb.4703:                             ;   in Loop: Header=BB2_4268 Depth=4
	v_bfe_u32 v119, v119, 23, 8
	v_or_b32_e32 v43, 0x800000, v2
	s_delay_alu instid0(VALU_DEP_2) | instskip(SKIP_1) | instid1(VALU_DEP_2)
	v_sub_nc_u32_e32 v18, 0x71, v119
	v_cmp_gt_u32_e32 vcc_lo, 0x72, v119
	v_cndmask_b32_e32 v18, 0, v18, vcc_lo
	v_cmp_eq_u32_e32 vcc_lo, 0, v119
	s_delay_alu instid0(VALU_DEP_2) | instskip(NEXT) | instid1(VALU_DEP_1)
	v_cndmask_b32_e64 v41, v18, 0x70, vcc_lo
	v_dual_cndmask_b32 v2, v43, v2, vcc_lo :: v_dual_add_nc_u32 v18, 21, v41
	v_add_nc_u32_e32 v45, 20, v41
	s_delay_alu instid0(VALU_DEP_2) | instskip(NEXT) | instid1(VALU_DEP_3)
	v_lshrrev_b64 v[46:47], v41, v[2:3]
	v_lshlrev_b64_e64 v[18:19], v18, -1
	s_delay_alu instid0(VALU_DEP_3) | instskip(NEXT) | instid1(VALU_DEP_2)
	v_lshlrev_b64_e64 v[58:59], v45, 1
	v_bfi_b32 v19, v19, 0, 0
	s_delay_alu instid0(VALU_DEP_3) | instskip(NEXT) | instid1(VALU_DEP_1)
	v_bfi_b32 v18, v18, 0, v2
	v_cmp_eq_u64_e64 s13, v[18:19], v[58:59]
	v_mov_b64_e32 v[58:59], v[46:47]
	s_and_saveexec_b32 s76, s13
; %bb.4704:                             ;   in Loop: Header=BB2_4268 Depth=4
	v_bfe_u32 v2, v46, 21, 1
	s_delay_alu instid0(VALU_DEP_1) | instskip(NEXT) | instid1(VALU_DEP_1)
	v_add_nc_u64_e32 v[18:19], v[46:47], v[2:3]
	v_add_nc_u64_e32 v[58:59], -1, v[18:19]
; %bb.4705:                             ;   in Loop: Header=BB2_4268 Depth=4
	s_or_b32 exec_lo, exec_lo, s76
	v_add_nc_u32_e32 v2, 0xffffff81, v119
	v_lshrrev_b32_e32 v18, 23, v46
	s_mov_b32 s13, exec_lo
                                        ; implicit-def: $vgpr119
	s_delay_alu instid0(VALU_DEP_2) | instskip(NEXT) | instid1(VALU_DEP_1)
	v_cndmask_b32_e64 v2, v2, 0xffffff82, vcc_lo
	v_add3_u32 v41, v41, v2, v18
	v_and_b32_e32 v2, 0x1fffff, v58
	s_delay_alu instid0(VALU_DEP_1) | instskip(NEXT) | instid1(VALU_DEP_1)
	v_dual_add_nc_u32 v43, 14, v41 :: v_dual_add_nc_u32 v2, v2, v46
                                        ; implicit-def: $vgpr46_vgpr47
	v_cmpx_ne_u32_e32 0, v43
	s_xor_b32 s13, exec_lo, s13
; %bb.4706:                             ;   in Loop: Header=BB2_4268 Depth=4
	s_delay_alu instid0(VALU_DEP_2) | instskip(SKIP_1) | instid1(VALU_DEP_1)
	v_cmp_lt_u64_e32 vcc_lo, 0xffffff, v[2:3]
	v_add_nc_u32_e32 v18, 15, v41
	v_cndmask_b32_e32 v119, v43, v18, vcc_lo
	v_cndmask_b32_e64 v18, 0, 1, vcc_lo
	s_delay_alu instid0(VALU_DEP_1)
	v_lshrrev_b64 v[46:47], v18, v[2:3]
; %bb.4707:                             ;   in Loop: Header=BB2_4268 Depth=4
	s_and_not1_saveexec_b32 s13, s13
; %bb.4708:                             ;   in Loop: Header=BB2_4268 Depth=4
	v_mov_b64_e32 v[46:47], v[2:3]
	v_bfe_u32 v119, v2, 23, 1
; %bb.4709:                             ;   in Loop: Header=BB2_4268 Depth=4
	s_or_b32 exec_lo, exec_lo, s13
	s_delay_alu instid0(VALU_DEP_2) | instskip(NEXT) | instid1(VALU_DEP_2)
	v_lshrrev_b64 v[18:19], 21, v[46:47]
	v_cmp_gt_i32_e32 vcc_lo, 32, v119
	v_cmp_ne_u32_e64 s13, 0, v119
                                        ; implicit-def: $vgpr58
	s_delay_alu instid0(VALU_DEP_3) | instskip(NEXT) | instid1(VALU_DEP_1)
	v_dual_cndmask_b32 v47, 0, v19 :: v_dual_cndmask_b32 v46, 3, v18
	v_cmp_ne_u64_e32 vcc_lo, 0, v[46:47]
	s_or_b32 s13, s13, vcc_lo
	s_delay_alu instid0(SALU_CYCLE_1) | instskip(NEXT) | instid1(SALU_CYCLE_1)
	s_and_saveexec_b32 s76, s13
	s_xor_b32 s13, exec_lo, s76
; %bb.4710:                             ;   in Loop: Header=BB2_4268 Depth=4
	v_min_i32_e32 v2, 31, v119
	s_delay_alu instid0(VALU_DEP_1) | instskip(NEXT) | instid1(VALU_DEP_1)
	v_lshl_or_b32 v2, v2, 2, v117
                                        ; implicit-def: $vgpr117
	v_and_or_b32 v58, v46, 3, v2
; %bb.4711:                             ;   in Loop: Header=BB2_4268 Depth=4
	s_and_not1_saveexec_b32 s13, s13
; %bb.4712:                             ;   in Loop: Header=BB2_4268 Depth=4
	v_mov_b32_e32 v58, v117
; %bb.4713:                             ;   in Loop: Header=BB2_4268 Depth=4
	s_or_b32 exec_lo, exec_lo, s13
.LBB2_4714:                             ;   in Loop: Header=BB2_4268 Depth=4
	s_delay_alu instid0(SALU_CYCLE_1)
	s_or_b32 exec_lo, exec_lo, s75
                                        ; implicit-def: $vgpr117
.LBB2_4715:                             ;   in Loop: Header=BB2_4268 Depth=4
	s_and_not1_saveexec_b32 s13, s15
; %bb.4716:                             ;   in Loop: Header=BB2_4268 Depth=4
	v_or_b32_e32 v58, 0x7b, v117
; %bb.4717:                             ;   in Loop: Header=BB2_4268 Depth=4
	s_or_b32 exec_lo, exec_lo, s13
                                        ; implicit-def: $vgpr119
.LBB2_4718:                             ;   in Loop: Header=BB2_4268 Depth=4
	s_and_not1_saveexec_b32 s13, s14
	s_cbranch_execz .LBB2_4724
; %bb.4719:                             ;   in Loop: Header=BB2_4268 Depth=4
	s_mov_b32 s14, exec_lo
                                        ; implicit-def: $vgpr58
	v_cmpx_ne_u64_e32 0, v[2:3]
	s_xor_b32 s14, exec_lo, s14
; %bb.4720:                             ;   in Loop: Header=BB2_4268 Depth=4
	v_lshrrev_b32_e32 v2, 24, v119
                                        ; implicit-def: $vgpr119
	s_delay_alu instid0(VALU_DEP_1)
	v_or_b32_e32 v58, 0x7f, v2
; %bb.4721:                             ;   in Loop: Header=BB2_4268 Depth=4
	s_and_not1_saveexec_b32 s14, s14
; %bb.4722:                             ;   in Loop: Header=BB2_4268 Depth=4
	v_cmp_lt_i32_e32 vcc_lo, -1, v119
	v_cndmask_b32_e64 v58, -4, 0x7c, vcc_lo
; %bb.4723:                             ;   in Loop: Header=BB2_4268 Depth=4
	s_or_b32 exec_lo, exec_lo, s14
.LBB2_4724:                             ;   in Loop: Header=BB2_4268 Depth=4
	s_delay_alu instid0(SALU_CYCLE_1) | instskip(SKIP_3) | instid1(VALU_DEP_2)
	s_or_b32 exec_lo, exec_lo, s13
	v_and_b32_e32 v41, 0xff, v44
	v_dual_mov_b32 v2, 0 :: v_dual_mov_b32 v117, 0
	s_mov_b32 s13, exec_lo
	v_cmpx_ne_u16_e32 0, v41
	s_cbranch_execz .LBB2_4734
; %bb.4725:                             ;   in Loop: Header=BB2_4268 Depth=4
	v_bfrev_b32_e32 v117, 1
	s_mov_b32 s14, exec_lo
	v_cmpx_ne_u16_e32 0x80, v41
	s_cbranch_execz .LBB2_4733
; %bb.4726:                             ;   in Loop: Header=BB2_4268 Depth=4
	v_and_b32_e32 v18, 0x7c, v44
	v_and_b32_e32 v119, 3, v44
	s_mov_b32 s15, exec_lo
                                        ; implicit-def: $vgpr117
	s_delay_alu instid0(VALU_DEP_2)
	v_cmpx_ne_u32_e32 0x7c, v18
	s_xor_b32 s15, exec_lo, s15
	s_cbranch_execz .LBB2_4730
; %bb.4727:                             ;   in Loop: Header=BB2_4268 Depth=4
	v_bfe_u32 v117, v41, 2, 5
	s_mov_b32 s75, exec_lo
	s_delay_alu instid0(VALU_DEP_1)
	v_cmpx_eq_u32_e32 0, v117
	s_cbranch_execz .LBB2_4729
; %bb.4728:                             ;   in Loop: Header=BB2_4268 Depth=4
	v_clz_i32_u32_e32 v18, v119
	s_delay_alu instid0(VALU_DEP_1) | instskip(SKIP_1) | instid1(VALU_DEP_2)
	v_min_u32_e32 v117, 32, v18
	v_mov_b32_e32 v45, v3
	v_subrev_nc_u32_e32 v18, 29, v117
	v_sub_nc_u32_e32 v117, 30, v117
	s_delay_alu instid0(VALU_DEP_2) | instskip(NEXT) | instid1(VALU_DEP_1)
	v_lshlrev_b64_e32 v[18:19], v18, v[44:45]
	v_and_b32_e32 v119, 3, v18
.LBB2_4729:                             ;   in Loop: Header=BB2_4268 Depth=4
	s_or_b32 exec_lo, exec_lo, s75
	v_lshlrev_b32_e32 v18, 24, v44
                                        ; implicit-def: $vgpr44
	s_delay_alu instid0(VALU_DEP_1) | instskip(NEXT) | instid1(VALU_DEP_1)
	v_and_b32_e32 v18, 0x80000000, v18
	v_lshl_add_u32 v18, v117, 23, v18
	s_delay_alu instid0(VALU_DEP_1) | instskip(NEXT) | instid1(VALU_DEP_1)
	v_lshl_or_b32 v18, v119, 21, v18
                                        ; implicit-def: $vgpr119
	v_add_nc_u32_e32 v117, 0x38000000, v18
.LBB2_4730:                             ;   in Loop: Header=BB2_4268 Depth=4
	s_and_not1_saveexec_b32 s15, s15
; %bb.4731:                             ;   in Loop: Header=BB2_4268 Depth=4
	v_bfe_i32 v18, v44, 0, 8
	s_delay_alu instid0(VALU_DEP_1) | instskip(SKIP_2) | instid1(VALU_DEP_2)
	v_cmp_lt_i16_e32 vcc_lo, -1, v18
	v_cndmask_b32_e32 v18, 0xff800000, v111, vcc_lo
	v_cmp_eq_u32_e32 vcc_lo, 0, v119
	v_cndmask_b32_e32 v117, 0x7f800001, v18, vcc_lo
; %bb.4732:                             ;   in Loop: Header=BB2_4268 Depth=4
	s_or_b32 exec_lo, exec_lo, s15
.LBB2_4733:                             ;   in Loop: Header=BB2_4268 Depth=4
	s_delay_alu instid0(SALU_CYCLE_1)
	s_or_b32 exec_lo, exec_lo, s14
.LBB2_4734:                             ;   in Loop: Header=BB2_4268 Depth=4
	s_delay_alu instid0(SALU_CYCLE_1) | instskip(NEXT) | instid1(SALU_CYCLE_1)
	s_or_b32 exec_lo, exec_lo, s13
	s_mov_b32 s13, exec_lo
	s_wait_loadcnt_dscnt 0x303
	v_cmpx_ne_u16_e32 0, v74
	s_cbranch_execz .LBB2_4744
; %bb.4735:                             ;   in Loop: Header=BB2_4268 Depth=4
	v_bfrev_b32_e32 v2, 1
	s_mov_b32 s14, exec_lo
	v_cmpx_ne_u16_e32 0xff80, v74
	s_cbranch_execz .LBB2_4743
; %bb.4736:                             ;   in Loop: Header=BB2_4268 Depth=4
	v_and_b32_e32 v2, 0x7c, v74
	v_and_b32_e32 v119, 3, v74
	s_delay_alu instid0(VALU_DEP_2) | instskip(SKIP_1) | instid1(SALU_CYCLE_1)
	v_cmp_ne_u32_e32 vcc_lo, 0x7c, v2
                                        ; implicit-def: $vgpr2
	s_and_saveexec_b32 s15, vcc_lo
	s_xor_b32 s15, exec_lo, s15
	s_cbranch_execz .LBB2_4740
; %bb.4737:                             ;   in Loop: Header=BB2_4268 Depth=4
	v_and_b32_e32 v2, 0xff, v74
	s_mov_b32 s75, exec_lo
	s_delay_alu instid0(VALU_DEP_1) | instskip(NEXT) | instid1(VALU_DEP_1)
	v_bfe_u32 v2, v2, 2, 5
	v_cmpx_eq_u32_e32 0, v2
	s_cbranch_execz .LBB2_4739
; %bb.4738:                             ;   in Loop: Header=BB2_4268 Depth=4
	v_clz_i32_u32_e32 v2, v119
	s_delay_alu instid0(VALU_DEP_1) | instskip(SKIP_1) | instid1(VALU_DEP_2)
	v_min_u32_e32 v2, 32, v2
	v_mov_b32_e32 v75, v3
	v_subrev_nc_u32_e32 v18, 29, v2
	v_sub_nc_u32_e32 v2, 30, v2
	s_delay_alu instid0(VALU_DEP_2) | instskip(NEXT) | instid1(VALU_DEP_1)
	v_lshlrev_b64_e32 v[18:19], v18, v[74:75]
	v_and_b32_e32 v119, 3, v18
.LBB2_4739:                             ;   in Loop: Header=BB2_4268 Depth=4
	s_or_b32 exec_lo, exec_lo, s75
	v_bfe_i32 v18, v74, 0, 16
                                        ; implicit-def: $vgpr74
	s_delay_alu instid0(VALU_DEP_1) | instskip(NEXT) | instid1(VALU_DEP_1)
	v_and_b32_e32 v18, 0x80000000, v18
	v_lshl_add_u32 v2, v2, 23, v18
	s_delay_alu instid0(VALU_DEP_1) | instskip(NEXT) | instid1(VALU_DEP_1)
	v_lshl_or_b32 v2, v119, 21, v2
                                        ; implicit-def: $vgpr119
	v_add_nc_u32_e32 v2, 0x38000000, v2
.LBB2_4740:                             ;   in Loop: Header=BB2_4268 Depth=4
	s_and_not1_saveexec_b32 s15, s15
; %bb.4741:                             ;   in Loop: Header=BB2_4268 Depth=4
	v_cmp_lt_i16_e32 vcc_lo, -1, v74
	v_cndmask_b32_e32 v2, 0xff800000, v111, vcc_lo
	v_cmp_eq_u32_e32 vcc_lo, 0, v119
	s_delay_alu instid0(VALU_DEP_2)
	v_cndmask_b32_e32 v2, 0x7f800001, v2, vcc_lo
; %bb.4742:                             ;   in Loop: Header=BB2_4268 Depth=4
	s_or_b32 exec_lo, exec_lo, s15
.LBB2_4743:                             ;   in Loop: Header=BB2_4268 Depth=4
	s_delay_alu instid0(SALU_CYCLE_1)
	s_or_b32 exec_lo, exec_lo, s14
.LBB2_4744:                             ;   in Loop: Header=BB2_4268 Depth=4
	s_delay_alu instid0(SALU_CYCLE_1) | instskip(NEXT) | instid1(VALU_DEP_1)
	s_or_b32 exec_lo, exec_lo, s13
	v_dual_add_f32 v119, v117, v2 :: v_dual_mov_b32 v19, v3
                                        ; implicit-def: $vgpr46
	s_mov_b32 s13, exec_lo
	s_delay_alu instid0(VALU_DEP_1) | instskip(SKIP_1) | instid1(VALU_DEP_2)
	v_and_b32_e32 v18, 0x7f800000, v119
	v_and_b32_e32 v2, 0x7fffff, v119
	v_cmpx_ne_u64_e32 0x7f800000, v[18:19]
	s_xor_b32 s14, exec_lo, s13
	s_cbranch_execz .LBB2_4762
; %bb.4745:                             ;   in Loop: Header=BB2_4268 Depth=4
	v_dual_mov_b32 v19, v3 :: v_dual_lshrrev_b32 v117, 24, v119
	v_and_b32_e32 v18, 0x7fffffff, v119
                                        ; implicit-def: $vgpr46
	s_mov_b32 s13, exec_lo
	s_delay_alu instid0(VALU_DEP_2) | instskip(NEXT) | instid1(VALU_DEP_2)
	v_and_b32_e32 v117, 0x80, v117
	v_cmpx_gt_u64_e32 0x47600001, v[18:19]
	s_xor_b32 s15, exec_lo, s13
	s_cbranch_execz .LBB2_4759
; %bb.4746:                             ;   in Loop: Header=BB2_4268 Depth=4
	v_mov_b32_e32 v46, 0
	s_mov_b32 s75, exec_lo
	v_cmpx_ne_u32_e32 0, v119
	s_cbranch_execz .LBB2_4758
; %bb.4747:                             ;   in Loop: Header=BB2_4268 Depth=4
	v_bfe_u32 v119, v119, 23, 8
	v_or_b32_e32 v43, 0x800000, v2
	s_delay_alu instid0(VALU_DEP_2) | instskip(SKIP_1) | instid1(VALU_DEP_2)
	v_sub_nc_u32_e32 v18, 0x71, v119
	v_cmp_gt_u32_e32 vcc_lo, 0x72, v119
	v_cndmask_b32_e32 v18, 0, v18, vcc_lo
	v_cmp_eq_u32_e32 vcc_lo, 0, v119
	s_delay_alu instid0(VALU_DEP_2) | instskip(NEXT) | instid1(VALU_DEP_1)
	v_cndmask_b32_e64 v41, v18, 0x70, vcc_lo
	v_dual_cndmask_b32 v2, v43, v2, vcc_lo :: v_dual_add_nc_u32 v18, 21, v41
	v_add_nc_u32_e32 v44, 20, v41
	s_delay_alu instid0(VALU_DEP_2) | instskip(NEXT) | instid1(VALU_DEP_2)
	v_lshlrev_b64_e64 v[18:19], v18, -1
	v_lshlrev_b64_e64 v[46:47], v44, 1
	s_delay_alu instid0(VALU_DEP_4) | instskip(NEXT) | instid1(VALU_DEP_3)
	v_lshrrev_b64 v[44:45], v41, v[2:3]
	v_bfi_b32 v19, v19, 0, 0
	s_delay_alu instid0(VALU_DEP_4) | instskip(NEXT) | instid1(VALU_DEP_1)
	v_bfi_b32 v18, v18, 0, v2
	v_cmp_eq_u64_e64 s13, v[18:19], v[46:47]
	s_delay_alu instid0(VALU_DEP_4)
	v_mov_b64_e32 v[46:47], v[44:45]
	s_and_saveexec_b32 s76, s13
; %bb.4748:                             ;   in Loop: Header=BB2_4268 Depth=4
	v_bfe_u32 v2, v44, 21, 1
	s_delay_alu instid0(VALU_DEP_1) | instskip(NEXT) | instid1(VALU_DEP_1)
	v_add_nc_u64_e32 v[18:19], v[44:45], v[2:3]
	v_add_nc_u64_e32 v[46:47], -1, v[18:19]
; %bb.4749:                             ;   in Loop: Header=BB2_4268 Depth=4
	s_or_b32 exec_lo, exec_lo, s76
	v_add_nc_u32_e32 v2, 0xffffff81, v119
	v_lshrrev_b32_e32 v18, 23, v44
	s_mov_b32 s13, exec_lo
                                        ; implicit-def: $vgpr119
	s_delay_alu instid0(VALU_DEP_2) | instskip(NEXT) | instid1(VALU_DEP_1)
	v_cndmask_b32_e64 v2, v2, 0xffffff82, vcc_lo
	v_add3_u32 v41, v41, v2, v18
	v_and_b32_e32 v2, 0x1fffff, v46
	s_delay_alu instid0(VALU_DEP_1) | instskip(NEXT) | instid1(VALU_DEP_1)
	v_dual_add_nc_u32 v43, 14, v41 :: v_dual_add_nc_u32 v2, v2, v44
                                        ; implicit-def: $vgpr44_vgpr45
	v_cmpx_ne_u32_e32 0, v43
	s_xor_b32 s13, exec_lo, s13
; %bb.4750:                             ;   in Loop: Header=BB2_4268 Depth=4
	s_delay_alu instid0(VALU_DEP_2) | instskip(SKIP_1) | instid1(VALU_DEP_1)
	v_cmp_lt_u64_e32 vcc_lo, 0xffffff, v[2:3]
	v_add_nc_u32_e32 v18, 15, v41
	v_cndmask_b32_e32 v119, v43, v18, vcc_lo
	v_cndmask_b32_e64 v18, 0, 1, vcc_lo
	s_delay_alu instid0(VALU_DEP_1)
	v_lshrrev_b64 v[44:45], v18, v[2:3]
; %bb.4751:                             ;   in Loop: Header=BB2_4268 Depth=4
	s_and_not1_saveexec_b32 s13, s13
; %bb.4752:                             ;   in Loop: Header=BB2_4268 Depth=4
	v_mov_b64_e32 v[44:45], v[2:3]
	v_bfe_u32 v119, v2, 23, 1
; %bb.4753:                             ;   in Loop: Header=BB2_4268 Depth=4
	s_or_b32 exec_lo, exec_lo, s13
	s_delay_alu instid0(VALU_DEP_2) | instskip(NEXT) | instid1(VALU_DEP_2)
	v_lshrrev_b64 v[18:19], 21, v[44:45]
	v_cmp_gt_i32_e32 vcc_lo, 32, v119
	v_cmp_ne_u32_e64 s13, 0, v119
                                        ; implicit-def: $vgpr46
	s_delay_alu instid0(VALU_DEP_3) | instskip(NEXT) | instid1(VALU_DEP_1)
	v_dual_cndmask_b32 v45, 0, v19 :: v_dual_cndmask_b32 v44, 3, v18
	v_cmp_ne_u64_e32 vcc_lo, 0, v[44:45]
	s_or_b32 s13, s13, vcc_lo
	s_delay_alu instid0(SALU_CYCLE_1) | instskip(NEXT) | instid1(SALU_CYCLE_1)
	s_and_saveexec_b32 s76, s13
	s_xor_b32 s13, exec_lo, s76
; %bb.4754:                             ;   in Loop: Header=BB2_4268 Depth=4
	v_min_i32_e32 v2, 31, v119
	s_delay_alu instid0(VALU_DEP_1) | instskip(NEXT) | instid1(VALU_DEP_1)
	v_lshl_or_b32 v2, v2, 2, v117
                                        ; implicit-def: $vgpr117
	v_and_or_b32 v46, v44, 3, v2
; %bb.4755:                             ;   in Loop: Header=BB2_4268 Depth=4
	s_and_not1_saveexec_b32 s13, s13
; %bb.4756:                             ;   in Loop: Header=BB2_4268 Depth=4
	v_mov_b32_e32 v46, v117
; %bb.4757:                             ;   in Loop: Header=BB2_4268 Depth=4
	s_or_b32 exec_lo, exec_lo, s13
.LBB2_4758:                             ;   in Loop: Header=BB2_4268 Depth=4
	s_delay_alu instid0(SALU_CYCLE_1)
	s_or_b32 exec_lo, exec_lo, s75
                                        ; implicit-def: $vgpr117
.LBB2_4759:                             ;   in Loop: Header=BB2_4268 Depth=4
	s_and_not1_saveexec_b32 s13, s15
; %bb.4760:                             ;   in Loop: Header=BB2_4268 Depth=4
	v_or_b32_e32 v46, 0x7b, v117
; %bb.4761:                             ;   in Loop: Header=BB2_4268 Depth=4
	s_or_b32 exec_lo, exec_lo, s13
                                        ; implicit-def: $vgpr119
.LBB2_4762:                             ;   in Loop: Header=BB2_4268 Depth=4
	s_and_not1_saveexec_b32 s13, s14
	s_cbranch_execz .LBB2_4768
; %bb.4763:                             ;   in Loop: Header=BB2_4268 Depth=4
	s_mov_b32 s14, exec_lo
                                        ; implicit-def: $vgpr46
	v_cmpx_ne_u64_e32 0, v[2:3]
	s_xor_b32 s14, exec_lo, s14
; %bb.4764:                             ;   in Loop: Header=BB2_4268 Depth=4
	v_lshrrev_b32_e32 v2, 24, v119
                                        ; implicit-def: $vgpr119
	s_delay_alu instid0(VALU_DEP_1)
	v_or_b32_e32 v46, 0x7f, v2
; %bb.4765:                             ;   in Loop: Header=BB2_4268 Depth=4
	s_and_not1_saveexec_b32 s14, s14
; %bb.4766:                             ;   in Loop: Header=BB2_4268 Depth=4
	v_cmp_lt_i32_e32 vcc_lo, -1, v119
	v_cndmask_b32_e64 v46, -4, 0x7c, vcc_lo
; %bb.4767:                             ;   in Loop: Header=BB2_4268 Depth=4
	s_or_b32 exec_lo, exec_lo, s14
.LBB2_4768:                             ;   in Loop: Header=BB2_4268 Depth=4
	s_delay_alu instid0(SALU_CYCLE_1) | instskip(SKIP_3) | instid1(VALU_DEP_2)
	s_or_b32 exec_lo, exec_lo, s13
	v_and_b32_e32 v41, 0xff, v42
	v_dual_mov_b32 v2, 0 :: v_dual_mov_b32 v117, 0
	s_mov_b32 s13, exec_lo
	v_cmpx_ne_u16_e32 0, v41
	s_cbranch_execz .LBB2_4778
; %bb.4769:                             ;   in Loop: Header=BB2_4268 Depth=4
	v_bfrev_b32_e32 v117, 1
	s_mov_b32 s14, exec_lo
	v_cmpx_ne_u16_e32 0x80, v41
	s_cbranch_execz .LBB2_4777
; %bb.4770:                             ;   in Loop: Header=BB2_4268 Depth=4
	v_and_b32_e32 v18, 0x7c, v42
	v_and_b32_e32 v119, 3, v42
	s_mov_b32 s15, exec_lo
                                        ; implicit-def: $vgpr117
	s_delay_alu instid0(VALU_DEP_2)
	v_cmpx_ne_u32_e32 0x7c, v18
	s_xor_b32 s15, exec_lo, s15
	s_cbranch_execz .LBB2_4774
; %bb.4771:                             ;   in Loop: Header=BB2_4268 Depth=4
	v_bfe_u32 v117, v41, 2, 5
	s_mov_b32 s75, exec_lo
	s_delay_alu instid0(VALU_DEP_1)
	v_cmpx_eq_u32_e32 0, v117
	s_cbranch_execz .LBB2_4773
; %bb.4772:                             ;   in Loop: Header=BB2_4268 Depth=4
	v_clz_i32_u32_e32 v18, v119
	s_delay_alu instid0(VALU_DEP_1) | instskip(SKIP_1) | instid1(VALU_DEP_2)
	v_min_u32_e32 v117, 32, v18
	v_mov_b32_e32 v43, v3
	v_subrev_nc_u32_e32 v18, 29, v117
	v_sub_nc_u32_e32 v117, 30, v117
	s_delay_alu instid0(VALU_DEP_2) | instskip(NEXT) | instid1(VALU_DEP_1)
	v_lshlrev_b64_e32 v[18:19], v18, v[42:43]
	v_and_b32_e32 v119, 3, v18
.LBB2_4773:                             ;   in Loop: Header=BB2_4268 Depth=4
	s_or_b32 exec_lo, exec_lo, s75
	v_lshlrev_b32_e32 v18, 24, v42
                                        ; implicit-def: $vgpr42
	s_delay_alu instid0(VALU_DEP_1) | instskip(NEXT) | instid1(VALU_DEP_1)
	v_and_b32_e32 v18, 0x80000000, v18
	v_lshl_add_u32 v18, v117, 23, v18
	s_delay_alu instid0(VALU_DEP_1) | instskip(NEXT) | instid1(VALU_DEP_1)
	v_lshl_or_b32 v18, v119, 21, v18
                                        ; implicit-def: $vgpr119
	v_add_nc_u32_e32 v117, 0x38000000, v18
.LBB2_4774:                             ;   in Loop: Header=BB2_4268 Depth=4
	s_and_not1_saveexec_b32 s15, s15
; %bb.4775:                             ;   in Loop: Header=BB2_4268 Depth=4
	v_bfe_i32 v18, v42, 0, 8
	s_delay_alu instid0(VALU_DEP_1) | instskip(SKIP_2) | instid1(VALU_DEP_2)
	v_cmp_lt_i16_e32 vcc_lo, -1, v18
	v_cndmask_b32_e32 v18, 0xff800000, v111, vcc_lo
	v_cmp_eq_u32_e32 vcc_lo, 0, v119
	v_cndmask_b32_e32 v117, 0x7f800001, v18, vcc_lo
; %bb.4776:                             ;   in Loop: Header=BB2_4268 Depth=4
	s_or_b32 exec_lo, exec_lo, s15
.LBB2_4777:                             ;   in Loop: Header=BB2_4268 Depth=4
	s_delay_alu instid0(SALU_CYCLE_1)
	s_or_b32 exec_lo, exec_lo, s14
.LBB2_4778:                             ;   in Loop: Header=BB2_4268 Depth=4
	s_delay_alu instid0(SALU_CYCLE_1) | instskip(NEXT) | instid1(SALU_CYCLE_1)
	s_or_b32 exec_lo, exec_lo, s13
	s_mov_b32 s13, exec_lo
	s_wait_loadcnt_dscnt 0x202
	v_cmpx_ne_u16_e32 0, v72
	s_cbranch_execz .LBB2_4788
; %bb.4779:                             ;   in Loop: Header=BB2_4268 Depth=4
	v_bfrev_b32_e32 v2, 1
	s_mov_b32 s14, exec_lo
	v_cmpx_ne_u16_e32 0xff80, v72
	s_cbranch_execz .LBB2_4787
; %bb.4780:                             ;   in Loop: Header=BB2_4268 Depth=4
	v_and_b32_e32 v2, 0x7c, v72
	v_and_b32_e32 v119, 3, v72
	s_delay_alu instid0(VALU_DEP_2) | instskip(SKIP_1) | instid1(SALU_CYCLE_1)
	v_cmp_ne_u32_e32 vcc_lo, 0x7c, v2
                                        ; implicit-def: $vgpr2
	s_and_saveexec_b32 s15, vcc_lo
	s_xor_b32 s15, exec_lo, s15
	s_cbranch_execz .LBB2_4784
; %bb.4781:                             ;   in Loop: Header=BB2_4268 Depth=4
	v_and_b32_e32 v2, 0xff, v72
	s_mov_b32 s75, exec_lo
	s_delay_alu instid0(VALU_DEP_1) | instskip(NEXT) | instid1(VALU_DEP_1)
	v_bfe_u32 v2, v2, 2, 5
	v_cmpx_eq_u32_e32 0, v2
	s_cbranch_execz .LBB2_4783
; %bb.4782:                             ;   in Loop: Header=BB2_4268 Depth=4
	v_clz_i32_u32_e32 v2, v119
	s_delay_alu instid0(VALU_DEP_1) | instskip(SKIP_1) | instid1(VALU_DEP_2)
	v_min_u32_e32 v2, 32, v2
	v_mov_b32_e32 v73, v3
	v_subrev_nc_u32_e32 v18, 29, v2
	v_sub_nc_u32_e32 v2, 30, v2
	s_delay_alu instid0(VALU_DEP_2) | instskip(NEXT) | instid1(VALU_DEP_1)
	v_lshlrev_b64_e32 v[18:19], v18, v[72:73]
	v_and_b32_e32 v119, 3, v18
.LBB2_4783:                             ;   in Loop: Header=BB2_4268 Depth=4
	s_or_b32 exec_lo, exec_lo, s75
	v_bfe_i32 v18, v72, 0, 16
                                        ; implicit-def: $vgpr72
	s_delay_alu instid0(VALU_DEP_1) | instskip(NEXT) | instid1(VALU_DEP_1)
	v_and_b32_e32 v18, 0x80000000, v18
	v_lshl_add_u32 v2, v2, 23, v18
	s_delay_alu instid0(VALU_DEP_1) | instskip(NEXT) | instid1(VALU_DEP_1)
	v_lshl_or_b32 v2, v119, 21, v2
                                        ; implicit-def: $vgpr119
	v_add_nc_u32_e32 v2, 0x38000000, v2
.LBB2_4784:                             ;   in Loop: Header=BB2_4268 Depth=4
	s_and_not1_saveexec_b32 s15, s15
; %bb.4785:                             ;   in Loop: Header=BB2_4268 Depth=4
	v_cmp_lt_i16_e32 vcc_lo, -1, v72
	v_cndmask_b32_e32 v2, 0xff800000, v111, vcc_lo
	v_cmp_eq_u32_e32 vcc_lo, 0, v119
	s_delay_alu instid0(VALU_DEP_2)
	v_cndmask_b32_e32 v2, 0x7f800001, v2, vcc_lo
; %bb.4786:                             ;   in Loop: Header=BB2_4268 Depth=4
	s_or_b32 exec_lo, exec_lo, s15
.LBB2_4787:                             ;   in Loop: Header=BB2_4268 Depth=4
	s_delay_alu instid0(SALU_CYCLE_1)
	s_or_b32 exec_lo, exec_lo, s14
.LBB2_4788:                             ;   in Loop: Header=BB2_4268 Depth=4
	s_delay_alu instid0(SALU_CYCLE_1) | instskip(NEXT) | instid1(VALU_DEP_1)
	s_or_b32 exec_lo, exec_lo, s13
	v_dual_add_f32 v119, v117, v2 :: v_dual_mov_b32 v19, v3
                                        ; implicit-def: $vgpr44
	s_mov_b32 s13, exec_lo
	s_delay_alu instid0(VALU_DEP_1) | instskip(SKIP_1) | instid1(VALU_DEP_2)
	v_and_b32_e32 v18, 0x7f800000, v119
	v_and_b32_e32 v2, 0x7fffff, v119
	v_cmpx_ne_u64_e32 0x7f800000, v[18:19]
	s_xor_b32 s14, exec_lo, s13
	s_cbranch_execz .LBB2_4806
; %bb.4789:                             ;   in Loop: Header=BB2_4268 Depth=4
	v_dual_mov_b32 v19, v3 :: v_dual_lshrrev_b32 v117, 24, v119
	v_and_b32_e32 v18, 0x7fffffff, v119
                                        ; implicit-def: $vgpr44
	s_mov_b32 s13, exec_lo
	s_delay_alu instid0(VALU_DEP_2) | instskip(NEXT) | instid1(VALU_DEP_2)
	v_and_b32_e32 v117, 0x80, v117
	v_cmpx_gt_u64_e32 0x47600001, v[18:19]
	s_xor_b32 s15, exec_lo, s13
	s_cbranch_execz .LBB2_4803
; %bb.4790:                             ;   in Loop: Header=BB2_4268 Depth=4
	v_mov_b32_e32 v44, 0
	s_mov_b32 s75, exec_lo
	v_cmpx_ne_u32_e32 0, v119
	s_cbranch_execz .LBB2_4802
; %bb.4791:                             ;   in Loop: Header=BB2_4268 Depth=4
	v_bfe_u32 v119, v119, 23, 8
	v_or_b32_e32 v42, 0x800000, v2
	s_delay_alu instid0(VALU_DEP_2) | instskip(SKIP_1) | instid1(VALU_DEP_2)
	v_sub_nc_u32_e32 v18, 0x71, v119
	v_cmp_gt_u32_e32 vcc_lo, 0x72, v119
	v_cndmask_b32_e32 v18, 0, v18, vcc_lo
	v_cmp_eq_u32_e32 vcc_lo, 0, v119
	s_delay_alu instid0(VALU_DEP_2) | instskip(NEXT) | instid1(VALU_DEP_1)
	v_cndmask_b32_e64 v41, v18, 0x70, vcc_lo
	v_dual_cndmask_b32 v2, v42, v2, vcc_lo :: v_dual_add_nc_u32 v18, 21, v41
	v_add_nc_u32_e32 v43, 20, v41
	s_delay_alu instid0(VALU_DEP_2) | instskip(NEXT) | instid1(VALU_DEP_2)
	v_lshlrev_b64_e64 v[18:19], v18, -1
	v_lshlrev_b64_e64 v[44:45], v43, 1
	s_delay_alu instid0(VALU_DEP_4) | instskip(NEXT) | instid1(VALU_DEP_3)
	v_lshrrev_b64 v[42:43], v41, v[2:3]
	v_bfi_b32 v19, v19, 0, 0
	s_delay_alu instid0(VALU_DEP_4) | instskip(NEXT) | instid1(VALU_DEP_1)
	v_bfi_b32 v18, v18, 0, v2
	v_cmp_eq_u64_e64 s13, v[18:19], v[44:45]
	s_delay_alu instid0(VALU_DEP_4)
	v_mov_b64_e32 v[44:45], v[42:43]
	s_and_saveexec_b32 s76, s13
; %bb.4792:                             ;   in Loop: Header=BB2_4268 Depth=4
	v_bfe_u32 v2, v42, 21, 1
	s_delay_alu instid0(VALU_DEP_1) | instskip(NEXT) | instid1(VALU_DEP_1)
	v_add_nc_u64_e32 v[18:19], v[42:43], v[2:3]
	v_add_nc_u64_e32 v[44:45], -1, v[18:19]
; %bb.4793:                             ;   in Loop: Header=BB2_4268 Depth=4
	s_or_b32 exec_lo, exec_lo, s76
	v_add_nc_u32_e32 v2, 0xffffff81, v119
	v_lshrrev_b32_e32 v18, 23, v42
	s_mov_b32 s13, exec_lo
                                        ; implicit-def: $vgpr119
	s_delay_alu instid0(VALU_DEP_2) | instskip(NEXT) | instid1(VALU_DEP_1)
	v_cndmask_b32_e64 v2, v2, 0xffffff82, vcc_lo
	v_add3_u32 v41, v41, v2, v18
	v_and_b32_e32 v2, 0x1fffff, v44
	s_delay_alu instid0(VALU_DEP_1) | instskip(NEXT) | instid1(VALU_DEP_1)
	v_dual_add_nc_u32 v44, 14, v41 :: v_dual_add_nc_u32 v2, v2, v42
                                        ; implicit-def: $vgpr42_vgpr43
	v_cmpx_ne_u32_e32 0, v44
	s_xor_b32 s13, exec_lo, s13
; %bb.4794:                             ;   in Loop: Header=BB2_4268 Depth=4
	s_delay_alu instid0(VALU_DEP_2) | instskip(SKIP_1) | instid1(VALU_DEP_1)
	v_cmp_lt_u64_e32 vcc_lo, 0xffffff, v[2:3]
	v_add_nc_u32_e32 v18, 15, v41
	v_cndmask_b32_e32 v119, v44, v18, vcc_lo
	v_cndmask_b32_e64 v18, 0, 1, vcc_lo
	s_delay_alu instid0(VALU_DEP_1)
	v_lshrrev_b64 v[42:43], v18, v[2:3]
; %bb.4795:                             ;   in Loop: Header=BB2_4268 Depth=4
	s_and_not1_saveexec_b32 s13, s13
; %bb.4796:                             ;   in Loop: Header=BB2_4268 Depth=4
	v_mov_b64_e32 v[42:43], v[2:3]
	v_bfe_u32 v119, v2, 23, 1
; %bb.4797:                             ;   in Loop: Header=BB2_4268 Depth=4
	s_or_b32 exec_lo, exec_lo, s13
	s_delay_alu instid0(VALU_DEP_2) | instskip(NEXT) | instid1(VALU_DEP_2)
	v_lshrrev_b64 v[18:19], 21, v[42:43]
	v_cmp_gt_i32_e32 vcc_lo, 32, v119
	v_cmp_ne_u32_e64 s13, 0, v119
                                        ; implicit-def: $vgpr44
	s_delay_alu instid0(VALU_DEP_3) | instskip(NEXT) | instid1(VALU_DEP_1)
	v_dual_cndmask_b32 v43, 0, v19 :: v_dual_cndmask_b32 v42, 3, v18
	v_cmp_ne_u64_e32 vcc_lo, 0, v[42:43]
	s_or_b32 s13, s13, vcc_lo
	s_delay_alu instid0(SALU_CYCLE_1) | instskip(NEXT) | instid1(SALU_CYCLE_1)
	s_and_saveexec_b32 s76, s13
	s_xor_b32 s13, exec_lo, s76
; %bb.4798:                             ;   in Loop: Header=BB2_4268 Depth=4
	v_min_i32_e32 v2, 31, v119
	s_delay_alu instid0(VALU_DEP_1) | instskip(NEXT) | instid1(VALU_DEP_1)
	v_lshl_or_b32 v2, v2, 2, v117
                                        ; implicit-def: $vgpr117
	v_and_or_b32 v44, v42, 3, v2
; %bb.4799:                             ;   in Loop: Header=BB2_4268 Depth=4
	s_and_not1_saveexec_b32 s13, s13
; %bb.4800:                             ;   in Loop: Header=BB2_4268 Depth=4
	v_mov_b32_e32 v44, v117
; %bb.4801:                             ;   in Loop: Header=BB2_4268 Depth=4
	s_or_b32 exec_lo, exec_lo, s13
.LBB2_4802:                             ;   in Loop: Header=BB2_4268 Depth=4
	s_delay_alu instid0(SALU_CYCLE_1)
	s_or_b32 exec_lo, exec_lo, s75
                                        ; implicit-def: $vgpr117
.LBB2_4803:                             ;   in Loop: Header=BB2_4268 Depth=4
	s_and_not1_saveexec_b32 s13, s15
; %bb.4804:                             ;   in Loop: Header=BB2_4268 Depth=4
	v_or_b32_e32 v44, 0x7b, v117
; %bb.4805:                             ;   in Loop: Header=BB2_4268 Depth=4
	s_or_b32 exec_lo, exec_lo, s13
                                        ; implicit-def: $vgpr119
.LBB2_4806:                             ;   in Loop: Header=BB2_4268 Depth=4
	s_and_not1_saveexec_b32 s13, s14
	s_cbranch_execz .LBB2_4812
; %bb.4807:                             ;   in Loop: Header=BB2_4268 Depth=4
	s_mov_b32 s14, exec_lo
                                        ; implicit-def: $vgpr44
	v_cmpx_ne_u64_e32 0, v[2:3]
	s_xor_b32 s14, exec_lo, s14
; %bb.4808:                             ;   in Loop: Header=BB2_4268 Depth=4
	v_lshrrev_b32_e32 v2, 24, v119
                                        ; implicit-def: $vgpr119
	s_delay_alu instid0(VALU_DEP_1)
	v_or_b32_e32 v44, 0x7f, v2
; %bb.4809:                             ;   in Loop: Header=BB2_4268 Depth=4
	s_and_not1_saveexec_b32 s14, s14
; %bb.4810:                             ;   in Loop: Header=BB2_4268 Depth=4
	v_cmp_lt_i32_e32 vcc_lo, -1, v119
	v_cndmask_b32_e64 v44, -4, 0x7c, vcc_lo
; %bb.4811:                             ;   in Loop: Header=BB2_4268 Depth=4
	s_or_b32 exec_lo, exec_lo, s14
.LBB2_4812:                             ;   in Loop: Header=BB2_4268 Depth=4
	s_delay_alu instid0(SALU_CYCLE_1) | instskip(SKIP_3) | instid1(VALU_DEP_2)
	s_or_b32 exec_lo, exec_lo, s13
	v_and_b32_e32 v41, 0xff, v40
	v_dual_mov_b32 v2, 0 :: v_dual_mov_b32 v117, 0
	s_mov_b32 s13, exec_lo
	v_cmpx_ne_u16_e32 0, v41
	s_cbranch_execz .LBB2_4822
; %bb.4813:                             ;   in Loop: Header=BB2_4268 Depth=4
	v_bfrev_b32_e32 v117, 1
	s_mov_b32 s14, exec_lo
	v_cmpx_ne_u16_e32 0x80, v41
	s_cbranch_execz .LBB2_4821
; %bb.4814:                             ;   in Loop: Header=BB2_4268 Depth=4
	v_and_b32_e32 v18, 0x7c, v40
	v_and_b32_e32 v119, 3, v40
	s_mov_b32 s15, exec_lo
                                        ; implicit-def: $vgpr117
	s_delay_alu instid0(VALU_DEP_2)
	v_cmpx_ne_u32_e32 0x7c, v18
	s_xor_b32 s15, exec_lo, s15
	s_cbranch_execz .LBB2_4818
; %bb.4815:                             ;   in Loop: Header=BB2_4268 Depth=4
	v_bfe_u32 v117, v41, 2, 5
	s_mov_b32 s75, exec_lo
	s_delay_alu instid0(VALU_DEP_1)
	v_cmpx_eq_u32_e32 0, v117
	s_cbranch_execz .LBB2_4817
; %bb.4816:                             ;   in Loop: Header=BB2_4268 Depth=4
	v_clz_i32_u32_e32 v18, v119
	s_delay_alu instid0(VALU_DEP_1) | instskip(SKIP_1) | instid1(VALU_DEP_2)
	v_min_u32_e32 v117, 32, v18
	v_mov_b32_e32 v41, v3
	v_subrev_nc_u32_e32 v18, 29, v117
	v_sub_nc_u32_e32 v117, 30, v117
	s_delay_alu instid0(VALU_DEP_2) | instskip(NEXT) | instid1(VALU_DEP_1)
	v_lshlrev_b64_e32 v[18:19], v18, v[40:41]
	v_and_b32_e32 v119, 3, v18
.LBB2_4817:                             ;   in Loop: Header=BB2_4268 Depth=4
	s_or_b32 exec_lo, exec_lo, s75
	v_lshlrev_b32_e32 v18, 24, v40
                                        ; implicit-def: $vgpr40
	s_delay_alu instid0(VALU_DEP_1) | instskip(NEXT) | instid1(VALU_DEP_1)
	v_and_b32_e32 v18, 0x80000000, v18
	v_lshl_add_u32 v18, v117, 23, v18
	s_delay_alu instid0(VALU_DEP_1) | instskip(NEXT) | instid1(VALU_DEP_1)
	v_lshl_or_b32 v18, v119, 21, v18
                                        ; implicit-def: $vgpr119
	v_add_nc_u32_e32 v117, 0x38000000, v18
.LBB2_4818:                             ;   in Loop: Header=BB2_4268 Depth=4
	s_and_not1_saveexec_b32 s15, s15
; %bb.4819:                             ;   in Loop: Header=BB2_4268 Depth=4
	v_bfe_i32 v18, v40, 0, 8
	s_delay_alu instid0(VALU_DEP_1) | instskip(SKIP_2) | instid1(VALU_DEP_2)
	v_cmp_lt_i16_e32 vcc_lo, -1, v18
	v_cndmask_b32_e32 v18, 0xff800000, v111, vcc_lo
	v_cmp_eq_u32_e32 vcc_lo, 0, v119
	v_cndmask_b32_e32 v117, 0x7f800001, v18, vcc_lo
; %bb.4820:                             ;   in Loop: Header=BB2_4268 Depth=4
	s_or_b32 exec_lo, exec_lo, s15
.LBB2_4821:                             ;   in Loop: Header=BB2_4268 Depth=4
	s_delay_alu instid0(SALU_CYCLE_1)
	s_or_b32 exec_lo, exec_lo, s14
.LBB2_4822:                             ;   in Loop: Header=BB2_4268 Depth=4
	s_delay_alu instid0(SALU_CYCLE_1) | instskip(NEXT) | instid1(SALU_CYCLE_1)
	s_or_b32 exec_lo, exec_lo, s13
	s_mov_b32 s13, exec_lo
	s_wait_loadcnt_dscnt 0x101
	v_cmpx_ne_u16_e32 0, v56
	s_cbranch_execz .LBB2_4832
; %bb.4823:                             ;   in Loop: Header=BB2_4268 Depth=4
	v_bfrev_b32_e32 v2, 1
	s_mov_b32 s14, exec_lo
	v_cmpx_ne_u16_e32 0xff80, v56
	s_cbranch_execz .LBB2_4831
; %bb.4824:                             ;   in Loop: Header=BB2_4268 Depth=4
	v_and_b32_e32 v2, 0x7c, v56
	v_and_b32_e32 v119, 3, v56
	s_delay_alu instid0(VALU_DEP_2) | instskip(SKIP_1) | instid1(SALU_CYCLE_1)
	v_cmp_ne_u32_e32 vcc_lo, 0x7c, v2
                                        ; implicit-def: $vgpr2
	s_and_saveexec_b32 s15, vcc_lo
	s_xor_b32 s15, exec_lo, s15
	s_cbranch_execz .LBB2_4828
; %bb.4825:                             ;   in Loop: Header=BB2_4268 Depth=4
	v_and_b32_e32 v2, 0xff, v56
	s_mov_b32 s75, exec_lo
	s_delay_alu instid0(VALU_DEP_1) | instskip(NEXT) | instid1(VALU_DEP_1)
	v_bfe_u32 v2, v2, 2, 5
	v_cmpx_eq_u32_e32 0, v2
	s_cbranch_execz .LBB2_4827
; %bb.4826:                             ;   in Loop: Header=BB2_4268 Depth=4
	v_clz_i32_u32_e32 v2, v119
	s_delay_alu instid0(VALU_DEP_1) | instskip(SKIP_1) | instid1(VALU_DEP_2)
	v_min_u32_e32 v2, 32, v2
	v_mov_b32_e32 v57, v3
	v_subrev_nc_u32_e32 v18, 29, v2
	v_sub_nc_u32_e32 v2, 30, v2
	s_delay_alu instid0(VALU_DEP_2) | instskip(NEXT) | instid1(VALU_DEP_1)
	v_lshlrev_b64_e32 v[18:19], v18, v[56:57]
	v_and_b32_e32 v119, 3, v18
.LBB2_4827:                             ;   in Loop: Header=BB2_4268 Depth=4
	s_or_b32 exec_lo, exec_lo, s75
	v_bfe_i32 v18, v56, 0, 16
                                        ; implicit-def: $vgpr56
	s_delay_alu instid0(VALU_DEP_1) | instskip(NEXT) | instid1(VALU_DEP_1)
	v_and_b32_e32 v18, 0x80000000, v18
	v_lshl_add_u32 v2, v2, 23, v18
	s_delay_alu instid0(VALU_DEP_1) | instskip(NEXT) | instid1(VALU_DEP_1)
	v_lshl_or_b32 v2, v119, 21, v2
                                        ; implicit-def: $vgpr119
	v_add_nc_u32_e32 v2, 0x38000000, v2
.LBB2_4828:                             ;   in Loop: Header=BB2_4268 Depth=4
	s_and_not1_saveexec_b32 s15, s15
; %bb.4829:                             ;   in Loop: Header=BB2_4268 Depth=4
	v_cmp_lt_i16_e32 vcc_lo, -1, v56
	v_cndmask_b32_e32 v2, 0xff800000, v111, vcc_lo
	v_cmp_eq_u32_e32 vcc_lo, 0, v119
	s_delay_alu instid0(VALU_DEP_2)
	v_cndmask_b32_e32 v2, 0x7f800001, v2, vcc_lo
; %bb.4830:                             ;   in Loop: Header=BB2_4268 Depth=4
	s_or_b32 exec_lo, exec_lo, s15
.LBB2_4831:                             ;   in Loop: Header=BB2_4268 Depth=4
	s_delay_alu instid0(SALU_CYCLE_1)
	s_or_b32 exec_lo, exec_lo, s14
.LBB2_4832:                             ;   in Loop: Header=BB2_4268 Depth=4
	s_delay_alu instid0(SALU_CYCLE_1) | instskip(NEXT) | instid1(VALU_DEP_1)
	s_or_b32 exec_lo, exec_lo, s13
	v_dual_add_f32 v119, v117, v2 :: v_dual_mov_b32 v19, v3
                                        ; implicit-def: $vgpr41
	s_mov_b32 s13, exec_lo
	s_delay_alu instid0(VALU_DEP_1) | instskip(SKIP_1) | instid1(VALU_DEP_2)
	v_and_b32_e32 v18, 0x7f800000, v119
	v_and_b32_e32 v2, 0x7fffff, v119
	v_cmpx_ne_u64_e32 0x7f800000, v[18:19]
	s_xor_b32 s14, exec_lo, s13
	s_cbranch_execz .LBB2_4850
; %bb.4833:                             ;   in Loop: Header=BB2_4268 Depth=4
	v_dual_mov_b32 v19, v3 :: v_dual_lshrrev_b32 v117, 24, v119
	v_and_b32_e32 v18, 0x7fffffff, v119
                                        ; implicit-def: $vgpr41
	s_mov_b32 s13, exec_lo
	s_delay_alu instid0(VALU_DEP_2) | instskip(NEXT) | instid1(VALU_DEP_2)
	v_and_b32_e32 v117, 0x80, v117
	v_cmpx_gt_u64_e32 0x47600001, v[18:19]
	s_xor_b32 s15, exec_lo, s13
	s_cbranch_execz .LBB2_4847
; %bb.4834:                             ;   in Loop: Header=BB2_4268 Depth=4
	v_mov_b32_e32 v41, 0
	s_mov_b32 s75, exec_lo
	v_cmpx_ne_u32_e32 0, v119
	s_cbranch_execz .LBB2_4846
; %bb.4835:                             ;   in Loop: Header=BB2_4268 Depth=4
	v_bfe_u32 v119, v119, 23, 8
	v_or_b32_e32 v40, 0x800000, v2
	s_delay_alu instid0(VALU_DEP_2) | instskip(SKIP_1) | instid1(VALU_DEP_2)
	v_sub_nc_u32_e32 v18, 0x71, v119
	v_cmp_gt_u32_e32 vcc_lo, 0x72, v119
	v_cndmask_b32_e32 v18, 0, v18, vcc_lo
	v_cmp_eq_u32_e32 vcc_lo, 0, v119
	s_delay_alu instid0(VALU_DEP_2) | instskip(NEXT) | instid1(VALU_DEP_1)
	v_cndmask_b32_e64 v45, v18, 0x70, vcc_lo
	v_dual_cndmask_b32 v2, v40, v2, vcc_lo :: v_dual_add_nc_u32 v18, 21, v45
	v_add_nc_u32_e32 v41, 20, v45
	s_delay_alu instid0(VALU_DEP_2) | instskip(NEXT) | instid1(VALU_DEP_2)
	v_lshlrev_b64_e64 v[18:19], v18, -1
	v_lshlrev_b64_e64 v[42:43], v41, 1
	s_delay_alu instid0(VALU_DEP_4) | instskip(NEXT) | instid1(VALU_DEP_3)
	v_lshrrev_b64 v[40:41], v45, v[2:3]
	v_bfi_b32 v19, v19, 0, 0
	s_delay_alu instid0(VALU_DEP_4) | instskip(NEXT) | instid1(VALU_DEP_1)
	v_bfi_b32 v18, v18, 0, v2
	v_cmp_eq_u64_e64 s13, v[18:19], v[42:43]
	s_delay_alu instid0(VALU_DEP_4)
	v_mov_b64_e32 v[42:43], v[40:41]
	s_and_saveexec_b32 s76, s13
; %bb.4836:                             ;   in Loop: Header=BB2_4268 Depth=4
	v_bfe_u32 v2, v40, 21, 1
	s_delay_alu instid0(VALU_DEP_1) | instskip(NEXT) | instid1(VALU_DEP_1)
	v_add_nc_u64_e32 v[18:19], v[40:41], v[2:3]
	v_add_nc_u64_e32 v[42:43], -1, v[18:19]
; %bb.4837:                             ;   in Loop: Header=BB2_4268 Depth=4
	s_or_b32 exec_lo, exec_lo, s76
	v_add_nc_u32_e32 v2, 0xffffff81, v119
	v_lshrrev_b32_e32 v18, 23, v40
	s_mov_b32 s13, exec_lo
                                        ; implicit-def: $vgpr119
	s_delay_alu instid0(VALU_DEP_2) | instskip(NEXT) | instid1(VALU_DEP_1)
	v_cndmask_b32_e64 v2, v2, 0xffffff82, vcc_lo
	v_add3_u32 v43, v45, v2, v18
	v_and_b32_e32 v2, 0x1fffff, v42
	s_delay_alu instid0(VALU_DEP_1) | instskip(NEXT) | instid1(VALU_DEP_1)
	v_dual_add_nc_u32 v42, 14, v43 :: v_dual_add_nc_u32 v2, v2, v40
                                        ; implicit-def: $vgpr40_vgpr41
	v_cmpx_ne_u32_e32 0, v42
	s_xor_b32 s13, exec_lo, s13
; %bb.4838:                             ;   in Loop: Header=BB2_4268 Depth=4
	s_delay_alu instid0(VALU_DEP_2) | instskip(SKIP_1) | instid1(VALU_DEP_1)
	v_cmp_lt_u64_e32 vcc_lo, 0xffffff, v[2:3]
	v_add_nc_u32_e32 v18, 15, v43
	v_cndmask_b32_e32 v119, v42, v18, vcc_lo
	v_cndmask_b32_e64 v18, 0, 1, vcc_lo
	s_delay_alu instid0(VALU_DEP_1)
	v_lshrrev_b64 v[40:41], v18, v[2:3]
; %bb.4839:                             ;   in Loop: Header=BB2_4268 Depth=4
	s_and_not1_saveexec_b32 s13, s13
; %bb.4840:                             ;   in Loop: Header=BB2_4268 Depth=4
	v_mov_b64_e32 v[40:41], v[2:3]
	v_bfe_u32 v119, v2, 23, 1
; %bb.4841:                             ;   in Loop: Header=BB2_4268 Depth=4
	s_or_b32 exec_lo, exec_lo, s13
	s_delay_alu instid0(VALU_DEP_2) | instskip(NEXT) | instid1(VALU_DEP_2)
	v_lshrrev_b64 v[18:19], 21, v[40:41]
	v_cmp_gt_i32_e32 vcc_lo, 32, v119
	v_cmp_ne_u32_e64 s13, 0, v119
	s_delay_alu instid0(VALU_DEP_3) | instskip(NEXT) | instid1(VALU_DEP_1)
	v_dual_cndmask_b32 v41, 0, v19 :: v_dual_cndmask_b32 v40, 3, v18
	v_cmp_ne_u64_e32 vcc_lo, 0, v[40:41]
                                        ; implicit-def: $vgpr41
	s_or_b32 s13, s13, vcc_lo
	s_delay_alu instid0(SALU_CYCLE_1) | instskip(NEXT) | instid1(SALU_CYCLE_1)
	s_and_saveexec_b32 s76, s13
	s_xor_b32 s13, exec_lo, s76
; %bb.4842:                             ;   in Loop: Header=BB2_4268 Depth=4
	v_min_i32_e32 v2, 31, v119
	s_delay_alu instid0(VALU_DEP_1) | instskip(NEXT) | instid1(VALU_DEP_1)
	v_lshl_or_b32 v2, v2, 2, v117
                                        ; implicit-def: $vgpr117
	v_and_or_b32 v41, v40, 3, v2
; %bb.4843:                             ;   in Loop: Header=BB2_4268 Depth=4
	s_and_not1_saveexec_b32 s13, s13
; %bb.4844:                             ;   in Loop: Header=BB2_4268 Depth=4
	v_mov_b32_e32 v41, v117
; %bb.4845:                             ;   in Loop: Header=BB2_4268 Depth=4
	s_or_b32 exec_lo, exec_lo, s13
.LBB2_4846:                             ;   in Loop: Header=BB2_4268 Depth=4
	s_delay_alu instid0(SALU_CYCLE_1)
	s_or_b32 exec_lo, exec_lo, s75
                                        ; implicit-def: $vgpr117
.LBB2_4847:                             ;   in Loop: Header=BB2_4268 Depth=4
	s_and_not1_saveexec_b32 s13, s15
; %bb.4848:                             ;   in Loop: Header=BB2_4268 Depth=4
	v_or_b32_e32 v41, 0x7b, v117
; %bb.4849:                             ;   in Loop: Header=BB2_4268 Depth=4
	s_or_b32 exec_lo, exec_lo, s13
                                        ; implicit-def: $vgpr119
.LBB2_4850:                             ;   in Loop: Header=BB2_4268 Depth=4
	s_and_not1_saveexec_b32 s13, s14
	s_cbranch_execz .LBB2_4856
; %bb.4851:                             ;   in Loop: Header=BB2_4268 Depth=4
	s_mov_b32 s14, exec_lo
                                        ; implicit-def: $vgpr41
	v_cmpx_ne_u64_e32 0, v[2:3]
	s_xor_b32 s14, exec_lo, s14
; %bb.4852:                             ;   in Loop: Header=BB2_4268 Depth=4
	v_lshrrev_b32_e32 v2, 24, v119
                                        ; implicit-def: $vgpr119
	s_delay_alu instid0(VALU_DEP_1)
	v_or_b32_e32 v41, 0x7f, v2
; %bb.4853:                             ;   in Loop: Header=BB2_4268 Depth=4
	s_and_not1_saveexec_b32 s14, s14
; %bb.4854:                             ;   in Loop: Header=BB2_4268 Depth=4
	v_cmp_lt_i32_e32 vcc_lo, -1, v119
	v_cndmask_b32_e64 v41, -4, 0x7c, vcc_lo
; %bb.4855:                             ;   in Loop: Header=BB2_4268 Depth=4
	s_or_b32 exec_lo, exec_lo, s14
.LBB2_4856:                             ;   in Loop: Header=BB2_4268 Depth=4
	s_delay_alu instid0(SALU_CYCLE_1) | instskip(SKIP_3) | instid1(VALU_DEP_2)
	s_or_b32 exec_lo, exec_lo, s13
	v_and_b32_e32 v40, 0xff, v116
	v_dual_mov_b32 v2, 0 :: v_dual_mov_b32 v117, 0
	s_mov_b32 s13, exec_lo
	v_cmpx_ne_u16_e32 0, v40
	s_cbranch_execz .LBB2_4866
; %bb.4857:                             ;   in Loop: Header=BB2_4268 Depth=4
	v_bfrev_b32_e32 v117, 1
	s_mov_b32 s14, exec_lo
	v_cmpx_ne_u16_e32 0x80, v40
	s_cbranch_execz .LBB2_4865
; %bb.4858:                             ;   in Loop: Header=BB2_4268 Depth=4
	v_and_b32_e32 v18, 0x7c, v116
	v_and_b32_e32 v119, 3, v116
	s_mov_b32 s15, exec_lo
                                        ; implicit-def: $vgpr117
	s_delay_alu instid0(VALU_DEP_2)
	v_cmpx_ne_u32_e32 0x7c, v18
	s_xor_b32 s15, exec_lo, s15
	s_cbranch_execz .LBB2_4862
; %bb.4859:                             ;   in Loop: Header=BB2_4268 Depth=4
	v_bfe_u32 v117, v40, 2, 5
	s_mov_b32 s75, exec_lo
	s_delay_alu instid0(VALU_DEP_1)
	v_cmpx_eq_u32_e32 0, v117
; %bb.4860:                             ;   in Loop: Header=BB2_4268 Depth=4
	v_clz_i32_u32_e32 v18, v119
	v_mov_b32_e32 v117, v3
	s_delay_alu instid0(VALU_DEP_2) | instskip(NEXT) | instid1(VALU_DEP_1)
	v_min_u32_e32 v119, 32, v18
	v_subrev_nc_u32_e32 v18, 29, v119
	s_delay_alu instid0(VALU_DEP_1) | instskip(NEXT) | instid1(VALU_DEP_1)
	v_lshlrev_b64_e32 v[18:19], v18, v[116:117]
	v_dual_sub_nc_u32 v117, 30, v119 :: v_dual_bitop2_b32 v119, 3, v18 bitop3:0x40
; %bb.4861:                             ;   in Loop: Header=BB2_4268 Depth=4
	s_or_b32 exec_lo, exec_lo, s75
	v_lshlrev_b32_e32 v18, 24, v116
                                        ; implicit-def: $vgpr116
	s_delay_alu instid0(VALU_DEP_1) | instskip(NEXT) | instid1(VALU_DEP_1)
	v_and_b32_e32 v18, 0x80000000, v18
	v_lshl_add_u32 v18, v117, 23, v18
	s_delay_alu instid0(VALU_DEP_1) | instskip(NEXT) | instid1(VALU_DEP_1)
	v_lshl_or_b32 v18, v119, 21, v18
                                        ; implicit-def: $vgpr119
	v_add_nc_u32_e32 v117, 0x38000000, v18
.LBB2_4862:                             ;   in Loop: Header=BB2_4268 Depth=4
	s_and_not1_saveexec_b32 s15, s15
; %bb.4863:                             ;   in Loop: Header=BB2_4268 Depth=4
	v_bfe_i32 v18, v116, 0, 8
	s_delay_alu instid0(VALU_DEP_1) | instskip(SKIP_2) | instid1(VALU_DEP_2)
	v_cmp_lt_i16_e32 vcc_lo, -1, v18
	v_cndmask_b32_e32 v18, 0xff800000, v111, vcc_lo
	v_cmp_eq_u32_e32 vcc_lo, 0, v119
	v_cndmask_b32_e32 v117, 0x7f800001, v18, vcc_lo
; %bb.4864:                             ;   in Loop: Header=BB2_4268 Depth=4
	s_or_b32 exec_lo, exec_lo, s15
.LBB2_4865:                             ;   in Loop: Header=BB2_4268 Depth=4
	s_delay_alu instid0(SALU_CYCLE_1)
	s_or_b32 exec_lo, exec_lo, s14
.LBB2_4866:                             ;   in Loop: Header=BB2_4268 Depth=4
	s_delay_alu instid0(SALU_CYCLE_1) | instskip(NEXT) | instid1(SALU_CYCLE_1)
	s_or_b32 exec_lo, exec_lo, s13
	s_mov_b32 s13, exec_lo
	s_wait_loadcnt_dscnt 0x0
	v_cmpx_ne_u16_e32 0, v118
	s_cbranch_execz .LBB2_4876
; %bb.4867:                             ;   in Loop: Header=BB2_4268 Depth=4
	v_bfrev_b32_e32 v2, 1
	s_mov_b32 s14, exec_lo
	v_cmpx_ne_u16_e32 0xff80, v118
	s_cbranch_execz .LBB2_4875
; %bb.4868:                             ;   in Loop: Header=BB2_4268 Depth=4
	v_and_b32_e32 v2, 0x7c, v118
	v_and_b32_e32 v116, 3, v118
	s_delay_alu instid0(VALU_DEP_2) | instskip(SKIP_1) | instid1(SALU_CYCLE_1)
	v_cmp_ne_u32_e32 vcc_lo, 0x7c, v2
                                        ; implicit-def: $vgpr2
	s_and_saveexec_b32 s15, vcc_lo
	s_xor_b32 s15, exec_lo, s15
	s_cbranch_execz .LBB2_4872
; %bb.4869:                             ;   in Loop: Header=BB2_4268 Depth=4
	v_and_b32_e32 v2, 0xff, v118
	s_mov_b32 s75, exec_lo
	s_delay_alu instid0(VALU_DEP_1) | instskip(NEXT) | instid1(VALU_DEP_1)
	v_bfe_u32 v2, v2, 2, 5
	v_cmpx_eq_u32_e32 0, v2
	s_cbranch_execz .LBB2_4871
; %bb.4870:                             ;   in Loop: Header=BB2_4268 Depth=4
	v_clz_i32_u32_e32 v2, v116
	s_delay_alu instid0(VALU_DEP_1) | instskip(SKIP_1) | instid1(VALU_DEP_2)
	v_min_u32_e32 v2, 32, v2
	v_mov_b32_e32 v119, v3
	v_subrev_nc_u32_e32 v18, 29, v2
	v_sub_nc_u32_e32 v2, 30, v2
	s_delay_alu instid0(VALU_DEP_2) | instskip(NEXT) | instid1(VALU_DEP_1)
	v_lshlrev_b64_e32 v[18:19], v18, v[118:119]
	v_and_b32_e32 v116, 3, v18
.LBB2_4871:                             ;   in Loop: Header=BB2_4268 Depth=4
	s_or_b32 exec_lo, exec_lo, s75
	v_bfe_i32 v18, v118, 0, 16
                                        ; implicit-def: $vgpr118
	s_delay_alu instid0(VALU_DEP_1) | instskip(NEXT) | instid1(VALU_DEP_1)
	v_and_b32_e32 v18, 0x80000000, v18
	v_lshl_add_u32 v2, v2, 23, v18
	s_delay_alu instid0(VALU_DEP_1) | instskip(NEXT) | instid1(VALU_DEP_1)
	v_lshl_or_b32 v2, v116, 21, v2
                                        ; implicit-def: $vgpr116
	v_add_nc_u32_e32 v2, 0x38000000, v2
.LBB2_4872:                             ;   in Loop: Header=BB2_4268 Depth=4
	s_and_not1_saveexec_b32 s15, s15
; %bb.4873:                             ;   in Loop: Header=BB2_4268 Depth=4
	v_cmp_lt_i16_e32 vcc_lo, -1, v118
	v_cndmask_b32_e32 v2, 0xff800000, v111, vcc_lo
	v_cmp_eq_u32_e32 vcc_lo, 0, v116
	s_delay_alu instid0(VALU_DEP_2)
	v_cndmask_b32_e32 v2, 0x7f800001, v2, vcc_lo
; %bb.4874:                             ;   in Loop: Header=BB2_4268 Depth=4
	s_or_b32 exec_lo, exec_lo, s15
.LBB2_4875:                             ;   in Loop: Header=BB2_4268 Depth=4
	s_delay_alu instid0(SALU_CYCLE_1)
	s_or_b32 exec_lo, exec_lo, s14
.LBB2_4876:                             ;   in Loop: Header=BB2_4268 Depth=4
	s_delay_alu instid0(SALU_CYCLE_1) | instskip(NEXT) | instid1(VALU_DEP_1)
	s_or_b32 exec_lo, exec_lo, s13
	v_dual_add_f32 v116, v117, v2 :: v_dual_mov_b32 v19, v3
                                        ; implicit-def: $vgpr117
	s_mov_b32 s13, exec_lo
	s_delay_alu instid0(VALU_DEP_1) | instskip(SKIP_1) | instid1(VALU_DEP_2)
	v_and_b32_e32 v18, 0x7f800000, v116
	v_and_b32_e32 v2, 0x7fffff, v116
	v_cmpx_ne_u64_e32 0x7f800000, v[18:19]
	s_xor_b32 s14, exec_lo, s13
	s_cbranch_execz .LBB2_4894
; %bb.4877:                             ;   in Loop: Header=BB2_4268 Depth=4
	v_dual_mov_b32 v19, v3 :: v_dual_lshrrev_b32 v117, 24, v116
	v_and_b32_e32 v18, 0x7fffffff, v116
	s_mov_b32 s13, exec_lo
	s_delay_alu instid0(VALU_DEP_2) | instskip(NEXT) | instid1(VALU_DEP_2)
	v_and_b32_e32 v40, 0x80, v117
                                        ; implicit-def: $vgpr117
	v_cmpx_gt_u64_e32 0x47600001, v[18:19]
	s_xor_b32 s15, exec_lo, s13
	s_cbranch_execz .LBB2_4891
; %bb.4878:                             ;   in Loop: Header=BB2_4268 Depth=4
	v_mov_b32_e32 v117, 0
	s_mov_b32 s75, exec_lo
	v_cmpx_ne_u32_e32 0, v116
	s_cbranch_execz .LBB2_4890
; %bb.4879:                             ;   in Loop: Header=BB2_4268 Depth=4
	v_bfe_u32 v42, v116, 23, 8
	v_or_b32_e32 v116, 0x800000, v2
	s_delay_alu instid0(VALU_DEP_2) | instskip(SKIP_1) | instid1(VALU_DEP_2)
	v_sub_nc_u32_e32 v18, 0x71, v42
	v_cmp_gt_u32_e32 vcc_lo, 0x72, v42
	v_cndmask_b32_e32 v18, 0, v18, vcc_lo
	v_cmp_eq_u32_e32 vcc_lo, 0, v42
	s_delay_alu instid0(VALU_DEP_2) | instskip(NEXT) | instid1(VALU_DEP_1)
	v_cndmask_b32_e64 v43, v18, 0x70, vcc_lo
	v_dual_cndmask_b32 v2, v116, v2, vcc_lo :: v_dual_add_nc_u32 v18, 21, v43
	v_add_nc_u32_e32 v117, 20, v43
	s_delay_alu instid0(VALU_DEP_2) | instskip(NEXT) | instid1(VALU_DEP_2)
	v_lshlrev_b64_e64 v[18:19], v18, -1
	v_lshlrev_b64_e64 v[118:119], v117, 1
	s_delay_alu instid0(VALU_DEP_4) | instskip(NEXT) | instid1(VALU_DEP_3)
	v_lshrrev_b64 v[116:117], v43, v[2:3]
	v_bfi_b32 v19, v19, 0, 0
	s_delay_alu instid0(VALU_DEP_4) | instskip(NEXT) | instid1(VALU_DEP_1)
	v_bfi_b32 v18, v18, 0, v2
	v_cmp_eq_u64_e64 s13, v[18:19], v[118:119]
	s_delay_alu instid0(VALU_DEP_4)
	v_mov_b64_e32 v[118:119], v[116:117]
	s_and_saveexec_b32 s76, s13
; %bb.4880:                             ;   in Loop: Header=BB2_4268 Depth=4
	v_bfe_u32 v2, v116, 21, 1
	s_delay_alu instid0(VALU_DEP_1) | instskip(NEXT) | instid1(VALU_DEP_1)
	v_add_nc_u64_e32 v[18:19], v[116:117], v[2:3]
	v_add_nc_u64_e32 v[118:119], -1, v[18:19]
; %bb.4881:                             ;   in Loop: Header=BB2_4268 Depth=4
	s_or_b32 exec_lo, exec_lo, s76
	v_add_nc_u32_e32 v2, 0xffffff81, v42
	v_lshrrev_b32_e32 v18, 23, v116
	s_mov_b32 s13, exec_lo
	s_delay_alu instid0(VALU_DEP_2) | instskip(NEXT) | instid1(VALU_DEP_1)
	v_cndmask_b32_e64 v2, v2, 0xffffff82, vcc_lo
	v_add3_u32 v119, v43, v2, v18
	v_and_b32_e32 v2, 0x1fffff, v118
                                        ; implicit-def: $vgpr118
	s_delay_alu instid0(VALU_DEP_1) | instskip(NEXT) | instid1(VALU_DEP_1)
	v_dual_add_nc_u32 v42, 14, v119 :: v_dual_add_nc_u32 v2, v2, v116
                                        ; implicit-def: $vgpr116_vgpr117
	v_cmpx_ne_u32_e32 0, v42
	s_xor_b32 s13, exec_lo, s13
; %bb.4882:                             ;   in Loop: Header=BB2_4268 Depth=4
	s_delay_alu instid0(VALU_DEP_2) | instskip(SKIP_1) | instid1(VALU_DEP_1)
	v_cmp_lt_u64_e32 vcc_lo, 0xffffff, v[2:3]
	v_add_nc_u32_e32 v18, 15, v119
	v_cndmask_b32_e32 v118, v42, v18, vcc_lo
	v_cndmask_b32_e64 v18, 0, 1, vcc_lo
	s_delay_alu instid0(VALU_DEP_1)
	v_lshrrev_b64 v[116:117], v18, v[2:3]
; %bb.4883:                             ;   in Loop: Header=BB2_4268 Depth=4
	s_and_not1_saveexec_b32 s13, s13
; %bb.4884:                             ;   in Loop: Header=BB2_4268 Depth=4
	v_mov_b64_e32 v[116:117], v[2:3]
	v_bfe_u32 v118, v2, 23, 1
; %bb.4885:                             ;   in Loop: Header=BB2_4268 Depth=4
	s_or_b32 exec_lo, exec_lo, s13
	s_delay_alu instid0(VALU_DEP_2) | instskip(NEXT) | instid1(VALU_DEP_2)
	v_lshrrev_b64 v[18:19], 21, v[116:117]
	v_cmp_gt_i32_e32 vcc_lo, 32, v118
	v_cmp_ne_u32_e64 s13, 0, v118
	s_delay_alu instid0(VALU_DEP_3) | instskip(NEXT) | instid1(VALU_DEP_1)
	v_dual_cndmask_b32 v117, 0, v19 :: v_dual_cndmask_b32 v116, 3, v18
	v_cmp_ne_u64_e32 vcc_lo, 0, v[116:117]
                                        ; implicit-def: $vgpr117
	s_or_b32 s13, s13, vcc_lo
	s_delay_alu instid0(SALU_CYCLE_1) | instskip(NEXT) | instid1(SALU_CYCLE_1)
	s_and_saveexec_b32 s76, s13
	s_xor_b32 s13, exec_lo, s76
; %bb.4886:                             ;   in Loop: Header=BB2_4268 Depth=4
	v_min_i32_e32 v2, 31, v118
	s_delay_alu instid0(VALU_DEP_1) | instskip(NEXT) | instid1(VALU_DEP_1)
	v_lshl_or_b32 v2, v2, 2, v40
                                        ; implicit-def: $vgpr40
	v_and_or_b32 v117, v116, 3, v2
; %bb.4887:                             ;   in Loop: Header=BB2_4268 Depth=4
	s_and_not1_saveexec_b32 s13, s13
; %bb.4888:                             ;   in Loop: Header=BB2_4268 Depth=4
	v_mov_b32_e32 v117, v40
; %bb.4889:                             ;   in Loop: Header=BB2_4268 Depth=4
	s_or_b32 exec_lo, exec_lo, s13
.LBB2_4890:                             ;   in Loop: Header=BB2_4268 Depth=4
	s_delay_alu instid0(SALU_CYCLE_1)
	s_or_b32 exec_lo, exec_lo, s75
                                        ; implicit-def: $vgpr40
.LBB2_4891:                             ;   in Loop: Header=BB2_4268 Depth=4
	s_and_not1_saveexec_b32 s13, s15
; %bb.4892:                             ;   in Loop: Header=BB2_4268 Depth=4
	v_or_b32_e32 v117, 0x7b, v40
; %bb.4893:                             ;   in Loop: Header=BB2_4268 Depth=4
	s_or_b32 exec_lo, exec_lo, s13
                                        ; implicit-def: $vgpr116
.LBB2_4894:                             ;   in Loop: Header=BB2_4268 Depth=4
	s_and_not1_saveexec_b32 s13, s14
	s_cbranch_execz .LBB2_4267
; %bb.4895:                             ;   in Loop: Header=BB2_4268 Depth=4
	s_mov_b32 s14, exec_lo
                                        ; implicit-def: $vgpr117
	v_cmpx_ne_u64_e32 0, v[2:3]
	s_xor_b32 s14, exec_lo, s14
; %bb.4896:                             ;   in Loop: Header=BB2_4268 Depth=4
	v_lshrrev_b32_e32 v2, 24, v116
                                        ; implicit-def: $vgpr116
	s_delay_alu instid0(VALU_DEP_1)
	v_or_b32_e32 v117, 0x7f, v2
; %bb.4897:                             ;   in Loop: Header=BB2_4268 Depth=4
	s_and_not1_saveexec_b32 s14, s14
	s_cbranch_execz .LBB2_4266
; %bb.4898:                             ;   in Loop: Header=BB2_4268 Depth=4
	v_cmp_lt_i32_e32 vcc_lo, -1, v116
	v_cndmask_b32_e64 v117, -4, 0x7c, vcc_lo
	s_branch .LBB2_4266
.LBB2_4899:                             ;   in Loop: Header=BB2_2050 Depth=3
	s_or_b32 exec_lo, exec_lo, s74
.LBB2_4900:                             ;   in Loop: Header=BB2_2050 Depth=3
	s_delay_alu instid0(SALU_CYCLE_1) | instskip(SKIP_1) | instid1(VALU_DEP_1)
	s_or_b32 exec_lo, exec_lo, s73
	v_lshlrev_b32_e32 v2, 8, v94
	v_cmp_ne_u32_e32 vcc_lo, v93, v2
	s_and_b32 exec_lo, exec_lo, vcc_lo
	s_cbranch_execz .LBB2_4990
; %bb.4901:                             ;   in Loop: Header=BB2_2050 Depth=3
	v_dual_lshlrev_b32 v8, 5, v17 :: v_dual_lshlrev_b32 v9, 5, v103
	s_delay_alu instid0(VALU_DEP_1) | instskip(NEXT) | instid1(VALU_DEP_1)
	v_sub_nc_u32_e32 v8, v16, v8
	v_sub_nc_u32_e32 v8, v8, v9
	s_delay_alu instid0(VALU_DEP_1) | instskip(NEXT) | instid1(VALU_DEP_1)
	v_add_nc_u32_e32 v2, v2, v8
	v_sub_nc_u32_e32 v16, v93, v2
	s_delay_alu instid0(VALU_DEP_1)
	v_cmp_lt_i32_e32 vcc_lo, 0, v16
	s_and_b32 exec_lo, exec_lo, vcc_lo
	s_cbranch_execz .LBB2_4990
; %bb.4902:                             ;   in Loop: Header=BB2_2050 Depth=3
	s_trap 2
	ds_load_b128 v[8:11], v0
	ds_load_b64 v[18:19], v0
	v_add_nc_u32_e32 v114, v2, v30
	s_mov_b32 s73, 0
	s_delay_alu instid0(VALU_DEP_1) | instskip(SKIP_1) | instid1(VALU_DEP_1)
	v_ashrrev_i32_e32 v115, 31, v114
	s_wait_dscnt 0x1
	v_add_nc_u64_e32 v[8:9], v[8:9], v[114:115]
	v_add_nc_u64_e32 v[10:11], v[10:11], v[114:115]
	s_wait_dscnt 0x0
	v_add_nc_u64_e32 v[114:115], v[18:19], v[114:115]
	s_branch .LBB2_4905
.LBB2_4903:                             ;   in Loop: Header=BB2_4905 Depth=4
	s_or_b32 exec_lo, exec_lo, s14
.LBB2_4904:                             ;   in Loop: Header=BB2_4905 Depth=4
	s_delay_alu instid0(SALU_CYCLE_1)
	s_or_b32 exec_lo, exec_lo, s13
	v_sub_nc_u32_e32 v16, v16, v34
	flat_store_b8 v[114:115], v30 th:TH_STORE_NT
	v_add_nc_u64_e32 v[8:9], v[8:9], v[34:35]
	v_add_nc_u64_e32 v[10:11], v[10:11], v[34:35]
	s_wait_xcnt 0x0
	v_add_nc_u64_e32 v[114:115], v[114:115], v[34:35]
	v_cmp_gt_i32_e32 vcc_lo, 1, v16
	s_or_b32 s73, vcc_lo, s73
	s_delay_alu instid0(SALU_CYCLE_1)
	s_and_not1_b32 exec_lo, exec_lo, s73
	s_cbranch_execz .LBB2_4990
.LBB2_4905:                             ;   Parent Loop BB2_47 Depth=1
                                        ;     Parent Loop BB2_2047 Depth=2
                                        ;       Parent Loop BB2_2050 Depth=3
                                        ; =>      This Inner Loop Header: Depth=4
	s_trap 2
	ds_load_b64 v[18:19], v0
	s_mov_b32 s13, 0
	s_wait_dscnt 0x0
	v_and_b32_e32 v2, 0xff, v18
	v_readfirstlane_b32 s14, v18
	v_readfirstlane_b32 s15, v19
	s_delay_alu instid0(VALU_DEP_3)
	v_cmp_eq_u32_e32 vcc_lo, 0, v2
	s_cbranch_vccnz .LBB2_4913
; %bb.4906:                             ;   in Loop: Header=BB2_4905 Depth=4
	s_bfe_i32 s75, s14, 0x80000
	s_delay_alu instid0(SALU_CYCLE_1) | instskip(NEXT) | instid1(SALU_CYCLE_1)
	s_and_b32 s13, 0xffff, s75
	s_cmp_eq_u32 s13, 0xff80
	s_brev_b32 s13, 1
	s_cbranch_scc1 .LBB2_4913
; %bb.4907:                             ;   in Loop: Header=BB2_4905 Depth=4
	s_and_b32 s13, s14, 0x7c
	s_and_b32 s74, s14, 3
	s_mov_b32 s76, -1
	s_cmp_lg_u32 s13, 0x7c
	s_sext_i32_i16 s75, s75
                                        ; implicit-def: $sgpr13
	s_cbranch_scc0 .LBB2_4911
; %bb.4908:                             ;   in Loop: Header=BB2_4905 Depth=4
	s_bfe_u32 s13, s14, 0x50002
	s_mov_b32 s76, s74
	s_cmp_lg_u32 s13, 0
	s_cbranch_scc1 .LBB2_4910
; %bb.4909:                             ;   in Loop: Header=BB2_4905 Depth=4
	s_clz_i32_u32 s13, s74
	s_delay_alu instid0(SALU_CYCLE_1) | instskip(NEXT) | instid1(SALU_CYCLE_1)
	s_min_u32 s13, s13, 32
	s_sub_co_i32 s76, s13, 29
	s_sub_co_i32 s13, 30, s13
	s_lshl_b64 s[14:15], s[14:15], s76
	s_delay_alu instid0(SALU_CYCLE_1)
	s_and_b32 s76, s14, 3
.LBB2_4910:                             ;   in Loop: Header=BB2_4905 Depth=4
	s_and_b32 s14, s75, 0x80000000
	s_lshl_b32 s13, s13, 23
	s_lshl_b32 s15, s76, 21
	s_add_co_i32 s13, s13, s14
	s_mov_b32 s76, 0
	s_or_b32 s13, s13, s15
	s_delay_alu instid0(SALU_CYCLE_1)
	s_add_co_i32 s13, s13, 0x38000000
.LBB2_4911:                             ;   in Loop: Header=BB2_4905 Depth=4
	s_and_b32 vcc_lo, exec_lo, s76
	s_cbranch_vccz .LBB2_4913
; %bb.4912:                             ;   in Loop: Header=BB2_4905 Depth=4
	s_cmp_gt_i32 s75, -1
	s_cselect_b32 s13, s47, 0xff800000
	s_cmp_eq_u32 s74, 0
	s_cselect_b32 s13, s13, 0x7f800001
.LBB2_4913:                             ;   in Loop: Header=BB2_4905 Depth=4
	flat_load_i8 v2, v[8:9] th:TH_LOAD_NT
	v_mov_b32_e32 v30, 0
	s_mov_b32 s14, exec_lo
	s_wait_loadcnt_dscnt 0x0
	v_cmpx_ne_u16_e32 0, v2
	s_cbranch_execz .LBB2_4923
; %bb.4914:                             ;   in Loop: Header=BB2_4905 Depth=4
	v_bfrev_b32_e32 v30, 1
	s_mov_b32 s15, exec_lo
	v_cmpx_ne_u16_e32 0xff80, v2
	s_cbranch_execz .LBB2_4922
; %bb.4915:                             ;   in Loop: Header=BB2_4905 Depth=4
	v_and_b32_e32 v18, 0x7c, v2
	v_and_b32_e32 v17, 3, v2
	s_mov_b32 s74, exec_lo
                                        ; implicit-def: $vgpr30
	s_delay_alu instid0(VALU_DEP_2)
	v_cmpx_ne_u32_e32 0x7c, v18
	s_xor_b32 s74, exec_lo, s74
	s_cbranch_execz .LBB2_4919
; %bb.4916:                             ;   in Loop: Header=BB2_4905 Depth=4
	v_and_b32_e32 v18, 0xff, v2
	s_mov_b32 s75, exec_lo
	s_delay_alu instid0(VALU_DEP_1) | instskip(NEXT) | instid1(VALU_DEP_1)
	v_bfe_u32 v30, v18, 2, 5
	v_cmpx_eq_u32_e32 0, v30
; %bb.4917:                             ;   in Loop: Header=BB2_4905 Depth=4
	v_clz_i32_u32_e32 v17, v17
	s_delay_alu instid0(VALU_DEP_1) | instskip(NEXT) | instid1(VALU_DEP_1)
	v_min_u32_e32 v17, 32, v17
	v_subrev_nc_u32_e32 v18, 29, v17
	s_delay_alu instid0(VALU_DEP_1) | instskip(NEXT) | instid1(VALU_DEP_1)
	v_lshlrev_b64_e32 v[18:19], v18, v[2:3]
	v_dual_sub_nc_u32 v30, 30, v17 :: v_dual_bitop2_b32 v17, 3, v18 bitop3:0x40
; %bb.4918:                             ;   in Loop: Header=BB2_4905 Depth=4
	s_or_b32 exec_lo, exec_lo, s75
	v_bfe_i32 v2, v2, 0, 16
	s_delay_alu instid0(VALU_DEP_1) | instskip(NEXT) | instid1(VALU_DEP_1)
	v_and_b32_e32 v2, 0x80000000, v2
	v_lshl_add_u32 v2, v30, 23, v2
	s_delay_alu instid0(VALU_DEP_1) | instskip(NEXT) | instid1(VALU_DEP_1)
	v_lshl_or_b32 v2, v17, 21, v2
                                        ; implicit-def: $vgpr17
	v_add_nc_u32_e32 v30, 0x38000000, v2
.LBB2_4919:                             ;   in Loop: Header=BB2_4905 Depth=4
	s_and_not1_saveexec_b32 s74, s74
; %bb.4920:                             ;   in Loop: Header=BB2_4905 Depth=4
	v_cmp_lt_i16_e32 vcc_lo, -1, v2
	v_cndmask_b32_e32 v2, 0xff800000, v111, vcc_lo
	v_cmp_eq_u32_e32 vcc_lo, 0, v17
	s_delay_alu instid0(VALU_DEP_2)
	v_cndmask_b32_e32 v30, 0x7f800001, v2, vcc_lo
; %bb.4921:                             ;   in Loop: Header=BB2_4905 Depth=4
	s_or_b32 exec_lo, exec_lo, s74
.LBB2_4922:                             ;   in Loop: Header=BB2_4905 Depth=4
	s_delay_alu instid0(SALU_CYCLE_1)
	s_or_b32 exec_lo, exec_lo, s15
.LBB2_4923:                             ;   in Loop: Header=BB2_4905 Depth=4
	s_delay_alu instid0(SALU_CYCLE_1) | instskip(NEXT) | instid1(VALU_DEP_1)
	s_or_b32 exec_lo, exec_lo, s14
	v_dual_mul_f32 v30, s13, v30 :: v_dual_mov_b32 v19, v3
                                        ; implicit-def: $vgpr116
	s_mov_b32 s13, exec_lo
	s_delay_alu instid0(VALU_DEP_1) | instskip(SKIP_1) | instid1(VALU_DEP_2)
	v_and_b32_e32 v18, 0x7f800000, v30
	v_and_b32_e32 v2, 0x7fffff, v30
	v_cmpx_ne_u64_e32 0x7f800000, v[18:19]
	s_xor_b32 s14, exec_lo, s13
	s_cbranch_execz .LBB2_4941
; %bb.4924:                             ;   in Loop: Header=BB2_4905 Depth=4
	v_dual_mov_b32 v19, v3 :: v_dual_lshrrev_b32 v17, 24, v30
	v_and_b32_e32 v18, 0x7fffffff, v30
                                        ; implicit-def: $vgpr116
	s_mov_b32 s13, exec_lo
	s_delay_alu instid0(VALU_DEP_2) | instskip(NEXT) | instid1(VALU_DEP_2)
	v_and_b32_e32 v17, 0x80, v17
	v_cmpx_gt_u64_e32 0x47600001, v[18:19]
	s_xor_b32 s15, exec_lo, s13
	s_cbranch_execz .LBB2_4938
; %bb.4925:                             ;   in Loop: Header=BB2_4905 Depth=4
	v_mov_b32_e32 v116, 0
	s_mov_b32 s74, exec_lo
	v_cmpx_ne_u32_e32 0, v30
	s_cbranch_execz .LBB2_4937
; %bb.4926:                             ;   in Loop: Header=BB2_4905 Depth=4
	v_bfe_u32 v30, v30, 23, 8
	v_or_b32_e32 v116, 0x800000, v2
	s_delay_alu instid0(VALU_DEP_2) | instskip(SKIP_1) | instid1(VALU_DEP_2)
	v_sub_nc_u32_e32 v18, 0x71, v30
	v_cmp_gt_u32_e32 vcc_lo, 0x72, v30
	v_cndmask_b32_e32 v18, 0, v18, vcc_lo
	v_cmp_eq_u32_e32 vcc_lo, 0, v30
	s_delay_alu instid0(VALU_DEP_2) | instskip(NEXT) | instid1(VALU_DEP_1)
	v_cndmask_b32_e64 v103, v18, 0x70, vcc_lo
	v_dual_cndmask_b32 v2, v116, v2, vcc_lo :: v_dual_add_nc_u32 v18, 21, v103
	v_add_nc_u32_e32 v117, 20, v103
	s_delay_alu instid0(VALU_DEP_2) | instskip(NEXT) | instid1(VALU_DEP_2)
	v_lshlrev_b64_e64 v[18:19], v18, -1
	v_lshlrev_b64_e64 v[118:119], v117, 1
	s_delay_alu instid0(VALU_DEP_4) | instskip(NEXT) | instid1(VALU_DEP_3)
	v_lshrrev_b64 v[116:117], v103, v[2:3]
	v_bfi_b32 v19, v19, 0, 0
	s_delay_alu instid0(VALU_DEP_4) | instskip(NEXT) | instid1(VALU_DEP_1)
	v_bfi_b32 v18, v18, 0, v2
	v_cmp_eq_u64_e64 s13, v[18:19], v[118:119]
	s_delay_alu instid0(VALU_DEP_4)
	v_mov_b64_e32 v[118:119], v[116:117]
	s_and_saveexec_b32 s75, s13
; %bb.4927:                             ;   in Loop: Header=BB2_4905 Depth=4
	v_bfe_u32 v2, v116, 21, 1
	s_delay_alu instid0(VALU_DEP_1) | instskip(NEXT) | instid1(VALU_DEP_1)
	v_add_nc_u64_e32 v[18:19], v[116:117], v[2:3]
	v_add_nc_u64_e32 v[118:119], -1, v[18:19]
; %bb.4928:                             ;   in Loop: Header=BB2_4905 Depth=4
	s_or_b32 exec_lo, exec_lo, s75
	v_add_nc_u32_e32 v2, 0xffffff81, v30
	v_lshrrev_b32_e32 v18, 23, v116
	s_mov_b32 s13, exec_lo
                                        ; implicit-def: $vgpr30
	s_delay_alu instid0(VALU_DEP_2) | instskip(NEXT) | instid1(VALU_DEP_1)
	v_cndmask_b32_e64 v2, v2, 0xffffff82, vcc_lo
	v_add3_u32 v103, v103, v2, v18
	v_and_b32_e32 v2, 0x1fffff, v118
	s_delay_alu instid0(VALU_DEP_1) | instskip(NEXT) | instid1(VALU_DEP_1)
	v_dual_add_nc_u32 v118, 14, v103 :: v_dual_add_nc_u32 v2, v2, v116
                                        ; implicit-def: $vgpr116_vgpr117
	v_cmpx_ne_u32_e32 0, v118
	s_xor_b32 s13, exec_lo, s13
; %bb.4929:                             ;   in Loop: Header=BB2_4905 Depth=4
	s_delay_alu instid0(VALU_DEP_2) | instskip(SKIP_1) | instid1(VALU_DEP_1)
	v_cmp_lt_u64_e32 vcc_lo, 0xffffff, v[2:3]
	v_add_nc_u32_e32 v18, 15, v103
	v_cndmask_b32_e32 v30, v118, v18, vcc_lo
	v_cndmask_b32_e64 v18, 0, 1, vcc_lo
	s_delay_alu instid0(VALU_DEP_1)
	v_lshrrev_b64 v[116:117], v18, v[2:3]
; %bb.4930:                             ;   in Loop: Header=BB2_4905 Depth=4
	s_and_not1_saveexec_b32 s13, s13
; %bb.4931:                             ;   in Loop: Header=BB2_4905 Depth=4
	v_mov_b64_e32 v[116:117], v[2:3]
	v_bfe_u32 v30, v2, 23, 1
; %bb.4932:                             ;   in Loop: Header=BB2_4905 Depth=4
	s_or_b32 exec_lo, exec_lo, s13
	s_delay_alu instid0(VALU_DEP_2) | instskip(NEXT) | instid1(VALU_DEP_2)
	v_lshrrev_b64 v[18:19], 21, v[116:117]
	v_cmp_gt_i32_e32 vcc_lo, 32, v30
	v_cmp_ne_u32_e64 s13, 0, v30
                                        ; implicit-def: $vgpr116
	s_delay_alu instid0(VALU_DEP_3) | instskip(NEXT) | instid1(VALU_DEP_1)
	v_dual_cndmask_b32 v119, 0, v19 :: v_dual_cndmask_b32 v118, 3, v18
	v_cmp_ne_u64_e32 vcc_lo, 0, v[118:119]
	s_or_b32 s13, s13, vcc_lo
	s_delay_alu instid0(SALU_CYCLE_1) | instskip(NEXT) | instid1(SALU_CYCLE_1)
	s_and_saveexec_b32 s75, s13
	s_xor_b32 s13, exec_lo, s75
; %bb.4933:                             ;   in Loop: Header=BB2_4905 Depth=4
	v_min_i32_e32 v2, 31, v30
	s_delay_alu instid0(VALU_DEP_1) | instskip(NEXT) | instid1(VALU_DEP_1)
	v_lshl_or_b32 v2, v2, 2, v17
                                        ; implicit-def: $vgpr17
	v_and_or_b32 v116, v118, 3, v2
; %bb.4934:                             ;   in Loop: Header=BB2_4905 Depth=4
	s_and_not1_saveexec_b32 s13, s13
; %bb.4935:                             ;   in Loop: Header=BB2_4905 Depth=4
	v_mov_b32_e32 v116, v17
; %bb.4936:                             ;   in Loop: Header=BB2_4905 Depth=4
	s_or_b32 exec_lo, exec_lo, s13
.LBB2_4937:                             ;   in Loop: Header=BB2_4905 Depth=4
	s_delay_alu instid0(SALU_CYCLE_1)
	s_or_b32 exec_lo, exec_lo, s74
                                        ; implicit-def: $vgpr17
.LBB2_4938:                             ;   in Loop: Header=BB2_4905 Depth=4
	s_and_not1_saveexec_b32 s13, s15
; %bb.4939:                             ;   in Loop: Header=BB2_4905 Depth=4
	v_or_b32_e32 v116, 0x7b, v17
; %bb.4940:                             ;   in Loop: Header=BB2_4905 Depth=4
	s_or_b32 exec_lo, exec_lo, s13
                                        ; implicit-def: $vgpr30
.LBB2_4941:                             ;   in Loop: Header=BB2_4905 Depth=4
	s_and_not1_saveexec_b32 s13, s14
	s_cbranch_execz .LBB2_4947
; %bb.4942:                             ;   in Loop: Header=BB2_4905 Depth=4
	s_mov_b32 s14, exec_lo
                                        ; implicit-def: $vgpr116
	v_cmpx_ne_u64_e32 0, v[2:3]
	s_xor_b32 s14, exec_lo, s14
; %bb.4943:                             ;   in Loop: Header=BB2_4905 Depth=4
	v_lshrrev_b32_e32 v2, 24, v30
                                        ; implicit-def: $vgpr30
	s_delay_alu instid0(VALU_DEP_1)
	v_or_b32_e32 v116, 0x7f, v2
; %bb.4944:                             ;   in Loop: Header=BB2_4905 Depth=4
	s_and_not1_saveexec_b32 s14, s14
; %bb.4945:                             ;   in Loop: Header=BB2_4905 Depth=4
	v_cmp_lt_i32_e32 vcc_lo, -1, v30
	v_cndmask_b32_e64 v116, -4, 0x7c, vcc_lo
; %bb.4946:                             ;   in Loop: Header=BB2_4905 Depth=4
	s_or_b32 exec_lo, exec_lo, s14
.LBB2_4947:                             ;   in Loop: Header=BB2_4905 Depth=4
	s_delay_alu instid0(SALU_CYCLE_1)
	s_or_b32 exec_lo, exec_lo, s13
	flat_load_i8 v2, v[10:11] th:TH_LOAD_NT
	v_and_b32_e32 v117, 0xff, v116
	v_dual_mov_b32 v17, 0 :: v_dual_mov_b32 v30, 0
	s_mov_b32 s13, exec_lo
	s_wait_xcnt 0x0
	s_delay_alu instid0(VALU_DEP_2)
	v_cmpx_ne_u16_e32 0, v117
	s_cbranch_execz .LBB2_4957
; %bb.4948:                             ;   in Loop: Header=BB2_4905 Depth=4
	v_bfrev_b32_e32 v30, 1
	s_mov_b32 s14, exec_lo
	v_cmpx_ne_u16_e32 0x80, v117
	s_cbranch_execz .LBB2_4956
; %bb.4949:                             ;   in Loop: Header=BB2_4905 Depth=4
	v_and_b32_e32 v18, 0x7c, v116
	v_and_b32_e32 v103, 3, v116
	s_mov_b32 s15, exec_lo
                                        ; implicit-def: $vgpr30
	s_delay_alu instid0(VALU_DEP_2)
	v_cmpx_ne_u32_e32 0x7c, v18
	s_xor_b32 s15, exec_lo, s15
	s_cbranch_execz .LBB2_4953
; %bb.4950:                             ;   in Loop: Header=BB2_4905 Depth=4
	v_bfe_u32 v30, v117, 2, 5
	s_mov_b32 s74, exec_lo
	s_delay_alu instid0(VALU_DEP_1)
	v_cmpx_eq_u32_e32 0, v30
	s_cbranch_execz .LBB2_4952
; %bb.4951:                             ;   in Loop: Header=BB2_4905 Depth=4
	v_clz_i32_u32_e32 v18, v103
	s_delay_alu instid0(VALU_DEP_1) | instskip(SKIP_1) | instid1(VALU_DEP_2)
	v_min_u32_e32 v30, 32, v18
	v_mov_b32_e32 v117, v3
	v_subrev_nc_u32_e32 v18, 29, v30
	v_sub_nc_u32_e32 v30, 30, v30
	s_delay_alu instid0(VALU_DEP_2) | instskip(NEXT) | instid1(VALU_DEP_1)
	v_lshlrev_b64_e32 v[18:19], v18, v[116:117]
	v_and_b32_e32 v103, 3, v18
.LBB2_4952:                             ;   in Loop: Header=BB2_4905 Depth=4
	s_or_b32 exec_lo, exec_lo, s74
	v_lshlrev_b32_e32 v18, 24, v116
                                        ; implicit-def: $vgpr116
	s_delay_alu instid0(VALU_DEP_1) | instskip(NEXT) | instid1(VALU_DEP_1)
	v_and_b32_e32 v18, 0x80000000, v18
	v_lshl_add_u32 v18, v30, 23, v18
	s_delay_alu instid0(VALU_DEP_1) | instskip(NEXT) | instid1(VALU_DEP_1)
	v_lshl_or_b32 v18, v103, 21, v18
                                        ; implicit-def: $vgpr103
	v_add_nc_u32_e32 v30, 0x38000000, v18
.LBB2_4953:                             ;   in Loop: Header=BB2_4905 Depth=4
	s_and_not1_saveexec_b32 s15, s15
; %bb.4954:                             ;   in Loop: Header=BB2_4905 Depth=4
	v_bfe_i32 v18, v116, 0, 8
	s_delay_alu instid0(VALU_DEP_1) | instskip(SKIP_2) | instid1(VALU_DEP_2)
	v_cmp_lt_i16_e32 vcc_lo, -1, v18
	v_cndmask_b32_e32 v18, 0xff800000, v111, vcc_lo
	v_cmp_eq_u32_e32 vcc_lo, 0, v103
	v_cndmask_b32_e32 v30, 0x7f800001, v18, vcc_lo
; %bb.4955:                             ;   in Loop: Header=BB2_4905 Depth=4
	s_or_b32 exec_lo, exec_lo, s15
.LBB2_4956:                             ;   in Loop: Header=BB2_4905 Depth=4
	s_delay_alu instid0(SALU_CYCLE_1)
	s_or_b32 exec_lo, exec_lo, s14
.LBB2_4957:                             ;   in Loop: Header=BB2_4905 Depth=4
	s_delay_alu instid0(SALU_CYCLE_1) | instskip(NEXT) | instid1(SALU_CYCLE_1)
	s_or_b32 exec_lo, exec_lo, s13
	s_mov_b32 s13, exec_lo
	s_wait_loadcnt_dscnt 0x0
	v_cmpx_ne_u16_e32 0, v2
	s_cbranch_execz .LBB2_4967
; %bb.4958:                             ;   in Loop: Header=BB2_4905 Depth=4
	v_bfrev_b32_e32 v17, 1
	s_mov_b32 s14, exec_lo
	v_cmpx_ne_u16_e32 0xff80, v2
	s_cbranch_execz .LBB2_4966
; %bb.4959:                             ;   in Loop: Header=BB2_4905 Depth=4
	v_and_b32_e32 v17, 0x7c, v2
	v_and_b32_e32 v103, 3, v2
	s_delay_alu instid0(VALU_DEP_2) | instskip(SKIP_1) | instid1(SALU_CYCLE_1)
	v_cmp_ne_u32_e32 vcc_lo, 0x7c, v17
                                        ; implicit-def: $vgpr17
	s_and_saveexec_b32 s15, vcc_lo
	s_xor_b32 s15, exec_lo, s15
	s_cbranch_execz .LBB2_4963
; %bb.4960:                             ;   in Loop: Header=BB2_4905 Depth=4
	v_and_b32_e32 v17, 0xff, v2
	s_mov_b32 s74, exec_lo
	s_delay_alu instid0(VALU_DEP_1) | instskip(NEXT) | instid1(VALU_DEP_1)
	v_bfe_u32 v17, v17, 2, 5
	v_cmpx_eq_u32_e32 0, v17
; %bb.4961:                             ;   in Loop: Header=BB2_4905 Depth=4
	v_clz_i32_u32_e32 v17, v103
	s_delay_alu instid0(VALU_DEP_1) | instskip(NEXT) | instid1(VALU_DEP_1)
	v_min_u32_e32 v17, 32, v17
	v_subrev_nc_u32_e32 v18, 29, v17
	s_delay_alu instid0(VALU_DEP_1) | instskip(NEXT) | instid1(VALU_DEP_1)
	v_lshlrev_b64_e32 v[18:19], v18, v[2:3]
	v_dual_sub_nc_u32 v17, 30, v17 :: v_dual_bitop2_b32 v103, 3, v18 bitop3:0x40
; %bb.4962:                             ;   in Loop: Header=BB2_4905 Depth=4
	s_or_b32 exec_lo, exec_lo, s74
	v_bfe_i32 v2, v2, 0, 16
	s_delay_alu instid0(VALU_DEP_1) | instskip(NEXT) | instid1(VALU_DEP_1)
	v_and_b32_e32 v2, 0x80000000, v2
	v_lshl_add_u32 v2, v17, 23, v2
	s_delay_alu instid0(VALU_DEP_1) | instskip(NEXT) | instid1(VALU_DEP_1)
	v_lshl_or_b32 v2, v103, 21, v2
                                        ; implicit-def: $vgpr103
	v_add_nc_u32_e32 v17, 0x38000000, v2
.LBB2_4963:                             ;   in Loop: Header=BB2_4905 Depth=4
	s_and_not1_saveexec_b32 s15, s15
; %bb.4964:                             ;   in Loop: Header=BB2_4905 Depth=4
	v_cmp_lt_i16_e32 vcc_lo, -1, v2
	v_cndmask_b32_e32 v2, 0xff800000, v111, vcc_lo
	v_cmp_eq_u32_e32 vcc_lo, 0, v103
	s_delay_alu instid0(VALU_DEP_2)
	v_cndmask_b32_e32 v17, 0x7f800001, v2, vcc_lo
; %bb.4965:                             ;   in Loop: Header=BB2_4905 Depth=4
	s_or_b32 exec_lo, exec_lo, s15
.LBB2_4966:                             ;   in Loop: Header=BB2_4905 Depth=4
	s_delay_alu instid0(SALU_CYCLE_1)
	s_or_b32 exec_lo, exec_lo, s14
.LBB2_4967:                             ;   in Loop: Header=BB2_4905 Depth=4
	s_delay_alu instid0(SALU_CYCLE_1) | instskip(NEXT) | instid1(VALU_DEP_1)
	s_or_b32 exec_lo, exec_lo, s13
	v_dual_add_f32 v103, v30, v17 :: v_dual_mov_b32 v19, v3
                                        ; implicit-def: $vgpr30
	s_mov_b32 s13, exec_lo
	s_delay_alu instid0(VALU_DEP_1) | instskip(SKIP_1) | instid1(VALU_DEP_2)
	v_and_b32_e32 v18, 0x7f800000, v103
	v_and_b32_e32 v2, 0x7fffff, v103
	v_cmpx_ne_u64_e32 0x7f800000, v[18:19]
	s_xor_b32 s14, exec_lo, s13
	s_cbranch_execz .LBB2_4985
; %bb.4968:                             ;   in Loop: Header=BB2_4905 Depth=4
	v_dual_mov_b32 v19, v3 :: v_dual_lshrrev_b32 v17, 24, v103
	v_and_b32_e32 v18, 0x7fffffff, v103
                                        ; implicit-def: $vgpr30
	s_mov_b32 s13, exec_lo
	s_delay_alu instid0(VALU_DEP_2) | instskip(NEXT) | instid1(VALU_DEP_2)
	v_and_b32_e32 v17, 0x80, v17
	v_cmpx_gt_u64_e32 0x47600001, v[18:19]
	s_xor_b32 s15, exec_lo, s13
	s_cbranch_execz .LBB2_4982
; %bb.4969:                             ;   in Loop: Header=BB2_4905 Depth=4
	v_mov_b32_e32 v30, 0
	s_mov_b32 s74, exec_lo
	v_cmpx_ne_u32_e32 0, v103
	s_cbranch_execz .LBB2_4981
; %bb.4970:                             ;   in Loop: Header=BB2_4905 Depth=4
	v_bfe_u32 v30, v103, 23, 8
	v_or_b32_e32 v116, 0x800000, v2
	s_delay_alu instid0(VALU_DEP_2) | instskip(SKIP_1) | instid1(VALU_DEP_2)
	v_sub_nc_u32_e32 v18, 0x71, v30
	v_cmp_gt_u32_e32 vcc_lo, 0x72, v30
	v_cndmask_b32_e32 v18, 0, v18, vcc_lo
	v_cmp_eq_u32_e32 vcc_lo, 0, v30
	s_delay_alu instid0(VALU_DEP_2) | instskip(NEXT) | instid1(VALU_DEP_1)
	v_cndmask_b32_e64 v103, v18, 0x70, vcc_lo
	v_dual_cndmask_b32 v2, v116, v2, vcc_lo :: v_dual_add_nc_u32 v18, 21, v103
	v_add_nc_u32_e32 v117, 20, v103
	s_delay_alu instid0(VALU_DEP_2) | instskip(NEXT) | instid1(VALU_DEP_2)
	v_lshlrev_b64_e64 v[18:19], v18, -1
	v_lshlrev_b64_e64 v[118:119], v117, 1
	s_delay_alu instid0(VALU_DEP_4) | instskip(NEXT) | instid1(VALU_DEP_3)
	v_lshrrev_b64 v[116:117], v103, v[2:3]
	v_bfi_b32 v19, v19, 0, 0
	s_delay_alu instid0(VALU_DEP_4) | instskip(NEXT) | instid1(VALU_DEP_1)
	v_bfi_b32 v18, v18, 0, v2
	v_cmp_eq_u64_e64 s13, v[18:19], v[118:119]
	s_delay_alu instid0(VALU_DEP_4)
	v_mov_b64_e32 v[118:119], v[116:117]
	s_and_saveexec_b32 s75, s13
; %bb.4971:                             ;   in Loop: Header=BB2_4905 Depth=4
	v_bfe_u32 v2, v116, 21, 1
	s_delay_alu instid0(VALU_DEP_1) | instskip(NEXT) | instid1(VALU_DEP_1)
	v_add_nc_u64_e32 v[18:19], v[116:117], v[2:3]
	v_add_nc_u64_e32 v[118:119], -1, v[18:19]
; %bb.4972:                             ;   in Loop: Header=BB2_4905 Depth=4
	s_or_b32 exec_lo, exec_lo, s75
	v_add_nc_u32_e32 v2, 0xffffff81, v30
	v_lshrrev_b32_e32 v18, 23, v116
	s_mov_b32 s13, exec_lo
	s_delay_alu instid0(VALU_DEP_2) | instskip(NEXT) | instid1(VALU_DEP_1)
	v_cndmask_b32_e64 v2, v2, 0xffffff82, vcc_lo
	v_add3_u32 v30, v103, v2, v18
	v_and_b32_e32 v2, 0x1fffff, v118
                                        ; implicit-def: $vgpr103
	s_delay_alu instid0(VALU_DEP_1) | instskip(NEXT) | instid1(VALU_DEP_1)
	v_dual_add_nc_u32 v118, 14, v30 :: v_dual_add_nc_u32 v2, v2, v116
                                        ; implicit-def: $vgpr116_vgpr117
	v_cmpx_ne_u32_e32 0, v118
	s_xor_b32 s13, exec_lo, s13
; %bb.4973:                             ;   in Loop: Header=BB2_4905 Depth=4
	s_delay_alu instid0(VALU_DEP_2) | instskip(SKIP_1) | instid1(VALU_DEP_1)
	v_cmp_lt_u64_e32 vcc_lo, 0xffffff, v[2:3]
	v_add_nc_u32_e32 v18, 15, v30
	v_cndmask_b32_e32 v103, v118, v18, vcc_lo
	v_cndmask_b32_e64 v18, 0, 1, vcc_lo
	s_delay_alu instid0(VALU_DEP_1)
	v_lshrrev_b64 v[116:117], v18, v[2:3]
; %bb.4974:                             ;   in Loop: Header=BB2_4905 Depth=4
	s_and_not1_saveexec_b32 s13, s13
; %bb.4975:                             ;   in Loop: Header=BB2_4905 Depth=4
	v_mov_b64_e32 v[116:117], v[2:3]
	v_bfe_u32 v103, v2, 23, 1
; %bb.4976:                             ;   in Loop: Header=BB2_4905 Depth=4
	s_or_b32 exec_lo, exec_lo, s13
	s_delay_alu instid0(VALU_DEP_2) | instskip(NEXT) | instid1(VALU_DEP_2)
	v_lshrrev_b64 v[18:19], 21, v[116:117]
	v_cmp_gt_i32_e32 vcc_lo, 32, v103
	v_cmp_ne_u32_e64 s13, 0, v103
                                        ; implicit-def: $vgpr30
	s_delay_alu instid0(VALU_DEP_3) | instskip(NEXT) | instid1(VALU_DEP_1)
	v_dual_cndmask_b32 v117, 0, v19 :: v_dual_cndmask_b32 v116, 3, v18
	v_cmp_ne_u64_e32 vcc_lo, 0, v[116:117]
	s_or_b32 s13, s13, vcc_lo
	s_delay_alu instid0(SALU_CYCLE_1) | instskip(NEXT) | instid1(SALU_CYCLE_1)
	s_and_saveexec_b32 s75, s13
	s_xor_b32 s13, exec_lo, s75
; %bb.4977:                             ;   in Loop: Header=BB2_4905 Depth=4
	v_min_i32_e32 v2, 31, v103
	s_delay_alu instid0(VALU_DEP_1) | instskip(NEXT) | instid1(VALU_DEP_1)
	v_lshl_or_b32 v2, v2, 2, v17
                                        ; implicit-def: $vgpr17
	v_and_or_b32 v30, v116, 3, v2
; %bb.4978:                             ;   in Loop: Header=BB2_4905 Depth=4
	s_and_not1_saveexec_b32 s13, s13
; %bb.4979:                             ;   in Loop: Header=BB2_4905 Depth=4
	v_mov_b32_e32 v30, v17
; %bb.4980:                             ;   in Loop: Header=BB2_4905 Depth=4
	s_or_b32 exec_lo, exec_lo, s13
.LBB2_4981:                             ;   in Loop: Header=BB2_4905 Depth=4
	s_delay_alu instid0(SALU_CYCLE_1)
	s_or_b32 exec_lo, exec_lo, s74
                                        ; implicit-def: $vgpr17
.LBB2_4982:                             ;   in Loop: Header=BB2_4905 Depth=4
	s_and_not1_saveexec_b32 s13, s15
; %bb.4983:                             ;   in Loop: Header=BB2_4905 Depth=4
	v_or_b32_e32 v30, 0x7b, v17
; %bb.4984:                             ;   in Loop: Header=BB2_4905 Depth=4
	s_or_b32 exec_lo, exec_lo, s13
                                        ; implicit-def: $vgpr103
.LBB2_4985:                             ;   in Loop: Header=BB2_4905 Depth=4
	s_and_not1_saveexec_b32 s13, s14
	s_cbranch_execz .LBB2_4904
; %bb.4986:                             ;   in Loop: Header=BB2_4905 Depth=4
	s_mov_b32 s14, exec_lo
                                        ; implicit-def: $vgpr30
	v_cmpx_ne_u64_e32 0, v[2:3]
	s_xor_b32 s14, exec_lo, s14
; %bb.4987:                             ;   in Loop: Header=BB2_4905 Depth=4
	v_lshrrev_b32_e32 v2, 24, v103
                                        ; implicit-def: $vgpr103
	s_delay_alu instid0(VALU_DEP_1)
	v_or_b32_e32 v30, 0x7f, v2
; %bb.4988:                             ;   in Loop: Header=BB2_4905 Depth=4
	s_and_not1_saveexec_b32 s14, s14
	s_cbranch_execz .LBB2_4903
; %bb.4989:                             ;   in Loop: Header=BB2_4905 Depth=4
	v_cmp_lt_i32_e32 vcc_lo, -1, v103
	v_cndmask_b32_e64 v30, -4, 0x7c, vcc_lo
	s_branch .LBB2_4903
.LBB2_4990:                             ;   in Loop: Header=BB2_2050 Depth=3
	s_or_b32 exec_lo, exec_lo, s72
	v_cmp_lt_i32_e64 s13, 0, v101
	s_and_saveexec_b32 s14, s2
	s_cbranch_execz .LBB2_5009
.LBB2_4991:                             ;   in Loop: Header=BB2_2050 Depth=3
	s_and_saveexec_b32 s15, s3
	s_delay_alu instid0(SALU_CYCLE_1)
	s_xor_b32 s15, exec_lo, s15
	s_cbranch_execz .LBB2_5006
; %bb.4992:                             ;   in Loop: Header=BB2_2050 Depth=3
	s_and_saveexec_b32 s72, s6
	s_cbranch_execz .LBB2_5005
; %bb.4993:                             ;   in Loop: Header=BB2_2050 Depth=3
	s_mov_b32 s74, exec_lo
	s_mov_b32 s73, exec_lo
	v_mbcnt_lo_u32_b32 v2, s74, 0
	global_wb scope:SCOPE_DEV
	s_wait_storecnt 0x0
	s_wait_loadcnt_dscnt 0x0
	global_inv scope:SCOPE_DEV
	v_cmpx_eq_u32_e32 0, v2
	s_cbranch_execz .LBB2_4995
; %bb.4994:                             ;   in Loop: Header=BB2_2050 Depth=3
	s_bcnt1_i32_b32 s74, s74
	s_delay_alu instid0(SALU_CYCLE_1)
	v_dual_mov_b32 v9, v3 :: v_dual_mov_b32 v8, s74
	s_wait_loadcnt 0x0
	ds_add_u64 v0, v[8:9]
	s_trap 2
.LBB2_4995:                             ;   in Loop: Header=BB2_2050 Depth=3
	s_or_b32 exec_lo, exec_lo, s73
	s_trap 2
	ds_load_b64 v[8:9], v0
	s_wait_dscnt 0x0
	v_add_nc_u64_e32 v[12:13], v[12:13], v[32:33]
	s_mov_b32 s73, exec_lo
	s_delay_alu instid0(VALU_DEP_1)
	v_cmpx_lt_u64_e64 v[8:9], v[12:13]
	s_cbranch_execz .LBB2_5004
; %bb.4996:                             ;   in Loop: Header=BB2_2050 Depth=3
	s_mov_b32 s74, 0
	s_mov_b32 s77, 0
                                        ; implicit-def: $sgpr75
                                        ; implicit-def: $sgpr76
	s_branch .LBB2_4998
.LBB2_4997:                             ;   in Loop: Header=BB2_4998 Depth=4
	s_or_b32 exec_lo, exec_lo, s79
	s_delay_alu instid0(SALU_CYCLE_1) | instskip(NEXT) | instid1(SALU_CYCLE_1)
	s_and_b32 s78, exec_lo, s88
	s_or_b32 s74, s78, s74
	s_and_not1_b32 s75, s75, exec_lo
	s_and_b32 s78, s76, exec_lo
	s_delay_alu instid0(SALU_CYCLE_1)
	s_or_b32 s75, s75, s78
	s_and_not1_b32 exec_lo, exec_lo, s74
	s_cbranch_execz .LBB2_5002
.LBB2_4998:                             ;   Parent Loop BB2_47 Depth=1
                                        ;     Parent Loop BB2_2047 Depth=2
                                        ;       Parent Loop BB2_2050 Depth=3
                                        ; =>      This Inner Loop Header: Depth=4
	s_add_co_i32 s77, s77, 1
	s_delay_alu instid0(SALU_CYCLE_1) | instskip(SKIP_1) | instid1(SALU_CYCLE_1)
	s_cmp_lg_u32 s77, 0x2710
	s_cselect_b32 s78, -1, 0
	s_and_b32 vcc_lo, exec_lo, s78
	s_cbranch_vccz .LBB2_5000
; %bb.4999:                             ;   in Loop: Header=BB2_4998 Depth=4
	s_mov_b32 s88, -1
	s_or_b32 s76, s76, exec_lo
	s_and_saveexec_b32 s79, s78
	s_cbranch_execz .LBB2_4997
	s_branch .LBB2_5001
.LBB2_5000:                             ;   in Loop: Header=BB2_4998 Depth=4
	s_trap 2
	ds_load_b64 v[8:9], v0
	s_and_not1_b32 s78, s78, exec_lo
	s_mov_b32 s77, 0
	s_wait_loadcnt_dscnt 0x0
	flat_load_b32 v2, v[8:9] scope:SCOPE_SYS
	s_wait_loadcnt_dscnt 0x0
	global_inv scope:SCOPE_SYS
	v_cmp_eq_u32_e32 vcc_lo, 0, v2
	s_and_b32 s79, vcc_lo, exec_lo
	s_delay_alu instid0(SALU_CYCLE_1)
	s_or_b32 s78, s78, s79
	s_mov_b32 s88, -1
	s_or_b32 s76, s76, exec_lo
	s_and_saveexec_b32 s79, s78
	s_cbranch_execz .LBB2_4997
.LBB2_5001:                             ;   in Loop: Header=BB2_4998 Depth=4
	s_sleep 1
	s_trap 2
	ds_load_b64 v[8:9], v0
	s_wait_dscnt 0x0
	s_and_not1_b32 s76, s76, exec_lo
	v_cmp_ge_u64_e32 vcc_lo, v[8:9], v[12:13]
	s_or_not1_b32 s88, vcc_lo, exec_lo
	s_branch .LBB2_4997
.LBB2_5002:                             ;   in Loop: Header=BB2_2050 Depth=3
	s_or_b32 exec_lo, exec_lo, s74
	s_and_saveexec_b32 s74, s75
	s_delay_alu instid0(SALU_CYCLE_1)
	s_xor_b32 s74, exec_lo, s74
	s_cbranch_execz .LBB2_5004
; %bb.5003:                             ;   in Loop: Header=BB2_2050 Depth=3
	ds_store_b32 v0, v110
	s_trap 2
.LBB2_5004:                             ;   in Loop: Header=BB2_2050 Depth=3
	s_or_b32 exec_lo, exec_lo, s73
	;;#ASMSTART
	s_wakeup
	;;#ASMEND
.LBB2_5005:                             ;   in Loop: Header=BB2_2050 Depth=3
	s_or_b32 exec_lo, exec_lo, s72
.LBB2_5006:                             ;   in Loop: Header=BB2_2050 Depth=3
	s_and_not1_saveexec_b32 s15, s15
	s_cbranch_execz .LBB2_5008
; %bb.5007:                             ;   in Loop: Header=BB2_2050 Depth=3
	global_wb scope:SCOPE_DEV
	s_wait_storecnt 0x0
	s_wait_loadcnt_dscnt 0x0
	global_inv scope:SCOPE_DEV
	s_barrier_signal -1
	s_barrier_wait -1
.LBB2_5008:                             ;   in Loop: Header=BB2_2050 Depth=3
	s_or_b32 exec_lo, exec_lo, s15
.LBB2_5009:                             ;   in Loop: Header=BB2_2050 Depth=3
	s_delay_alu instid0(SALU_CYCLE_1) | instskip(SKIP_2) | instid1(SALU_CYCLE_1)
	s_or_b32 exec_lo, exec_lo, s14
	v_and_b32_e32 v2, 16, v106
	s_and_saveexec_b32 s14, s12
	s_xor_b32 s14, exec_lo, s14
	s_cbranch_execz .LBB2_5013
; %bb.5010:                             ;   in Loop: Header=BB2_2050 Depth=3
	v_and_b32_e32 v2, 16, v106
	s_delay_alu instid0(VALU_DEP_1) | instskip(SKIP_2) | instid1(SALU_CYCLE_1)
	v_cmp_ne_u32_e32 vcc_lo, 0, v2
	v_and_b32_e32 v2, 16, v106
	s_and_b32 s15, vcc_lo, s13
	s_and_saveexec_b32 s13, s15
	s_cbranch_execz .LBB2_5012
; %bb.5011:                             ;   in Loop: Header=BB2_2050 Depth=3
	v_mov_b32_e32 v2, 1
	global_wb scope:SCOPE_SYS
	s_wait_storecnt 0x0
	s_wait_loadcnt_dscnt 0x0
	global_inv scope:SCOPE_SYS
.LBB2_5012:                             ;   in Loop: Header=BB2_2050 Depth=3
	s_or_b32 exec_lo, exec_lo, s13
.LBB2_5013:                             ;   in Loop: Header=BB2_2050 Depth=3
	s_and_not1_saveexec_b32 s13, s14
	s_cbranch_execz .LBB2_5032
; %bb.5014:                             ;   in Loop: Header=BB2_2050 Depth=3
	s_and_saveexec_b32 s14, s3
	s_delay_alu instid0(SALU_CYCLE_1)
	s_xor_b32 s14, exec_lo, s14
	s_cbranch_execz .LBB2_5029
; %bb.5015:                             ;   in Loop: Header=BB2_2050 Depth=3
	s_and_saveexec_b32 s15, s6
	s_cbranch_execz .LBB2_5028
; %bb.5016:                             ;   in Loop: Header=BB2_2050 Depth=3
	s_mov_b32 s73, exec_lo
	s_mov_b32 s72, exec_lo
	v_mbcnt_lo_u32_b32 v8, s73, 0
	;;#ASMSTART
	s_waitcnt lgkmcnt(0) vmcnt(0)
	;;#ASMEND
	s_delay_alu instid0(VALU_DEP_1)
	v_cmpx_eq_u32_e32 0, v8
	s_cbranch_execz .LBB2_5018
; %bb.5017:                             ;   in Loop: Header=BB2_2050 Depth=3
	s_bcnt1_i32_b32 s73, s73
	s_delay_alu instid0(SALU_CYCLE_1)
	v_dual_mov_b32 v9, v3 :: v_dual_mov_b32 v8, s73
	s_wait_storecnt 0x0
	s_wait_loadcnt_dscnt 0x0
	ds_add_u64 v0, v[8:9]
	s_trap 2
.LBB2_5018:                             ;   in Loop: Header=BB2_2050 Depth=3
	s_or_b32 exec_lo, exec_lo, s72
	s_trap 2
	ds_load_b64 v[8:9], v0
	s_wait_dscnt 0x0
	v_add_nc_u64_e32 v[12:13], v[12:13], v[32:33]
	s_mov_b32 s72, exec_lo
	s_delay_alu instid0(VALU_DEP_1)
	v_cmpx_lt_u64_e64 v[8:9], v[12:13]
	s_cbranch_execz .LBB2_5027
; %bb.5019:                             ;   in Loop: Header=BB2_2050 Depth=3
	s_mov_b32 s73, 0
	s_mov_b32 s76, 0
                                        ; implicit-def: $sgpr74
                                        ; implicit-def: $sgpr75
	s_branch .LBB2_5021
.LBB2_5020:                             ;   in Loop: Header=BB2_5021 Depth=4
	s_or_b32 exec_lo, exec_lo, s78
	s_delay_alu instid0(SALU_CYCLE_1) | instskip(NEXT) | instid1(SALU_CYCLE_1)
	s_and_b32 s77, exec_lo, s79
	s_or_b32 s73, s77, s73
	s_and_not1_b32 s74, s74, exec_lo
	s_and_b32 s77, s75, exec_lo
	s_delay_alu instid0(SALU_CYCLE_1)
	s_or_b32 s74, s74, s77
	s_and_not1_b32 exec_lo, exec_lo, s73
	s_cbranch_execz .LBB2_5025
.LBB2_5021:                             ;   Parent Loop BB2_47 Depth=1
                                        ;     Parent Loop BB2_2047 Depth=2
                                        ;       Parent Loop BB2_2050 Depth=3
                                        ; =>      This Inner Loop Header: Depth=4
	s_add_co_i32 s76, s76, 1
	s_delay_alu instid0(SALU_CYCLE_1) | instskip(SKIP_1) | instid1(SALU_CYCLE_1)
	s_cmp_lg_u32 s76, 0x2710
	s_cselect_b32 s77, -1, 0
	s_and_b32 vcc_lo, exec_lo, s77
	s_cbranch_vccz .LBB2_5023
; %bb.5022:                             ;   in Loop: Header=BB2_5021 Depth=4
	s_mov_b32 s79, -1
	s_or_b32 s75, s75, exec_lo
	s_and_saveexec_b32 s78, s77
	s_cbranch_execz .LBB2_5020
	s_branch .LBB2_5024
.LBB2_5023:                             ;   in Loop: Header=BB2_5021 Depth=4
	s_trap 2
	ds_load_b64 v[8:9], v0
	s_and_not1_b32 s77, s77, exec_lo
	s_mov_b32 s76, 0
	s_wait_storecnt 0x0
	s_wait_loadcnt_dscnt 0x0
	flat_load_b32 v8, v[8:9] scope:SCOPE_SYS
	s_wait_loadcnt_dscnt 0x0
	global_inv scope:SCOPE_SYS
	v_cmp_eq_u32_e32 vcc_lo, 0, v8
	s_and_b32 s78, vcc_lo, exec_lo
	s_delay_alu instid0(SALU_CYCLE_1)
	s_or_b32 s77, s77, s78
	s_mov_b32 s79, -1
	s_or_b32 s75, s75, exec_lo
	s_and_saveexec_b32 s78, s77
	s_cbranch_execz .LBB2_5020
.LBB2_5024:                             ;   in Loop: Header=BB2_5021 Depth=4
	s_sleep 1
	s_trap 2
	ds_load_b64 v[8:9], v0
	s_wait_dscnt 0x0
	s_and_not1_b32 s75, s75, exec_lo
	v_cmp_ge_u64_e32 vcc_lo, v[8:9], v[12:13]
	s_or_not1_b32 s79, vcc_lo, exec_lo
	s_branch .LBB2_5020
.LBB2_5025:                             ;   in Loop: Header=BB2_2050 Depth=3
	s_or_b32 exec_lo, exec_lo, s73
	s_and_saveexec_b32 s73, s74
	s_delay_alu instid0(SALU_CYCLE_1)
	s_xor_b32 s73, exec_lo, s73
	s_cbranch_execz .LBB2_5027
; %bb.5026:                             ;   in Loop: Header=BB2_2050 Depth=3
	ds_store_b32 v0, v110
	s_trap 2
.LBB2_5027:                             ;   in Loop: Header=BB2_2050 Depth=3
	s_or_b32 exec_lo, exec_lo, s72
	;;#ASMSTART
	s_wakeup
	;;#ASMEND
.LBB2_5028:                             ;   in Loop: Header=BB2_2050 Depth=3
	s_or_b32 exec_lo, exec_lo, s15
.LBB2_5029:                             ;   in Loop: Header=BB2_2050 Depth=3
	s_and_not1_saveexec_b32 s14, s14
	s_cbranch_execz .LBB2_5031
; %bb.5030:                             ;   in Loop: Header=BB2_2050 Depth=3
	;;#ASMSTART
	s_waitcnt lgkmcnt(0) vmcnt(0)
	;;#ASMEND
	s_barrier_signal -1
	s_barrier_wait -1
.LBB2_5031:                             ;   in Loop: Header=BB2_2050 Depth=3
	s_or_b32 exec_lo, exec_lo, s14
.LBB2_5032:                             ;   in Loop: Header=BB2_2050 Depth=3
	s_delay_alu instid0(SALU_CYCLE_1) | instskip(SKIP_2) | instid1(SALU_CYCLE_1)
	s_or_b32 exec_lo, exec_lo, s13
	v_cmp_ne_u32_e32 vcc_lo, 0, v2
	s_xor_b32 s13, s4, -1
	s_and_b32 s14, vcc_lo, s13
	s_delay_alu instid0(SALU_CYCLE_1)
	s_and_saveexec_b32 s13, s14
	s_cbranch_execz .LBB2_5034
; %bb.5033:                             ;   in Loop: Header=BB2_2050 Depth=3
	global_wb scope:SCOPE_SYS
	s_wait_storecnt 0x0
	s_wait_loadcnt_dscnt 0x0
	flat_store_b32 v[26:27], v110 scope:SCOPE_SYS
.LBB2_5034:                             ;   in Loop: Header=BB2_2050 Depth=3
	s_wait_xcnt 0x0
	s_or_b32 exec_lo, exec_lo, s13
	v_and_b32_e32 v2, 48, v106
	s_mov_b32 s13, exec_lo
	s_delay_alu instid0(VALU_DEP_1)
	v_cmpx_ne_u32_e32 0, v2
	s_cbranch_execz .LBB2_2049
; %bb.5035:                             ;   in Loop: Header=BB2_2050 Depth=3
	v_add_nc_u64_e32 v[86:87], 2, v[86:87]
	global_wb scope:SCOPE_SYS
	s_wait_storecnt 0x0
	s_wait_loadcnt_dscnt 0x0
	flat_store_b64 v[20:21], v[86:87] scope:SCOPE_SYS
	s_branch .LBB2_2049
.LBB2_5036:                             ;   in Loop: Header=BB2_2047 Depth=2
	s_or_b32 exec_lo, exec_lo, s42
.LBB2_5037:                             ;   in Loop: Header=BB2_2047 Depth=2
	s_delay_alu instid0(SALU_CYCLE_1) | instskip(NEXT) | instid1(SALU_CYCLE_1)
	s_or_b32 exec_lo, exec_lo, s29
	s_mov_b32 s14, exec_lo
	v_cmpx_gt_i32_e32 2, v2
	s_cbranch_execz .LBB2_2046
; %bb.5038:                             ;   in Loop: Header=BB2_2047 Depth=2
	v_cmp_eq_u32_e64 s29, 0, v2
	s_mov_b32 s15, 0
	s_branch .LBB2_5040
.LBB2_5039:                             ;   in Loop: Header=BB2_5040 Depth=3
	s_wait_xcnt 0x0
	s_or_b32 exec_lo, exec_lo, s13
	v_add_nc_u32_e32 v102, v100, v102
	s_mov_b32 s29, 0
	s_and_not1_b32 exec_lo, exec_lo, s15
	s_cbranch_execz .LBB2_2045
.LBB2_5040:                             ;   Parent Loop BB2_47 Depth=1
                                        ;     Parent Loop BB2_2047 Depth=2
                                        ; =>    This Loop Header: Depth=3
                                        ;         Child Loop BB2_5046 Depth 4
                                        ;         Child Loop BB2_5074 Depth 4
	;; [unrolled: 1-line block ×3, first 2 shown]
	s_delay_alu instid0(VALU_DEP_1) | instskip(SKIP_2) | instid1(VALU_DEP_2)
	v_sub_nc_u32_e32 v2, v92, v102
	v_and_b32_e32 v8, 12, v106
	s_mov_b32 s42, exec_lo
	v_min_i32_e32 v100, v100, v2
	s_delay_alu instid0(VALU_DEP_2)
	v_cmpx_ne_u32_e32 0, v8
	s_cbranch_execz .LBB2_5066
; %bb.5041:                             ;   in Loop: Header=BB2_5040 Depth=3
	v_and_b32_e32 v2, 8, v106
	v_add_nc_u64_e32 v[8:9], 2, v[86:87]
	s_mov_b32 s43, exec_lo
	s_wait_loadcnt_dscnt 0x1
	s_delay_alu instid0(VALU_DEP_2) | instskip(NEXT) | instid1(VALU_DEP_1)
	v_add_nc_u64_e32 v[10:11], v[28:29], v[2:3]
	v_cmpx_lt_u64_e64 v[10:11], v[8:9]
	s_cbranch_execz .LBB2_5053
; %bb.5042:                             ;   in Loop: Header=BB2_5040 Depth=3
	v_and_b32_e32 v10, 64, v106
	s_mov_b32 s63, 0
	s_mov_b32 s75, 0
                                        ; implicit-def: $sgpr72
                                        ; implicit-def: $sgpr73
                                        ; implicit-def: $sgpr74
	s_delay_alu instid0(VALU_DEP_1)
	v_cmp_eq_u32_e32 vcc_lo, 0, v10
	s_branch .LBB2_5046
.LBB2_5043:                             ;   in Loop: Header=BB2_5046 Depth=4
	s_wait_loadcnt_dscnt 0x0
	v_add_nc_u64_e32 v[16:17], v[28:29], v[2:3]
	s_or_b32 s78, s78, exec_lo
	s_delay_alu instid0(VALU_DEP_1)
	v_cmp_ge_u64_e64 s13, v[16:17], v[8:9]
	s_or_not1_b32 s77, s13, exec_lo
.LBB2_5044:                             ;   in Loop: Header=BB2_5046 Depth=4
	s_or_b32 exec_lo, exec_lo, s88
	s_delay_alu instid0(SALU_CYCLE_1)
	s_and_not1_b32 s13, s74, exec_lo
	s_and_b32 s74, s78, exec_lo
	s_and_not1_b32 s73, s73, exec_lo
	s_and_b32 s77, s77, exec_lo
	s_or_b32 s74, s13, s74
	s_or_b32 s73, s73, s77
.LBB2_5045:                             ;   in Loop: Header=BB2_5046 Depth=4
	s_or_b32 exec_lo, exec_lo, s76
	s_delay_alu instid0(SALU_CYCLE_1) | instskip(NEXT) | instid1(SALU_CYCLE_1)
	s_and_b32 s13, exec_lo, s73
	s_or_b32 s63, s13, s63
	s_and_not1_b32 s13, s72, exec_lo
	s_and_b32 s72, s74, exec_lo
	s_delay_alu instid0(SALU_CYCLE_1)
	s_or_b32 s72, s13, s72
	s_and_not1_b32 exec_lo, exec_lo, s63
	s_cbranch_execz .LBB2_5050
.LBB2_5046:                             ;   Parent Loop BB2_47 Depth=1
                                        ;     Parent Loop BB2_2047 Depth=2
                                        ;       Parent Loop BB2_5040 Depth=3
                                        ; =>      This Inner Loop Header: Depth=4
	s_sleep 1
	s_wait_loadcnt_dscnt 0x0
	flat_load_b64 v[28:29], v[20:21] scope:SCOPE_SYS
	s_or_b32 s74, s74, exec_lo
	s_or_b32 s73, s73, exec_lo
                                        ; implicit-def: $vgpr10
	s_wait_xcnt 0x0
	s_and_saveexec_b32 s76, vcc_lo
	s_cbranch_execz .LBB2_5045
; %bb.5047:                             ;   in Loop: Header=BB2_5046 Depth=4
	s_cmp_lt_i32 s75, 0x270f
	s_mov_b32 s77, -1
	s_cselect_b32 s79, -1, 0
	s_cmp_gt_i32 s75, 0x270e
	s_cbranch_scc0 .LBB2_5049
; %bb.5048:                             ;   in Loop: Header=BB2_5046 Depth=4
	s_trap 2
	ds_load_b64 v[10:11], v0
	s_and_not1_b32 s75, s79, exec_lo
	s_mov_b32 s78, 0
	s_wait_storecnt 0x0
	s_wait_loadcnt_dscnt 0x0
	flat_load_b32 v10, v[10:11] scope:SCOPE_SYS
	s_wait_loadcnt_dscnt 0x0
	global_inv scope:SCOPE_SYS
	v_cmp_eq_u32_e64 s13, 0, v10
	s_and_b32 s13, s13, exec_lo
	s_delay_alu instid0(SALU_CYCLE_1)
	s_or_b32 s79, s75, s13
	s_mov_b32 s75, 0
	s_and_saveexec_b32 s88, s79
	s_cbranch_execz .LBB2_5044
	s_branch .LBB2_5043
.LBB2_5049:                             ;   in Loop: Header=BB2_5046 Depth=4
	s_add_co_i32 s75, s75, 1
	s_mov_b32 s78, -1
                                        ; implicit-def: $vgpr10
	s_and_saveexec_b32 s88, s79
	s_cbranch_execz .LBB2_5044
	s_branch .LBB2_5043
.LBB2_5050:                             ;   in Loop: Header=BB2_5040 Depth=3
	s_or_b32 exec_lo, exec_lo, s63
	s_xor_b32 s13, s72, -1
	s_delay_alu instid0(SALU_CYCLE_1) | instskip(NEXT) | instid1(SALU_CYCLE_1)
	s_and_saveexec_b32 s63, s13
	s_xor_b32 s13, exec_lo, s63
	s_cbranch_execz .LBB2_5052
; %bb.5051:                             ;   in Loop: Header=BB2_5040 Depth=3
	v_or_b32_e32 v106, 64, v106
	s_wait_storecnt 0x0
	s_wait_loadcnt_dscnt 0x0
	ds_store_b32 v0, v10
	s_trap 2
.LBB2_5052:                             ;   in Loop: Header=BB2_5040 Depth=3
	s_or_b32 exec_lo, exec_lo, s13
.LBB2_5053:                             ;   in Loop: Header=BB2_5040 Depth=3
	s_delay_alu instid0(SALU_CYCLE_1) | instskip(SKIP_2) | instid1(VALU_DEP_1)
	s_or_b32 exec_lo, exec_lo, s43
	v_and_b32_e32 v10, 0x108, v106
	;;#ASMSTART
	s_wakeup
	;;#ASMEND
	v_cmp_ne_u32_e32 vcc_lo, 0x108, v10
                                        ; implicit-def: $vgpr10_vgpr11
	s_and_saveexec_b32 s13, vcc_lo
	s_delay_alu instid0(SALU_CYCLE_1)
	s_xor_b32 s13, exec_lo, s13
; %bb.5054:                             ;   in Loop: Header=BB2_5040 Depth=3
	v_dual_mov_b32 v11, v3 :: v_dual_bitop2_b32 v10, 7, v86 bitop3:0x40
                                        ; implicit-def: $vgpr86_vgpr87
; %bb.5055:                             ;   in Loop: Header=BB2_5040 Depth=3
	s_and_not1_saveexec_b32 s13, s13
	s_cbranch_execz .LBB2_5057
; %bb.5056:                             ;   in Loop: Header=BB2_5040 Depth=3
	v_dual_ashrrev_i32 v101, 31, v100 :: v_dual_bitop2_b32 v10, 7, v86 bitop3:0x40
	v_mov_b32_e32 v11, v3
	s_delay_alu instid0(VALU_DEP_2)
	v_mad_nc_u64_u32 v[16:17], v10, 24, v[6:7]
	flat_store_b64 v[16:17], v[100:101] offset:8
.LBB2_5057:                             ;   in Loop: Header=BB2_5040 Depth=3
	s_wait_xcnt 0x0
	s_or_b32 exec_lo, exec_lo, s13
	v_and_b32_e32 v16, 0x100, v106
	s_mov_b32 s13, -1
	s_mov_b32 s43, exec_lo
                                        ; implicit-def: $vgpr86_vgpr87
	s_delay_alu instid0(VALU_DEP_1)
	v_cmpx_ne_u32_e32 0, v16
	s_cbranch_execz .LBB2_5061
; %bb.5058:                             ;   in Loop: Header=BB2_5040 Depth=3
	v_mad_nc_u64_u32 v[112:113], v10, 24, v[6:7]
	s_mov_b32 s63, exec_lo
                                        ; implicit-def: $vgpr86_vgpr87
	s_delay_alu instid0(VALU_DEP_1)
	v_mad_u32 v113, v11, 24, v113
	flat_load_b32 v16, v[112:113]
	s_wait_loadcnt_dscnt 0x0
	v_cmp_ne_u32_e32 vcc_lo, 1, v16
	s_wait_xcnt 0x0
	v_cmpx_eq_u32_e32 1, v16
	s_cbranch_execz .LBB2_5060
; %bb.5059:                             ;   in Loop: Header=BB2_5040 Depth=3
	flat_load_b32 v86, v[112:113] offset:4 scope:SCOPE_SYS
	s_wait_loadcnt_dscnt 0x0
	v_ashrrev_i32_e32 v87, 31, v86
.LBB2_5060:                             ;   in Loop: Header=BB2_5040 Depth=3
	s_wait_xcnt 0x0
	s_or_b32 exec_lo, exec_lo, s63
	s_delay_alu instid0(SALU_CYCLE_1)
	s_or_not1_b32 s13, vcc_lo, exec_lo
.LBB2_5061:                             ;   in Loop: Header=BB2_5040 Depth=3
	s_or_b32 exec_lo, exec_lo, s43
	s_and_saveexec_b32 s43, s13
; %bb.5062:                             ;   in Loop: Header=BB2_5040 Depth=3
	v_mul_u64_e32 v[86:87], v[10:11], v[22:23]
; %bb.5063:                             ;   in Loop: Header=BB2_5040 Depth=3
	s_or_b32 exec_lo, exec_lo, s43
	v_cmp_eq_u32_e32 vcc_lo, 0, v2
	s_delay_alu instid0(VALU_DEP_2) | instskip(SKIP_3) | instid1(VALU_DEP_1)
	v_add_nc_u64_e32 v[10:11], v[24:25], v[86:87]
	v_and_b32_e32 v16, 0x2000, v106
	s_mov_b32 s13, exec_lo
	v_cndmask_b32_e32 v2, 0xc8, v121, vcc_lo
	v_add_nc_u32_e32 v2, v0, v2
	ds_store_b64 v2, v[10:11] offset:584
	v_cmpx_ne_u32_e32 0, v16
	s_cbranch_execz .LBB2_5065
; %bb.5064:                             ;   in Loop: Header=BB2_5040 Depth=3
	ds_load_b64 v[10:11], v0 offset:872
	s_wait_dscnt 0x0
	v_add_nc_u64_e32 v[10:11], 1, v[10:11]
	ds_store_b64 v0, v[10:11] offset:872
.LBB2_5065:                             ;   in Loop: Header=BB2_5040 Depth=3
	s_or_b32 exec_lo, exec_lo, s13
	v_mov_b64_e32 v[86:87], v[8:9]
.LBB2_5066:                             ;   in Loop: Header=BB2_5040 Depth=3
	s_or_b32 exec_lo, exec_lo, s42
	s_xor_b32 s13, s29, -1
	s_delay_alu instid0(SALU_CYCLE_1) | instskip(NEXT) | instid1(SALU_CYCLE_1)
	s_and_b32 s13, exec_lo, s13
	s_or_b32 s15, s13, s15
	s_and_saveexec_b32 s13, s2
	s_cbranch_execz .LBB2_5085
; %bb.5067:                             ;   in Loop: Header=BB2_5040 Depth=3
	s_and_saveexec_b32 s29, s3
	s_delay_alu instid0(SALU_CYCLE_1)
	s_xor_b32 s29, exec_lo, s29
	s_cbranch_execz .LBB2_5082
; %bb.5068:                             ;   in Loop: Header=BB2_5040 Depth=3
	s_and_saveexec_b32 s42, s6
	s_cbranch_execz .LBB2_5081
; %bb.5069:                             ;   in Loop: Header=BB2_5040 Depth=3
	s_mov_b32 s63, exec_lo
	s_mov_b32 s43, exec_lo
	v_mbcnt_lo_u32_b32 v2, s63, 0
	global_wb scope:SCOPE_DEV
	s_wait_storecnt 0x0
	s_wait_loadcnt_dscnt 0x0
	global_inv scope:SCOPE_DEV
	v_cmpx_eq_u32_e32 0, v2
	s_cbranch_execz .LBB2_5071
; %bb.5070:                             ;   in Loop: Header=BB2_5040 Depth=3
	s_bcnt1_i32_b32 s63, s63
	s_delay_alu instid0(SALU_CYCLE_1)
	v_dual_mov_b32 v9, v3 :: v_dual_mov_b32 v8, s63
	s_wait_loadcnt 0x0
	ds_add_u64 v0, v[8:9]
	s_trap 2
.LBB2_5071:                             ;   in Loop: Header=BB2_5040 Depth=3
	s_or_b32 exec_lo, exec_lo, s43
	s_trap 2
	ds_load_b64 v[8:9], v0
	s_wait_dscnt 0x0
	v_add_nc_u64_e32 v[12:13], v[12:13], v[32:33]
	s_mov_b32 s43, exec_lo
	s_delay_alu instid0(VALU_DEP_1)
	v_cmpx_lt_u64_e64 v[8:9], v[12:13]
	s_cbranch_execz .LBB2_5080
; %bb.5072:                             ;   in Loop: Header=BB2_5040 Depth=3
	s_mov_b32 s63, 0
	s_mov_b32 s74, 0
                                        ; implicit-def: $sgpr72
                                        ; implicit-def: $sgpr73
	s_branch .LBB2_5074
.LBB2_5073:                             ;   in Loop: Header=BB2_5074 Depth=4
	s_or_b32 exec_lo, exec_lo, s76
	s_delay_alu instid0(SALU_CYCLE_1) | instskip(NEXT) | instid1(SALU_CYCLE_1)
	s_and_b32 s75, exec_lo, s77
	s_or_b32 s63, s75, s63
	s_and_not1_b32 s72, s72, exec_lo
	s_and_b32 s75, s73, exec_lo
	s_delay_alu instid0(SALU_CYCLE_1)
	s_or_b32 s72, s72, s75
	s_and_not1_b32 exec_lo, exec_lo, s63
	s_cbranch_execz .LBB2_5078
.LBB2_5074:                             ;   Parent Loop BB2_47 Depth=1
                                        ;     Parent Loop BB2_2047 Depth=2
                                        ;       Parent Loop BB2_5040 Depth=3
                                        ; =>      This Inner Loop Header: Depth=4
	s_add_co_i32 s74, s74, 1
	s_delay_alu instid0(SALU_CYCLE_1) | instskip(SKIP_1) | instid1(SALU_CYCLE_1)
	s_cmp_lg_u32 s74, 0x2710
	s_cselect_b32 s75, -1, 0
	s_and_b32 vcc_lo, exec_lo, s75
	s_cbranch_vccz .LBB2_5076
; %bb.5075:                             ;   in Loop: Header=BB2_5074 Depth=4
	s_mov_b32 s77, -1
	s_or_b32 s73, s73, exec_lo
	s_and_saveexec_b32 s76, s75
	s_cbranch_execz .LBB2_5073
	s_branch .LBB2_5077
.LBB2_5076:                             ;   in Loop: Header=BB2_5074 Depth=4
	s_trap 2
	ds_load_b64 v[8:9], v0
	s_and_not1_b32 s75, s75, exec_lo
	s_mov_b32 s74, 0
	s_wait_loadcnt_dscnt 0x0
	flat_load_b32 v2, v[8:9] scope:SCOPE_SYS
	s_wait_loadcnt_dscnt 0x0
	global_inv scope:SCOPE_SYS
	v_cmp_eq_u32_e32 vcc_lo, 0, v2
	s_and_b32 s76, vcc_lo, exec_lo
	s_delay_alu instid0(SALU_CYCLE_1)
	s_or_b32 s75, s75, s76
	s_mov_b32 s77, -1
	s_or_b32 s73, s73, exec_lo
	s_and_saveexec_b32 s76, s75
	s_cbranch_execz .LBB2_5073
.LBB2_5077:                             ;   in Loop: Header=BB2_5074 Depth=4
	s_sleep 1
	s_trap 2
	ds_load_b64 v[8:9], v0
	s_wait_dscnt 0x0
	s_and_not1_b32 s73, s73, exec_lo
	v_cmp_ge_u64_e32 vcc_lo, v[8:9], v[12:13]
	s_or_not1_b32 s77, vcc_lo, exec_lo
	s_branch .LBB2_5073
.LBB2_5078:                             ;   in Loop: Header=BB2_5040 Depth=3
	s_or_b32 exec_lo, exec_lo, s63
	s_and_saveexec_b32 s63, s72
	s_delay_alu instid0(SALU_CYCLE_1)
	s_xor_b32 s63, exec_lo, s63
	s_cbranch_execz .LBB2_5080
; %bb.5079:                             ;   in Loop: Header=BB2_5040 Depth=3
	ds_store_b32 v0, v110
	s_trap 2
.LBB2_5080:                             ;   in Loop: Header=BB2_5040 Depth=3
	s_or_b32 exec_lo, exec_lo, s43
	;;#ASMSTART
	s_wakeup
	;;#ASMEND
.LBB2_5081:                             ;   in Loop: Header=BB2_5040 Depth=3
	s_or_b32 exec_lo, exec_lo, s42
.LBB2_5082:                             ;   in Loop: Header=BB2_5040 Depth=3
	s_and_not1_saveexec_b32 s29, s29
	s_cbranch_execz .LBB2_5084
; %bb.5083:                             ;   in Loop: Header=BB2_5040 Depth=3
	global_wb scope:SCOPE_DEV
	s_wait_storecnt 0x0
	s_wait_loadcnt_dscnt 0x0
	global_inv scope:SCOPE_DEV
	s_barrier_signal -1
	s_barrier_wait -1
.LBB2_5084:                             ;   in Loop: Header=BB2_5040 Depth=3
	s_or_b32 exec_lo, exec_lo, s29
.LBB2_5085:                             ;   in Loop: Header=BB2_5040 Depth=3
	s_delay_alu instid0(SALU_CYCLE_1) | instskip(SKIP_1) | instid1(SALU_CYCLE_1)
	s_or_b32 exec_lo, exec_lo, s13
                                        ; implicit-def: $vgpr2
	s_and_saveexec_b32 s13, s58
	s_xor_b32 s13, exec_lo, s13
	s_cbranch_execz .LBB2_5097
; %bb.5086:                             ;   in Loop: Header=BB2_5040 Depth=3
	s_and_saveexec_b32 s29, s3
	s_delay_alu instid0(SALU_CYCLE_1)
	s_xor_b32 s29, exec_lo, s29
	s_cbranch_execz .LBB2_5102
; %bb.5087:                             ;   in Loop: Header=BB2_5040 Depth=3
	s_and_saveexec_b32 s42, s6
	s_cbranch_execz .LBB2_5101
; %bb.5088:                             ;   in Loop: Header=BB2_5040 Depth=3
	s_mov_b32 s63, exec_lo
	s_mov_b32 s43, exec_lo
	v_mbcnt_lo_u32_b32 v2, s63, 0
	;;#ASMSTART
	s_waitcnt lgkmcnt(0) vmcnt(0)
	;;#ASMEND
	s_delay_alu instid0(VALU_DEP_1)
	v_cmpx_eq_u32_e32 0, v2
	s_cbranch_execz .LBB2_5090
; %bb.5089:                             ;   in Loop: Header=BB2_5040 Depth=3
	s_bcnt1_i32_b32 s63, s63
	s_delay_alu instid0(SALU_CYCLE_1)
	v_dual_mov_b32 v9, v3 :: v_dual_mov_b32 v8, s63
	s_wait_storecnt 0x0
	s_wait_loadcnt_dscnt 0x0
	ds_add_u64 v0, v[8:9]
	s_trap 2
.LBB2_5090:                             ;   in Loop: Header=BB2_5040 Depth=3
	s_or_b32 exec_lo, exec_lo, s43
	s_trap 2
	ds_load_b64 v[8:9], v0
	s_wait_dscnt 0x0
	v_add_nc_u64_e32 v[12:13], v[12:13], v[32:33]
	s_mov_b32 s43, exec_lo
	s_delay_alu instid0(VALU_DEP_1)
	v_cmpx_lt_u64_e64 v[8:9], v[12:13]
	s_cbranch_execz .LBB2_5100
; %bb.5091:                             ;   in Loop: Header=BB2_5040 Depth=3
	s_mov_b32 s63, 0
	s_mov_b32 s74, 0
                                        ; implicit-def: $sgpr72
                                        ; implicit-def: $sgpr73
	s_branch .LBB2_5093
.LBB2_5092:                             ;   in Loop: Header=BB2_5093 Depth=4
	s_or_b32 exec_lo, exec_lo, s76
	s_delay_alu instid0(SALU_CYCLE_1) | instskip(NEXT) | instid1(SALU_CYCLE_1)
	s_and_b32 s75, exec_lo, s77
	s_or_b32 s63, s75, s63
	s_and_not1_b32 s72, s72, exec_lo
	s_and_b32 s75, s73, exec_lo
	s_delay_alu instid0(SALU_CYCLE_1)
	s_or_b32 s72, s72, s75
	s_and_not1_b32 exec_lo, exec_lo, s63
	s_cbranch_execz .LBB2_5098
.LBB2_5093:                             ;   Parent Loop BB2_47 Depth=1
                                        ;     Parent Loop BB2_2047 Depth=2
                                        ;       Parent Loop BB2_5040 Depth=3
                                        ; =>      This Inner Loop Header: Depth=4
	s_add_co_i32 s74, s74, 1
	s_delay_alu instid0(SALU_CYCLE_1) | instskip(SKIP_1) | instid1(SALU_CYCLE_1)
	s_cmp_lg_u32 s74, 0x2710
	s_cselect_b32 s75, -1, 0
	s_and_b32 vcc_lo, exec_lo, s75
	s_cbranch_vccz .LBB2_5095
; %bb.5094:                             ;   in Loop: Header=BB2_5093 Depth=4
	s_mov_b32 s77, -1
	s_or_b32 s73, s73, exec_lo
	s_and_saveexec_b32 s76, s75
	s_cbranch_execz .LBB2_5092
	s_branch .LBB2_5096
.LBB2_5095:                             ;   in Loop: Header=BB2_5093 Depth=4
	s_trap 2
	ds_load_b64 v[8:9], v0
	s_and_not1_b32 s75, s75, exec_lo
	s_mov_b32 s74, 0
	s_wait_storecnt 0x0
	s_wait_loadcnt_dscnt 0x0
	flat_load_b32 v2, v[8:9] scope:SCOPE_SYS
	s_wait_loadcnt_dscnt 0x0
	global_inv scope:SCOPE_SYS
	v_cmp_eq_u32_e32 vcc_lo, 0, v2
	s_and_b32 s76, vcc_lo, exec_lo
	s_delay_alu instid0(SALU_CYCLE_1)
	s_or_b32 s75, s75, s76
	s_mov_b32 s77, -1
	s_or_b32 s73, s73, exec_lo
	s_and_saveexec_b32 s76, s75
	s_cbranch_execz .LBB2_5092
.LBB2_5096:                             ;   in Loop: Header=BB2_5093 Depth=4
	s_sleep 1
	s_trap 2
	ds_load_b64 v[8:9], v0
	s_wait_dscnt 0x0
	s_and_not1_b32 s73, s73, exec_lo
	v_cmp_ge_u64_e32 vcc_lo, v[8:9], v[12:13]
	s_or_not1_b32 s77, vcc_lo, exec_lo
	s_branch .LBB2_5092
.LBB2_5097:                             ;   in Loop: Header=BB2_5040 Depth=3
	s_and_not1_saveexec_b32 s29, s13
	s_cbranch_execnz .LBB2_5105
	s_branch .LBB2_5108
.LBB2_5098:                             ;   in Loop: Header=BB2_5040 Depth=3
	s_or_b32 exec_lo, exec_lo, s63
	s_and_saveexec_b32 s63, s72
	s_delay_alu instid0(SALU_CYCLE_1)
	s_xor_b32 s63, exec_lo, s63
	s_cbranch_execz .LBB2_5100
; %bb.5099:                             ;   in Loop: Header=BB2_5040 Depth=3
	ds_store_b32 v0, v110
	s_trap 2
.LBB2_5100:                             ;   in Loop: Header=BB2_5040 Depth=3
	s_or_b32 exec_lo, exec_lo, s43
	;;#ASMSTART
	s_wakeup
	;;#ASMEND
.LBB2_5101:                             ;   in Loop: Header=BB2_5040 Depth=3
	s_or_b32 exec_lo, exec_lo, s42
.LBB2_5102:                             ;   in Loop: Header=BB2_5040 Depth=3
	s_and_not1_saveexec_b32 s29, s29
	s_cbranch_execz .LBB2_5104
; %bb.5103:                             ;   in Loop: Header=BB2_5040 Depth=3
	;;#ASMSTART
	s_waitcnt lgkmcnt(0) vmcnt(0)
	;;#ASMEND
	s_barrier_signal -1
	s_barrier_wait -1
.LBB2_5104:                             ;   in Loop: Header=BB2_5040 Depth=3
	s_or_b32 exec_lo, exec_lo, s29
	v_and_b32_e32 v2, 16, v106
	s_and_not1_saveexec_b32 s29, s13
	s_cbranch_execz .LBB2_5108
.LBB2_5105:                             ;   in Loop: Header=BB2_5040 Depth=3
	s_trap 2
	ds_load_b32 v2, v0
	v_cmp_lt_i32_e32 vcc_lo, 0, v100
	s_wait_dscnt 0x0
	v_readfirstlane_b32 s13, v2
	v_and_b32_e32 v2, 16, v106
	s_cmp_eq_u32 s13, 0
	s_delay_alu instid0(VALU_DEP_1) | instskip(SKIP_3) | instid1(SALU_CYCLE_1)
	v_cmp_ne_u32_e64 s13, 0, v2
	s_cselect_b32 s42, -1, 0
	v_and_b32_e32 v2, 16, v106
	s_and_b32 s42, vcc_lo, s42
	s_and_b32 s42, s13, s42
	s_delay_alu instid0(SALU_CYCLE_1)
	s_and_saveexec_b32 s13, s42
	s_cbranch_execz .LBB2_5107
; %bb.5106:                             ;   in Loop: Header=BB2_5040 Depth=3
	v_mov_b32_e32 v2, 1
	global_wb scope:SCOPE_SYS
	s_wait_loadcnt 0x0
	s_wait_storecnt 0x0
	global_inv scope:SCOPE_SYS
.LBB2_5107:                             ;   in Loop: Header=BB2_5040 Depth=3
	s_or_b32 exec_lo, exec_lo, s13
.LBB2_5108:                             ;   in Loop: Header=BB2_5040 Depth=3
	s_delay_alu instid0(SALU_CYCLE_1) | instskip(NEXT) | instid1(VALU_DEP_1)
	s_or_b32 exec_lo, exec_lo, s29
	v_cmp_ne_u32_e32 vcc_lo, 0, v2
	s_xor_b32 s13, s4, -1
	s_delay_alu instid0(SALU_CYCLE_1) | instskip(NEXT) | instid1(SALU_CYCLE_1)
	s_and_b32 s29, vcc_lo, s13
	s_and_saveexec_b32 s13, s29
	s_cbranch_execz .LBB2_5110
; %bb.5109:                             ;   in Loop: Header=BB2_5040 Depth=3
	global_wb scope:SCOPE_SYS
	s_wait_storecnt 0x0
	s_wait_loadcnt_dscnt 0x0
	flat_store_b32 v[26:27], v110 scope:SCOPE_SYS
.LBB2_5110:                             ;   in Loop: Header=BB2_5040 Depth=3
	s_wait_xcnt 0x0
	s_or_b32 exec_lo, exec_lo, s13
	v_and_b32_e32 v2, 48, v106
	s_mov_b32 s13, exec_lo
	s_delay_alu instid0(VALU_DEP_1)
	v_cmpx_ne_u32_e32 0, v2
	s_cbranch_execz .LBB2_5039
; %bb.5111:                             ;   in Loop: Header=BB2_5040 Depth=3
	v_add_nc_u64_e32 v[86:87], 2, v[86:87]
	global_wb scope:SCOPE_SYS
	s_wait_storecnt 0x0
	s_wait_loadcnt_dscnt 0x0
	flat_store_b64 v[20:21], v[86:87] scope:SCOPE_SYS
	s_branch .LBB2_5039
.LBB2_5112:                             ;   in Loop: Header=BB2_47 Depth=1
	v_mul_u64_e32 v[8:9], s[16:17], v[84:85]
	v_mov_b32_e32 v102, 0
	s_delay_alu instid0(VALU_DEP_2) | instskip(NEXT) | instid1(VALU_DEP_1)
	v_sub_nc_u64_e32 v[10:11], v[96:97], v[8:9]
	v_min_i64 v[10:11], v[84:85], v[10:11]
	s_delay_alu instid0(VALU_DEP_1) | instskip(SKIP_1) | instid1(VALU_DEP_2)
	v_max_i32_e32 v123, 0, v10
	v_cmp_lt_i32_e32 vcc_lo, 0, v10
	v_add_nc_u32_e32 v2, 31, v123
	s_and_b32 s13, s60, vcc_lo
	s_delay_alu instid0(VALU_DEP_1) | instskip(NEXT) | instid1(VALU_DEP_1)
	v_lshrrev_b32_e32 v2, 1, v2
	v_and_b32_e32 v11, 0x3ffffff0, v2
	s_delay_alu instid0(VALU_DEP_1)
	v_dual_mov_b32 v2, 0 :: v_dual_max_i32 v100, s56, v11
	s_and_saveexec_b32 s18, s13
	s_cbranch_execnz .LBB2_5113
; %bb.11573:                            ;   in Loop: Header=BB2_47 Depth=1
	s_add_pc_i64 .LBB2_10983-.Lpost_addpc5
.Lpost_addpc5:
.LBB2_5113:                             ;   in Loop: Header=BB2_47 Depth=1
	v_add_nc_u64_e32 v[112:113], v[8:9], v[98:99]
	v_mov_b32_e32 v102, 0
	s_mov_b32 s72, 1
	s_mov_b32 s63, -1
	s_mov_b32 s29, 0
	s_branch .LBB2_5115
.LBB2_5114:                             ;   in Loop: Header=BB2_5115 Depth=2
	s_wait_xcnt 0x0
	s_or_b32 exec_lo, exec_lo, s13
	v_dual_add_nc_u32 v102, v100, v102 :: v_dual_mov_b32 v2, s72
	s_xor_b32 s13, s63, -1
	s_mov_b32 s63, 0
	s_mov_b32 s72, 2
	s_delay_alu instid0(VALU_DEP_1) | instskip(SKIP_1) | instid1(SALU_CYCLE_1)
	v_cmp_ge_i32_e32 vcc_lo, v102, v123
	s_or_b32 s13, s13, vcc_lo
	s_and_b32 s13, exec_lo, s13
	s_delay_alu instid0(SALU_CYCLE_1) | instskip(NEXT) | instid1(SALU_CYCLE_1)
	s_or_b32 s29, s13, s29
	s_and_not1_b32 exec_lo, exec_lo, s29
	s_cbranch_execnz .LBB2_5115
; %bb.11575:                            ;   in Loop: Header=BB2_47 Depth=1
	s_add_pc_i64 .LBB2_10982-.Lpost_addpc6
.Lpost_addpc6:
.LBB2_5115:                             ;   Parent Loop BB2_47 Depth=1
                                        ; =>  This Loop Header: Depth=2
                                        ;       Child Loop BB2_5123 Depth 3
                                        ;       Child Loop BB2_5151 Depth 3
	;; [unrolled: 1-line block ×4, first 2 shown]
                                        ;         Child Loop BB2_6234 Depth 4
                                        ;       Child Loop BB2_6264 Depth 3
                                        ;         Child Loop BB2_7305 Depth 4
                                        ;       Child Loop BB2_7338 Depth 3
                                        ;       Child Loop BB2_7973 Depth 3
                                        ;         Child Loop BB2_8060 Depth 4
                                        ;       Child Loop BB2_8074 Depth 3
                                        ;       Child Loop BB2_9143 Depth 3
	;; [unrolled: 1-line block ×6, first 2 shown]
	s_and_saveexec_b32 s13, s0
	s_cbranch_execz .LBB2_5117
; %bb.5116:                             ;   in Loop: Header=BB2_5115 Depth=2
	s_trap 2
	ds_load_b64 v[16:17], v0
	ds_load_2addr_b64 v[8:11], v0 offset1:1
	s_wait_dscnt 0x1
	v_add_nc_u64_e32 v[18:19], v[16:17], v[112:113]
	v_cmp_ne_u64_e32 vcc_lo, 0, v[16:17]
	v_ashrrev_i32_e32 v103, 31, v102
	s_wait_dscnt 0x0
	v_add_nc_u64_e32 v[8:9], v[8:9], v[112:113]
	v_add_nc_u64_e32 v[10:11], v[10:11], v[112:113]
	s_delay_alu instid0(VALU_DEP_3) | instskip(NEXT) | instid1(VALU_DEP_1)
	v_add_nc_u64_e32 v[18:19], v[18:19], v[102:103]
	v_cndmask_b32_e32 v17, 0, v19, vcc_lo
	s_delay_alu instid0(VALU_DEP_4) | instskip(NEXT) | instid1(VALU_DEP_4)
	v_add_nc_u64_e32 v[8:9], v[8:9], v[102:103]
	v_add_nc_u64_e32 v[10:11], v[10:11], v[102:103]
	s_delay_alu instid0(VALU_DEP_4)
	v_cndmask_b32_e32 v16, 0, v18, vcc_lo
	ds_store_b64 v0, v[8:9]
	ds_store_b64 v0, v[10:11]
	;; [unrolled: 1-line block ×3, first 2 shown]
.LBB2_5117:                             ;   in Loop: Header=BB2_5115 Depth=2
	s_or_b32 exec_lo, exec_lo, s13
	v_sub_nc_u32_e32 v2, v123, v102
	v_and_b32_e32 v8, 12, v106
	s_mov_b32 s14, exec_lo
	s_delay_alu instid0(VALU_DEP_2) | instskip(NEXT) | instid1(VALU_DEP_2)
	v_min_i32_e32 v100, v100, v2
	v_cmpx_ne_u32_e32 0, v8
	s_cbranch_execz .LBB2_5143
; %bb.5118:                             ;   in Loop: Header=BB2_5115 Depth=2
	v_dual_mov_b32 v11, v3 :: v_dual_bitop2_b32 v10, 8, v106 bitop3:0x40
	v_add_nc_u64_e32 v[8:9], 2, v[86:87]
	s_mov_b32 s15, exec_lo
	s_wait_loadcnt_dscnt 0x1
	s_delay_alu instid0(VALU_DEP_2) | instskip(NEXT) | instid1(VALU_DEP_1)
	v_add_nc_u64_e32 v[16:17], v[28:29], v[10:11]
	v_cmpx_lt_u64_e64 v[16:17], v[8:9]
	s_cbranch_execz .LBB2_5130
; %bb.5119:                             ;   in Loop: Header=BB2_5115 Depth=2
	v_and_b32_e32 v2, 64, v106
	s_mov_b32 s42, 0
	s_mov_b32 s75, 0
                                        ; implicit-def: $sgpr43
                                        ; implicit-def: $sgpr73
                                        ; implicit-def: $sgpr74
	s_delay_alu instid0(VALU_DEP_1)
	v_cmp_eq_u32_e32 vcc_lo, 0, v2
	s_branch .LBB2_5123
.LBB2_5120:                             ;   in Loop: Header=BB2_5123 Depth=3
	s_wait_loadcnt_dscnt 0x0
	v_add_nc_u64_e32 v[16:17], v[28:29], v[10:11]
	s_or_b32 s78, s78, exec_lo
	s_delay_alu instid0(VALU_DEP_1)
	v_cmp_ge_u64_e64 s13, v[16:17], v[8:9]
	s_or_not1_b32 s77, s13, exec_lo
.LBB2_5121:                             ;   in Loop: Header=BB2_5123 Depth=3
	s_or_b32 exec_lo, exec_lo, s88
	s_delay_alu instid0(SALU_CYCLE_1)
	s_and_not1_b32 s13, s74, exec_lo
	s_and_b32 s74, s78, exec_lo
	s_and_not1_b32 s73, s73, exec_lo
	s_and_b32 s77, s77, exec_lo
	s_or_b32 s74, s13, s74
	s_or_b32 s73, s73, s77
.LBB2_5122:                             ;   in Loop: Header=BB2_5123 Depth=3
	s_or_b32 exec_lo, exec_lo, s76
	s_delay_alu instid0(SALU_CYCLE_1) | instskip(NEXT) | instid1(SALU_CYCLE_1)
	s_and_b32 s13, exec_lo, s73
	s_or_b32 s42, s13, s42
	s_and_not1_b32 s13, s43, exec_lo
	s_and_b32 s43, s74, exec_lo
	s_delay_alu instid0(SALU_CYCLE_1)
	s_or_b32 s43, s13, s43
	s_and_not1_b32 exec_lo, exec_lo, s42
	s_cbranch_execz .LBB2_5127
.LBB2_5123:                             ;   Parent Loop BB2_47 Depth=1
                                        ;     Parent Loop BB2_5115 Depth=2
                                        ; =>    This Inner Loop Header: Depth=3
	s_sleep 1
	s_wait_loadcnt_dscnt 0x0
	flat_load_b64 v[28:29], v[20:21] scope:SCOPE_SYS
	s_or_b32 s74, s74, exec_lo
	s_or_b32 s73, s73, exec_lo
                                        ; implicit-def: $vgpr2
	s_wait_xcnt 0x0
	s_and_saveexec_b32 s76, vcc_lo
	s_cbranch_execz .LBB2_5122
; %bb.5124:                             ;   in Loop: Header=BB2_5123 Depth=3
	s_cmp_lt_i32 s75, 0x270f
	s_mov_b32 s77, -1
	s_cselect_b32 s79, -1, 0
	s_cmp_gt_i32 s75, 0x270e
	s_cbranch_scc0 .LBB2_5126
; %bb.5125:                             ;   in Loop: Header=BB2_5123 Depth=3
	s_trap 2
	ds_load_b64 v[16:17], v0
	s_and_not1_b32 s75, s79, exec_lo
	s_mov_b32 s78, 0
	s_wait_storecnt 0x0
	s_wait_loadcnt_dscnt 0x0
	flat_load_b32 v2, v[16:17] scope:SCOPE_SYS
	s_wait_loadcnt_dscnt 0x0
	global_inv scope:SCOPE_SYS
	v_cmp_eq_u32_e64 s13, 0, v2
	s_and_b32 s13, s13, exec_lo
	s_delay_alu instid0(SALU_CYCLE_1)
	s_or_b32 s79, s75, s13
	s_mov_b32 s75, 0
	s_and_saveexec_b32 s88, s79
	s_cbranch_execz .LBB2_5121
	s_branch .LBB2_5120
.LBB2_5126:                             ;   in Loop: Header=BB2_5123 Depth=3
	s_add_co_i32 s75, s75, 1
	s_mov_b32 s78, -1
                                        ; implicit-def: $vgpr2
	s_and_saveexec_b32 s88, s79
	s_cbranch_execz .LBB2_5121
	s_branch .LBB2_5120
.LBB2_5127:                             ;   in Loop: Header=BB2_5115 Depth=2
	s_or_b32 exec_lo, exec_lo, s42
	s_xor_b32 s13, s43, -1
	s_delay_alu instid0(SALU_CYCLE_1) | instskip(NEXT) | instid1(SALU_CYCLE_1)
	s_and_saveexec_b32 s42, s13
	s_xor_b32 s13, exec_lo, s42
	s_cbranch_execz .LBB2_5129
; %bb.5128:                             ;   in Loop: Header=BB2_5115 Depth=2
	v_or_b32_e32 v106, 64, v106
	s_wait_storecnt 0x0
	s_wait_loadcnt_dscnt 0x0
	ds_store_b32 v0, v2
	s_trap 2
.LBB2_5129:                             ;   in Loop: Header=BB2_5115 Depth=2
	s_or_b32 exec_lo, exec_lo, s13
.LBB2_5130:                             ;   in Loop: Header=BB2_5115 Depth=2
	s_delay_alu instid0(SALU_CYCLE_1) | instskip(SKIP_3) | instid1(VALU_DEP_1)
	s_or_b32 exec_lo, exec_lo, s15
	v_and_b32_e32 v2, 0x108, v106
	s_mov_b32 s13, exec_lo
	;;#ASMSTART
	s_wakeup
	;;#ASMEND
                                        ; implicit-def: $vgpr114_vgpr115
	v_cmpx_ne_u32_e32 0x108, v2
	s_xor_b32 s13, exec_lo, s13
; %bb.5131:                             ;   in Loop: Header=BB2_5115 Depth=2
	v_dual_mov_b32 v115, v3 :: v_dual_bitop2_b32 v114, 7, v86 bitop3:0x40
                                        ; implicit-def: $vgpr86_vgpr87
; %bb.5132:                             ;   in Loop: Header=BB2_5115 Depth=2
	s_and_not1_saveexec_b32 s13, s13
	s_cbranch_execz .LBB2_5134
; %bb.5133:                             ;   in Loop: Header=BB2_5115 Depth=2
	v_dual_ashrrev_i32 v101, 31, v100 :: v_dual_bitop2_b32 v114, 7, v86 bitop3:0x40
	v_mov_b32_e32 v115, v3
	s_delay_alu instid0(VALU_DEP_2)
	v_mad_nc_u64_u32 v[16:17], v114, 24, v[6:7]
	flat_store_b64 v[16:17], v[100:101] offset:8
.LBB2_5134:                             ;   in Loop: Header=BB2_5115 Depth=2
	s_wait_xcnt 0x0
	s_or_b32 exec_lo, exec_lo, s13
	v_and_b32_e32 v2, 0x100, v106
	s_mov_b32 s13, -1
	s_mov_b32 s15, exec_lo
                                        ; implicit-def: $vgpr86_vgpr87
	s_delay_alu instid0(VALU_DEP_1)
	v_cmpx_ne_u32_e32 0, v2
	s_cbranch_execz .LBB2_5138
; %bb.5135:                             ;   in Loop: Header=BB2_5115 Depth=2
	v_mad_nc_u64_u32 v[116:117], v114, 24, v[6:7]
	s_mov_b32 s42, exec_lo
                                        ; implicit-def: $vgpr86_vgpr87
	s_delay_alu instid0(VALU_DEP_1)
	v_mad_u32 v117, v115, 24, v117
	flat_load_b32 v2, v[116:117]
	s_wait_loadcnt_dscnt 0x0
	v_cmp_ne_u32_e32 vcc_lo, 1, v2
	s_wait_xcnt 0x0
	v_cmpx_eq_u32_e32 1, v2
	s_cbranch_execz .LBB2_5137
; %bb.5136:                             ;   in Loop: Header=BB2_5115 Depth=2
	flat_load_b32 v86, v[116:117] offset:4 scope:SCOPE_SYS
	s_wait_loadcnt_dscnt 0x0
	v_ashrrev_i32_e32 v87, 31, v86
.LBB2_5137:                             ;   in Loop: Header=BB2_5115 Depth=2
	s_wait_xcnt 0x0
	s_or_b32 exec_lo, exec_lo, s42
	s_delay_alu instid0(SALU_CYCLE_1)
	s_or_not1_b32 s13, vcc_lo, exec_lo
.LBB2_5138:                             ;   in Loop: Header=BB2_5115 Depth=2
	s_or_b32 exec_lo, exec_lo, s15
	s_and_saveexec_b32 s15, s13
; %bb.5139:                             ;   in Loop: Header=BB2_5115 Depth=2
	v_mul_u64_e32 v[86:87], v[114:115], v[22:23]
; %bb.5140:                             ;   in Loop: Header=BB2_5115 Depth=2
	s_or_b32 exec_lo, exec_lo, s15
	v_cmp_eq_u32_e32 vcc_lo, 0, v10
	s_delay_alu instid0(VALU_DEP_2) | instskip(SKIP_3) | instid1(VALU_DEP_1)
	v_add_nc_u64_e32 v[10:11], v[24:25], v[86:87]
	v_and_b32_e32 v16, 0x2000, v106
	s_mov_b32 s13, exec_lo
	v_cndmask_b32_e32 v2, 0xd0, v121, vcc_lo
	v_add_nc_u32_e32 v2, v0, v2
	ds_store_b64 v2, v[10:11] offset:584
	v_cmpx_ne_u32_e32 0, v16
	s_cbranch_execz .LBB2_5142
; %bb.5141:                             ;   in Loop: Header=BB2_5115 Depth=2
	ds_load_b64 v[10:11], v0 offset:872
	s_wait_dscnt 0x0
	v_add_nc_u64_e32 v[10:11], 1, v[10:11]
	ds_store_b64 v0, v[10:11] offset:872
.LBB2_5142:                             ;   in Loop: Header=BB2_5115 Depth=2
	s_or_b32 exec_lo, exec_lo, s13
	v_mov_b64_e32 v[86:87], v[8:9]
.LBB2_5143:                             ;   in Loop: Header=BB2_5115 Depth=2
	s_or_b32 exec_lo, exec_lo, s14
	s_and_saveexec_b32 s13, s2
	s_cbranch_execz .LBB2_5162
; %bb.5144:                             ;   in Loop: Header=BB2_5115 Depth=2
	s_and_saveexec_b32 s14, s3
	s_delay_alu instid0(SALU_CYCLE_1)
	s_xor_b32 s14, exec_lo, s14
	s_cbranch_execz .LBB2_5159
; %bb.5145:                             ;   in Loop: Header=BB2_5115 Depth=2
	s_and_saveexec_b32 s15, s6
	s_cbranch_execz .LBB2_5158
; %bb.5146:                             ;   in Loop: Header=BB2_5115 Depth=2
	s_mov_b32 s43, exec_lo
	s_mov_b32 s42, exec_lo
	v_mbcnt_lo_u32_b32 v2, s43, 0
	global_wb scope:SCOPE_DEV
	s_wait_storecnt 0x0
	s_wait_loadcnt_dscnt 0x0
	global_inv scope:SCOPE_DEV
	v_cmpx_eq_u32_e32 0, v2
	s_cbranch_execz .LBB2_5148
; %bb.5147:                             ;   in Loop: Header=BB2_5115 Depth=2
	s_bcnt1_i32_b32 s43, s43
	s_delay_alu instid0(SALU_CYCLE_1)
	v_dual_mov_b32 v9, v3 :: v_dual_mov_b32 v8, s43
	s_wait_loadcnt 0x0
	ds_add_u64 v0, v[8:9]
	s_trap 2
.LBB2_5148:                             ;   in Loop: Header=BB2_5115 Depth=2
	s_or_b32 exec_lo, exec_lo, s42
	s_trap 2
	ds_load_b64 v[8:9], v0
	s_wait_dscnt 0x0
	v_add_nc_u64_e32 v[12:13], v[12:13], v[32:33]
	s_mov_b32 s42, exec_lo
	s_delay_alu instid0(VALU_DEP_1)
	v_cmpx_lt_u64_e64 v[8:9], v[12:13]
	s_cbranch_execz .LBB2_5157
; %bb.5149:                             ;   in Loop: Header=BB2_5115 Depth=2
	s_mov_b32 s43, 0
	s_mov_b32 s75, 0
                                        ; implicit-def: $sgpr73
                                        ; implicit-def: $sgpr74
	s_branch .LBB2_5151
.LBB2_5150:                             ;   in Loop: Header=BB2_5151 Depth=3
	s_or_b32 exec_lo, exec_lo, s77
	s_delay_alu instid0(SALU_CYCLE_1) | instskip(NEXT) | instid1(SALU_CYCLE_1)
	s_and_b32 s76, exec_lo, s78
	s_or_b32 s43, s76, s43
	s_and_not1_b32 s73, s73, exec_lo
	s_and_b32 s76, s74, exec_lo
	s_delay_alu instid0(SALU_CYCLE_1)
	s_or_b32 s73, s73, s76
	s_and_not1_b32 exec_lo, exec_lo, s43
	s_cbranch_execz .LBB2_5155
.LBB2_5151:                             ;   Parent Loop BB2_47 Depth=1
                                        ;     Parent Loop BB2_5115 Depth=2
                                        ; =>    This Inner Loop Header: Depth=3
	s_add_co_i32 s75, s75, 1
	s_delay_alu instid0(SALU_CYCLE_1) | instskip(SKIP_1) | instid1(SALU_CYCLE_1)
	s_cmp_lg_u32 s75, 0x2710
	s_cselect_b32 s76, -1, 0
	s_and_b32 vcc_lo, exec_lo, s76
	s_cbranch_vccz .LBB2_5153
; %bb.5152:                             ;   in Loop: Header=BB2_5151 Depth=3
	s_mov_b32 s78, -1
	s_or_b32 s74, s74, exec_lo
	s_and_saveexec_b32 s77, s76
	s_cbranch_execz .LBB2_5150
	s_branch .LBB2_5154
.LBB2_5153:                             ;   in Loop: Header=BB2_5151 Depth=3
	s_trap 2
	ds_load_b64 v[8:9], v0
	s_and_not1_b32 s76, s76, exec_lo
	s_mov_b32 s75, 0
	s_wait_loadcnt_dscnt 0x0
	flat_load_b32 v2, v[8:9] scope:SCOPE_SYS
	s_wait_loadcnt_dscnt 0x0
	global_inv scope:SCOPE_SYS
	v_cmp_eq_u32_e32 vcc_lo, 0, v2
	s_and_b32 s77, vcc_lo, exec_lo
	s_delay_alu instid0(SALU_CYCLE_1)
	s_or_b32 s76, s76, s77
	s_mov_b32 s78, -1
	s_or_b32 s74, s74, exec_lo
	s_and_saveexec_b32 s77, s76
	s_cbranch_execz .LBB2_5150
.LBB2_5154:                             ;   in Loop: Header=BB2_5151 Depth=3
	s_sleep 1
	s_trap 2
	ds_load_b64 v[8:9], v0
	s_wait_dscnt 0x0
	s_and_not1_b32 s74, s74, exec_lo
	v_cmp_ge_u64_e32 vcc_lo, v[8:9], v[12:13]
	s_or_not1_b32 s78, vcc_lo, exec_lo
	s_branch .LBB2_5150
.LBB2_5155:                             ;   in Loop: Header=BB2_5115 Depth=2
	s_or_b32 exec_lo, exec_lo, s43
	s_and_saveexec_b32 s43, s73
	s_delay_alu instid0(SALU_CYCLE_1)
	s_xor_b32 s43, exec_lo, s43
	s_cbranch_execz .LBB2_5157
; %bb.5156:                             ;   in Loop: Header=BB2_5115 Depth=2
	ds_store_b32 v0, v110
	s_trap 2
.LBB2_5157:                             ;   in Loop: Header=BB2_5115 Depth=2
	s_or_b32 exec_lo, exec_lo, s42
	;;#ASMSTART
	s_wakeup
	;;#ASMEND
.LBB2_5158:                             ;   in Loop: Header=BB2_5115 Depth=2
	s_or_b32 exec_lo, exec_lo, s15
.LBB2_5159:                             ;   in Loop: Header=BB2_5115 Depth=2
	s_and_not1_saveexec_b32 s14, s14
	s_cbranch_execz .LBB2_5161
; %bb.5160:                             ;   in Loop: Header=BB2_5115 Depth=2
	global_wb scope:SCOPE_DEV
	s_wait_storecnt 0x0
	s_wait_loadcnt_dscnt 0x0
	global_inv scope:SCOPE_DEV
	s_barrier_signal -1
	s_barrier_wait -1
.LBB2_5161:                             ;   in Loop: Header=BB2_5115 Depth=2
	s_or_b32 exec_lo, exec_lo, s14
.LBB2_5162:                             ;   in Loop: Header=BB2_5115 Depth=2
	s_delay_alu instid0(SALU_CYCLE_1) | instskip(SKIP_4) | instid1(VALU_DEP_1)
	s_or_b32 exec_lo, exec_lo, s13
	s_trap 2
	ds_load_b32 v2, v0
	v_and_b32_e32 v8, 0x4000, v106
	s_xor_b32 s13, s1, -1
	v_cmp_ne_u32_e32 vcc_lo, 0, v8
	s_and_b32 s14, s13, vcc_lo
	s_delay_alu instid0(SALU_CYCLE_1)
	s_and_saveexec_b32 s13, s14
	s_cbranch_execz .LBB2_5181
; %bb.5163:                             ;   in Loop: Header=BB2_5115 Depth=2
	s_and_saveexec_b32 s14, s3
	s_delay_alu instid0(SALU_CYCLE_1)
	s_xor_b32 s14, exec_lo, s14
	s_cbranch_execz .LBB2_5178
; %bb.5164:                             ;   in Loop: Header=BB2_5115 Depth=2
	s_and_saveexec_b32 s15, s6
	s_cbranch_execz .LBB2_5177
; %bb.5165:                             ;   in Loop: Header=BB2_5115 Depth=2
	s_mov_b32 s43, exec_lo
	s_mov_b32 s42, exec_lo
	v_mbcnt_lo_u32_b32 v8, s43, 0
	global_wb scope:SCOPE_DEV
	s_wait_storecnt 0x0
	s_wait_loadcnt_dscnt 0x0
	global_inv scope:SCOPE_DEV
	v_cmpx_eq_u32_e32 0, v8
	s_cbranch_execz .LBB2_5167
; %bb.5166:                             ;   in Loop: Header=BB2_5115 Depth=2
	s_bcnt1_i32_b32 s43, s43
	s_delay_alu instid0(SALU_CYCLE_1)
	v_dual_mov_b32 v9, v3 :: v_dual_mov_b32 v8, s43
	s_wait_loadcnt 0x0
	ds_add_u64 v0, v[8:9]
	s_trap 2
.LBB2_5167:                             ;   in Loop: Header=BB2_5115 Depth=2
	s_or_b32 exec_lo, exec_lo, s42
	s_trap 2
	ds_load_b64 v[8:9], v0
	s_wait_dscnt 0x0
	v_add_nc_u64_e32 v[12:13], v[12:13], v[32:33]
	s_mov_b32 s42, exec_lo
	s_delay_alu instid0(VALU_DEP_1)
	v_cmpx_lt_u64_e64 v[8:9], v[12:13]
	s_cbranch_execz .LBB2_5176
; %bb.5168:                             ;   in Loop: Header=BB2_5115 Depth=2
	s_mov_b32 s43, 0
	s_mov_b32 s75, 0
                                        ; implicit-def: $sgpr73
                                        ; implicit-def: $sgpr74
	s_branch .LBB2_5170
.LBB2_5169:                             ;   in Loop: Header=BB2_5170 Depth=3
	s_or_b32 exec_lo, exec_lo, s77
	s_delay_alu instid0(SALU_CYCLE_1) | instskip(NEXT) | instid1(SALU_CYCLE_1)
	s_and_b32 s76, exec_lo, s78
	s_or_b32 s43, s76, s43
	s_and_not1_b32 s73, s73, exec_lo
	s_and_b32 s76, s74, exec_lo
	s_delay_alu instid0(SALU_CYCLE_1)
	s_or_b32 s73, s73, s76
	s_and_not1_b32 exec_lo, exec_lo, s43
	s_cbranch_execz .LBB2_5174
.LBB2_5170:                             ;   Parent Loop BB2_47 Depth=1
                                        ;     Parent Loop BB2_5115 Depth=2
                                        ; =>    This Inner Loop Header: Depth=3
	s_add_co_i32 s75, s75, 1
	s_delay_alu instid0(SALU_CYCLE_1) | instskip(SKIP_1) | instid1(SALU_CYCLE_1)
	s_cmp_lg_u32 s75, 0x2710
	s_cselect_b32 s76, -1, 0
	s_and_b32 vcc_lo, exec_lo, s76
	s_cbranch_vccz .LBB2_5172
; %bb.5171:                             ;   in Loop: Header=BB2_5170 Depth=3
	s_mov_b32 s78, -1
	s_or_b32 s74, s74, exec_lo
	s_and_saveexec_b32 s77, s76
	s_cbranch_execz .LBB2_5169
	s_branch .LBB2_5173
.LBB2_5172:                             ;   in Loop: Header=BB2_5170 Depth=3
	s_trap 2
	ds_load_b64 v[8:9], v0
	s_and_not1_b32 s76, s76, exec_lo
	s_mov_b32 s75, 0
	s_wait_loadcnt_dscnt 0x0
	flat_load_b32 v8, v[8:9] scope:SCOPE_SYS
	s_wait_loadcnt_dscnt 0x0
	global_inv scope:SCOPE_SYS
	v_cmp_eq_u32_e32 vcc_lo, 0, v8
	s_and_b32 s77, vcc_lo, exec_lo
	s_delay_alu instid0(SALU_CYCLE_1)
	s_or_b32 s76, s76, s77
	s_mov_b32 s78, -1
	s_or_b32 s74, s74, exec_lo
	s_and_saveexec_b32 s77, s76
	s_cbranch_execz .LBB2_5169
.LBB2_5173:                             ;   in Loop: Header=BB2_5170 Depth=3
	s_sleep 1
	s_trap 2
	ds_load_b64 v[8:9], v0
	s_wait_dscnt 0x0
	s_and_not1_b32 s74, s74, exec_lo
	v_cmp_ge_u64_e32 vcc_lo, v[8:9], v[12:13]
	s_or_not1_b32 s78, vcc_lo, exec_lo
	s_branch .LBB2_5169
.LBB2_5174:                             ;   in Loop: Header=BB2_5115 Depth=2
	s_or_b32 exec_lo, exec_lo, s43
	s_and_saveexec_b32 s43, s73
	s_delay_alu instid0(SALU_CYCLE_1)
	s_xor_b32 s43, exec_lo, s43
	s_cbranch_execz .LBB2_5176
; %bb.5175:                             ;   in Loop: Header=BB2_5115 Depth=2
	ds_store_b32 v0, v110
	s_trap 2
.LBB2_5176:                             ;   in Loop: Header=BB2_5115 Depth=2
	s_or_b32 exec_lo, exec_lo, s42
	;;#ASMSTART
	s_wakeup
	;;#ASMEND
.LBB2_5177:                             ;   in Loop: Header=BB2_5115 Depth=2
	s_or_b32 exec_lo, exec_lo, s15
.LBB2_5178:                             ;   in Loop: Header=BB2_5115 Depth=2
	s_and_not1_saveexec_b32 s14, s14
	s_cbranch_execz .LBB2_5180
; %bb.5179:                             ;   in Loop: Header=BB2_5115 Depth=2
	global_wb scope:SCOPE_DEV
	s_wait_storecnt 0x0
	s_wait_loadcnt_dscnt 0x0
	global_inv scope:SCOPE_DEV
	s_barrier_signal -1
	s_barrier_wait -1
.LBB2_5180:                             ;   in Loop: Header=BB2_5115 Depth=2
	s_or_b32 exec_lo, exec_lo, s14
.LBB2_5181:                             ;   in Loop: Header=BB2_5115 Depth=2
	s_delay_alu instid0(SALU_CYCLE_1)
	s_or_b32 exec_lo, exec_lo, s13
	s_trap 2
	ds_load_b64 v[114:115], v0
	s_wait_dscnt 0x0
	v_cmp_eq_u64_e32 vcc_lo, 0, v[114:115]
	s_cbranch_vccnz .LBB2_5190
; %bb.5182:                             ;   in Loop: Header=BB2_5115 Depth=2
	s_trap 2
	ds_load_b64 v[116:117], v0
	s_wait_dscnt 0x0
	v_cmp_eq_u64_e32 vcc_lo, 0, v[116:117]
	s_cbranch_vccnz .LBB2_5190
; %bb.5183:                             ;   in Loop: Header=BB2_5115 Depth=2
	s_trap 2
	ds_load_b64 v[118:119], v0
	v_cmp_eq_u32_e64 s13, 0, v2
	s_delay_alu instid0(VALU_DEP_1)
	v_cndmask_b32_e64 v101, 0, v100, s13
	s_mov_b32 s13, -1
	s_wait_dscnt 0x0
	v_cmp_ne_u64_e32 vcc_lo, 0, v[118:119]
	s_cbranch_vccz .LBB2_8063
; %bb.5184:                             ;   in Loop: Header=BB2_5115 Depth=2
	s_and_saveexec_b32 s14, s11
	s_cbranch_execz .LBB2_5186
; %bb.5185:                             ;   in Loop: Header=BB2_5115 Depth=2
	ds_load_b32 v2, v0 offset:720
	s_wait_dscnt 0x0
	v_and_b32_e32 v2, 15, v2
	s_delay_alu instid0(VALU_DEP_1)
	v_cmp_eq_u32_e32 vcc_lo, 0, v2
	s_or_not1_b32 s13, vcc_lo, exec_lo
.LBB2_5186:                             ;   in Loop: Header=BB2_5115 Depth=2
	s_or_b32 exec_lo, exec_lo, s14
	s_and_saveexec_b32 s14, s11
	s_cbranch_execz .LBB2_5188
; %bb.5187:                             ;   in Loop: Header=BB2_5115 Depth=2
	ds_load_b32 v2, v0 offset:784
	s_wait_dscnt 0x0
	v_and_b32_e32 v2, 15, v2
	s_delay_alu instid0(VALU_DEP_1) | instskip(SKIP_3) | instid1(SALU_CYCLE_1)
	v_cmp_eq_u32_e32 vcc_lo, 0, v2
	s_and_b32 s15, s13, vcc_lo
	s_and_not1_b32 s13, s13, exec_lo
	s_and_b32 s15, s15, exec_lo
	s_or_b32 s13, s13, s15
.LBB2_5188:                             ;   in Loop: Header=BB2_5115 Depth=2
	s_or_b32 exec_lo, exec_lo, s14
	s_xor_b32 s13, s13, -1
	v_dual_mov_b32 v30, 0 :: v_dual_mov_b32 v124, v101
	v_cndmask_b32_e64 v2, 0, 1, s13
	v_mov_b32_e32 v125, v0
	s_mov_b32 s14, -1
	s_delay_alu instid0(VALU_DEP_2)
	v_cmp_ne_u32_e32 vcc_lo, 0, v2
	s_cbranch_vccz .LBB2_5191
; %bb.5189:                             ;   in Loop: Header=BB2_5115 Depth=2
	s_and_saveexec_b32 s73, s14
	s_cbranch_execz .LBB2_8062
	s_branch .LBB2_7334
.LBB2_5190:                             ;   in Loop: Header=BB2_5115 Depth=2
	s_mov_b32 s13, 0
	s_and_saveexec_b32 s14, s2
	s_cbranch_execnz .LBB2_11563
; %bb.11577:                            ;   in Loop: Header=BB2_5115 Depth=2
	s_add_pc_i64 .LBB2_10955-.Lpost_addpc7
.Lpost_addpc7:
.LBB2_11563:                            ;   in Loop: Header=BB2_5115 Depth=2
	s_add_pc_i64 .LBB2_10937-.Lpost_addpc0
.Lpost_addpc0:
.LBB2_5191:                             ;   in Loop: Header=BB2_5115 Depth=2
	v_dual_ashrrev_i32 v2, 31, v101 :: v_dual_sub_nc_u32 v103, v101, v38
	s_mov_b32 s73, exec_lo
	s_delay_alu instid0(VALU_DEP_1) | instskip(NEXT) | instid1(VALU_DEP_1)
	v_lshrrev_b32_e32 v2, 23, v2
	v_add_nc_u32_e32 v2, v101, v2
	s_delay_alu instid0(VALU_DEP_1) | instskip(NEXT) | instid1(VALU_DEP_1)
	v_and_b32_e32 v73, 0xfffffe00, v2
	v_dual_ashrrev_i32 v2, 9, v2 :: v_dual_sub_nc_u32 v72, v101, v73
	s_delay_alu instid0(VALU_DEP_1) | instskip(NEXT) | instid1(VALU_DEP_2)
	v_sub_nc_u32_e32 v2, v2, v109
	v_cmp_lt_i32_e64 s13, 15, v72
	s_delay_alu instid0(VALU_DEP_1)
	v_add_co_ci_u32_e64 v62, null, 0, v2, s13
	v_cmpx_lt_i32_e32 15, v103
	s_cbranch_execz .LBB2_6261
; %bb.5192:                             ;   in Loop: Header=BB2_5115 Depth=2
	s_trap 2
	ds_load_b64 v[8:9], v0
	v_add_nc_u64_e32 v[40:41], v[114:115], v[38:39]
	v_add_nc_u64_e32 v[42:43], v[116:117], v[38:39]
	;; [unrolled: 1-line block ×3, first 2 shown]
	s_wait_dscnt 0x0
	v_readfirstlane_b32 s14, v8
	v_readfirstlane_b32 s15, v9
	v_add_nc_u64_e32 v[46:47], v[8:9], v[38:39]
	s_and_b32 s43, s14, 3
	s_bfe_i32 s42, s14, 0x80000
	s_clz_i32_u32 s76, s43
	s_bfe_u32 s74, s14, 0x50002
	s_min_u32 s76, s76, 32
	s_and_b32 s75, s14, 0x7c
	s_sub_co_i32 s79, s76, 29
	s_lshl_b32 s77, s14, 24
	s_sext_i32_i8 s78, s14
	s_lshl_b64 s[14:15], s[14:15], s79
	s_and_b32 s77, s77, 0x80000000
	s_sub_co_i32 s15, 30, s76
	s_and_b32 s14, s14, 3
	s_cmp_gt_i32 s78, -1
	s_cselect_b32 s76, s47, 0xff800000
	s_cmp_eq_u32 s43, 0
	s_cselect_b32 s76, s76, 0x7f800001
	s_cmp_eq_u32 s74, 0
	s_cselect_b32 s15, s15, s74
	s_cselect_b32 s14, s14, s43
	s_lshl_b32 s15, s15, 23
	s_lshl_b32 s14, s14, 21
	s_add_co_i32 s15, s15, s77
	s_mov_b32 s74, 0
	s_or_b32 s14, s15, s14
	s_delay_alu instid0(SALU_CYCLE_1)
	s_add_co_i32 s14, s14, 0x38000000
	s_cmp_eq_u32 s75, 0x7c
	s_cselect_b32 s75, s76, s14
	s_and_b32 s76, s42, 0xff
.LBB2_5193:                             ;   Parent Loop BB2_47 Depth=1
                                        ;     Parent Loop BB2_5115 Depth=2
                                        ; =>    This Loop Header: Depth=3
                                        ;         Child Loop BB2_6234 Depth 4
	s_delay_alu instid0(SALU_CYCLE_1)
	s_cmp_lt_i32 s76, 0x80
	s_cbranch_scc1 .LBB2_5197
; %bb.5194:                             ;   in Loop: Header=BB2_5193 Depth=3
	s_and_b32 s14, 0xffff, s76
	s_delay_alu instid0(SALU_CYCLE_1)
	s_cmp_eq_u32 s14, 0x80
	s_mov_b32 s14, -1
	s_cbranch_scc0 .LBB2_5196
; %bb.5195:                             ;   in Loop: Header=BB2_5193 Depth=3
	s_mov_b32 s14, 0
.LBB2_5196:                             ;   in Loop: Header=BB2_5193 Depth=3
	s_brev_b32 s15, 1
	s_branch .LBB2_5199
.LBB2_5197:                             ;   in Loop: Header=BB2_5193 Depth=3
	s_mov_b32 s14, 0
	s_brev_b32 s15, 1
	s_cbranch_execz .LBB2_5199
; %bb.5198:                             ;   in Loop: Header=BB2_5193 Depth=3
	s_and_b32 s14, 0xffff, s76
	s_mov_b32 s15, 0
	s_cmp_lg_u32 s14, 0
	s_cselect_b32 s14, -1, 0
.LBB2_5199:                             ;   in Loop: Header=BB2_5193 Depth=3
	s_delay_alu instid0(SALU_CYCLE_1)
	s_and_not1_b32 vcc_lo, exec_lo, s14
	s_cbranch_vccnz .LBB2_5201
; %bb.5200:                             ;   in Loop: Header=BB2_5193 Depth=3
	s_mov_b32 s15, s75
.LBB2_5201:                             ;   in Loop: Header=BB2_5193 Depth=3
	global_load_b128 v[8:11], v[40:41], off th:TH_LOAD_NT
	s_wait_loadcnt 0x0
	v_and_b32_e32 v2, 0xff, v8
	s_delay_alu instid0(VALU_DEP_1)
	v_cmp_ne_u16_e32 vcc_lo, 0, v2
	v_mov_b32_e32 v2, 0
	s_wait_xcnt 0x0
	s_and_saveexec_b32 s14, vcc_lo
	s_cbranch_execz .LBB2_5211
; %bb.5202:                             ;   in Loop: Header=BB2_5193 Depth=3
	v_bfe_i32 v17, v8, 0, 8
	v_bfrev_b32_e32 v2, 1
	s_mov_b32 s42, exec_lo
	s_delay_alu instid0(VALU_DEP_2)
	v_cmpx_ne_u16_e32 0xff80, v17
	s_cbranch_execz .LBB2_5210
; %bb.5203:                             ;   in Loop: Header=BB2_5193 Depth=3
	v_and_b32_e32 v2, 0x7c, v8
	v_and_b32_e32 v16, 3, v8
	s_delay_alu instid0(VALU_DEP_2) | instskip(SKIP_1) | instid1(SALU_CYCLE_1)
	v_cmp_ne_u32_e32 vcc_lo, 0x7c, v2
                                        ; implicit-def: $vgpr2
	s_and_saveexec_b32 s43, vcc_lo
	s_xor_b32 s43, exec_lo, s43
	s_cbranch_execz .LBB2_5207
; %bb.5204:                             ;   in Loop: Header=BB2_5193 Depth=3
	v_bfe_u32 v2, v8, 2, 5
	s_mov_b32 s77, exec_lo
	s_delay_alu instid0(VALU_DEP_1)
	v_cmpx_eq_u32_e32 0, v2
; %bb.5205:                             ;   in Loop: Header=BB2_5193 Depth=3
	v_clz_i32_u32_e32 v2, v16
	s_delay_alu instid0(VALU_DEP_1) | instskip(NEXT) | instid1(VALU_DEP_1)
	v_min_u32_e32 v2, 32, v2
	v_subrev_nc_u32_e32 v16, 29, v2
	s_delay_alu instid0(VALU_DEP_1) | instskip(NEXT) | instid1(VALU_DEP_1)
	v_lshlrev_b64_e32 v[16:17], v16, v[8:9]
	v_dual_sub_nc_u32 v2, 30, v2 :: v_dual_bitop2_b32 v16, 3, v16 bitop3:0x40
; %bb.5206:                             ;   in Loop: Header=BB2_5193 Depth=3
	s_or_b32 exec_lo, exec_lo, s77
	v_lshlrev_b32_e32 v17, 24, v8
	s_delay_alu instid0(VALU_DEP_1) | instskip(NEXT) | instid1(VALU_DEP_1)
	v_and_b32_e32 v17, 0x80000000, v17
	v_lshl_add_u32 v2, v2, 23, v17
                                        ; implicit-def: $vgpr17
	s_delay_alu instid0(VALU_DEP_1) | instskip(NEXT) | instid1(VALU_DEP_1)
	v_lshl_or_b32 v2, v16, 21, v2
                                        ; implicit-def: $vgpr16
	v_add_nc_u32_e32 v2, 0x38000000, v2
.LBB2_5207:                             ;   in Loop: Header=BB2_5193 Depth=3
	s_and_not1_saveexec_b32 s43, s43
; %bb.5208:                             ;   in Loop: Header=BB2_5193 Depth=3
	v_cmp_lt_i16_e32 vcc_lo, -1, v17
	v_cndmask_b32_e32 v2, 0xff800000, v111, vcc_lo
	v_cmp_eq_u32_e32 vcc_lo, 0, v16
	s_delay_alu instid0(VALU_DEP_2)
	v_cndmask_b32_e32 v2, 0x7f800001, v2, vcc_lo
; %bb.5209:                             ;   in Loop: Header=BB2_5193 Depth=3
	s_or_b32 exec_lo, exec_lo, s43
.LBB2_5210:                             ;   in Loop: Header=BB2_5193 Depth=3
	s_delay_alu instid0(SALU_CYCLE_1)
	s_or_b32 exec_lo, exec_lo, s42
.LBB2_5211:                             ;   in Loop: Header=BB2_5193 Depth=3
	s_delay_alu instid0(SALU_CYCLE_1) | instskip(NEXT) | instid1(VALU_DEP_1)
	s_or_b32 exec_lo, exec_lo, s14
	v_dual_mul_f32 v30, s15, v2 :: v_dual_mov_b32 v17, v3
	s_delay_alu instid0(VALU_DEP_1) | instskip(SKIP_1) | instid1(VALU_DEP_2)
	v_and_b32_e32 v16, 0x7f800000, v30
	v_and_b32_e32 v2, 0x7fffff, v30
	v_cmp_ne_u64_e32 vcc_lo, 0x7f800000, v[16:17]
	v_lshrrev_b32_e32 v17, 24, v30
                                        ; implicit-def: $vgpr16
	s_and_saveexec_b32 s14, vcc_lo
	s_delay_alu instid0(SALU_CYCLE_1)
	s_xor_b32 s42, exec_lo, s14
	s_cbranch_execz .LBB2_5225
; %bb.5212:                             ;   in Loop: Header=BB2_5193 Depth=3
	v_and_b32_e32 v18, 0x7fffffff, v30
	v_mov_b32_e32 v19, v3
	v_and_b32_e32 v17, 0x80, v17
                                        ; implicit-def: $vgpr16
	s_mov_b32 s14, exec_lo
	s_delay_alu instid0(VALU_DEP_2)
	v_cmpx_gt_u64_e32 0x47600001, v[18:19]
	s_xor_b32 s43, exec_lo, s14
	s_cbranch_execz .LBB2_5222
; %bb.5213:                             ;   in Loop: Header=BB2_5193 Depth=3
	v_mov_b32_e32 v16, 0
	s_mov_b32 s77, exec_lo
	v_cmpx_ne_u32_e32 0, v30
	s_cbranch_execz .LBB2_5221
; %bb.5214:                             ;   in Loop: Header=BB2_5193 Depth=3
	v_bfe_u32 v16, v30, 23, 8
	v_or_b32_e32 v56, 0x800000, v2
	s_delay_alu instid0(VALU_DEP_2) | instskip(SKIP_1) | instid1(VALU_DEP_2)
	v_dual_mov_b32 v57, v3 :: v_dual_sub_nc_u32 v18, 0x71, v16
	v_cmp_gt_u32_e32 vcc_lo, 0x72, v16
	v_cndmask_b32_e32 v18, 0, v18, vcc_lo
	v_cmp_eq_u32_e32 vcc_lo, 0, v16
	s_delay_alu instid0(VALU_DEP_2) | instskip(SKIP_1) | instid1(VALU_DEP_2)
	v_cndmask_b32_e64 v30, v18, 0x70, vcc_lo
	v_cndmask_b32_e32 v56, v56, v2, vcc_lo
	v_dual_add_nc_u32 v18, 21, v30 :: v_dual_add_nc_u32 v58, 20, v30
	s_delay_alu instid0(VALU_DEP_1) | instskip(NEXT) | instid1(VALU_DEP_2)
	v_lshlrev_b64_e64 v[18:19], v18, -1
	v_lshlrev_b64_e64 v[58:59], v58, 1
	s_delay_alu instid0(VALU_DEP_2) | instskip(SKIP_1) | instid1(VALU_DEP_4)
	v_bfi_b32 v18, v18, 0, v56
	v_lshrrev_b64 v[56:57], v30, v[56:57]
	v_bfi_b32 v19, v19, 0, 0
	s_delay_alu instid0(VALU_DEP_1) | instskip(NEXT) | instid1(VALU_DEP_3)
	v_cmp_eq_u64_e64 s14, v[18:19], v[58:59]
	v_mov_b64_e32 v[58:59], v[56:57]
	s_and_saveexec_b32 s78, s14
; %bb.5215:                             ;   in Loop: Header=BB2_5193 Depth=3
	v_bfe_u32 v18, v56, 21, 1
	v_mov_b32_e32 v19, v3
	s_delay_alu instid0(VALU_DEP_1) | instskip(NEXT) | instid1(VALU_DEP_1)
	v_add_nc_u64_e32 v[18:19], v[56:57], v[18:19]
	v_add_nc_u64_e32 v[58:59], -1, v[18:19]
; %bb.5216:                             ;   in Loop: Header=BB2_5193 Depth=3
	s_or_b32 exec_lo, exec_lo, s78
	v_add_nc_u32_e32 v2, 0xffffff81, v16
	s_delay_alu instid0(VALU_DEP_2) | instskip(SKIP_2) | instid1(VALU_DEP_3)
	v_and_b32_e32 v18, 0x1fffff, v58
	v_lshrrev_b32_e32 v16, 23, v56
	s_mov_b32 s14, exec_lo
	v_cndmask_b32_e64 v2, v2, 0xffffff82, vcc_lo
	s_delay_alu instid0(VALU_DEP_1) | instskip(SKIP_1) | instid1(VALU_DEP_2)
	v_add3_u32 v30, v30, v2, v16
	v_add_nc_u32_e32 v2, v18, v56
                                        ; implicit-def: $vgpr56_vgpr57
                                        ; implicit-def: $vgpr16
	v_add_nc_u32_e32 v58, 14, v30
	s_delay_alu instid0(VALU_DEP_1)
	v_cmpx_ne_u32_e32 0, v58
	s_xor_b32 s14, exec_lo, s14
; %bb.5217:                             ;   in Loop: Header=BB2_5193 Depth=3
	s_delay_alu instid0(VALU_DEP_3) | instskip(SKIP_2) | instid1(VALU_DEP_2)
	v_cmp_lt_u64_e32 vcc_lo, 0xffffff, v[2:3]
	v_add_nc_u32_e32 v16, 15, v30
	v_cndmask_b32_e64 v18, 0, 1, vcc_lo
	v_cndmask_b32_e32 v16, v58, v16, vcc_lo
	s_delay_alu instid0(VALU_DEP_2)
	v_lshrrev_b64 v[56:57], v18, v[2:3]
; %bb.5218:                             ;   in Loop: Header=BB2_5193 Depth=3
	s_and_not1_saveexec_b32 s14, s14
; %bb.5219:                             ;   in Loop: Header=BB2_5193 Depth=3
	v_mov_b64_e32 v[56:57], v[2:3]
	v_bfe_u32 v16, v2, 23, 1
; %bb.5220:                             ;   in Loop: Header=BB2_5193 Depth=3
	s_or_b32 exec_lo, exec_lo, s14
	s_delay_alu instid0(VALU_DEP_2) | instskip(NEXT) | instid1(VALU_DEP_2)
	v_lshrrev_b64 v[18:19], 21, v[56:57]
	v_cmp_gt_i32_e32 vcc_lo, 32, v16
	v_min_i32_e32 v2, 31, v16
	v_cmp_eq_u32_e64 s14, 0, v16
	s_delay_alu instid0(VALU_DEP_2) | instskip(SKIP_1) | instid1(VALU_DEP_2)
	v_dual_cndmask_b32 v19, 0, v19 :: v_dual_lshlrev_b32 v2, 2, v2
	v_cndmask_b32_e32 v18, 3, v18, vcc_lo
	v_and_b32_e32 v2, 0xfc, v2
	s_delay_alu instid0(VALU_DEP_2) | instskip(NEXT) | instid1(VALU_DEP_2)
	v_cmp_eq_u64_e32 vcc_lo, 0, v[18:19]
	v_and_or_b32 v2, v18, 3, v2
	s_and_b32 s14, s14, vcc_lo
	s_delay_alu instid0(VALU_DEP_1) | instid1(SALU_CYCLE_1)
	v_cndmask_b32_e64 v2, v2, 0, s14
	s_delay_alu instid0(VALU_DEP_1)
	v_or_b32_e32 v16, v2, v17
.LBB2_5221:                             ;   in Loop: Header=BB2_5193 Depth=3
	s_or_b32 exec_lo, exec_lo, s77
                                        ; implicit-def: $vgpr17
.LBB2_5222:                             ;   in Loop: Header=BB2_5193 Depth=3
	s_and_not1_saveexec_b32 s14, s43
; %bb.5223:                             ;   in Loop: Header=BB2_5193 Depth=3
	v_or_b32_e32 v16, 0x7b, v17
; %bb.5224:                             ;   in Loop: Header=BB2_5193 Depth=3
	s_or_b32 exec_lo, exec_lo, s14
                                        ; implicit-def: $vgpr30
                                        ; implicit-def: $vgpr17
.LBB2_5225:                             ;   in Loop: Header=BB2_5193 Depth=3
	s_and_not1_saveexec_b32 s14, s42
	s_cbranch_execz .LBB2_5231
; %bb.5226:                             ;   in Loop: Header=BB2_5193 Depth=3
	s_mov_b32 s42, exec_lo
                                        ; implicit-def: $vgpr16
	v_cmpx_ne_u64_e32 0, v[2:3]
	s_xor_b32 s42, exec_lo, s42
; %bb.5227:                             ;   in Loop: Header=BB2_5193 Depth=3
	v_or_b32_e32 v16, 0x7f, v17
                                        ; implicit-def: $vgpr30
; %bb.5228:                             ;   in Loop: Header=BB2_5193 Depth=3
	s_and_not1_saveexec_b32 s42, s42
; %bb.5229:                             ;   in Loop: Header=BB2_5193 Depth=3
	v_cmp_lt_i32_e32 vcc_lo, -1, v30
	v_cndmask_b32_e32 v16, 0xfc, v120, vcc_lo
; %bb.5230:                             ;   in Loop: Header=BB2_5193 Depth=3
	s_or_b32 exec_lo, exec_lo, s42
.LBB2_5231:                             ;   in Loop: Header=BB2_5193 Depth=3
	s_delay_alu instid0(SALU_CYCLE_1) | instskip(SKIP_3) | instid1(VALU_DEP_2)
	s_or_b32 exec_lo, exec_lo, s14
	v_lshrrev_b16 v56, 8, v8
	v_mov_b32_e32 v17, 0
	s_mov_b32 s14, exec_lo
	v_cmpx_ne_u16_e32 0, v56
	s_cbranch_execz .LBB2_5241
; %bb.5232:                             ;   in Loop: Header=BB2_5193 Depth=3
	v_bfrev_b32_e32 v17, 1
	s_mov_b32 s42, exec_lo
	v_cmpx_ne_u16_e32 0x80, v56
	s_cbranch_execz .LBB2_5240
; %bb.5233:                             ;   in Loop: Header=BB2_5193 Depth=3
	v_and_b32_e32 v30, 0xffff, v56
	s_delay_alu instid0(VALU_DEP_1) | instskip(SKIP_1) | instid1(VALU_DEP_2)
	v_and_b32_e32 v17, 0x7c, v30
	v_and_b32_e32 v2, 3, v30
	v_cmp_ne_u32_e32 vcc_lo, 0x7c, v17
                                        ; implicit-def: $vgpr17
	s_and_saveexec_b32 s43, vcc_lo
	s_delay_alu instid0(SALU_CYCLE_1)
	s_xor_b32 s43, exec_lo, s43
	s_cbranch_execz .LBB2_5237
; %bb.5234:                             ;   in Loop: Header=BB2_5193 Depth=3
	v_bfe_u32 v17, v30, 2, 5
	s_mov_b32 s77, exec_lo
	s_delay_alu instid0(VALU_DEP_1)
	v_cmpx_eq_u32_e32 0, v17
	s_cbranch_execz .LBB2_5236
; %bb.5235:                             ;   in Loop: Header=BB2_5193 Depth=3
	v_clz_i32_u32_e32 v2, v2
	s_delay_alu instid0(VALU_DEP_1) | instskip(SKIP_1) | instid1(VALU_DEP_2)
	v_min_u32_e32 v2, 32, v2
	v_mov_b32_e32 v57, v3
	v_subrev_nc_u32_e32 v17, 29, v2
	s_delay_alu instid0(VALU_DEP_1) | instskip(SKIP_1) | instid1(VALU_DEP_2)
	v_lshlrev_b64_e32 v[18:19], v17, v[56:57]
	v_sub_nc_u32_e32 v17, 30, v2
	v_and_b32_e32 v2, 3, v18
.LBB2_5236:                             ;   in Loop: Header=BB2_5193 Depth=3
	s_or_b32 exec_lo, exec_lo, s77
	v_lshlrev_b32_e32 v18, 16, v8
	s_delay_alu instid0(VALU_DEP_1) | instskip(NEXT) | instid1(VALU_DEP_1)
	v_and_b32_e32 v18, 0x80000000, v18
	v_lshl_add_u32 v17, v17, 23, v18
	s_delay_alu instid0(VALU_DEP_1) | instskip(NEXT) | instid1(VALU_DEP_1)
	v_lshl_or_b32 v2, v2, 21, v17
	v_add_nc_u32_e32 v17, 0x38000000, v2
                                        ; implicit-def: $vgpr2
.LBB2_5237:                             ;   in Loop: Header=BB2_5193 Depth=3
	s_and_not1_saveexec_b32 s43, s43
; %bb.5238:                             ;   in Loop: Header=BB2_5193 Depth=3
	v_cmp_lt_i16_e32 vcc_lo, -1, v8
	v_cndmask_b32_e32 v17, 0xff800000, v111, vcc_lo
	v_cmp_eq_u32_e32 vcc_lo, 0, v2
	s_delay_alu instid0(VALU_DEP_2)
	v_cndmask_b32_e32 v17, 0x7f800001, v17, vcc_lo
; %bb.5239:                             ;   in Loop: Header=BB2_5193 Depth=3
	s_or_b32 exec_lo, exec_lo, s43
.LBB2_5240:                             ;   in Loop: Header=BB2_5193 Depth=3
	s_delay_alu instid0(SALU_CYCLE_1)
	s_or_b32 exec_lo, exec_lo, s42
.LBB2_5241:                             ;   in Loop: Header=BB2_5193 Depth=3
	s_delay_alu instid0(SALU_CYCLE_1) | instskip(NEXT) | instid1(VALU_DEP_1)
	s_or_b32 exec_lo, exec_lo, s14
	v_dual_mul_f32 v56, s15, v17 :: v_dual_mov_b32 v19, v3
                                        ; implicit-def: $vgpr30
	s_mov_b32 s14, exec_lo
	s_delay_alu instid0(VALU_DEP_1) | instskip(SKIP_2) | instid1(VALU_DEP_3)
	v_and_b32_e32 v18, 0x7f800000, v56
	v_and_b32_e32 v2, 0x7fffff, v56
	v_lshrrev_b32_e32 v17, 24, v56
	v_cmpx_ne_u64_e32 0x7f800000, v[18:19]
	s_xor_b32 s42, exec_lo, s14
	s_cbranch_execz .LBB2_5255
; %bb.5242:                             ;   in Loop: Header=BB2_5193 Depth=3
	v_and_b32_e32 v18, 0x7fffffff, v56
	v_mov_b32_e32 v19, v3
	v_and_b32_e32 v17, 0x80, v17
                                        ; implicit-def: $vgpr30
	s_mov_b32 s14, exec_lo
	s_delay_alu instid0(VALU_DEP_2)
	v_cmpx_gt_u64_e32 0x47600001, v[18:19]
	s_xor_b32 s43, exec_lo, s14
	s_cbranch_execz .LBB2_5252
; %bb.5243:                             ;   in Loop: Header=BB2_5193 Depth=3
	v_mov_b32_e32 v30, 0
	s_mov_b32 s77, exec_lo
	v_cmpx_ne_u32_e32 0, v56
	s_cbranch_execz .LBB2_5251
; %bb.5244:                             ;   in Loop: Header=BB2_5193 Depth=3
	v_bfe_u32 v30, v56, 23, 8
	v_or_b32_e32 v56, 0x800000, v2
	s_delay_alu instid0(VALU_DEP_2) | instskip(SKIP_1) | instid1(VALU_DEP_2)
	v_dual_mov_b32 v57, v3 :: v_dual_sub_nc_u32 v18, 0x71, v30
	v_cmp_gt_u32_e32 vcc_lo, 0x72, v30
	v_cndmask_b32_e32 v18, 0, v18, vcc_lo
	v_cmp_eq_u32_e32 vcc_lo, 0, v30
	s_delay_alu instid0(VALU_DEP_2) | instskip(NEXT) | instid1(VALU_DEP_1)
	v_cndmask_b32_e64 v60, v18, 0x70, vcc_lo
	v_dual_cndmask_b32 v56, v56, v2, vcc_lo :: v_dual_add_nc_u32 v18, 21, v60
	v_add_nc_u32_e32 v58, 20, v60
	s_delay_alu instid0(VALU_DEP_2) | instskip(NEXT) | instid1(VALU_DEP_2)
	v_lshlrev_b64_e64 v[18:19], v18, -1
	v_lshlrev_b64_e64 v[58:59], v58, 1
	s_delay_alu instid0(VALU_DEP_2) | instskip(SKIP_1) | instid1(VALU_DEP_4)
	v_bfi_b32 v18, v18, 0, v56
	v_lshrrev_b64 v[56:57], v60, v[56:57]
	v_bfi_b32 v19, v19, 0, 0
	s_delay_alu instid0(VALU_DEP_1) | instskip(NEXT) | instid1(VALU_DEP_3)
	v_cmp_eq_u64_e64 s14, v[18:19], v[58:59]
	v_mov_b64_e32 v[58:59], v[56:57]
	s_and_saveexec_b32 s78, s14
; %bb.5245:                             ;   in Loop: Header=BB2_5193 Depth=3
	v_bfe_u32 v18, v56, 21, 1
	v_mov_b32_e32 v19, v3
	s_delay_alu instid0(VALU_DEP_1) | instskip(NEXT) | instid1(VALU_DEP_1)
	v_add_nc_u64_e32 v[18:19], v[56:57], v[18:19]
	v_add_nc_u64_e32 v[58:59], -1, v[18:19]
; %bb.5246:                             ;   in Loop: Header=BB2_5193 Depth=3
	s_or_b32 exec_lo, exec_lo, s78
	v_add_nc_u32_e32 v2, 0xffffff81, v30
	s_delay_alu instid0(VALU_DEP_2) | instskip(SKIP_2) | instid1(VALU_DEP_3)
	v_and_b32_e32 v19, 0x1fffff, v58
	v_lshrrev_b32_e32 v18, 23, v56
	s_mov_b32 s14, exec_lo
                                        ; implicit-def: $vgpr30
	v_cndmask_b32_e64 v2, v2, 0xffffff82, vcc_lo
	s_delay_alu instid0(VALU_DEP_1) | instskip(SKIP_1) | instid1(VALU_DEP_2)
	v_add3_u32 v58, v60, v2, v18
	v_add_nc_u32_e32 v2, v19, v56
                                        ; implicit-def: $vgpr56_vgpr57
	v_add_nc_u32_e32 v59, 14, v58
	s_delay_alu instid0(VALU_DEP_1)
	v_cmpx_ne_u32_e32 0, v59
	s_xor_b32 s14, exec_lo, s14
; %bb.5247:                             ;   in Loop: Header=BB2_5193 Depth=3
	s_delay_alu instid0(VALU_DEP_3) | instskip(SKIP_1) | instid1(VALU_DEP_1)
	v_cmp_lt_u64_e32 vcc_lo, 0xffffff, v[2:3]
	v_add_nc_u32_e32 v18, 15, v58
	v_cndmask_b32_e32 v30, v59, v18, vcc_lo
	v_cndmask_b32_e64 v18, 0, 1, vcc_lo
	s_delay_alu instid0(VALU_DEP_1)
	v_lshrrev_b64 v[56:57], v18, v[2:3]
; %bb.5248:                             ;   in Loop: Header=BB2_5193 Depth=3
	s_and_not1_saveexec_b32 s14, s14
; %bb.5249:                             ;   in Loop: Header=BB2_5193 Depth=3
	v_mov_b64_e32 v[56:57], v[2:3]
	v_bfe_u32 v30, v2, 23, 1
; %bb.5250:                             ;   in Loop: Header=BB2_5193 Depth=3
	s_or_b32 exec_lo, exec_lo, s14
	s_delay_alu instid0(VALU_DEP_2) | instskip(NEXT) | instid1(VALU_DEP_2)
	v_lshrrev_b64 v[18:19], 21, v[56:57]
	v_cmp_gt_i32_e32 vcc_lo, 32, v30
	v_min_i32_e32 v2, 31, v30
	v_cmp_eq_u32_e64 s14, 0, v30
	s_delay_alu instid0(VALU_DEP_2) | instskip(SKIP_1) | instid1(VALU_DEP_2)
	v_dual_cndmask_b32 v19, 0, v19 :: v_dual_lshlrev_b32 v2, 2, v2
	v_cndmask_b32_e32 v18, 3, v18, vcc_lo
	v_and_b32_e32 v2, 0xfc, v2
	s_delay_alu instid0(VALU_DEP_2) | instskip(NEXT) | instid1(VALU_DEP_2)
	v_cmp_eq_u64_e32 vcc_lo, 0, v[18:19]
	v_and_or_b32 v2, v18, 3, v2
	s_and_b32 s14, s14, vcc_lo
	s_delay_alu instid0(VALU_DEP_1) | instid1(SALU_CYCLE_1)
	v_cndmask_b32_e64 v2, v2, 0, s14
	s_delay_alu instid0(VALU_DEP_1)
	v_or_b32_e32 v30, v2, v17
.LBB2_5251:                             ;   in Loop: Header=BB2_5193 Depth=3
	s_or_b32 exec_lo, exec_lo, s77
                                        ; implicit-def: $vgpr17
.LBB2_5252:                             ;   in Loop: Header=BB2_5193 Depth=3
	s_and_not1_saveexec_b32 s14, s43
; %bb.5253:                             ;   in Loop: Header=BB2_5193 Depth=3
	v_or_b32_e32 v30, 0x7b, v17
; %bb.5254:                             ;   in Loop: Header=BB2_5193 Depth=3
	s_or_b32 exec_lo, exec_lo, s14
                                        ; implicit-def: $vgpr56
                                        ; implicit-def: $vgpr17
.LBB2_5255:                             ;   in Loop: Header=BB2_5193 Depth=3
	s_and_not1_saveexec_b32 s14, s42
	s_cbranch_execz .LBB2_5261
; %bb.5256:                             ;   in Loop: Header=BB2_5193 Depth=3
	s_mov_b32 s42, exec_lo
                                        ; implicit-def: $vgpr30
	v_cmpx_ne_u64_e32 0, v[2:3]
	s_xor_b32 s42, exec_lo, s42
; %bb.5257:                             ;   in Loop: Header=BB2_5193 Depth=3
	v_or_b32_e32 v30, 0x7f, v17
                                        ; implicit-def: $vgpr56
; %bb.5258:                             ;   in Loop: Header=BB2_5193 Depth=3
	s_and_not1_saveexec_b32 s42, s42
; %bb.5259:                             ;   in Loop: Header=BB2_5193 Depth=3
	v_cmp_lt_i32_e32 vcc_lo, -1, v56
	v_cndmask_b32_e32 v30, 0xfc, v120, vcc_lo
; %bb.5260:                             ;   in Loop: Header=BB2_5193 Depth=3
	s_or_b32 exec_lo, exec_lo, s42
.LBB2_5261:                             ;   in Loop: Header=BB2_5193 Depth=3
	s_delay_alu instid0(SALU_CYCLE_1) | instskip(SKIP_2) | instid1(VALU_DEP_1)
	s_or_b32 exec_lo, exec_lo, s14
	v_dual_mov_b32 v17, 0 :: v_dual_lshrrev_b32 v2, 16, v8
	s_mov_b32 s14, exec_lo
	v_and_b32_e32 v56, 0xff, v2
	s_delay_alu instid0(VALU_DEP_1)
	v_cmpx_ne_u16_e32 0, v56
	s_cbranch_execz .LBB2_5271
; %bb.5262:                             ;   in Loop: Header=BB2_5193 Depth=3
	v_bfrev_b32_e32 v17, 1
	s_mov_b32 s42, exec_lo
	v_cmpx_ne_u16_e32 0x80, v56
	s_cbranch_execz .LBB2_5270
; %bb.5263:                             ;   in Loop: Header=BB2_5193 Depth=3
	v_and_b32_e32 v17, 0x7c0000, v8
	v_bfe_u32 v56, v8, 16, 2
	s_delay_alu instid0(VALU_DEP_2) | instskip(SKIP_1) | instid1(SALU_CYCLE_1)
	v_cmp_ne_u32_e32 vcc_lo, 0x7c0000, v17
                                        ; implicit-def: $vgpr17
	s_and_saveexec_b32 s43, vcc_lo
	s_xor_b32 s43, exec_lo, s43
	s_cbranch_execz .LBB2_5267
; %bb.5264:                             ;   in Loop: Header=BB2_5193 Depth=3
	v_bfe_u32 v17, v8, 18, 5
	s_mov_b32 s77, exec_lo
	s_delay_alu instid0(VALU_DEP_1)
	v_cmpx_eq_u32_e32 0, v17
; %bb.5265:                             ;   in Loop: Header=BB2_5193 Depth=3
	v_clz_i32_u32_e32 v17, v56
	s_delay_alu instid0(VALU_DEP_1) | instskip(NEXT) | instid1(VALU_DEP_1)
	v_min_u32_e32 v17, 32, v17
	v_subrev_nc_u32_e32 v18, 29, v17
	s_delay_alu instid0(VALU_DEP_1) | instskip(NEXT) | instid1(VALU_DEP_1)
	v_lshlrev_b64_e32 v[18:19], v18, v[2:3]
	v_dual_sub_nc_u32 v17, 30, v17 :: v_dual_bitop2_b32 v56, 3, v18 bitop3:0x40
; %bb.5266:                             ;   in Loop: Header=BB2_5193 Depth=3
	s_or_b32 exec_lo, exec_lo, s77
	v_lshlrev_b32_e32 v2, 24, v2
	s_delay_alu instid0(VALU_DEP_1) | instskip(NEXT) | instid1(VALU_DEP_1)
	v_and_b32_e32 v2, 0x80000000, v2
	v_lshl_add_u32 v2, v17, 23, v2
	s_delay_alu instid0(VALU_DEP_1) | instskip(NEXT) | instid1(VALU_DEP_1)
	v_lshl_or_b32 v2, v56, 21, v2
                                        ; implicit-def: $vgpr56
	v_add_nc_u32_e32 v17, 0x38000000, v2
                                        ; implicit-def: $vgpr2
.LBB2_5267:                             ;   in Loop: Header=BB2_5193 Depth=3
	s_and_not1_saveexec_b32 s43, s43
; %bb.5268:                             ;   in Loop: Header=BB2_5193 Depth=3
	v_bfe_i32 v2, v2, 0, 8
	s_delay_alu instid0(VALU_DEP_1) | instskip(SKIP_2) | instid1(VALU_DEP_2)
	v_cmp_lt_i16_e32 vcc_lo, -1, v2
	v_cndmask_b32_e32 v2, 0xff800000, v111, vcc_lo
	v_cmp_eq_u32_e32 vcc_lo, 0, v56
	v_cndmask_b32_e32 v17, 0x7f800001, v2, vcc_lo
; %bb.5269:                             ;   in Loop: Header=BB2_5193 Depth=3
	s_or_b32 exec_lo, exec_lo, s43
.LBB2_5270:                             ;   in Loop: Header=BB2_5193 Depth=3
	s_delay_alu instid0(SALU_CYCLE_1)
	s_or_b32 exec_lo, exec_lo, s42
.LBB2_5271:                             ;   in Loop: Header=BB2_5193 Depth=3
	s_delay_alu instid0(SALU_CYCLE_1) | instskip(NEXT) | instid1(VALU_DEP_1)
	s_or_b32 exec_lo, exec_lo, s14
	v_dual_mul_f32 v56, s15, v17 :: v_dual_mov_b32 v19, v3
                                        ; implicit-def: $vgpr63
	s_mov_b32 s14, exec_lo
	s_delay_alu instid0(VALU_DEP_1) | instskip(SKIP_2) | instid1(VALU_DEP_3)
	v_and_b32_e32 v18, 0x7f800000, v56
	v_and_b32_e32 v2, 0x7fffff, v56
	v_lshrrev_b32_e32 v17, 24, v56
	v_cmpx_ne_u64_e32 0x7f800000, v[18:19]
	s_xor_b32 s42, exec_lo, s14
	s_cbranch_execz .LBB2_5285
; %bb.5272:                             ;   in Loop: Header=BB2_5193 Depth=3
	v_and_b32_e32 v18, 0x7fffffff, v56
	v_mov_b32_e32 v19, v3
	v_and_b32_e32 v17, 0x80, v17
                                        ; implicit-def: $vgpr63
	s_mov_b32 s14, exec_lo
	s_delay_alu instid0(VALU_DEP_2)
	v_cmpx_gt_u64_e32 0x47600001, v[18:19]
	s_xor_b32 s43, exec_lo, s14
	s_cbranch_execz .LBB2_5282
; %bb.5273:                             ;   in Loop: Header=BB2_5193 Depth=3
	v_mov_b32_e32 v63, 0
	s_mov_b32 s77, exec_lo
	v_cmpx_ne_u32_e32 0, v56
	s_cbranch_execz .LBB2_5281
; %bb.5274:                             ;   in Loop: Header=BB2_5193 Depth=3
	v_bfe_u32 v60, v56, 23, 8
	v_or_b32_e32 v56, 0x800000, v2
	s_delay_alu instid0(VALU_DEP_2) | instskip(SKIP_1) | instid1(VALU_DEP_2)
	v_dual_mov_b32 v57, v3 :: v_dual_sub_nc_u32 v18, 0x71, v60
	v_cmp_gt_u32_e32 vcc_lo, 0x72, v60
	v_cndmask_b32_e32 v18, 0, v18, vcc_lo
	v_cmp_eq_u32_e32 vcc_lo, 0, v60
	s_delay_alu instid0(VALU_DEP_2) | instskip(NEXT) | instid1(VALU_DEP_1)
	v_cndmask_b32_e64 v61, v18, 0x70, vcc_lo
	v_dual_cndmask_b32 v56, v56, v2, vcc_lo :: v_dual_add_nc_u32 v18, 21, v61
	v_add_nc_u32_e32 v58, 20, v61
	s_delay_alu instid0(VALU_DEP_2) | instskip(NEXT) | instid1(VALU_DEP_2)
	v_lshlrev_b64_e64 v[18:19], v18, -1
	v_lshlrev_b64_e64 v[58:59], v58, 1
	s_delay_alu instid0(VALU_DEP_2) | instskip(SKIP_1) | instid1(VALU_DEP_4)
	v_bfi_b32 v18, v18, 0, v56
	v_lshrrev_b64 v[56:57], v61, v[56:57]
	v_bfi_b32 v19, v19, 0, 0
	s_delay_alu instid0(VALU_DEP_1) | instskip(NEXT) | instid1(VALU_DEP_3)
	v_cmp_eq_u64_e64 s14, v[18:19], v[58:59]
	v_mov_b64_e32 v[58:59], v[56:57]
	s_and_saveexec_b32 s78, s14
; %bb.5275:                             ;   in Loop: Header=BB2_5193 Depth=3
	v_bfe_u32 v18, v56, 21, 1
	v_mov_b32_e32 v19, v3
	s_delay_alu instid0(VALU_DEP_1) | instskip(NEXT) | instid1(VALU_DEP_1)
	v_add_nc_u64_e32 v[18:19], v[56:57], v[18:19]
	v_add_nc_u64_e32 v[58:59], -1, v[18:19]
; %bb.5276:                             ;   in Loop: Header=BB2_5193 Depth=3
	s_or_b32 exec_lo, exec_lo, s78
	v_add_nc_u32_e32 v2, 0xffffff81, v60
	s_delay_alu instid0(VALU_DEP_2) | instskip(SKIP_2) | instid1(VALU_DEP_3)
	v_and_b32_e32 v19, 0x1fffff, v58
	v_lshrrev_b32_e32 v18, 23, v56
	s_mov_b32 s14, exec_lo
                                        ; implicit-def: $vgpr58
	v_cndmask_b32_e64 v2, v2, 0xffffff82, vcc_lo
	s_delay_alu instid0(VALU_DEP_1) | instskip(SKIP_1) | instid1(VALU_DEP_2)
	v_add3_u32 v59, v61, v2, v18
	v_add_nc_u32_e32 v2, v19, v56
                                        ; implicit-def: $vgpr56_vgpr57
	v_add_nc_u32_e32 v60, 14, v59
	s_delay_alu instid0(VALU_DEP_1)
	v_cmpx_ne_u32_e32 0, v60
	s_xor_b32 s14, exec_lo, s14
; %bb.5277:                             ;   in Loop: Header=BB2_5193 Depth=3
	s_delay_alu instid0(VALU_DEP_3) | instskip(SKIP_1) | instid1(VALU_DEP_1)
	v_cmp_lt_u64_e32 vcc_lo, 0xffffff, v[2:3]
	v_add_nc_u32_e32 v18, 15, v59
	v_cndmask_b32_e32 v58, v60, v18, vcc_lo
	v_cndmask_b32_e64 v18, 0, 1, vcc_lo
	s_delay_alu instid0(VALU_DEP_1)
	v_lshrrev_b64 v[56:57], v18, v[2:3]
; %bb.5278:                             ;   in Loop: Header=BB2_5193 Depth=3
	s_and_not1_saveexec_b32 s14, s14
; %bb.5279:                             ;   in Loop: Header=BB2_5193 Depth=3
	v_mov_b64_e32 v[56:57], v[2:3]
	v_bfe_u32 v58, v2, 23, 1
; %bb.5280:                             ;   in Loop: Header=BB2_5193 Depth=3
	s_or_b32 exec_lo, exec_lo, s14
	s_delay_alu instid0(VALU_DEP_2) | instskip(NEXT) | instid1(VALU_DEP_2)
	v_lshrrev_b64 v[18:19], 21, v[56:57]
	v_cmp_gt_i32_e32 vcc_lo, 32, v58
	v_min_i32_e32 v2, 31, v58
	v_cmp_eq_u32_e64 s14, 0, v58
	s_delay_alu instid0(VALU_DEP_2) | instskip(SKIP_1) | instid1(VALU_DEP_2)
	v_dual_cndmask_b32 v19, 0, v19 :: v_dual_lshlrev_b32 v2, 2, v2
	v_cndmask_b32_e32 v18, 3, v18, vcc_lo
	v_and_b32_e32 v2, 0xfc, v2
	s_delay_alu instid0(VALU_DEP_2) | instskip(NEXT) | instid1(VALU_DEP_2)
	v_cmp_eq_u64_e32 vcc_lo, 0, v[18:19]
	v_and_or_b32 v2, v18, 3, v2
	s_and_b32 s14, s14, vcc_lo
	s_delay_alu instid0(VALU_DEP_1) | instid1(SALU_CYCLE_1)
	v_cndmask_b32_e64 v2, v2, 0, s14
	s_delay_alu instid0(VALU_DEP_1)
	v_or_b32_e32 v63, v2, v17
.LBB2_5281:                             ;   in Loop: Header=BB2_5193 Depth=3
	s_or_b32 exec_lo, exec_lo, s77
                                        ; implicit-def: $vgpr17
.LBB2_5282:                             ;   in Loop: Header=BB2_5193 Depth=3
	s_and_not1_saveexec_b32 s14, s43
; %bb.5283:                             ;   in Loop: Header=BB2_5193 Depth=3
	v_or_b32_e32 v63, 0x7b, v17
; %bb.5284:                             ;   in Loop: Header=BB2_5193 Depth=3
	s_or_b32 exec_lo, exec_lo, s14
                                        ; implicit-def: $vgpr56
                                        ; implicit-def: $vgpr17
.LBB2_5285:                             ;   in Loop: Header=BB2_5193 Depth=3
	s_and_not1_saveexec_b32 s14, s42
	s_cbranch_execz .LBB2_5291
; %bb.5286:                             ;   in Loop: Header=BB2_5193 Depth=3
	s_mov_b32 s42, exec_lo
                                        ; implicit-def: $vgpr63
	v_cmpx_ne_u64_e32 0, v[2:3]
	s_xor_b32 s42, exec_lo, s42
; %bb.5287:                             ;   in Loop: Header=BB2_5193 Depth=3
	v_or_b32_e32 v63, 0x7f, v17
                                        ; implicit-def: $vgpr56
; %bb.5288:                             ;   in Loop: Header=BB2_5193 Depth=3
	s_and_not1_saveexec_b32 s42, s42
; %bb.5289:                             ;   in Loop: Header=BB2_5193 Depth=3
	v_cmp_lt_i32_e32 vcc_lo, -1, v56
	v_cndmask_b32_e32 v63, 0xfc, v120, vcc_lo
; %bb.5290:                             ;   in Loop: Header=BB2_5193 Depth=3
	s_or_b32 exec_lo, exec_lo, s42
.LBB2_5291:                             ;   in Loop: Header=BB2_5193 Depth=3
	s_delay_alu instid0(SALU_CYCLE_1)
	s_or_b32 exec_lo, exec_lo, s14
	v_mov_b32_e32 v17, 0
	s_mov_b32 s14, exec_lo
	v_cmpx_lt_u32_e32 0xffffff, v8
	s_cbranch_execz .LBB2_5301
; %bb.5292:                             ;   in Loop: Header=BB2_5193 Depth=3
	v_lshrrev_b32_e32 v2, 24, v8
	v_bfrev_b32_e32 v17, 1
	s_mov_b32 s42, exec_lo
	s_delay_alu instid0(VALU_DEP_2)
	v_cmpx_ne_u32_e32 0x80, v2
	s_cbranch_execz .LBB2_5300
; %bb.5293:                             ;   in Loop: Header=BB2_5193 Depth=3
	v_and_b32_e32 v17, 0x7c000000, v8
	v_bfe_u32 v56, v8, 24, 2
	s_delay_alu instid0(VALU_DEP_2) | instskip(SKIP_1) | instid1(SALU_CYCLE_1)
	v_cmp_ne_u32_e32 vcc_lo, 0x7c000000, v17
                                        ; implicit-def: $vgpr17
	s_and_saveexec_b32 s43, vcc_lo
	s_xor_b32 s43, exec_lo, s43
	s_cbranch_execz .LBB2_5297
; %bb.5294:                             ;   in Loop: Header=BB2_5193 Depth=3
	v_bfe_u32 v17, v8, 26, 5
	s_mov_b32 s77, exec_lo
	s_delay_alu instid0(VALU_DEP_1)
	v_cmpx_eq_u32_e32 0, v17
; %bb.5295:                             ;   in Loop: Header=BB2_5193 Depth=3
	v_clz_i32_u32_e32 v17, v56
	s_delay_alu instid0(VALU_DEP_1) | instskip(NEXT) | instid1(VALU_DEP_1)
	v_min_u32_e32 v17, 32, v17
	v_subrev_nc_u32_e32 v18, 29, v17
	s_delay_alu instid0(VALU_DEP_1) | instskip(NEXT) | instid1(VALU_DEP_1)
	v_lshlrev_b64_e32 v[18:19], v18, v[2:3]
	v_dual_sub_nc_u32 v17, 30, v17 :: v_dual_bitop2_b32 v56, 3, v18 bitop3:0x40
; %bb.5296:                             ;   in Loop: Header=BB2_5193 Depth=3
	s_or_b32 exec_lo, exec_lo, s77
	v_and_b32_e32 v2, 0x80000000, v8
	s_delay_alu instid0(VALU_DEP_1) | instskip(NEXT) | instid1(VALU_DEP_1)
	v_lshl_add_u32 v2, v17, 23, v2
	v_lshl_or_b32 v2, v56, 21, v2
                                        ; implicit-def: $vgpr56
	s_delay_alu instid0(VALU_DEP_1)
	v_add_nc_u32_e32 v17, 0x38000000, v2
.LBB2_5297:                             ;   in Loop: Header=BB2_5193 Depth=3
	s_and_not1_saveexec_b32 s43, s43
; %bb.5298:                             ;   in Loop: Header=BB2_5193 Depth=3
	v_cmp_lt_i32_e32 vcc_lo, -1, v8
	v_cndmask_b32_e32 v2, 0xff800000, v111, vcc_lo
	v_cmp_eq_u32_e32 vcc_lo, 0, v56
	s_delay_alu instid0(VALU_DEP_2)
	v_cndmask_b32_e32 v17, 0x7f800001, v2, vcc_lo
; %bb.5299:                             ;   in Loop: Header=BB2_5193 Depth=3
	s_or_b32 exec_lo, exec_lo, s43
.LBB2_5300:                             ;   in Loop: Header=BB2_5193 Depth=3
	s_delay_alu instid0(SALU_CYCLE_1)
	s_or_b32 exec_lo, exec_lo, s42
.LBB2_5301:                             ;   in Loop: Header=BB2_5193 Depth=3
	s_delay_alu instid0(SALU_CYCLE_1) | instskip(NEXT) | instid1(VALU_DEP_1)
	s_or_b32 exec_lo, exec_lo, s14
	v_dual_mul_f32 v56, s15, v17 :: v_dual_mov_b32 v19, v3
                                        ; implicit-def: $vgpr76
	s_mov_b32 s14, exec_lo
	s_delay_alu instid0(VALU_DEP_1) | instskip(SKIP_2) | instid1(VALU_DEP_3)
	v_and_b32_e32 v18, 0x7f800000, v56
	v_and_b32_e32 v2, 0x7fffff, v56
	v_lshrrev_b32_e32 v17, 24, v56
	v_cmpx_ne_u64_e32 0x7f800000, v[18:19]
	s_xor_b32 s42, exec_lo, s14
	s_cbranch_execz .LBB2_5315
; %bb.5302:                             ;   in Loop: Header=BB2_5193 Depth=3
	v_and_b32_e32 v18, 0x7fffffff, v56
	v_mov_b32_e32 v19, v3
	v_and_b32_e32 v17, 0x80, v17
                                        ; implicit-def: $vgpr76
	s_mov_b32 s14, exec_lo
	s_delay_alu instid0(VALU_DEP_2)
	v_cmpx_gt_u64_e32 0x47600001, v[18:19]
	s_xor_b32 s43, exec_lo, s14
	s_cbranch_execz .LBB2_5312
; %bb.5303:                             ;   in Loop: Header=BB2_5193 Depth=3
	v_mov_b32_e32 v76, 0
	s_mov_b32 s77, exec_lo
	v_cmpx_ne_u32_e32 0, v56
	s_cbranch_execz .LBB2_5311
; %bb.5304:                             ;   in Loop: Header=BB2_5193 Depth=3
	v_bfe_u32 v60, v56, 23, 8
	v_or_b32_e32 v56, 0x800000, v2
	s_delay_alu instid0(VALU_DEP_2) | instskip(SKIP_1) | instid1(VALU_DEP_2)
	v_dual_mov_b32 v57, v3 :: v_dual_sub_nc_u32 v18, 0x71, v60
	v_cmp_gt_u32_e32 vcc_lo, 0x72, v60
	v_cndmask_b32_e32 v18, 0, v18, vcc_lo
	v_cmp_eq_u32_e32 vcc_lo, 0, v60
	s_delay_alu instid0(VALU_DEP_2) | instskip(NEXT) | instid1(VALU_DEP_1)
	v_cndmask_b32_e64 v61, v18, 0x70, vcc_lo
	v_dual_cndmask_b32 v56, v56, v2, vcc_lo :: v_dual_add_nc_u32 v18, 21, v61
	v_add_nc_u32_e32 v58, 20, v61
	s_delay_alu instid0(VALU_DEP_2) | instskip(NEXT) | instid1(VALU_DEP_2)
	v_lshlrev_b64_e64 v[18:19], v18, -1
	v_lshlrev_b64_e64 v[58:59], v58, 1
	s_delay_alu instid0(VALU_DEP_2) | instskip(SKIP_1) | instid1(VALU_DEP_4)
	v_bfi_b32 v18, v18, 0, v56
	v_lshrrev_b64 v[56:57], v61, v[56:57]
	v_bfi_b32 v19, v19, 0, 0
	s_delay_alu instid0(VALU_DEP_1) | instskip(NEXT) | instid1(VALU_DEP_3)
	v_cmp_eq_u64_e64 s14, v[18:19], v[58:59]
	v_mov_b64_e32 v[58:59], v[56:57]
	s_and_saveexec_b32 s78, s14
; %bb.5305:                             ;   in Loop: Header=BB2_5193 Depth=3
	v_bfe_u32 v18, v56, 21, 1
	v_mov_b32_e32 v19, v3
	s_delay_alu instid0(VALU_DEP_1) | instskip(NEXT) | instid1(VALU_DEP_1)
	v_add_nc_u64_e32 v[18:19], v[56:57], v[18:19]
	v_add_nc_u64_e32 v[58:59], -1, v[18:19]
; %bb.5306:                             ;   in Loop: Header=BB2_5193 Depth=3
	s_or_b32 exec_lo, exec_lo, s78
	v_add_nc_u32_e32 v2, 0xffffff81, v60
	s_delay_alu instid0(VALU_DEP_2) | instskip(SKIP_2) | instid1(VALU_DEP_3)
	v_and_b32_e32 v19, 0x1fffff, v58
	v_lshrrev_b32_e32 v18, 23, v56
	s_mov_b32 s14, exec_lo
                                        ; implicit-def: $vgpr58
	v_cndmask_b32_e64 v2, v2, 0xffffff82, vcc_lo
	s_delay_alu instid0(VALU_DEP_1) | instskip(SKIP_1) | instid1(VALU_DEP_2)
	v_add3_u32 v59, v61, v2, v18
	v_add_nc_u32_e32 v2, v19, v56
                                        ; implicit-def: $vgpr56_vgpr57
	v_add_nc_u32_e32 v60, 14, v59
	s_delay_alu instid0(VALU_DEP_1)
	v_cmpx_ne_u32_e32 0, v60
	s_xor_b32 s14, exec_lo, s14
; %bb.5307:                             ;   in Loop: Header=BB2_5193 Depth=3
	s_delay_alu instid0(VALU_DEP_3) | instskip(SKIP_1) | instid1(VALU_DEP_1)
	v_cmp_lt_u64_e32 vcc_lo, 0xffffff, v[2:3]
	v_add_nc_u32_e32 v18, 15, v59
	v_cndmask_b32_e32 v58, v60, v18, vcc_lo
	v_cndmask_b32_e64 v18, 0, 1, vcc_lo
	s_delay_alu instid0(VALU_DEP_1)
	v_lshrrev_b64 v[56:57], v18, v[2:3]
; %bb.5308:                             ;   in Loop: Header=BB2_5193 Depth=3
	s_and_not1_saveexec_b32 s14, s14
; %bb.5309:                             ;   in Loop: Header=BB2_5193 Depth=3
	v_mov_b64_e32 v[56:57], v[2:3]
	v_bfe_u32 v58, v2, 23, 1
; %bb.5310:                             ;   in Loop: Header=BB2_5193 Depth=3
	s_or_b32 exec_lo, exec_lo, s14
	s_delay_alu instid0(VALU_DEP_2) | instskip(NEXT) | instid1(VALU_DEP_2)
	v_lshrrev_b64 v[18:19], 21, v[56:57]
	v_cmp_gt_i32_e32 vcc_lo, 32, v58
	v_min_i32_e32 v2, 31, v58
	v_cmp_eq_u32_e64 s14, 0, v58
	s_delay_alu instid0(VALU_DEP_2) | instskip(SKIP_1) | instid1(VALU_DEP_2)
	v_dual_cndmask_b32 v19, 0, v19 :: v_dual_lshlrev_b32 v2, 2, v2
	v_cndmask_b32_e32 v18, 3, v18, vcc_lo
	v_and_b32_e32 v2, 0xfc, v2
	s_delay_alu instid0(VALU_DEP_2) | instskip(NEXT) | instid1(VALU_DEP_2)
	v_cmp_eq_u64_e32 vcc_lo, 0, v[18:19]
	v_and_or_b32 v2, v18, 3, v2
	s_and_b32 s14, s14, vcc_lo
	s_delay_alu instid0(VALU_DEP_1) | instid1(SALU_CYCLE_1)
	v_cndmask_b32_e64 v2, v2, 0, s14
	s_delay_alu instid0(VALU_DEP_1)
	v_or_b32_e32 v76, v2, v17
.LBB2_5311:                             ;   in Loop: Header=BB2_5193 Depth=3
	s_or_b32 exec_lo, exec_lo, s77
                                        ; implicit-def: $vgpr17
.LBB2_5312:                             ;   in Loop: Header=BB2_5193 Depth=3
	s_and_not1_saveexec_b32 s14, s43
; %bb.5313:                             ;   in Loop: Header=BB2_5193 Depth=3
	v_or_b32_e32 v76, 0x7b, v17
; %bb.5314:                             ;   in Loop: Header=BB2_5193 Depth=3
	s_or_b32 exec_lo, exec_lo, s14
                                        ; implicit-def: $vgpr56
                                        ; implicit-def: $vgpr17
.LBB2_5315:                             ;   in Loop: Header=BB2_5193 Depth=3
	s_and_not1_saveexec_b32 s14, s42
	s_cbranch_execz .LBB2_5321
; %bb.5316:                             ;   in Loop: Header=BB2_5193 Depth=3
	s_mov_b32 s42, exec_lo
                                        ; implicit-def: $vgpr76
	v_cmpx_ne_u64_e32 0, v[2:3]
	s_xor_b32 s42, exec_lo, s42
; %bb.5317:                             ;   in Loop: Header=BB2_5193 Depth=3
	v_or_b32_e32 v76, 0x7f, v17
                                        ; implicit-def: $vgpr56
; %bb.5318:                             ;   in Loop: Header=BB2_5193 Depth=3
	s_and_not1_saveexec_b32 s42, s42
; %bb.5319:                             ;   in Loop: Header=BB2_5193 Depth=3
	v_cmp_lt_i32_e32 vcc_lo, -1, v56
	v_cndmask_b32_e32 v76, 0xfc, v120, vcc_lo
; %bb.5320:                             ;   in Loop: Header=BB2_5193 Depth=3
	s_or_b32 exec_lo, exec_lo, s42
.LBB2_5321:                             ;   in Loop: Header=BB2_5193 Depth=3
	s_delay_alu instid0(SALU_CYCLE_1) | instskip(SKIP_3) | instid1(VALU_DEP_2)
	s_or_b32 exec_lo, exec_lo, s14
	v_and_b32_e32 v56, 0xff, v9
	v_dual_mov_b32 v2, v9 :: v_dual_mov_b32 v17, 0
	s_mov_b32 s14, exec_lo
	v_cmpx_ne_u16_e32 0, v56
	s_cbranch_execz .LBB2_5331
; %bb.5322:                             ;   in Loop: Header=BB2_5193 Depth=3
	v_bfrev_b32_e32 v17, 1
	s_mov_b32 s42, exec_lo
	v_cmpx_ne_u16_e32 0x80, v56
	s_cbranch_execz .LBB2_5330
; %bb.5323:                             ;   in Loop: Header=BB2_5193 Depth=3
	v_and_b32_e32 v17, 0x7c, v9
	v_and_b32_e32 v56, 3, v9
	s_delay_alu instid0(VALU_DEP_2) | instskip(SKIP_1) | instid1(SALU_CYCLE_1)
	v_cmp_ne_u32_e32 vcc_lo, 0x7c, v17
                                        ; implicit-def: $vgpr17
	s_and_saveexec_b32 s43, vcc_lo
	s_xor_b32 s43, exec_lo, s43
	s_cbranch_execz .LBB2_5327
; %bb.5324:                             ;   in Loop: Header=BB2_5193 Depth=3
	v_bfe_u32 v17, v9, 2, 5
	s_mov_b32 s77, exec_lo
	s_delay_alu instid0(VALU_DEP_1)
	v_cmpx_eq_u32_e32 0, v17
; %bb.5325:                             ;   in Loop: Header=BB2_5193 Depth=3
	v_clz_i32_u32_e32 v17, v56
	s_delay_alu instid0(VALU_DEP_1) | instskip(NEXT) | instid1(VALU_DEP_1)
	v_min_u32_e32 v17, 32, v17
	v_subrev_nc_u32_e32 v18, 29, v17
	s_delay_alu instid0(VALU_DEP_1) | instskip(NEXT) | instid1(VALU_DEP_1)
	v_lshlrev_b64_e32 v[18:19], v18, v[2:3]
	v_dual_sub_nc_u32 v17, 30, v17 :: v_dual_bitop2_b32 v56, 3, v18 bitop3:0x40
; %bb.5326:                             ;   in Loop: Header=BB2_5193 Depth=3
	s_or_b32 exec_lo, exec_lo, s77
	v_lshlrev_b32_e32 v18, 24, v9
	s_delay_alu instid0(VALU_DEP_1) | instskip(NEXT) | instid1(VALU_DEP_1)
	v_and_b32_e32 v18, 0x80000000, v18
	v_lshl_add_u32 v17, v17, 23, v18
	s_delay_alu instid0(VALU_DEP_1) | instskip(NEXT) | instid1(VALU_DEP_1)
	v_lshl_or_b32 v17, v56, 21, v17
                                        ; implicit-def: $vgpr56
	v_add_nc_u32_e32 v17, 0x38000000, v17
.LBB2_5327:                             ;   in Loop: Header=BB2_5193 Depth=3
	s_and_not1_saveexec_b32 s43, s43
; %bb.5328:                             ;   in Loop: Header=BB2_5193 Depth=3
	v_bfe_i32 v17, v9, 0, 8
	s_delay_alu instid0(VALU_DEP_1) | instskip(SKIP_2) | instid1(VALU_DEP_2)
	v_cmp_lt_i16_e32 vcc_lo, -1, v17
	v_cndmask_b32_e32 v17, 0xff800000, v111, vcc_lo
	v_cmp_eq_u32_e32 vcc_lo, 0, v56
	v_cndmask_b32_e32 v17, 0x7f800001, v17, vcc_lo
; %bb.5329:                             ;   in Loop: Header=BB2_5193 Depth=3
	s_or_b32 exec_lo, exec_lo, s43
.LBB2_5330:                             ;   in Loop: Header=BB2_5193 Depth=3
	s_delay_alu instid0(SALU_CYCLE_1)
	s_or_b32 exec_lo, exec_lo, s42
.LBB2_5331:                             ;   in Loop: Header=BB2_5193 Depth=3
	s_delay_alu instid0(SALU_CYCLE_1) | instskip(NEXT) | instid1(VALU_DEP_1)
	s_or_b32 exec_lo, exec_lo, s14
	v_dual_mul_f32 v58, s15, v17 :: v_dual_mov_b32 v19, v3
	v_mov_b32_e32 v57, v3
                                        ; implicit-def: $vgpr60
	s_mov_b32 s14, exec_lo
	s_delay_alu instid0(VALU_DEP_2) | instskip(SKIP_2) | instid1(VALU_DEP_3)
	v_and_b32_e32 v18, 0x7f800000, v58
	v_and_b32_e32 v56, 0x7fffff, v58
	v_lshrrev_b32_e32 v17, 24, v58
	v_cmpx_ne_u64_e32 0x7f800000, v[18:19]
	s_xor_b32 s42, exec_lo, s14
	s_cbranch_execz .LBB2_5345
; %bb.5332:                             ;   in Loop: Header=BB2_5193 Depth=3
	v_and_b32_e32 v18, 0x7fffffff, v58
	v_mov_b32_e32 v19, v3
	v_and_b32_e32 v17, 0x80, v17
                                        ; implicit-def: $vgpr60
	s_mov_b32 s14, exec_lo
	s_delay_alu instid0(VALU_DEP_2)
	v_cmpx_gt_u64_e32 0x47600001, v[18:19]
	s_xor_b32 s43, exec_lo, s14
	s_cbranch_execz .LBB2_5342
; %bb.5333:                             ;   in Loop: Header=BB2_5193 Depth=3
	v_mov_b32_e32 v60, 0
	s_mov_b32 s77, exec_lo
	v_cmpx_ne_u32_e32 0, v58
	s_cbranch_execz .LBB2_5341
; %bb.5334:                             ;   in Loop: Header=BB2_5193 Depth=3
	v_bfe_u32 v60, v58, 23, 8
	v_or_b32_e32 v58, 0x800000, v56
	s_delay_alu instid0(VALU_DEP_2) | instskip(SKIP_1) | instid1(VALU_DEP_2)
	v_sub_nc_u32_e32 v18, 0x71, v60
	v_cmp_gt_u32_e32 vcc_lo, 0x72, v60
	v_cndmask_b32_e32 v18, 0, v18, vcc_lo
	v_cmp_eq_u32_e32 vcc_lo, 0, v60
	s_delay_alu instid0(VALU_DEP_2) | instskip(NEXT) | instid1(VALU_DEP_1)
	v_cndmask_b32_e64 v61, v18, 0x70, vcc_lo
	v_dual_cndmask_b32 v56, v58, v56, vcc_lo :: v_dual_add_nc_u32 v18, 21, v61
	v_add_nc_u32_e32 v59, 20, v61
	s_delay_alu instid0(VALU_DEP_2) | instskip(NEXT) | instid1(VALU_DEP_2)
	v_lshlrev_b64_e64 v[18:19], v18, -1
	v_lshlrev_b64_e64 v[58:59], v59, 1
	s_delay_alu instid0(VALU_DEP_2) | instskip(SKIP_1) | instid1(VALU_DEP_4)
	v_bfi_b32 v18, v18, 0, v56
	v_lshrrev_b64 v[56:57], v61, v[56:57]
	v_bfi_b32 v19, v19, 0, 0
	s_delay_alu instid0(VALU_DEP_1) | instskip(NEXT) | instid1(VALU_DEP_3)
	v_cmp_eq_u64_e64 s14, v[18:19], v[58:59]
	v_mov_b64_e32 v[58:59], v[56:57]
	s_and_saveexec_b32 s78, s14
; %bb.5335:                             ;   in Loop: Header=BB2_5193 Depth=3
	v_bfe_u32 v18, v56, 21, 1
	v_mov_b32_e32 v19, v3
	s_delay_alu instid0(VALU_DEP_1) | instskip(NEXT) | instid1(VALU_DEP_1)
	v_add_nc_u64_e32 v[18:19], v[56:57], v[18:19]
	v_add_nc_u64_e32 v[58:59], -1, v[18:19]
; %bb.5336:                             ;   in Loop: Header=BB2_5193 Depth=3
	s_or_b32 exec_lo, exec_lo, s78
	v_dual_mov_b32 v57, v3 :: v_dual_add_nc_u32 v18, 0xffffff81, v60
	v_lshrrev_b32_e32 v19, 23, v56
	s_mov_b32 s14, exec_lo
	s_delay_alu instid0(VALU_DEP_2) | instskip(NEXT) | instid1(VALU_DEP_1)
	v_cndmask_b32_e64 v18, v18, 0xffffff82, vcc_lo
	v_add3_u32 v59, v61, v18, v19
	v_and_b32_e32 v18, 0x1fffff, v58
                                        ; implicit-def: $vgpr58
	s_delay_alu instid0(VALU_DEP_1) | instskip(NEXT) | instid1(VALU_DEP_1)
	v_dual_add_nc_u32 v60, 14, v59 :: v_dual_add_nc_u32 v56, v18, v56
	v_cmpx_ne_u32_e32 0, v60
	s_xor_b32 s14, exec_lo, s14
; %bb.5337:                             ;   in Loop: Header=BB2_5193 Depth=3
	s_delay_alu instid0(VALU_DEP_2) | instskip(SKIP_1) | instid1(VALU_DEP_1)
	v_cmp_lt_u64_e32 vcc_lo, 0xffffff, v[56:57]
	v_add_nc_u32_e32 v18, 15, v59
	v_cndmask_b32_e32 v58, v60, v18, vcc_lo
	v_cndmask_b32_e64 v18, 0, 1, vcc_lo
	s_delay_alu instid0(VALU_DEP_1)
	v_lshrrev_b64 v[56:57], v18, v[56:57]
; %bb.5338:                             ;   in Loop: Header=BB2_5193 Depth=3
	s_and_not1_saveexec_b32 s14, s14
; %bb.5339:                             ;   in Loop: Header=BB2_5193 Depth=3
	s_delay_alu instid0(VALU_DEP_1)
	v_bfe_u32 v58, v56, 23, 1
; %bb.5340:                             ;   in Loop: Header=BB2_5193 Depth=3
	s_or_b32 exec_lo, exec_lo, s14
	s_delay_alu instid0(VALU_DEP_2) | instskip(NEXT) | instid1(VALU_DEP_2)
	v_lshrrev_b64 v[18:19], 21, v[56:57]
	v_cmp_gt_i32_e32 vcc_lo, 32, v58
	v_min_i32_e32 v56, 31, v58
	v_cmp_eq_u32_e64 s14, 0, v58
	s_delay_alu instid0(VALU_DEP_2) | instskip(SKIP_1) | instid1(VALU_DEP_2)
	v_dual_cndmask_b32 v19, 0, v19 :: v_dual_lshlrev_b32 v56, 2, v56
	v_cndmask_b32_e32 v18, 3, v18, vcc_lo
	v_and_b32_e32 v56, 0xfc, v56
	s_delay_alu instid0(VALU_DEP_2) | instskip(NEXT) | instid1(VALU_DEP_2)
	v_cmp_eq_u64_e32 vcc_lo, 0, v[18:19]
	v_and_or_b32 v18, v18, 3, v56
	s_and_b32 s14, s14, vcc_lo
	s_delay_alu instid0(VALU_DEP_1) | instid1(SALU_CYCLE_1)
	v_cndmask_b32_e64 v18, v18, 0, s14
	s_delay_alu instid0(VALU_DEP_1)
	v_or_b32_e32 v60, v18, v17
.LBB2_5341:                             ;   in Loop: Header=BB2_5193 Depth=3
	s_or_b32 exec_lo, exec_lo, s77
                                        ; implicit-def: $vgpr17
.LBB2_5342:                             ;   in Loop: Header=BB2_5193 Depth=3
	s_and_not1_saveexec_b32 s14, s43
; %bb.5343:                             ;   in Loop: Header=BB2_5193 Depth=3
	v_or_b32_e32 v60, 0x7b, v17
; %bb.5344:                             ;   in Loop: Header=BB2_5193 Depth=3
	s_or_b32 exec_lo, exec_lo, s14
                                        ; implicit-def: $vgpr58
                                        ; implicit-def: $vgpr56_vgpr57
                                        ; implicit-def: $vgpr17
.LBB2_5345:                             ;   in Loop: Header=BB2_5193 Depth=3
	s_and_not1_saveexec_b32 s14, s42
	s_cbranch_execz .LBB2_5351
; %bb.5346:                             ;   in Loop: Header=BB2_5193 Depth=3
	s_mov_b32 s42, exec_lo
                                        ; implicit-def: $vgpr60
	v_cmpx_ne_u64_e32 0, v[56:57]
	s_xor_b32 s42, exec_lo, s42
; %bb.5347:                             ;   in Loop: Header=BB2_5193 Depth=3
	v_or_b32_e32 v60, 0x7f, v17
                                        ; implicit-def: $vgpr58
; %bb.5348:                             ;   in Loop: Header=BB2_5193 Depth=3
	s_and_not1_saveexec_b32 s42, s42
; %bb.5349:                             ;   in Loop: Header=BB2_5193 Depth=3
	v_cmp_lt_i32_e32 vcc_lo, -1, v58
	v_cndmask_b32_e32 v60, 0xfc, v120, vcc_lo
; %bb.5350:                             ;   in Loop: Header=BB2_5193 Depth=3
	s_or_b32 exec_lo, exec_lo, s42
.LBB2_5351:                             ;   in Loop: Header=BB2_5193 Depth=3
	s_delay_alu instid0(SALU_CYCLE_1) | instskip(SKIP_3) | instid1(VALU_DEP_2)
	s_or_b32 exec_lo, exec_lo, s14
	v_lshrrev_b16 v56, 8, v2
	v_mov_b32_e32 v57, 0
	s_mov_b32 s14, exec_lo
	v_cmpx_ne_u16_e32 0, v56
	s_cbranch_execz .LBB2_5361
; %bb.5352:                             ;   in Loop: Header=BB2_5193 Depth=3
	v_bfrev_b32_e32 v57, 1
	s_mov_b32 s42, exec_lo
	v_cmpx_ne_u16_e32 0x80, v56
	s_cbranch_execz .LBB2_5360
; %bb.5353:                             ;   in Loop: Header=BB2_5193 Depth=3
	v_and_b32_e32 v58, 0xffff, v56
	s_mov_b32 s43, exec_lo
                                        ; implicit-def: $vgpr57
	s_delay_alu instid0(VALU_DEP_1) | instskip(SKIP_1) | instid1(VALU_DEP_2)
	v_and_b32_e32 v18, 0x7c, v58
	v_and_b32_e32 v17, 3, v58
	v_cmpx_ne_u32_e32 0x7c, v18
	s_xor_b32 s43, exec_lo, s43
	s_cbranch_execz .LBB2_5357
; %bb.5354:                             ;   in Loop: Header=BB2_5193 Depth=3
	v_bfe_u32 v57, v58, 2, 5
	s_mov_b32 s77, exec_lo
	s_delay_alu instid0(VALU_DEP_1)
	v_cmpx_eq_u32_e32 0, v57
; %bb.5355:                             ;   in Loop: Header=BB2_5193 Depth=3
	v_clz_i32_u32_e32 v17, v17
	v_mov_b32_e32 v57, v3
	s_delay_alu instid0(VALU_DEP_2) | instskip(NEXT) | instid1(VALU_DEP_1)
	v_min_u32_e32 v17, 32, v17
	v_subrev_nc_u32_e32 v18, 29, v17
	s_delay_alu instid0(VALU_DEP_1) | instskip(NEXT) | instid1(VALU_DEP_1)
	v_lshlrev_b64_e32 v[18:19], v18, v[56:57]
	v_dual_sub_nc_u32 v57, 30, v17 :: v_dual_bitop2_b32 v17, 3, v18 bitop3:0x40
; %bb.5356:                             ;   in Loop: Header=BB2_5193 Depth=3
	s_or_b32 exec_lo, exec_lo, s77
	v_lshlrev_b32_e32 v2, 16, v2
	s_delay_alu instid0(VALU_DEP_1) | instskip(NEXT) | instid1(VALU_DEP_1)
	v_and_b32_e32 v2, 0x80000000, v2
	v_lshl_add_u32 v2, v57, 23, v2
	s_delay_alu instid0(VALU_DEP_1) | instskip(NEXT) | instid1(VALU_DEP_1)
	v_lshl_or_b32 v2, v17, 21, v2
                                        ; implicit-def: $vgpr17
	v_add_nc_u32_e32 v57, 0x38000000, v2
.LBB2_5357:                             ;   in Loop: Header=BB2_5193 Depth=3
	s_and_not1_saveexec_b32 s43, s43
; %bb.5358:                             ;   in Loop: Header=BB2_5193 Depth=3
	v_cmp_lt_i16_e32 vcc_lo, -1, v2
	v_cndmask_b32_e32 v2, 0xff800000, v111, vcc_lo
	v_cmp_eq_u32_e32 vcc_lo, 0, v17
	s_delay_alu instid0(VALU_DEP_2)
	v_cndmask_b32_e32 v57, 0x7f800001, v2, vcc_lo
; %bb.5359:                             ;   in Loop: Header=BB2_5193 Depth=3
	s_or_b32 exec_lo, exec_lo, s43
.LBB2_5360:                             ;   in Loop: Header=BB2_5193 Depth=3
	s_delay_alu instid0(SALU_CYCLE_1)
	s_or_b32 exec_lo, exec_lo, s42
.LBB2_5361:                             ;   in Loop: Header=BB2_5193 Depth=3
	s_delay_alu instid0(SALU_CYCLE_1) | instskip(NEXT) | instid1(VALU_DEP_1)
	s_or_b32 exec_lo, exec_lo, s14
	v_dual_mul_f32 v56, s15, v57 :: v_dual_mov_b32 v19, v3
                                        ; implicit-def: $vgpr61
	s_mov_b32 s14, exec_lo
	s_delay_alu instid0(VALU_DEP_1) | instskip(SKIP_2) | instid1(VALU_DEP_3)
	v_and_b32_e32 v18, 0x7f800000, v56
	v_and_b32_e32 v2, 0x7fffff, v56
	v_lshrrev_b32_e32 v17, 24, v56
	v_cmpx_ne_u64_e32 0x7f800000, v[18:19]
	s_xor_b32 s42, exec_lo, s14
	s_cbranch_execz .LBB2_5375
; %bb.5362:                             ;   in Loop: Header=BB2_5193 Depth=3
	v_and_b32_e32 v18, 0x7fffffff, v56
	v_mov_b32_e32 v19, v3
	v_and_b32_e32 v17, 0x80, v17
                                        ; implicit-def: $vgpr61
	s_mov_b32 s14, exec_lo
	s_delay_alu instid0(VALU_DEP_2)
	v_cmpx_gt_u64_e32 0x47600001, v[18:19]
	s_xor_b32 s43, exec_lo, s14
	s_cbranch_execz .LBB2_5372
; %bb.5363:                             ;   in Loop: Header=BB2_5193 Depth=3
	v_mov_b32_e32 v61, 0
	s_mov_b32 s77, exec_lo
	v_cmpx_ne_u32_e32 0, v56
	s_cbranch_execz .LBB2_5371
; %bb.5364:                             ;   in Loop: Header=BB2_5193 Depth=3
	v_bfe_u32 v61, v56, 23, 8
	v_or_b32_e32 v56, 0x800000, v2
	s_delay_alu instid0(VALU_DEP_2) | instskip(SKIP_1) | instid1(VALU_DEP_2)
	v_dual_mov_b32 v57, v3 :: v_dual_sub_nc_u32 v18, 0x71, v61
	v_cmp_gt_u32_e32 vcc_lo, 0x72, v61
	v_cndmask_b32_e32 v18, 0, v18, vcc_lo
	v_cmp_eq_u32_e32 vcc_lo, 0, v61
	s_delay_alu instid0(VALU_DEP_2) | instskip(SKIP_1) | instid1(VALU_DEP_2)
	v_cndmask_b32_e64 v74, v18, 0x70, vcc_lo
	v_cndmask_b32_e32 v56, v56, v2, vcc_lo
	v_dual_add_nc_u32 v18, 21, v74 :: v_dual_add_nc_u32 v58, 20, v74
	s_delay_alu instid0(VALU_DEP_1) | instskip(NEXT) | instid1(VALU_DEP_2)
	v_lshlrev_b64_e64 v[18:19], v18, -1
	v_lshlrev_b64_e64 v[58:59], v58, 1
	s_delay_alu instid0(VALU_DEP_2) | instskip(SKIP_1) | instid1(VALU_DEP_4)
	v_bfi_b32 v18, v18, 0, v56
	v_lshrrev_b64 v[56:57], v74, v[56:57]
	v_bfi_b32 v19, v19, 0, 0
	s_delay_alu instid0(VALU_DEP_1) | instskip(NEXT) | instid1(VALU_DEP_3)
	v_cmp_eq_u64_e64 s14, v[18:19], v[58:59]
	v_mov_b64_e32 v[58:59], v[56:57]
	s_and_saveexec_b32 s78, s14
; %bb.5365:                             ;   in Loop: Header=BB2_5193 Depth=3
	v_bfe_u32 v18, v56, 21, 1
	v_mov_b32_e32 v19, v3
	s_delay_alu instid0(VALU_DEP_1) | instskip(NEXT) | instid1(VALU_DEP_1)
	v_add_nc_u64_e32 v[18:19], v[56:57], v[18:19]
	v_add_nc_u64_e32 v[58:59], -1, v[18:19]
; %bb.5366:                             ;   in Loop: Header=BB2_5193 Depth=3
	s_or_b32 exec_lo, exec_lo, s78
	v_add_nc_u32_e32 v2, 0xffffff81, v61
	s_delay_alu instid0(VALU_DEP_2) | instskip(SKIP_2) | instid1(VALU_DEP_3)
	v_and_b32_e32 v19, 0x1fffff, v58
	v_lshrrev_b32_e32 v18, 23, v56
	s_mov_b32 s14, exec_lo
                                        ; implicit-def: $vgpr58
	v_cndmask_b32_e64 v2, v2, 0xffffff82, vcc_lo
	s_delay_alu instid0(VALU_DEP_1) | instskip(SKIP_1) | instid1(VALU_DEP_2)
	v_add3_u32 v59, v74, v2, v18
	v_add_nc_u32_e32 v2, v19, v56
                                        ; implicit-def: $vgpr56_vgpr57
	v_add_nc_u32_e32 v61, 14, v59
	s_delay_alu instid0(VALU_DEP_1)
	v_cmpx_ne_u32_e32 0, v61
	s_xor_b32 s14, exec_lo, s14
; %bb.5367:                             ;   in Loop: Header=BB2_5193 Depth=3
	s_delay_alu instid0(VALU_DEP_3) | instskip(SKIP_1) | instid1(VALU_DEP_1)
	v_cmp_lt_u64_e32 vcc_lo, 0xffffff, v[2:3]
	v_add_nc_u32_e32 v18, 15, v59
	v_cndmask_b32_e32 v58, v61, v18, vcc_lo
	v_cndmask_b32_e64 v18, 0, 1, vcc_lo
	s_delay_alu instid0(VALU_DEP_1)
	v_lshrrev_b64 v[56:57], v18, v[2:3]
; %bb.5368:                             ;   in Loop: Header=BB2_5193 Depth=3
	s_and_not1_saveexec_b32 s14, s14
; %bb.5369:                             ;   in Loop: Header=BB2_5193 Depth=3
	v_mov_b64_e32 v[56:57], v[2:3]
	v_bfe_u32 v58, v2, 23, 1
; %bb.5370:                             ;   in Loop: Header=BB2_5193 Depth=3
	s_or_b32 exec_lo, exec_lo, s14
	s_delay_alu instid0(VALU_DEP_2) | instskip(NEXT) | instid1(VALU_DEP_2)
	v_lshrrev_b64 v[18:19], 21, v[56:57]
	v_cmp_gt_i32_e32 vcc_lo, 32, v58
	v_min_i32_e32 v2, 31, v58
	v_cmp_eq_u32_e64 s14, 0, v58
	s_delay_alu instid0(VALU_DEP_2) | instskip(SKIP_1) | instid1(VALU_DEP_2)
	v_dual_cndmask_b32 v19, 0, v19 :: v_dual_lshlrev_b32 v2, 2, v2
	v_cndmask_b32_e32 v18, 3, v18, vcc_lo
	v_and_b32_e32 v2, 0xfc, v2
	s_delay_alu instid0(VALU_DEP_2) | instskip(NEXT) | instid1(VALU_DEP_2)
	v_cmp_eq_u64_e32 vcc_lo, 0, v[18:19]
	v_and_or_b32 v2, v18, 3, v2
	s_and_b32 s14, s14, vcc_lo
	s_delay_alu instid0(VALU_DEP_1) | instid1(SALU_CYCLE_1)
	v_cndmask_b32_e64 v2, v2, 0, s14
	s_delay_alu instid0(VALU_DEP_1)
	v_or_b32_e32 v61, v2, v17
.LBB2_5371:                             ;   in Loop: Header=BB2_5193 Depth=3
	s_or_b32 exec_lo, exec_lo, s77
                                        ; implicit-def: $vgpr17
.LBB2_5372:                             ;   in Loop: Header=BB2_5193 Depth=3
	s_and_not1_saveexec_b32 s14, s43
; %bb.5373:                             ;   in Loop: Header=BB2_5193 Depth=3
	v_or_b32_e32 v61, 0x7b, v17
; %bb.5374:                             ;   in Loop: Header=BB2_5193 Depth=3
	s_or_b32 exec_lo, exec_lo, s14
                                        ; implicit-def: $vgpr56
                                        ; implicit-def: $vgpr17
.LBB2_5375:                             ;   in Loop: Header=BB2_5193 Depth=3
	s_and_not1_saveexec_b32 s14, s42
	s_cbranch_execz .LBB2_5381
; %bb.5376:                             ;   in Loop: Header=BB2_5193 Depth=3
	s_mov_b32 s42, exec_lo
                                        ; implicit-def: $vgpr61
	v_cmpx_ne_u64_e32 0, v[2:3]
	s_xor_b32 s42, exec_lo, s42
; %bb.5377:                             ;   in Loop: Header=BB2_5193 Depth=3
	v_or_b32_e32 v61, 0x7f, v17
                                        ; implicit-def: $vgpr56
; %bb.5378:                             ;   in Loop: Header=BB2_5193 Depth=3
	s_and_not1_saveexec_b32 s42, s42
; %bb.5379:                             ;   in Loop: Header=BB2_5193 Depth=3
	v_cmp_lt_i32_e32 vcc_lo, -1, v56
	v_cndmask_b32_e32 v61, 0xfc, v120, vcc_lo
; %bb.5380:                             ;   in Loop: Header=BB2_5193 Depth=3
	s_or_b32 exec_lo, exec_lo, s42
.LBB2_5381:                             ;   in Loop: Header=BB2_5193 Depth=3
	s_delay_alu instid0(SALU_CYCLE_1) | instskip(SKIP_2) | instid1(VALU_DEP_1)
	s_or_b32 exec_lo, exec_lo, s14
	v_dual_mov_b32 v17, 0 :: v_dual_lshrrev_b32 v2, 16, v9
	s_mov_b32 s14, exec_lo
	v_and_b32_e32 v56, 0xff, v2
	s_delay_alu instid0(VALU_DEP_1)
	v_cmpx_ne_u16_e32 0, v56
	s_cbranch_execz .LBB2_5391
; %bb.5382:                             ;   in Loop: Header=BB2_5193 Depth=3
	v_bfrev_b32_e32 v17, 1
	s_mov_b32 s42, exec_lo
	v_cmpx_ne_u16_e32 0x80, v56
	s_cbranch_execz .LBB2_5390
; %bb.5383:                             ;   in Loop: Header=BB2_5193 Depth=3
	v_and_b32_e32 v17, 0x7c0000, v9
	v_bfe_u32 v56, v9, 16, 2
	s_delay_alu instid0(VALU_DEP_2) | instskip(SKIP_1) | instid1(SALU_CYCLE_1)
	v_cmp_ne_u32_e32 vcc_lo, 0x7c0000, v17
                                        ; implicit-def: $vgpr17
	s_and_saveexec_b32 s43, vcc_lo
	s_xor_b32 s43, exec_lo, s43
	s_cbranch_execz .LBB2_5387
; %bb.5384:                             ;   in Loop: Header=BB2_5193 Depth=3
	v_bfe_u32 v17, v9, 18, 5
	s_mov_b32 s77, exec_lo
	s_delay_alu instid0(VALU_DEP_1)
	v_cmpx_eq_u32_e32 0, v17
; %bb.5385:                             ;   in Loop: Header=BB2_5193 Depth=3
	v_clz_i32_u32_e32 v17, v56
	s_delay_alu instid0(VALU_DEP_1) | instskip(NEXT) | instid1(VALU_DEP_1)
	v_min_u32_e32 v17, 32, v17
	v_subrev_nc_u32_e32 v18, 29, v17
	s_delay_alu instid0(VALU_DEP_1) | instskip(NEXT) | instid1(VALU_DEP_1)
	v_lshlrev_b64_e32 v[18:19], v18, v[2:3]
	v_dual_sub_nc_u32 v17, 30, v17 :: v_dual_bitop2_b32 v56, 3, v18 bitop3:0x40
; %bb.5386:                             ;   in Loop: Header=BB2_5193 Depth=3
	s_or_b32 exec_lo, exec_lo, s77
	v_lshlrev_b32_e32 v2, 24, v2
	s_delay_alu instid0(VALU_DEP_1) | instskip(NEXT) | instid1(VALU_DEP_1)
	v_and_b32_e32 v2, 0x80000000, v2
	v_lshl_add_u32 v2, v17, 23, v2
	s_delay_alu instid0(VALU_DEP_1) | instskip(NEXT) | instid1(VALU_DEP_1)
	v_lshl_or_b32 v2, v56, 21, v2
                                        ; implicit-def: $vgpr56
	v_add_nc_u32_e32 v17, 0x38000000, v2
                                        ; implicit-def: $vgpr2
.LBB2_5387:                             ;   in Loop: Header=BB2_5193 Depth=3
	s_and_not1_saveexec_b32 s43, s43
; %bb.5388:                             ;   in Loop: Header=BB2_5193 Depth=3
	v_bfe_i32 v2, v2, 0, 8
	s_delay_alu instid0(VALU_DEP_1) | instskip(SKIP_2) | instid1(VALU_DEP_2)
	v_cmp_lt_i16_e32 vcc_lo, -1, v2
	v_cndmask_b32_e32 v2, 0xff800000, v111, vcc_lo
	v_cmp_eq_u32_e32 vcc_lo, 0, v56
	v_cndmask_b32_e32 v17, 0x7f800001, v2, vcc_lo
; %bb.5389:                             ;   in Loop: Header=BB2_5193 Depth=3
	s_or_b32 exec_lo, exec_lo, s43
.LBB2_5390:                             ;   in Loop: Header=BB2_5193 Depth=3
	s_delay_alu instid0(SALU_CYCLE_1)
	s_or_b32 exec_lo, exec_lo, s42
.LBB2_5391:                             ;   in Loop: Header=BB2_5193 Depth=3
	s_delay_alu instid0(SALU_CYCLE_1) | instskip(NEXT) | instid1(VALU_DEP_1)
	s_or_b32 exec_lo, exec_lo, s14
	v_dual_mul_f32 v56, s15, v17 :: v_dual_mov_b32 v19, v3
                                        ; implicit-def: $vgpr91
	s_mov_b32 s14, exec_lo
	s_delay_alu instid0(VALU_DEP_1) | instskip(SKIP_2) | instid1(VALU_DEP_3)
	v_and_b32_e32 v18, 0x7f800000, v56
	v_and_b32_e32 v2, 0x7fffff, v56
	v_lshrrev_b32_e32 v17, 24, v56
	v_cmpx_ne_u64_e32 0x7f800000, v[18:19]
	s_xor_b32 s42, exec_lo, s14
	s_cbranch_execz .LBB2_5405
; %bb.5392:                             ;   in Loop: Header=BB2_5193 Depth=3
	v_and_b32_e32 v18, 0x7fffffff, v56
	v_mov_b32_e32 v19, v3
	v_and_b32_e32 v17, 0x80, v17
                                        ; implicit-def: $vgpr91
	s_mov_b32 s14, exec_lo
	s_delay_alu instid0(VALU_DEP_2)
	v_cmpx_gt_u64_e32 0x47600001, v[18:19]
	s_xor_b32 s43, exec_lo, s14
	s_cbranch_execz .LBB2_5402
; %bb.5393:                             ;   in Loop: Header=BB2_5193 Depth=3
	v_mov_b32_e32 v91, 0
	s_mov_b32 s77, exec_lo
	v_cmpx_ne_u32_e32 0, v56
	s_cbranch_execz .LBB2_5401
; %bb.5394:                             ;   in Loop: Header=BB2_5193 Depth=3
	v_bfe_u32 v74, v56, 23, 8
	v_or_b32_e32 v56, 0x800000, v2
	s_delay_alu instid0(VALU_DEP_2) | instskip(SKIP_1) | instid1(VALU_DEP_2)
	v_dual_mov_b32 v57, v3 :: v_dual_sub_nc_u32 v18, 0x71, v74
	v_cmp_gt_u32_e32 vcc_lo, 0x72, v74
	v_cndmask_b32_e32 v18, 0, v18, vcc_lo
	v_cmp_eq_u32_e32 vcc_lo, 0, v74
	s_delay_alu instid0(VALU_DEP_2) | instskip(NEXT) | instid1(VALU_DEP_1)
	v_cndmask_b32_e64 v75, v18, 0x70, vcc_lo
	v_dual_cndmask_b32 v56, v56, v2, vcc_lo :: v_dual_add_nc_u32 v18, 21, v75
	v_add_nc_u32_e32 v58, 20, v75
	s_delay_alu instid0(VALU_DEP_2) | instskip(NEXT) | instid1(VALU_DEP_2)
	v_lshlrev_b64_e64 v[18:19], v18, -1
	v_lshlrev_b64_e64 v[58:59], v58, 1
	s_delay_alu instid0(VALU_DEP_2) | instskip(SKIP_1) | instid1(VALU_DEP_4)
	v_bfi_b32 v18, v18, 0, v56
	v_lshrrev_b64 v[56:57], v75, v[56:57]
	v_bfi_b32 v19, v19, 0, 0
	s_delay_alu instid0(VALU_DEP_1) | instskip(NEXT) | instid1(VALU_DEP_3)
	v_cmp_eq_u64_e64 s14, v[18:19], v[58:59]
	v_mov_b64_e32 v[58:59], v[56:57]
	s_and_saveexec_b32 s78, s14
; %bb.5395:                             ;   in Loop: Header=BB2_5193 Depth=3
	v_bfe_u32 v18, v56, 21, 1
	v_mov_b32_e32 v19, v3
	s_delay_alu instid0(VALU_DEP_1) | instskip(NEXT) | instid1(VALU_DEP_1)
	v_add_nc_u64_e32 v[18:19], v[56:57], v[18:19]
	v_add_nc_u64_e32 v[58:59], -1, v[18:19]
; %bb.5396:                             ;   in Loop: Header=BB2_5193 Depth=3
	s_or_b32 exec_lo, exec_lo, s78
	v_add_nc_u32_e32 v2, 0xffffff81, v74
	s_delay_alu instid0(VALU_DEP_2) | instskip(SKIP_2) | instid1(VALU_DEP_3)
	v_and_b32_e32 v19, 0x1fffff, v58
	v_lshrrev_b32_e32 v18, 23, v56
	s_mov_b32 s14, exec_lo
                                        ; implicit-def: $vgpr58
	v_cndmask_b32_e64 v2, v2, 0xffffff82, vcc_lo
	s_delay_alu instid0(VALU_DEP_1) | instskip(SKIP_1) | instid1(VALU_DEP_2)
	v_add3_u32 v59, v75, v2, v18
	v_add_nc_u32_e32 v2, v19, v56
                                        ; implicit-def: $vgpr56_vgpr57
	v_add_nc_u32_e32 v74, 14, v59
	s_delay_alu instid0(VALU_DEP_1)
	v_cmpx_ne_u32_e32 0, v74
	s_xor_b32 s14, exec_lo, s14
; %bb.5397:                             ;   in Loop: Header=BB2_5193 Depth=3
	s_delay_alu instid0(VALU_DEP_3) | instskip(SKIP_1) | instid1(VALU_DEP_1)
	v_cmp_lt_u64_e32 vcc_lo, 0xffffff, v[2:3]
	v_add_nc_u32_e32 v18, 15, v59
	v_cndmask_b32_e32 v58, v74, v18, vcc_lo
	v_cndmask_b32_e64 v18, 0, 1, vcc_lo
	s_delay_alu instid0(VALU_DEP_1)
	v_lshrrev_b64 v[56:57], v18, v[2:3]
; %bb.5398:                             ;   in Loop: Header=BB2_5193 Depth=3
	s_and_not1_saveexec_b32 s14, s14
; %bb.5399:                             ;   in Loop: Header=BB2_5193 Depth=3
	v_mov_b64_e32 v[56:57], v[2:3]
	v_bfe_u32 v58, v2, 23, 1
; %bb.5400:                             ;   in Loop: Header=BB2_5193 Depth=3
	s_or_b32 exec_lo, exec_lo, s14
	s_delay_alu instid0(VALU_DEP_2) | instskip(NEXT) | instid1(VALU_DEP_2)
	v_lshrrev_b64 v[18:19], 21, v[56:57]
	v_cmp_gt_i32_e32 vcc_lo, 32, v58
	v_min_i32_e32 v2, 31, v58
	v_cmp_eq_u32_e64 s14, 0, v58
	s_delay_alu instid0(VALU_DEP_2) | instskip(SKIP_1) | instid1(VALU_DEP_2)
	v_dual_cndmask_b32 v19, 0, v19 :: v_dual_lshlrev_b32 v2, 2, v2
	v_cndmask_b32_e32 v18, 3, v18, vcc_lo
	v_and_b32_e32 v2, 0xfc, v2
	s_delay_alu instid0(VALU_DEP_2) | instskip(NEXT) | instid1(VALU_DEP_2)
	v_cmp_eq_u64_e32 vcc_lo, 0, v[18:19]
	v_and_or_b32 v2, v18, 3, v2
	s_and_b32 s14, s14, vcc_lo
	s_delay_alu instid0(VALU_DEP_1) | instid1(SALU_CYCLE_1)
	v_cndmask_b32_e64 v2, v2, 0, s14
	s_delay_alu instid0(VALU_DEP_1)
	v_or_b32_e32 v91, v2, v17
.LBB2_5401:                             ;   in Loop: Header=BB2_5193 Depth=3
	s_or_b32 exec_lo, exec_lo, s77
                                        ; implicit-def: $vgpr17
.LBB2_5402:                             ;   in Loop: Header=BB2_5193 Depth=3
	s_and_not1_saveexec_b32 s14, s43
; %bb.5403:                             ;   in Loop: Header=BB2_5193 Depth=3
	v_or_b32_e32 v91, 0x7b, v17
; %bb.5404:                             ;   in Loop: Header=BB2_5193 Depth=3
	s_or_b32 exec_lo, exec_lo, s14
                                        ; implicit-def: $vgpr56
                                        ; implicit-def: $vgpr17
.LBB2_5405:                             ;   in Loop: Header=BB2_5193 Depth=3
	s_and_not1_saveexec_b32 s14, s42
	s_cbranch_execz .LBB2_5411
; %bb.5406:                             ;   in Loop: Header=BB2_5193 Depth=3
	s_mov_b32 s42, exec_lo
                                        ; implicit-def: $vgpr91
	v_cmpx_ne_u64_e32 0, v[2:3]
	s_xor_b32 s42, exec_lo, s42
; %bb.5407:                             ;   in Loop: Header=BB2_5193 Depth=3
	v_or_b32_e32 v91, 0x7f, v17
                                        ; implicit-def: $vgpr56
; %bb.5408:                             ;   in Loop: Header=BB2_5193 Depth=3
	s_and_not1_saveexec_b32 s42, s42
; %bb.5409:                             ;   in Loop: Header=BB2_5193 Depth=3
	v_cmp_lt_i32_e32 vcc_lo, -1, v56
	v_cndmask_b32_e32 v91, 0xfc, v120, vcc_lo
; %bb.5410:                             ;   in Loop: Header=BB2_5193 Depth=3
	s_or_b32 exec_lo, exec_lo, s42
.LBB2_5411:                             ;   in Loop: Header=BB2_5193 Depth=3
	s_delay_alu instid0(SALU_CYCLE_1)
	s_or_b32 exec_lo, exec_lo, s14
	v_mov_b32_e32 v17, 0
	s_mov_b32 s14, exec_lo
	v_cmpx_lt_u64_e64 s[22:23], v[8:9]
	s_cbranch_execz .LBB2_5421
; %bb.5412:                             ;   in Loop: Header=BB2_5193 Depth=3
	v_lshrrev_b32_e32 v2, 24, v9
	v_bfrev_b32_e32 v17, 1
	s_mov_b32 s42, exec_lo
	s_delay_alu instid0(VALU_DEP_2)
	v_cmpx_ne_u32_e32 0x80, v2
	s_cbranch_execz .LBB2_5420
; %bb.5413:                             ;   in Loop: Header=BB2_5193 Depth=3
	v_and_b32_e32 v17, 0x7c000000, v9
	v_bfe_u32 v56, v9, 24, 2
	s_delay_alu instid0(VALU_DEP_2) | instskip(SKIP_1) | instid1(SALU_CYCLE_1)
	v_cmp_ne_u32_e32 vcc_lo, 0x7c000000, v17
                                        ; implicit-def: $vgpr17
	s_and_saveexec_b32 s43, vcc_lo
	s_xor_b32 s43, exec_lo, s43
	s_cbranch_execz .LBB2_5417
; %bb.5414:                             ;   in Loop: Header=BB2_5193 Depth=3
	v_bfe_u32 v17, v9, 26, 5
	s_mov_b32 s77, exec_lo
	s_delay_alu instid0(VALU_DEP_1)
	v_cmpx_eq_u32_e32 0, v17
; %bb.5415:                             ;   in Loop: Header=BB2_5193 Depth=3
	v_clz_i32_u32_e32 v17, v56
	s_delay_alu instid0(VALU_DEP_1) | instskip(NEXT) | instid1(VALU_DEP_1)
	v_min_u32_e32 v17, 32, v17
	v_subrev_nc_u32_e32 v18, 29, v17
	s_delay_alu instid0(VALU_DEP_1) | instskip(NEXT) | instid1(VALU_DEP_1)
	v_lshlrev_b64_e32 v[18:19], v18, v[2:3]
	v_dual_sub_nc_u32 v17, 30, v17 :: v_dual_bitop2_b32 v56, 3, v18 bitop3:0x40
; %bb.5416:                             ;   in Loop: Header=BB2_5193 Depth=3
	s_or_b32 exec_lo, exec_lo, s77
	v_and_b32_e32 v2, 0x80000000, v9
	s_delay_alu instid0(VALU_DEP_1) | instskip(NEXT) | instid1(VALU_DEP_1)
	v_lshl_add_u32 v2, v17, 23, v2
	v_lshl_or_b32 v2, v56, 21, v2
                                        ; implicit-def: $vgpr56
	s_delay_alu instid0(VALU_DEP_1)
	v_add_nc_u32_e32 v17, 0x38000000, v2
.LBB2_5417:                             ;   in Loop: Header=BB2_5193 Depth=3
	s_and_not1_saveexec_b32 s43, s43
; %bb.5418:                             ;   in Loop: Header=BB2_5193 Depth=3
	v_cmp_lt_i64_e32 vcc_lo, -1, v[8:9]
	v_cndmask_b32_e32 v2, 0xff800000, v111, vcc_lo
	v_cmp_eq_u32_e32 vcc_lo, 0, v56
	s_delay_alu instid0(VALU_DEP_2)
	v_cndmask_b32_e32 v17, 0x7f800001, v2, vcc_lo
; %bb.5419:                             ;   in Loop: Header=BB2_5193 Depth=3
	s_or_b32 exec_lo, exec_lo, s43
.LBB2_5420:                             ;   in Loop: Header=BB2_5193 Depth=3
	s_delay_alu instid0(SALU_CYCLE_1)
	s_or_b32 exec_lo, exec_lo, s42
.LBB2_5421:                             ;   in Loop: Header=BB2_5193 Depth=3
	s_delay_alu instid0(SALU_CYCLE_1) | instskip(NEXT) | instid1(VALU_DEP_1)
	s_or_b32 exec_lo, exec_lo, s14
	v_dual_mul_f32 v8, s15, v17 :: v_dual_mov_b32 v19, v3
                                        ; implicit-def: $vgpr92
	s_mov_b32 s14, exec_lo
	s_delay_alu instid0(VALU_DEP_1) | instskip(SKIP_2) | instid1(VALU_DEP_3)
	v_and_b32_e32 v18, 0x7f800000, v8
	v_and_b32_e32 v2, 0x7fffff, v8
	v_lshrrev_b32_e32 v9, 24, v8
	v_cmpx_ne_u64_e32 0x7f800000, v[18:19]
	s_xor_b32 s42, exec_lo, s14
	s_cbranch_execz .LBB2_5435
; %bb.5422:                             ;   in Loop: Header=BB2_5193 Depth=3
	v_and_b32_e32 v18, 0x7fffffff, v8
	v_mov_b32_e32 v19, v3
	v_and_b32_e32 v17, 0x80, v9
                                        ; implicit-def: $vgpr92
	s_mov_b32 s14, exec_lo
	s_delay_alu instid0(VALU_DEP_2)
	v_cmpx_gt_u64_e32 0x47600001, v[18:19]
	s_xor_b32 s43, exec_lo, s14
	s_cbranch_execz .LBB2_5432
; %bb.5423:                             ;   in Loop: Header=BB2_5193 Depth=3
	v_mov_b32_e32 v92, 0
	s_mov_b32 s77, exec_lo
	v_cmpx_ne_u32_e32 0, v8
	s_cbranch_execz .LBB2_5431
; %bb.5424:                             ;   in Loop: Header=BB2_5193 Depth=3
	v_bfe_u32 v58, v8, 23, 8
	v_or_b32_e32 v18, 0x800000, v2
	s_delay_alu instid0(VALU_DEP_2) | instskip(SKIP_1) | instid1(VALU_DEP_2)
	v_dual_mov_b32 v19, v3 :: v_dual_sub_nc_u32 v8, 0x71, v58
	v_cmp_gt_u32_e32 vcc_lo, 0x72, v58
	v_cndmask_b32_e32 v8, 0, v8, vcc_lo
	v_cmp_eq_u32_e32 vcc_lo, 0, v58
	s_delay_alu instid0(VALU_DEP_2) | instskip(NEXT) | instid1(VALU_DEP_1)
	v_cndmask_b32_e64 v59, v8, 0x70, vcc_lo
	v_dual_cndmask_b32 v18, v18, v2, vcc_lo :: v_dual_add_nc_u32 v8, 21, v59
	v_add_nc_u32_e32 v56, 20, v59
	s_delay_alu instid0(VALU_DEP_2) | instskip(NEXT) | instid1(VALU_DEP_2)
	v_lshlrev_b64_e64 v[8:9], v8, -1
	v_lshlrev_b64_e64 v[56:57], v56, 1
	s_delay_alu instid0(VALU_DEP_2) | instskip(NEXT) | instid1(VALU_DEP_3)
	v_bfi_b32 v75, v9, 0, 0
	v_bfi_b32 v74, v8, 0, v18
	v_lshrrev_b64 v[8:9], v59, v[18:19]
	s_delay_alu instid0(VALU_DEP_2) | instskip(NEXT) | instid1(VALU_DEP_2)
	v_cmp_eq_u64_e64 s14, v[74:75], v[56:57]
	v_mov_b64_e32 v[56:57], v[8:9]
	s_and_saveexec_b32 s78, s14
; %bb.5425:                             ;   in Loop: Header=BB2_5193 Depth=3
	v_bfe_u32 v18, v8, 21, 1
	v_mov_b32_e32 v19, v3
	s_delay_alu instid0(VALU_DEP_1) | instskip(NEXT) | instid1(VALU_DEP_1)
	v_add_nc_u64_e32 v[18:19], v[8:9], v[18:19]
	v_add_nc_u64_e32 v[56:57], -1, v[18:19]
; %bb.5426:                             ;   in Loop: Header=BB2_5193 Depth=3
	s_or_b32 exec_lo, exec_lo, s78
	v_add_nc_u32_e32 v2, 0xffffff81, v58
	s_delay_alu instid0(VALU_DEP_2) | instskip(SKIP_2) | instid1(VALU_DEP_3)
	v_and_b32_e32 v18, 0x1fffff, v56
	v_lshrrev_b32_e32 v9, 23, v8
	s_mov_b32 s14, exec_lo
                                        ; implicit-def: $vgpr56
	v_cndmask_b32_e64 v2, v2, 0xffffff82, vcc_lo
	s_delay_alu instid0(VALU_DEP_1) | instskip(SKIP_1) | instid1(VALU_DEP_2)
	v_add3_u32 v57, v59, v2, v9
	v_add_nc_u32_e32 v2, v18, v8
                                        ; implicit-def: $vgpr8_vgpr9
	v_add_nc_u32_e32 v58, 14, v57
	s_delay_alu instid0(VALU_DEP_1)
	v_cmpx_ne_u32_e32 0, v58
	s_xor_b32 s14, exec_lo, s14
; %bb.5427:                             ;   in Loop: Header=BB2_5193 Depth=3
	s_delay_alu instid0(VALU_DEP_3) | instskip(SKIP_1) | instid1(VALU_DEP_1)
	v_cmp_lt_u64_e32 vcc_lo, 0xffffff, v[2:3]
	v_add_nc_u32_e32 v8, 15, v57
	v_cndmask_b32_e32 v56, v58, v8, vcc_lo
	v_cndmask_b32_e64 v8, 0, 1, vcc_lo
	s_delay_alu instid0(VALU_DEP_1)
	v_lshrrev_b64 v[8:9], v8, v[2:3]
; %bb.5428:                             ;   in Loop: Header=BB2_5193 Depth=3
	s_and_not1_saveexec_b32 s14, s14
; %bb.5429:                             ;   in Loop: Header=BB2_5193 Depth=3
	v_mov_b64_e32 v[8:9], v[2:3]
	v_bfe_u32 v56, v2, 23, 1
; %bb.5430:                             ;   in Loop: Header=BB2_5193 Depth=3
	s_or_b32 exec_lo, exec_lo, s14
	s_delay_alu instid0(VALU_DEP_2) | instskip(NEXT) | instid1(VALU_DEP_2)
	v_lshrrev_b64 v[8:9], 21, v[8:9]
	v_cmp_gt_i32_e32 vcc_lo, 32, v56
	v_min_i32_e32 v2, 31, v56
	v_cmp_eq_u32_e64 s14, 0, v56
	s_delay_alu instid0(VALU_DEP_2) | instskip(SKIP_1) | instid1(VALU_DEP_2)
	v_dual_cndmask_b32 v9, 0, v9 :: v_dual_lshlrev_b32 v2, 2, v2
	v_cndmask_b32_e32 v8, 3, v8, vcc_lo
	v_and_b32_e32 v2, 0xfc, v2
	s_delay_alu instid0(VALU_DEP_2) | instskip(NEXT) | instid1(VALU_DEP_2)
	v_cmp_eq_u64_e32 vcc_lo, 0, v[8:9]
	v_and_or_b32 v2, v8, 3, v2
	s_and_b32 s14, s14, vcc_lo
	s_delay_alu instid0(VALU_DEP_1) | instid1(SALU_CYCLE_1)
	v_cndmask_b32_e64 v2, v2, 0, s14
	s_delay_alu instid0(VALU_DEP_1)
	v_or_b32_e32 v92, v2, v17
.LBB2_5431:                             ;   in Loop: Header=BB2_5193 Depth=3
	s_or_b32 exec_lo, exec_lo, s77
                                        ; implicit-def: $vgpr17
.LBB2_5432:                             ;   in Loop: Header=BB2_5193 Depth=3
	s_and_not1_saveexec_b32 s14, s43
; %bb.5433:                             ;   in Loop: Header=BB2_5193 Depth=3
	v_or_b32_e32 v92, 0x7b, v17
; %bb.5434:                             ;   in Loop: Header=BB2_5193 Depth=3
	s_or_b32 exec_lo, exec_lo, s14
                                        ; implicit-def: $vgpr8
                                        ; implicit-def: $vgpr9
.LBB2_5435:                             ;   in Loop: Header=BB2_5193 Depth=3
	s_and_not1_saveexec_b32 s14, s42
	s_cbranch_execz .LBB2_5441
; %bb.5436:                             ;   in Loop: Header=BB2_5193 Depth=3
	s_mov_b32 s42, exec_lo
                                        ; implicit-def: $vgpr92
	v_cmpx_ne_u64_e32 0, v[2:3]
	s_xor_b32 s42, exec_lo, s42
; %bb.5437:                             ;   in Loop: Header=BB2_5193 Depth=3
	v_or_b32_e32 v92, 0x7f, v9
                                        ; implicit-def: $vgpr8
; %bb.5438:                             ;   in Loop: Header=BB2_5193 Depth=3
	s_and_not1_saveexec_b32 s42, s42
; %bb.5439:                             ;   in Loop: Header=BB2_5193 Depth=3
	v_cmp_lt_i32_e32 vcc_lo, -1, v8
	v_cndmask_b32_e32 v92, 0xfc, v120, vcc_lo
; %bb.5440:                             ;   in Loop: Header=BB2_5193 Depth=3
	s_or_b32 exec_lo, exec_lo, s42
.LBB2_5441:                             ;   in Loop: Header=BB2_5193 Depth=3
	s_delay_alu instid0(SALU_CYCLE_1) | instskip(SKIP_1) | instid1(VALU_DEP_1)
	s_or_b32 exec_lo, exec_lo, s14
	v_and_b32_e32 v2, 0xff, v10
	v_cmp_ne_u16_e32 vcc_lo, 0, v2
	v_mov_b32_e32 v2, 0
	s_and_saveexec_b32 s14, vcc_lo
	s_cbranch_execz .LBB2_5451
; %bb.5442:                             ;   in Loop: Header=BB2_5193 Depth=3
	v_bfe_i32 v9, v10, 0, 8
	v_bfrev_b32_e32 v2, 1
	s_mov_b32 s42, exec_lo
	s_delay_alu instid0(VALU_DEP_2)
	v_cmpx_ne_u16_e32 0xff80, v9
	s_cbranch_execz .LBB2_5450
; %bb.5443:                             ;   in Loop: Header=BB2_5193 Depth=3
	v_and_b32_e32 v2, 0x7c, v10
	v_and_b32_e32 v8, 3, v10
	s_delay_alu instid0(VALU_DEP_2) | instskip(SKIP_1) | instid1(SALU_CYCLE_1)
	v_cmp_ne_u32_e32 vcc_lo, 0x7c, v2
                                        ; implicit-def: $vgpr2
	s_and_saveexec_b32 s43, vcc_lo
	s_xor_b32 s43, exec_lo, s43
	s_cbranch_execz .LBB2_5447
; %bb.5444:                             ;   in Loop: Header=BB2_5193 Depth=3
	v_bfe_u32 v2, v10, 2, 5
	s_mov_b32 s77, exec_lo
	s_delay_alu instid0(VALU_DEP_1)
	v_cmpx_eq_u32_e32 0, v2
; %bb.5445:                             ;   in Loop: Header=BB2_5193 Depth=3
	v_clz_i32_u32_e32 v2, v8
	s_delay_alu instid0(VALU_DEP_1) | instskip(NEXT) | instid1(VALU_DEP_1)
	v_min_u32_e32 v2, 32, v2
	v_subrev_nc_u32_e32 v8, 29, v2
	s_delay_alu instid0(VALU_DEP_1) | instskip(NEXT) | instid1(VALU_DEP_1)
	v_lshlrev_b64_e32 v[8:9], v8, v[10:11]
	v_dual_sub_nc_u32 v2, 30, v2 :: v_dual_bitop2_b32 v8, 3, v8 bitop3:0x40
; %bb.5446:                             ;   in Loop: Header=BB2_5193 Depth=3
	s_or_b32 exec_lo, exec_lo, s77
	v_lshlrev_b32_e32 v9, 24, v10
	s_delay_alu instid0(VALU_DEP_1) | instskip(NEXT) | instid1(VALU_DEP_1)
	v_and_b32_e32 v9, 0x80000000, v9
	v_lshl_add_u32 v2, v2, 23, v9
                                        ; implicit-def: $vgpr9
	s_delay_alu instid0(VALU_DEP_1) | instskip(NEXT) | instid1(VALU_DEP_1)
	v_lshl_or_b32 v2, v8, 21, v2
                                        ; implicit-def: $vgpr8
	v_add_nc_u32_e32 v2, 0x38000000, v2
.LBB2_5447:                             ;   in Loop: Header=BB2_5193 Depth=3
	s_and_not1_saveexec_b32 s43, s43
; %bb.5448:                             ;   in Loop: Header=BB2_5193 Depth=3
	v_cmp_lt_i16_e32 vcc_lo, -1, v9
	v_cndmask_b32_e32 v2, 0xff800000, v111, vcc_lo
	v_cmp_eq_u32_e32 vcc_lo, 0, v8
	s_delay_alu instid0(VALU_DEP_2)
	v_cndmask_b32_e32 v2, 0x7f800001, v2, vcc_lo
; %bb.5449:                             ;   in Loop: Header=BB2_5193 Depth=3
	s_or_b32 exec_lo, exec_lo, s43
.LBB2_5450:                             ;   in Loop: Header=BB2_5193 Depth=3
	s_delay_alu instid0(SALU_CYCLE_1)
	s_or_b32 exec_lo, exec_lo, s42
.LBB2_5451:                             ;   in Loop: Header=BB2_5193 Depth=3
	s_delay_alu instid0(SALU_CYCLE_1) | instskip(NEXT) | instid1(VALU_DEP_1)
	s_or_b32 exec_lo, exec_lo, s14
	v_dual_mul_f32 v8, s15, v2 :: v_dual_mov_b32 v19, v3
                                        ; implicit-def: $vgpr74
	s_mov_b32 s14, exec_lo
	s_delay_alu instid0(VALU_DEP_1) | instskip(SKIP_2) | instid1(VALU_DEP_3)
	v_and_b32_e32 v18, 0x7f800000, v8
	v_and_b32_e32 v2, 0x7fffff, v8
	v_lshrrev_b32_e32 v9, 24, v8
	v_cmpx_ne_u64_e32 0x7f800000, v[18:19]
	s_xor_b32 s42, exec_lo, s14
	s_cbranch_execz .LBB2_5465
; %bb.5452:                             ;   in Loop: Header=BB2_5193 Depth=3
	v_and_b32_e32 v18, 0x7fffffff, v8
	v_mov_b32_e32 v19, v3
	v_and_b32_e32 v17, 0x80, v9
                                        ; implicit-def: $vgpr74
	s_mov_b32 s14, exec_lo
	s_delay_alu instid0(VALU_DEP_2)
	v_cmpx_gt_u64_e32 0x47600001, v[18:19]
	s_xor_b32 s43, exec_lo, s14
	s_cbranch_execz .LBB2_5462
; %bb.5453:                             ;   in Loop: Header=BB2_5193 Depth=3
	v_mov_b32_e32 v74, 0
	s_mov_b32 s77, exec_lo
	v_cmpx_ne_u32_e32 0, v8
	s_cbranch_execz .LBB2_5461
; %bb.5454:                             ;   in Loop: Header=BB2_5193 Depth=3
	v_bfe_u32 v58, v8, 23, 8
	v_or_b32_e32 v18, 0x800000, v2
	s_delay_alu instid0(VALU_DEP_2) | instskip(SKIP_1) | instid1(VALU_DEP_2)
	v_dual_mov_b32 v19, v3 :: v_dual_sub_nc_u32 v8, 0x71, v58
	v_cmp_gt_u32_e32 vcc_lo, 0x72, v58
	v_cndmask_b32_e32 v8, 0, v8, vcc_lo
	v_cmp_eq_u32_e32 vcc_lo, 0, v58
	s_delay_alu instid0(VALU_DEP_2) | instskip(NEXT) | instid1(VALU_DEP_1)
	v_cndmask_b32_e64 v59, v8, 0x70, vcc_lo
	v_dual_cndmask_b32 v18, v18, v2, vcc_lo :: v_dual_add_nc_u32 v8, 21, v59
	v_add_nc_u32_e32 v56, 20, v59
	s_delay_alu instid0(VALU_DEP_2) | instskip(NEXT) | instid1(VALU_DEP_2)
	v_lshlrev_b64_e64 v[8:9], v8, -1
	v_lshlrev_b64_e64 v[56:57], v56, 1
	s_delay_alu instid0(VALU_DEP_2) | instskip(NEXT) | instid1(VALU_DEP_3)
	v_bfi_b32 v75, v9, 0, 0
	v_bfi_b32 v74, v8, 0, v18
	v_lshrrev_b64 v[8:9], v59, v[18:19]
	s_delay_alu instid0(VALU_DEP_2) | instskip(NEXT) | instid1(VALU_DEP_2)
	v_cmp_eq_u64_e64 s14, v[74:75], v[56:57]
	v_mov_b64_e32 v[56:57], v[8:9]
	s_and_saveexec_b32 s78, s14
; %bb.5455:                             ;   in Loop: Header=BB2_5193 Depth=3
	v_bfe_u32 v18, v8, 21, 1
	v_mov_b32_e32 v19, v3
	s_delay_alu instid0(VALU_DEP_1) | instskip(NEXT) | instid1(VALU_DEP_1)
	v_add_nc_u64_e32 v[18:19], v[8:9], v[18:19]
	v_add_nc_u64_e32 v[56:57], -1, v[18:19]
; %bb.5456:                             ;   in Loop: Header=BB2_5193 Depth=3
	s_or_b32 exec_lo, exec_lo, s78
	v_add_nc_u32_e32 v2, 0xffffff81, v58
	s_delay_alu instid0(VALU_DEP_2) | instskip(SKIP_2) | instid1(VALU_DEP_3)
	v_and_b32_e32 v18, 0x1fffff, v56
	v_lshrrev_b32_e32 v9, 23, v8
	s_mov_b32 s14, exec_lo
                                        ; implicit-def: $vgpr56
	v_cndmask_b32_e64 v2, v2, 0xffffff82, vcc_lo
	s_delay_alu instid0(VALU_DEP_1) | instskip(SKIP_1) | instid1(VALU_DEP_2)
	v_add3_u32 v57, v59, v2, v9
	v_add_nc_u32_e32 v2, v18, v8
                                        ; implicit-def: $vgpr8_vgpr9
	v_add_nc_u32_e32 v58, 14, v57
	s_delay_alu instid0(VALU_DEP_1)
	v_cmpx_ne_u32_e32 0, v58
	s_xor_b32 s14, exec_lo, s14
; %bb.5457:                             ;   in Loop: Header=BB2_5193 Depth=3
	s_delay_alu instid0(VALU_DEP_3) | instskip(SKIP_1) | instid1(VALU_DEP_1)
	v_cmp_lt_u64_e32 vcc_lo, 0xffffff, v[2:3]
	v_add_nc_u32_e32 v8, 15, v57
	v_cndmask_b32_e32 v56, v58, v8, vcc_lo
	v_cndmask_b32_e64 v8, 0, 1, vcc_lo
	s_delay_alu instid0(VALU_DEP_1)
	v_lshrrev_b64 v[8:9], v8, v[2:3]
; %bb.5458:                             ;   in Loop: Header=BB2_5193 Depth=3
	s_and_not1_saveexec_b32 s14, s14
; %bb.5459:                             ;   in Loop: Header=BB2_5193 Depth=3
	v_mov_b64_e32 v[8:9], v[2:3]
	v_bfe_u32 v56, v2, 23, 1
; %bb.5460:                             ;   in Loop: Header=BB2_5193 Depth=3
	s_or_b32 exec_lo, exec_lo, s14
	s_delay_alu instid0(VALU_DEP_2) | instskip(NEXT) | instid1(VALU_DEP_2)
	v_lshrrev_b64 v[8:9], 21, v[8:9]
	v_cmp_gt_i32_e32 vcc_lo, 32, v56
	v_min_i32_e32 v2, 31, v56
	v_cmp_eq_u32_e64 s14, 0, v56
	s_delay_alu instid0(VALU_DEP_2) | instskip(SKIP_1) | instid1(VALU_DEP_2)
	v_dual_cndmask_b32 v9, 0, v9 :: v_dual_lshlrev_b32 v2, 2, v2
	v_cndmask_b32_e32 v8, 3, v8, vcc_lo
	v_and_b32_e32 v2, 0xfc, v2
	s_delay_alu instid0(VALU_DEP_2) | instskip(NEXT) | instid1(VALU_DEP_2)
	v_cmp_eq_u64_e32 vcc_lo, 0, v[8:9]
	v_and_or_b32 v2, v8, 3, v2
	s_and_b32 s14, s14, vcc_lo
	s_delay_alu instid0(VALU_DEP_1) | instid1(SALU_CYCLE_1)
	v_cndmask_b32_e64 v2, v2, 0, s14
	s_delay_alu instid0(VALU_DEP_1)
	v_or_b32_e32 v74, v2, v17
.LBB2_5461:                             ;   in Loop: Header=BB2_5193 Depth=3
	s_or_b32 exec_lo, exec_lo, s77
                                        ; implicit-def: $vgpr17
.LBB2_5462:                             ;   in Loop: Header=BB2_5193 Depth=3
	s_and_not1_saveexec_b32 s14, s43
; %bb.5463:                             ;   in Loop: Header=BB2_5193 Depth=3
	v_or_b32_e32 v74, 0x7b, v17
; %bb.5464:                             ;   in Loop: Header=BB2_5193 Depth=3
	s_or_b32 exec_lo, exec_lo, s14
                                        ; implicit-def: $vgpr8
                                        ; implicit-def: $vgpr9
.LBB2_5465:                             ;   in Loop: Header=BB2_5193 Depth=3
	s_and_not1_saveexec_b32 s14, s42
	s_cbranch_execz .LBB2_5471
; %bb.5466:                             ;   in Loop: Header=BB2_5193 Depth=3
	s_mov_b32 s42, exec_lo
                                        ; implicit-def: $vgpr74
	v_cmpx_ne_u64_e32 0, v[2:3]
	s_xor_b32 s42, exec_lo, s42
; %bb.5467:                             ;   in Loop: Header=BB2_5193 Depth=3
	v_or_b32_e32 v74, 0x7f, v9
                                        ; implicit-def: $vgpr8
; %bb.5468:                             ;   in Loop: Header=BB2_5193 Depth=3
	s_and_not1_saveexec_b32 s42, s42
; %bb.5469:                             ;   in Loop: Header=BB2_5193 Depth=3
	v_cmp_lt_i32_e32 vcc_lo, -1, v8
	v_cndmask_b32_e32 v74, 0xfc, v120, vcc_lo
; %bb.5470:                             ;   in Loop: Header=BB2_5193 Depth=3
	s_or_b32 exec_lo, exec_lo, s42
.LBB2_5471:                             ;   in Loop: Header=BB2_5193 Depth=3
	s_delay_alu instid0(SALU_CYCLE_1) | instskip(SKIP_3) | instid1(VALU_DEP_2)
	s_or_b32 exec_lo, exec_lo, s14
	v_lshrrev_b16 v8, 8, v10
	v_mov_b32_e32 v9, 0
	s_mov_b32 s14, exec_lo
	v_cmpx_ne_u16_e32 0, v8
	s_cbranch_execz .LBB2_5481
; %bb.5472:                             ;   in Loop: Header=BB2_5193 Depth=3
	v_bfrev_b32_e32 v9, 1
	s_mov_b32 s42, exec_lo
	v_cmpx_ne_u16_e32 0x80, v8
	s_cbranch_execz .LBB2_5480
; %bb.5473:                             ;   in Loop: Header=BB2_5193 Depth=3
	v_and_b32_e32 v17, 0xffff, v8
	s_delay_alu instid0(VALU_DEP_1) | instskip(SKIP_1) | instid1(VALU_DEP_2)
	v_and_b32_e32 v9, 0x7c, v17
	v_and_b32_e32 v2, 3, v17
	v_cmp_ne_u32_e32 vcc_lo, 0x7c, v9
                                        ; implicit-def: $vgpr9
	s_and_saveexec_b32 s43, vcc_lo
	s_delay_alu instid0(SALU_CYCLE_1)
	s_xor_b32 s43, exec_lo, s43
	s_cbranch_execz .LBB2_5477
; %bb.5474:                             ;   in Loop: Header=BB2_5193 Depth=3
	v_bfe_u32 v9, v17, 2, 5
	s_mov_b32 s77, exec_lo
	s_delay_alu instid0(VALU_DEP_1)
	v_cmpx_eq_u32_e32 0, v9
; %bb.5475:                             ;   in Loop: Header=BB2_5193 Depth=3
	v_clz_i32_u32_e32 v2, v2
	v_mov_b32_e32 v9, v3
	s_delay_alu instid0(VALU_DEP_2) | instskip(NEXT) | instid1(VALU_DEP_1)
	v_min_u32_e32 v2, 32, v2
	v_subrev_nc_u32_e32 v17, 29, v2
	s_delay_alu instid0(VALU_DEP_1) | instskip(NEXT) | instid1(VALU_DEP_1)
	v_lshlrev_b64_e32 v[8:9], v17, v[8:9]
	v_dual_sub_nc_u32 v9, 30, v2 :: v_dual_bitop2_b32 v2, 3, v8 bitop3:0x40
; %bb.5476:                             ;   in Loop: Header=BB2_5193 Depth=3
	s_or_b32 exec_lo, exec_lo, s77
	v_lshlrev_b32_e32 v8, 16, v10
	s_delay_alu instid0(VALU_DEP_1) | instskip(NEXT) | instid1(VALU_DEP_1)
	v_and_b32_e32 v8, 0x80000000, v8
	v_lshl_add_u32 v8, v9, 23, v8
	s_delay_alu instid0(VALU_DEP_1) | instskip(NEXT) | instid1(VALU_DEP_1)
	v_lshl_or_b32 v2, v2, 21, v8
	v_add_nc_u32_e32 v9, 0x38000000, v2
                                        ; implicit-def: $vgpr2
.LBB2_5477:                             ;   in Loop: Header=BB2_5193 Depth=3
	s_and_not1_saveexec_b32 s43, s43
; %bb.5478:                             ;   in Loop: Header=BB2_5193 Depth=3
	v_cmp_lt_i16_e32 vcc_lo, -1, v10
	v_cndmask_b32_e32 v8, 0xff800000, v111, vcc_lo
	v_cmp_eq_u32_e32 vcc_lo, 0, v2
	s_delay_alu instid0(VALU_DEP_2)
	v_cndmask_b32_e32 v9, 0x7f800001, v8, vcc_lo
; %bb.5479:                             ;   in Loop: Header=BB2_5193 Depth=3
	s_or_b32 exec_lo, exec_lo, s43
.LBB2_5480:                             ;   in Loop: Header=BB2_5193 Depth=3
	s_delay_alu instid0(SALU_CYCLE_1)
	s_or_b32 exec_lo, exec_lo, s42
.LBB2_5481:                             ;   in Loop: Header=BB2_5193 Depth=3
	s_delay_alu instid0(SALU_CYCLE_1) | instskip(NEXT) | instid1(VALU_DEP_1)
	s_or_b32 exec_lo, exec_lo, s14
	v_dual_mul_f32 v8, s15, v9 :: v_dual_mov_b32 v19, v3
                                        ; implicit-def: $vgpr78
	s_mov_b32 s14, exec_lo
	s_delay_alu instid0(VALU_DEP_1) | instskip(SKIP_2) | instid1(VALU_DEP_3)
	v_and_b32_e32 v18, 0x7f800000, v8
	v_and_b32_e32 v2, 0x7fffff, v8
	v_lshrrev_b32_e32 v9, 24, v8
	v_cmpx_ne_u64_e32 0x7f800000, v[18:19]
	s_xor_b32 s42, exec_lo, s14
	s_cbranch_execz .LBB2_5495
; %bb.5482:                             ;   in Loop: Header=BB2_5193 Depth=3
	v_and_b32_e32 v18, 0x7fffffff, v8
	v_mov_b32_e32 v19, v3
	v_and_b32_e32 v17, 0x80, v9
                                        ; implicit-def: $vgpr78
	s_mov_b32 s14, exec_lo
	s_delay_alu instid0(VALU_DEP_2)
	v_cmpx_gt_u64_e32 0x47600001, v[18:19]
	s_xor_b32 s43, exec_lo, s14
	s_cbranch_execz .LBB2_5492
; %bb.5483:                             ;   in Loop: Header=BB2_5193 Depth=3
	v_mov_b32_e32 v78, 0
	s_mov_b32 s77, exec_lo
	v_cmpx_ne_u32_e32 0, v8
	s_cbranch_execz .LBB2_5491
; %bb.5484:                             ;   in Loop: Header=BB2_5193 Depth=3
	v_bfe_u32 v58, v8, 23, 8
	v_or_b32_e32 v18, 0x800000, v2
	s_delay_alu instid0(VALU_DEP_2) | instskip(SKIP_1) | instid1(VALU_DEP_2)
	v_dual_mov_b32 v19, v3 :: v_dual_sub_nc_u32 v8, 0x71, v58
	v_cmp_gt_u32_e32 vcc_lo, 0x72, v58
	v_cndmask_b32_e32 v8, 0, v8, vcc_lo
	v_cmp_eq_u32_e32 vcc_lo, 0, v58
	s_delay_alu instid0(VALU_DEP_2) | instskip(NEXT) | instid1(VALU_DEP_1)
	v_cndmask_b32_e64 v59, v8, 0x70, vcc_lo
	v_dual_cndmask_b32 v18, v18, v2, vcc_lo :: v_dual_add_nc_u32 v8, 21, v59
	v_add_nc_u32_e32 v56, 20, v59
	s_delay_alu instid0(VALU_DEP_2) | instskip(NEXT) | instid1(VALU_DEP_2)
	v_lshlrev_b64_e64 v[8:9], v8, -1
	v_lshlrev_b64_e64 v[56:57], v56, 1
	s_delay_alu instid0(VALU_DEP_2) | instskip(NEXT) | instid1(VALU_DEP_3)
	v_bfi_b32 v79, v9, 0, 0
	v_bfi_b32 v78, v8, 0, v18
	v_lshrrev_b64 v[8:9], v59, v[18:19]
	s_delay_alu instid0(VALU_DEP_2) | instskip(NEXT) | instid1(VALU_DEP_2)
	v_cmp_eq_u64_e64 s14, v[78:79], v[56:57]
	v_mov_b64_e32 v[56:57], v[8:9]
	s_and_saveexec_b32 s78, s14
; %bb.5485:                             ;   in Loop: Header=BB2_5193 Depth=3
	v_bfe_u32 v18, v8, 21, 1
	v_mov_b32_e32 v19, v3
	s_delay_alu instid0(VALU_DEP_1) | instskip(NEXT) | instid1(VALU_DEP_1)
	v_add_nc_u64_e32 v[18:19], v[8:9], v[18:19]
	v_add_nc_u64_e32 v[56:57], -1, v[18:19]
; %bb.5486:                             ;   in Loop: Header=BB2_5193 Depth=3
	s_or_b32 exec_lo, exec_lo, s78
	v_add_nc_u32_e32 v2, 0xffffff81, v58
	s_delay_alu instid0(VALU_DEP_2) | instskip(SKIP_2) | instid1(VALU_DEP_3)
	v_and_b32_e32 v18, 0x1fffff, v56
	v_lshrrev_b32_e32 v9, 23, v8
	s_mov_b32 s14, exec_lo
                                        ; implicit-def: $vgpr56
	v_cndmask_b32_e64 v2, v2, 0xffffff82, vcc_lo
	s_delay_alu instid0(VALU_DEP_1) | instskip(SKIP_1) | instid1(VALU_DEP_2)
	v_add3_u32 v57, v59, v2, v9
	v_add_nc_u32_e32 v2, v18, v8
                                        ; implicit-def: $vgpr8_vgpr9
	v_add_nc_u32_e32 v58, 14, v57
	s_delay_alu instid0(VALU_DEP_1)
	v_cmpx_ne_u32_e32 0, v58
	s_xor_b32 s14, exec_lo, s14
; %bb.5487:                             ;   in Loop: Header=BB2_5193 Depth=3
	s_delay_alu instid0(VALU_DEP_3) | instskip(SKIP_1) | instid1(VALU_DEP_1)
	v_cmp_lt_u64_e32 vcc_lo, 0xffffff, v[2:3]
	v_add_nc_u32_e32 v8, 15, v57
	v_cndmask_b32_e32 v56, v58, v8, vcc_lo
	v_cndmask_b32_e64 v8, 0, 1, vcc_lo
	s_delay_alu instid0(VALU_DEP_1)
	v_lshrrev_b64 v[8:9], v8, v[2:3]
; %bb.5488:                             ;   in Loop: Header=BB2_5193 Depth=3
	s_and_not1_saveexec_b32 s14, s14
; %bb.5489:                             ;   in Loop: Header=BB2_5193 Depth=3
	v_mov_b64_e32 v[8:9], v[2:3]
	v_bfe_u32 v56, v2, 23, 1
; %bb.5490:                             ;   in Loop: Header=BB2_5193 Depth=3
	s_or_b32 exec_lo, exec_lo, s14
	s_delay_alu instid0(VALU_DEP_2) | instskip(NEXT) | instid1(VALU_DEP_2)
	v_lshrrev_b64 v[8:9], 21, v[8:9]
	v_cmp_gt_i32_e32 vcc_lo, 32, v56
	v_min_i32_e32 v2, 31, v56
	v_cmp_eq_u32_e64 s14, 0, v56
	s_delay_alu instid0(VALU_DEP_2) | instskip(SKIP_1) | instid1(VALU_DEP_2)
	v_dual_cndmask_b32 v9, 0, v9 :: v_dual_lshlrev_b32 v2, 2, v2
	v_cndmask_b32_e32 v8, 3, v8, vcc_lo
	v_and_b32_e32 v2, 0xfc, v2
	s_delay_alu instid0(VALU_DEP_2) | instskip(NEXT) | instid1(VALU_DEP_2)
	v_cmp_eq_u64_e32 vcc_lo, 0, v[8:9]
	v_and_or_b32 v2, v8, 3, v2
	s_and_b32 s14, s14, vcc_lo
	s_delay_alu instid0(VALU_DEP_1) | instid1(SALU_CYCLE_1)
	v_cndmask_b32_e64 v2, v2, 0, s14
	s_delay_alu instid0(VALU_DEP_1)
	v_or_b32_e32 v78, v2, v17
.LBB2_5491:                             ;   in Loop: Header=BB2_5193 Depth=3
	s_or_b32 exec_lo, exec_lo, s77
                                        ; implicit-def: $vgpr17
.LBB2_5492:                             ;   in Loop: Header=BB2_5193 Depth=3
	s_and_not1_saveexec_b32 s14, s43
; %bb.5493:                             ;   in Loop: Header=BB2_5193 Depth=3
	v_or_b32_e32 v78, 0x7b, v17
; %bb.5494:                             ;   in Loop: Header=BB2_5193 Depth=3
	s_or_b32 exec_lo, exec_lo, s14
                                        ; implicit-def: $vgpr8
                                        ; implicit-def: $vgpr9
.LBB2_5495:                             ;   in Loop: Header=BB2_5193 Depth=3
	s_and_not1_saveexec_b32 s14, s42
	s_cbranch_execz .LBB2_5501
; %bb.5496:                             ;   in Loop: Header=BB2_5193 Depth=3
	s_mov_b32 s42, exec_lo
                                        ; implicit-def: $vgpr78
	v_cmpx_ne_u64_e32 0, v[2:3]
	s_xor_b32 s42, exec_lo, s42
; %bb.5497:                             ;   in Loop: Header=BB2_5193 Depth=3
	v_or_b32_e32 v78, 0x7f, v9
                                        ; implicit-def: $vgpr8
; %bb.5498:                             ;   in Loop: Header=BB2_5193 Depth=3
	s_and_not1_saveexec_b32 s42, s42
; %bb.5499:                             ;   in Loop: Header=BB2_5193 Depth=3
	v_cmp_lt_i32_e32 vcc_lo, -1, v8
	v_cndmask_b32_e32 v78, 0xfc, v120, vcc_lo
; %bb.5500:                             ;   in Loop: Header=BB2_5193 Depth=3
	s_or_b32 exec_lo, exec_lo, s42
.LBB2_5501:                             ;   in Loop: Header=BB2_5193 Depth=3
	s_delay_alu instid0(SALU_CYCLE_1) | instskip(SKIP_2) | instid1(VALU_DEP_1)
	s_or_b32 exec_lo, exec_lo, s14
	v_dual_lshrrev_b32 v2, 16, v10 :: v_dual_mov_b32 v8, 0
	s_mov_b32 s14, exec_lo
	v_and_b32_e32 v9, 0xff, v2
	s_delay_alu instid0(VALU_DEP_1)
	v_cmpx_ne_u16_e32 0, v9
	s_cbranch_execz .LBB2_5511
; %bb.5502:                             ;   in Loop: Header=BB2_5193 Depth=3
	v_bfrev_b32_e32 v8, 1
	s_mov_b32 s42, exec_lo
	v_cmpx_ne_u16_e32 0x80, v9
	s_cbranch_execz .LBB2_5510
; %bb.5503:                             ;   in Loop: Header=BB2_5193 Depth=3
	v_and_b32_e32 v8, 0x7c0000, v10
	v_bfe_u32 v9, v10, 16, 2
	s_delay_alu instid0(VALU_DEP_2) | instskip(SKIP_1) | instid1(SALU_CYCLE_1)
	v_cmp_ne_u32_e32 vcc_lo, 0x7c0000, v8
                                        ; implicit-def: $vgpr8
	s_and_saveexec_b32 s43, vcc_lo
	s_xor_b32 s43, exec_lo, s43
	s_cbranch_execz .LBB2_5507
; %bb.5504:                             ;   in Loop: Header=BB2_5193 Depth=3
	v_bfe_u32 v8, v10, 18, 5
	s_mov_b32 s77, exec_lo
	s_delay_alu instid0(VALU_DEP_1)
	v_cmpx_eq_u32_e32 0, v8
; %bb.5505:                             ;   in Loop: Header=BB2_5193 Depth=3
	v_clz_i32_u32_e32 v8, v9
	s_delay_alu instid0(VALU_DEP_1) | instskip(NEXT) | instid1(VALU_DEP_1)
	v_min_u32_e32 v8, 32, v8
	v_subrev_nc_u32_e32 v9, 29, v8
	s_delay_alu instid0(VALU_DEP_1) | instskip(NEXT) | instid1(VALU_DEP_1)
	v_lshlrev_b64_e32 v[18:19], v9, v[2:3]
	v_dual_sub_nc_u32 v8, 30, v8 :: v_dual_bitop2_b32 v9, 3, v18 bitop3:0x40
; %bb.5506:                             ;   in Loop: Header=BB2_5193 Depth=3
	s_or_b32 exec_lo, exec_lo, s77
	v_lshlrev_b32_e32 v2, 24, v2
	s_delay_alu instid0(VALU_DEP_1) | instskip(NEXT) | instid1(VALU_DEP_1)
	v_and_b32_e32 v2, 0x80000000, v2
	v_lshl_add_u32 v2, v8, 23, v2
	s_delay_alu instid0(VALU_DEP_1) | instskip(NEXT) | instid1(VALU_DEP_1)
	v_lshl_or_b32 v2, v9, 21, v2
                                        ; implicit-def: $vgpr9
	v_add_nc_u32_e32 v8, 0x38000000, v2
                                        ; implicit-def: $vgpr2
.LBB2_5507:                             ;   in Loop: Header=BB2_5193 Depth=3
	s_and_not1_saveexec_b32 s43, s43
; %bb.5508:                             ;   in Loop: Header=BB2_5193 Depth=3
	v_bfe_i32 v2, v2, 0, 8
	s_delay_alu instid0(VALU_DEP_1) | instskip(SKIP_2) | instid1(VALU_DEP_2)
	v_cmp_lt_i16_e32 vcc_lo, -1, v2
	v_cndmask_b32_e32 v2, 0xff800000, v111, vcc_lo
	v_cmp_eq_u32_e32 vcc_lo, 0, v9
	v_cndmask_b32_e32 v8, 0x7f800001, v2, vcc_lo
; %bb.5509:                             ;   in Loop: Header=BB2_5193 Depth=3
	s_or_b32 exec_lo, exec_lo, s43
.LBB2_5510:                             ;   in Loop: Header=BB2_5193 Depth=3
	s_delay_alu instid0(SALU_CYCLE_1)
	s_or_b32 exec_lo, exec_lo, s42
.LBB2_5511:                             ;   in Loop: Header=BB2_5193 Depth=3
	s_delay_alu instid0(SALU_CYCLE_1) | instskip(NEXT) | instid1(VALU_DEP_1)
	s_or_b32 exec_lo, exec_lo, s14
	v_dual_mul_f32 v8, s15, v8 :: v_dual_mov_b32 v19, v3
                                        ; implicit-def: $vgpr89
	s_mov_b32 s14, exec_lo
	s_delay_alu instid0(VALU_DEP_1) | instskip(SKIP_2) | instid1(VALU_DEP_3)
	v_and_b32_e32 v18, 0x7f800000, v8
	v_and_b32_e32 v2, 0x7fffff, v8
	v_lshrrev_b32_e32 v9, 24, v8
	v_cmpx_ne_u64_e32 0x7f800000, v[18:19]
	s_xor_b32 s42, exec_lo, s14
	s_cbranch_execz .LBB2_5525
; %bb.5512:                             ;   in Loop: Header=BB2_5193 Depth=3
	v_and_b32_e32 v18, 0x7fffffff, v8
	v_mov_b32_e32 v19, v3
	v_and_b32_e32 v17, 0x80, v9
                                        ; implicit-def: $vgpr89
	s_mov_b32 s14, exec_lo
	s_delay_alu instid0(VALU_DEP_2)
	v_cmpx_gt_u64_e32 0x47600001, v[18:19]
	s_xor_b32 s43, exec_lo, s14
	s_cbranch_execz .LBB2_5522
; %bb.5513:                             ;   in Loop: Header=BB2_5193 Depth=3
	v_mov_b32_e32 v89, 0
	s_mov_b32 s77, exec_lo
	v_cmpx_ne_u32_e32 0, v8
	s_cbranch_execz .LBB2_5521
; %bb.5514:                             ;   in Loop: Header=BB2_5193 Depth=3
	v_bfe_u32 v58, v8, 23, 8
	v_or_b32_e32 v18, 0x800000, v2
	s_delay_alu instid0(VALU_DEP_2) | instskip(SKIP_1) | instid1(VALU_DEP_2)
	v_dual_mov_b32 v19, v3 :: v_dual_sub_nc_u32 v8, 0x71, v58
	v_cmp_gt_u32_e32 vcc_lo, 0x72, v58
	v_cndmask_b32_e32 v8, 0, v8, vcc_lo
	v_cmp_eq_u32_e32 vcc_lo, 0, v58
	s_delay_alu instid0(VALU_DEP_2) | instskip(NEXT) | instid1(VALU_DEP_1)
	v_cndmask_b32_e64 v59, v8, 0x70, vcc_lo
	v_dual_cndmask_b32 v18, v18, v2, vcc_lo :: v_dual_add_nc_u32 v8, 21, v59
	v_add_nc_u32_e32 v56, 20, v59
	s_delay_alu instid0(VALU_DEP_2) | instskip(NEXT) | instid1(VALU_DEP_2)
	v_lshlrev_b64_e64 v[8:9], v8, -1
	v_lshlrev_b64_e64 v[56:57], v56, 1
	s_delay_alu instid0(VALU_DEP_2) | instskip(NEXT) | instid1(VALU_DEP_3)
	v_bfi_b32 v89, v9, 0, 0
	v_bfi_b32 v88, v8, 0, v18
	v_lshrrev_b64 v[8:9], v59, v[18:19]
	s_delay_alu instid0(VALU_DEP_2) | instskip(NEXT) | instid1(VALU_DEP_2)
	v_cmp_eq_u64_e64 s14, v[88:89], v[56:57]
	v_mov_b64_e32 v[56:57], v[8:9]
	s_and_saveexec_b32 s78, s14
; %bb.5515:                             ;   in Loop: Header=BB2_5193 Depth=3
	v_bfe_u32 v18, v8, 21, 1
	v_mov_b32_e32 v19, v3
	s_delay_alu instid0(VALU_DEP_1) | instskip(NEXT) | instid1(VALU_DEP_1)
	v_add_nc_u64_e32 v[18:19], v[8:9], v[18:19]
	v_add_nc_u64_e32 v[56:57], -1, v[18:19]
; %bb.5516:                             ;   in Loop: Header=BB2_5193 Depth=3
	s_or_b32 exec_lo, exec_lo, s78
	v_add_nc_u32_e32 v2, 0xffffff81, v58
	s_delay_alu instid0(VALU_DEP_2) | instskip(SKIP_2) | instid1(VALU_DEP_3)
	v_and_b32_e32 v18, 0x1fffff, v56
	v_lshrrev_b32_e32 v9, 23, v8
	s_mov_b32 s14, exec_lo
                                        ; implicit-def: $vgpr56
	v_cndmask_b32_e64 v2, v2, 0xffffff82, vcc_lo
	s_delay_alu instid0(VALU_DEP_1) | instskip(SKIP_1) | instid1(VALU_DEP_2)
	v_add3_u32 v57, v59, v2, v9
	v_add_nc_u32_e32 v2, v18, v8
                                        ; implicit-def: $vgpr8_vgpr9
	v_add_nc_u32_e32 v58, 14, v57
	s_delay_alu instid0(VALU_DEP_1)
	v_cmpx_ne_u32_e32 0, v58
	s_xor_b32 s14, exec_lo, s14
; %bb.5517:                             ;   in Loop: Header=BB2_5193 Depth=3
	s_delay_alu instid0(VALU_DEP_3) | instskip(SKIP_1) | instid1(VALU_DEP_1)
	v_cmp_lt_u64_e32 vcc_lo, 0xffffff, v[2:3]
	v_add_nc_u32_e32 v8, 15, v57
	v_cndmask_b32_e32 v56, v58, v8, vcc_lo
	v_cndmask_b32_e64 v8, 0, 1, vcc_lo
	s_delay_alu instid0(VALU_DEP_1)
	v_lshrrev_b64 v[8:9], v8, v[2:3]
; %bb.5518:                             ;   in Loop: Header=BB2_5193 Depth=3
	s_and_not1_saveexec_b32 s14, s14
; %bb.5519:                             ;   in Loop: Header=BB2_5193 Depth=3
	v_mov_b64_e32 v[8:9], v[2:3]
	v_bfe_u32 v56, v2, 23, 1
; %bb.5520:                             ;   in Loop: Header=BB2_5193 Depth=3
	s_or_b32 exec_lo, exec_lo, s14
	s_delay_alu instid0(VALU_DEP_2) | instskip(NEXT) | instid1(VALU_DEP_2)
	v_lshrrev_b64 v[8:9], 21, v[8:9]
	v_cmp_gt_i32_e32 vcc_lo, 32, v56
	v_min_i32_e32 v2, 31, v56
	v_cmp_eq_u32_e64 s14, 0, v56
	s_delay_alu instid0(VALU_DEP_2) | instskip(SKIP_1) | instid1(VALU_DEP_2)
	v_dual_cndmask_b32 v9, 0, v9 :: v_dual_lshlrev_b32 v2, 2, v2
	v_cndmask_b32_e32 v8, 3, v8, vcc_lo
	v_and_b32_e32 v2, 0xfc, v2
	s_delay_alu instid0(VALU_DEP_2) | instskip(NEXT) | instid1(VALU_DEP_2)
	v_cmp_eq_u64_e32 vcc_lo, 0, v[8:9]
	v_and_or_b32 v2, v8, 3, v2
	s_and_b32 s14, s14, vcc_lo
	s_delay_alu instid0(VALU_DEP_1) | instid1(SALU_CYCLE_1)
	v_cndmask_b32_e64 v2, v2, 0, s14
	s_delay_alu instid0(VALU_DEP_1)
	v_or_b32_e32 v89, v2, v17
.LBB2_5521:                             ;   in Loop: Header=BB2_5193 Depth=3
	s_or_b32 exec_lo, exec_lo, s77
                                        ; implicit-def: $vgpr17
.LBB2_5522:                             ;   in Loop: Header=BB2_5193 Depth=3
	s_and_not1_saveexec_b32 s14, s43
; %bb.5523:                             ;   in Loop: Header=BB2_5193 Depth=3
	v_or_b32_e32 v89, 0x7b, v17
; %bb.5524:                             ;   in Loop: Header=BB2_5193 Depth=3
	s_or_b32 exec_lo, exec_lo, s14
                                        ; implicit-def: $vgpr8
                                        ; implicit-def: $vgpr9
.LBB2_5525:                             ;   in Loop: Header=BB2_5193 Depth=3
	s_and_not1_saveexec_b32 s14, s42
	s_cbranch_execz .LBB2_5531
; %bb.5526:                             ;   in Loop: Header=BB2_5193 Depth=3
	s_mov_b32 s42, exec_lo
                                        ; implicit-def: $vgpr89
	v_cmpx_ne_u64_e32 0, v[2:3]
	s_xor_b32 s42, exec_lo, s42
; %bb.5527:                             ;   in Loop: Header=BB2_5193 Depth=3
	v_or_b32_e32 v89, 0x7f, v9
                                        ; implicit-def: $vgpr8
; %bb.5528:                             ;   in Loop: Header=BB2_5193 Depth=3
	s_and_not1_saveexec_b32 s42, s42
; %bb.5529:                             ;   in Loop: Header=BB2_5193 Depth=3
	v_cmp_lt_i32_e32 vcc_lo, -1, v8
	v_cndmask_b32_e32 v89, 0xfc, v120, vcc_lo
; %bb.5530:                             ;   in Loop: Header=BB2_5193 Depth=3
	s_or_b32 exec_lo, exec_lo, s42
.LBB2_5531:                             ;   in Loop: Header=BB2_5193 Depth=3
	s_delay_alu instid0(SALU_CYCLE_1)
	s_or_b32 exec_lo, exec_lo, s14
	v_mov_b32_e32 v8, 0
	s_mov_b32 s14, exec_lo
	v_cmpx_lt_u32_e32 0xffffff, v10
	s_cbranch_execz .LBB2_5541
; %bb.5532:                             ;   in Loop: Header=BB2_5193 Depth=3
	v_lshrrev_b32_e32 v2, 24, v10
	v_bfrev_b32_e32 v8, 1
	s_mov_b32 s42, exec_lo
	s_delay_alu instid0(VALU_DEP_2)
	v_cmpx_ne_u32_e32 0x80, v2
	s_cbranch_execz .LBB2_5540
; %bb.5533:                             ;   in Loop: Header=BB2_5193 Depth=3
	v_and_b32_e32 v8, 0x7c000000, v10
	v_bfe_u32 v9, v10, 24, 2
	s_delay_alu instid0(VALU_DEP_2) | instskip(SKIP_1) | instid1(SALU_CYCLE_1)
	v_cmp_ne_u32_e32 vcc_lo, 0x7c000000, v8
                                        ; implicit-def: $vgpr8
	s_and_saveexec_b32 s43, vcc_lo
	s_xor_b32 s43, exec_lo, s43
	s_cbranch_execz .LBB2_5537
; %bb.5534:                             ;   in Loop: Header=BB2_5193 Depth=3
	v_bfe_u32 v8, v10, 26, 5
	s_mov_b32 s77, exec_lo
	s_delay_alu instid0(VALU_DEP_1)
	v_cmpx_eq_u32_e32 0, v8
; %bb.5535:                             ;   in Loop: Header=BB2_5193 Depth=3
	v_clz_i32_u32_e32 v8, v9
	s_delay_alu instid0(VALU_DEP_1) | instskip(NEXT) | instid1(VALU_DEP_1)
	v_min_u32_e32 v8, 32, v8
	v_subrev_nc_u32_e32 v9, 29, v8
	s_delay_alu instid0(VALU_DEP_1) | instskip(NEXT) | instid1(VALU_DEP_1)
	v_lshlrev_b64_e32 v[18:19], v9, v[2:3]
	v_dual_sub_nc_u32 v8, 30, v8 :: v_dual_bitop2_b32 v9, 3, v18 bitop3:0x40
; %bb.5536:                             ;   in Loop: Header=BB2_5193 Depth=3
	s_or_b32 exec_lo, exec_lo, s77
	v_and_b32_e32 v2, 0x80000000, v10
	s_delay_alu instid0(VALU_DEP_1) | instskip(NEXT) | instid1(VALU_DEP_1)
	v_lshl_add_u32 v2, v8, 23, v2
	v_lshl_or_b32 v2, v9, 21, v2
                                        ; implicit-def: $vgpr9
	s_delay_alu instid0(VALU_DEP_1)
	v_add_nc_u32_e32 v8, 0x38000000, v2
.LBB2_5537:                             ;   in Loop: Header=BB2_5193 Depth=3
	s_and_not1_saveexec_b32 s43, s43
; %bb.5538:                             ;   in Loop: Header=BB2_5193 Depth=3
	v_cmp_lt_i32_e32 vcc_lo, -1, v10
	v_cndmask_b32_e32 v2, 0xff800000, v111, vcc_lo
	v_cmp_eq_u32_e32 vcc_lo, 0, v9
	s_delay_alu instid0(VALU_DEP_2)
	v_cndmask_b32_e32 v8, 0x7f800001, v2, vcc_lo
; %bb.5539:                             ;   in Loop: Header=BB2_5193 Depth=3
	s_or_b32 exec_lo, exec_lo, s43
.LBB2_5540:                             ;   in Loop: Header=BB2_5193 Depth=3
	s_delay_alu instid0(SALU_CYCLE_1)
	s_or_b32 exec_lo, exec_lo, s42
.LBB2_5541:                             ;   in Loop: Header=BB2_5193 Depth=3
	s_delay_alu instid0(SALU_CYCLE_1) | instskip(NEXT) | instid1(VALU_DEP_1)
	s_or_b32 exec_lo, exec_lo, s14
	v_dual_mul_f32 v8, s15, v8 :: v_dual_mov_b32 v19, v3
                                        ; implicit-def: $vgpr90
	s_mov_b32 s14, exec_lo
	s_delay_alu instid0(VALU_DEP_1) | instskip(SKIP_2) | instid1(VALU_DEP_3)
	v_and_b32_e32 v18, 0x7f800000, v8
	v_and_b32_e32 v2, 0x7fffff, v8
	v_lshrrev_b32_e32 v9, 24, v8
	v_cmpx_ne_u64_e32 0x7f800000, v[18:19]
	s_xor_b32 s42, exec_lo, s14
	s_cbranch_execz .LBB2_5555
; %bb.5542:                             ;   in Loop: Header=BB2_5193 Depth=3
	v_and_b32_e32 v18, 0x7fffffff, v8
	v_mov_b32_e32 v19, v3
	v_and_b32_e32 v17, 0x80, v9
                                        ; implicit-def: $vgpr90
	s_mov_b32 s14, exec_lo
	s_delay_alu instid0(VALU_DEP_2)
	v_cmpx_gt_u64_e32 0x47600001, v[18:19]
	s_xor_b32 s43, exec_lo, s14
	s_cbranch_execz .LBB2_5552
; %bb.5543:                             ;   in Loop: Header=BB2_5193 Depth=3
	v_mov_b32_e32 v90, 0
	s_mov_b32 s77, exec_lo
	v_cmpx_ne_u32_e32 0, v8
	s_cbranch_execz .LBB2_5551
; %bb.5544:                             ;   in Loop: Header=BB2_5193 Depth=3
	v_bfe_u32 v58, v8, 23, 8
	v_or_b32_e32 v18, 0x800000, v2
	s_delay_alu instid0(VALU_DEP_2) | instskip(SKIP_1) | instid1(VALU_DEP_2)
	v_dual_mov_b32 v19, v3 :: v_dual_sub_nc_u32 v8, 0x71, v58
	v_cmp_gt_u32_e32 vcc_lo, 0x72, v58
	v_cndmask_b32_e32 v8, 0, v8, vcc_lo
	v_cmp_eq_u32_e32 vcc_lo, 0, v58
	s_delay_alu instid0(VALU_DEP_2) | instskip(NEXT) | instid1(VALU_DEP_1)
	v_cndmask_b32_e64 v59, v8, 0x70, vcc_lo
	v_dual_cndmask_b32 v18, v18, v2, vcc_lo :: v_dual_add_nc_u32 v8, 21, v59
	v_add_nc_u32_e32 v56, 20, v59
	s_delay_alu instid0(VALU_DEP_2) | instskip(NEXT) | instid1(VALU_DEP_2)
	v_lshlrev_b64_e64 v[8:9], v8, -1
	v_lshlrev_b64_e64 v[56:57], v56, 1
	s_delay_alu instid0(VALU_DEP_2) | instskip(NEXT) | instid1(VALU_DEP_3)
	v_bfi_b32 v95, v9, 0, 0
	v_bfi_b32 v94, v8, 0, v18
	v_lshrrev_b64 v[8:9], v59, v[18:19]
	s_delay_alu instid0(VALU_DEP_2) | instskip(NEXT) | instid1(VALU_DEP_2)
	v_cmp_eq_u64_e64 s14, v[94:95], v[56:57]
	v_mov_b64_e32 v[56:57], v[8:9]
	s_and_saveexec_b32 s78, s14
; %bb.5545:                             ;   in Loop: Header=BB2_5193 Depth=3
	v_bfe_u32 v18, v8, 21, 1
	v_mov_b32_e32 v19, v3
	s_delay_alu instid0(VALU_DEP_1) | instskip(NEXT) | instid1(VALU_DEP_1)
	v_add_nc_u64_e32 v[18:19], v[8:9], v[18:19]
	v_add_nc_u64_e32 v[56:57], -1, v[18:19]
; %bb.5546:                             ;   in Loop: Header=BB2_5193 Depth=3
	s_or_b32 exec_lo, exec_lo, s78
	v_add_nc_u32_e32 v2, 0xffffff81, v58
	s_delay_alu instid0(VALU_DEP_2) | instskip(SKIP_2) | instid1(VALU_DEP_3)
	v_and_b32_e32 v18, 0x1fffff, v56
	v_lshrrev_b32_e32 v9, 23, v8
	s_mov_b32 s14, exec_lo
                                        ; implicit-def: $vgpr56
	v_cndmask_b32_e64 v2, v2, 0xffffff82, vcc_lo
	s_delay_alu instid0(VALU_DEP_1) | instskip(SKIP_1) | instid1(VALU_DEP_2)
	v_add3_u32 v57, v59, v2, v9
	v_add_nc_u32_e32 v2, v18, v8
                                        ; implicit-def: $vgpr8_vgpr9
	v_add_nc_u32_e32 v58, 14, v57
	s_delay_alu instid0(VALU_DEP_1)
	v_cmpx_ne_u32_e32 0, v58
	s_xor_b32 s14, exec_lo, s14
; %bb.5547:                             ;   in Loop: Header=BB2_5193 Depth=3
	s_delay_alu instid0(VALU_DEP_3) | instskip(SKIP_1) | instid1(VALU_DEP_1)
	v_cmp_lt_u64_e32 vcc_lo, 0xffffff, v[2:3]
	v_add_nc_u32_e32 v8, 15, v57
	v_cndmask_b32_e32 v56, v58, v8, vcc_lo
	v_cndmask_b32_e64 v8, 0, 1, vcc_lo
	s_delay_alu instid0(VALU_DEP_1)
	v_lshrrev_b64 v[8:9], v8, v[2:3]
; %bb.5548:                             ;   in Loop: Header=BB2_5193 Depth=3
	s_and_not1_saveexec_b32 s14, s14
; %bb.5549:                             ;   in Loop: Header=BB2_5193 Depth=3
	v_mov_b64_e32 v[8:9], v[2:3]
	v_bfe_u32 v56, v2, 23, 1
; %bb.5550:                             ;   in Loop: Header=BB2_5193 Depth=3
	s_or_b32 exec_lo, exec_lo, s14
	s_delay_alu instid0(VALU_DEP_2) | instskip(NEXT) | instid1(VALU_DEP_2)
	v_lshrrev_b64 v[8:9], 21, v[8:9]
	v_cmp_gt_i32_e32 vcc_lo, 32, v56
	v_min_i32_e32 v2, 31, v56
	v_cmp_eq_u32_e64 s14, 0, v56
	s_delay_alu instid0(VALU_DEP_2) | instskip(SKIP_1) | instid1(VALU_DEP_2)
	v_dual_cndmask_b32 v9, 0, v9 :: v_dual_lshlrev_b32 v2, 2, v2
	v_cndmask_b32_e32 v8, 3, v8, vcc_lo
	v_and_b32_e32 v2, 0xfc, v2
	s_delay_alu instid0(VALU_DEP_2) | instskip(NEXT) | instid1(VALU_DEP_2)
	v_cmp_eq_u64_e32 vcc_lo, 0, v[8:9]
	v_and_or_b32 v2, v8, 3, v2
	s_and_b32 s14, s14, vcc_lo
	s_delay_alu instid0(VALU_DEP_1) | instid1(SALU_CYCLE_1)
	v_cndmask_b32_e64 v2, v2, 0, s14
	s_delay_alu instid0(VALU_DEP_1)
	v_or_b32_e32 v90, v2, v17
.LBB2_5551:                             ;   in Loop: Header=BB2_5193 Depth=3
	s_or_b32 exec_lo, exec_lo, s77
                                        ; implicit-def: $vgpr17
.LBB2_5552:                             ;   in Loop: Header=BB2_5193 Depth=3
	s_and_not1_saveexec_b32 s14, s43
; %bb.5553:                             ;   in Loop: Header=BB2_5193 Depth=3
	v_or_b32_e32 v90, 0x7b, v17
; %bb.5554:                             ;   in Loop: Header=BB2_5193 Depth=3
	s_or_b32 exec_lo, exec_lo, s14
                                        ; implicit-def: $vgpr8
                                        ; implicit-def: $vgpr9
.LBB2_5555:                             ;   in Loop: Header=BB2_5193 Depth=3
	s_and_not1_saveexec_b32 s14, s42
	s_cbranch_execz .LBB2_5561
; %bb.5556:                             ;   in Loop: Header=BB2_5193 Depth=3
	s_mov_b32 s42, exec_lo
                                        ; implicit-def: $vgpr90
	v_cmpx_ne_u64_e32 0, v[2:3]
	s_xor_b32 s42, exec_lo, s42
; %bb.5557:                             ;   in Loop: Header=BB2_5193 Depth=3
	v_or_b32_e32 v90, 0x7f, v9
                                        ; implicit-def: $vgpr8
; %bb.5558:                             ;   in Loop: Header=BB2_5193 Depth=3
	s_and_not1_saveexec_b32 s42, s42
; %bb.5559:                             ;   in Loop: Header=BB2_5193 Depth=3
	v_cmp_lt_i32_e32 vcc_lo, -1, v8
	v_cndmask_b32_e32 v90, 0xfc, v120, vcc_lo
; %bb.5560:                             ;   in Loop: Header=BB2_5193 Depth=3
	s_or_b32 exec_lo, exec_lo, s42
.LBB2_5561:                             ;   in Loop: Header=BB2_5193 Depth=3
	s_delay_alu instid0(SALU_CYCLE_1) | instskip(SKIP_3) | instid1(VALU_DEP_2)
	s_or_b32 exec_lo, exec_lo, s14
	v_and_b32_e32 v9, 0xff, v11
	v_dual_mov_b32 v2, v11 :: v_dual_mov_b32 v8, 0
	s_mov_b32 s14, exec_lo
	v_cmpx_ne_u16_e32 0, v9
	s_cbranch_execz .LBB2_5571
; %bb.5562:                             ;   in Loop: Header=BB2_5193 Depth=3
	v_bfrev_b32_e32 v8, 1
	s_mov_b32 s42, exec_lo
	v_cmpx_ne_u16_e32 0x80, v9
	s_cbranch_execz .LBB2_5570
; %bb.5563:                             ;   in Loop: Header=BB2_5193 Depth=3
	v_and_b32_e32 v8, 0x7c, v11
	v_and_b32_e32 v9, 3, v11
	s_delay_alu instid0(VALU_DEP_2) | instskip(SKIP_1) | instid1(SALU_CYCLE_1)
	v_cmp_ne_u32_e32 vcc_lo, 0x7c, v8
                                        ; implicit-def: $vgpr8
	s_and_saveexec_b32 s43, vcc_lo
	s_xor_b32 s43, exec_lo, s43
	s_cbranch_execz .LBB2_5567
; %bb.5564:                             ;   in Loop: Header=BB2_5193 Depth=3
	v_bfe_u32 v8, v11, 2, 5
	s_mov_b32 s77, exec_lo
	s_delay_alu instid0(VALU_DEP_1)
	v_cmpx_eq_u32_e32 0, v8
; %bb.5565:                             ;   in Loop: Header=BB2_5193 Depth=3
	v_clz_i32_u32_e32 v8, v9
	s_delay_alu instid0(VALU_DEP_1) | instskip(NEXT) | instid1(VALU_DEP_1)
	v_min_u32_e32 v8, 32, v8
	v_subrev_nc_u32_e32 v9, 29, v8
	s_delay_alu instid0(VALU_DEP_1) | instskip(NEXT) | instid1(VALU_DEP_1)
	v_lshlrev_b64_e32 v[18:19], v9, v[2:3]
	v_dual_sub_nc_u32 v8, 30, v8 :: v_dual_bitop2_b32 v9, 3, v18 bitop3:0x40
; %bb.5566:                             ;   in Loop: Header=BB2_5193 Depth=3
	s_or_b32 exec_lo, exec_lo, s77
	v_lshlrev_b32_e32 v17, 24, v11
	s_delay_alu instid0(VALU_DEP_1) | instskip(NEXT) | instid1(VALU_DEP_1)
	v_and_b32_e32 v17, 0x80000000, v17
	v_lshl_add_u32 v8, v8, 23, v17
	s_delay_alu instid0(VALU_DEP_1) | instskip(NEXT) | instid1(VALU_DEP_1)
	v_lshl_or_b32 v8, v9, 21, v8
                                        ; implicit-def: $vgpr9
	v_add_nc_u32_e32 v8, 0x38000000, v8
.LBB2_5567:                             ;   in Loop: Header=BB2_5193 Depth=3
	s_and_not1_saveexec_b32 s43, s43
; %bb.5568:                             ;   in Loop: Header=BB2_5193 Depth=3
	v_bfe_i32 v8, v11, 0, 8
	s_delay_alu instid0(VALU_DEP_1) | instskip(SKIP_2) | instid1(VALU_DEP_2)
	v_cmp_lt_i16_e32 vcc_lo, -1, v8
	v_cndmask_b32_e32 v8, 0xff800000, v111, vcc_lo
	v_cmp_eq_u32_e32 vcc_lo, 0, v9
	v_cndmask_b32_e32 v8, 0x7f800001, v8, vcc_lo
; %bb.5569:                             ;   in Loop: Header=BB2_5193 Depth=3
	s_or_b32 exec_lo, exec_lo, s43
.LBB2_5570:                             ;   in Loop: Header=BB2_5193 Depth=3
	s_delay_alu instid0(SALU_CYCLE_1)
	s_or_b32 exec_lo, exec_lo, s42
.LBB2_5571:                             ;   in Loop: Header=BB2_5193 Depth=3
	s_delay_alu instid0(SALU_CYCLE_1) | instskip(NEXT) | instid1(VALU_DEP_1)
	s_or_b32 exec_lo, exec_lo, s14
	v_dual_mul_f32 v56, s15, v8 :: v_dual_mov_b32 v19, v3
	v_mov_b32_e32 v9, v3
                                        ; implicit-def: $vgpr17
	s_mov_b32 s14, exec_lo
	s_delay_alu instid0(VALU_DEP_2) | instskip(SKIP_2) | instid1(VALU_DEP_3)
	v_and_b32_e32 v18, 0x7f800000, v56
	v_and_b32_e32 v8, 0x7fffff, v56
	v_lshrrev_b32_e32 v57, 24, v56
	v_cmpx_ne_u64_e32 0x7f800000, v[18:19]
	s_xor_b32 s42, exec_lo, s14
	s_cbranch_execz .LBB2_5585
; %bb.5572:                             ;   in Loop: Header=BB2_5193 Depth=3
	v_and_b32_e32 v18, 0x7fffffff, v56
	v_mov_b32_e32 v19, v3
	v_and_b32_e32 v58, 0x80, v57
                                        ; implicit-def: $vgpr17
	s_mov_b32 s14, exec_lo
	s_delay_alu instid0(VALU_DEP_2)
	v_cmpx_gt_u64_e32 0x47600001, v[18:19]
	s_xor_b32 s43, exec_lo, s14
	s_cbranch_execz .LBB2_5582
; %bb.5573:                             ;   in Loop: Header=BB2_5193 Depth=3
	v_mov_b32_e32 v17, 0
	s_mov_b32 s77, exec_lo
	v_cmpx_ne_u32_e32 0, v56
	s_cbranch_execz .LBB2_5581
; %bb.5574:                             ;   in Loop: Header=BB2_5193 Depth=3
	v_bfe_u32 v17, v56, 23, 8
	v_or_b32_e32 v56, 0x800000, v8
	s_delay_alu instid0(VALU_DEP_2) | instskip(SKIP_1) | instid1(VALU_DEP_2)
	v_sub_nc_u32_e32 v18, 0x71, v17
	v_cmp_gt_u32_e32 vcc_lo, 0x72, v17
	v_cndmask_b32_e32 v18, 0, v18, vcc_lo
	v_cmp_eq_u32_e32 vcc_lo, 0, v17
	s_delay_alu instid0(VALU_DEP_2) | instskip(NEXT) | instid1(VALU_DEP_1)
	v_cndmask_b32_e64 v59, v18, 0x70, vcc_lo
	v_dual_cndmask_b32 v8, v56, v8, vcc_lo :: v_dual_add_nc_u32 v18, 21, v59
	v_add_nc_u32_e32 v57, 20, v59
	s_delay_alu instid0(VALU_DEP_2) | instskip(NEXT) | instid1(VALU_DEP_2)
	v_lshlrev_b64_e64 v[18:19], v18, -1
	v_lshlrev_b64_e64 v[56:57], v57, 1
	s_delay_alu instid0(VALU_DEP_2) | instskip(SKIP_1) | instid1(VALU_DEP_4)
	v_bfi_b32 v18, v18, 0, v8
	v_lshrrev_b64 v[8:9], v59, v[8:9]
	v_bfi_b32 v19, v19, 0, 0
	s_delay_alu instid0(VALU_DEP_1) | instskip(NEXT) | instid1(VALU_DEP_3)
	v_cmp_eq_u64_e64 s14, v[18:19], v[56:57]
	v_mov_b64_e32 v[56:57], v[8:9]
	s_and_saveexec_b32 s78, s14
; %bb.5575:                             ;   in Loop: Header=BB2_5193 Depth=3
	v_bfe_u32 v18, v8, 21, 1
	v_mov_b32_e32 v19, v3
	s_delay_alu instid0(VALU_DEP_1) | instskip(NEXT) | instid1(VALU_DEP_1)
	v_add_nc_u64_e32 v[18:19], v[8:9], v[18:19]
	v_add_nc_u64_e32 v[56:57], -1, v[18:19]
; %bb.5576:                             ;   in Loop: Header=BB2_5193 Depth=3
	s_or_b32 exec_lo, exec_lo, s78
	v_add_nc_u32_e32 v9, 0xffffff81, v17
	v_lshrrev_b32_e32 v17, 23, v8
	s_mov_b32 s14, exec_lo
	s_delay_alu instid0(VALU_DEP_2) | instskip(NEXT) | instid1(VALU_DEP_1)
	v_cndmask_b32_e64 v9, v9, 0xffffff82, vcc_lo
	v_add3_u32 v57, v59, v9, v17
	v_and_b32_e32 v9, 0x1fffff, v56
                                        ; implicit-def: $vgpr17
	s_delay_alu instid0(VALU_DEP_1) | instskip(SKIP_1) | instid1(VALU_DEP_2)
	v_dual_add_nc_u32 v56, 14, v57 :: v_dual_add_nc_u32 v8, v9, v8
	v_mov_b32_e32 v9, v3
	v_cmpx_ne_u32_e32 0, v56
	s_xor_b32 s14, exec_lo, s14
; %bb.5577:                             ;   in Loop: Header=BB2_5193 Depth=3
	s_delay_alu instid0(VALU_DEP_2) | instskip(SKIP_2) | instid1(VALU_DEP_2)
	v_cmp_lt_u64_e32 vcc_lo, 0xffffff, v[8:9]
	v_add_nc_u32_e32 v17, 15, v57
	v_cndmask_b32_e64 v18, 0, 1, vcc_lo
	v_cndmask_b32_e32 v17, v56, v17, vcc_lo
	s_delay_alu instid0(VALU_DEP_2)
	v_lshrrev_b64 v[8:9], v18, v[8:9]
; %bb.5578:                             ;   in Loop: Header=BB2_5193 Depth=3
	s_and_not1_saveexec_b32 s14, s14
; %bb.5579:                             ;   in Loop: Header=BB2_5193 Depth=3
	s_delay_alu instid0(VALU_DEP_1)
	v_bfe_u32 v17, v8, 23, 1
; %bb.5580:                             ;   in Loop: Header=BB2_5193 Depth=3
	s_or_b32 exec_lo, exec_lo, s14
	s_delay_alu instid0(VALU_DEP_2) | instskip(NEXT) | instid1(VALU_DEP_2)
	v_lshrrev_b64 v[8:9], 21, v[8:9]
	v_cmp_gt_i32_e32 vcc_lo, 32, v17
	v_min_i32_e32 v18, 31, v17
	v_cmp_eq_u32_e64 s14, 0, v17
	s_delay_alu instid0(VALU_DEP_2) | instskip(SKIP_1) | instid1(VALU_DEP_2)
	v_dual_cndmask_b32 v8, 3, v8, vcc_lo :: v_dual_lshlrev_b32 v18, 2, v18
	v_cndmask_b32_e32 v9, 0, v9, vcc_lo
	v_and_b32_e32 v18, 0xfc, v18
	s_delay_alu instid0(VALU_DEP_2) | instskip(NEXT) | instid1(VALU_DEP_2)
	v_cmp_eq_u64_e32 vcc_lo, 0, v[8:9]
	v_and_or_b32 v8, v8, 3, v18
	s_and_b32 s14, s14, vcc_lo
	s_delay_alu instid0(VALU_DEP_1) | instid1(SALU_CYCLE_1)
	v_cndmask_b32_e64 v8, v8, 0, s14
	s_delay_alu instid0(VALU_DEP_1)
	v_or_b32_e32 v17, v8, v58
.LBB2_5581:                             ;   in Loop: Header=BB2_5193 Depth=3
	s_or_b32 exec_lo, exec_lo, s77
                                        ; implicit-def: $vgpr58
.LBB2_5582:                             ;   in Loop: Header=BB2_5193 Depth=3
	s_and_not1_saveexec_b32 s14, s43
; %bb.5583:                             ;   in Loop: Header=BB2_5193 Depth=3
	v_or_b32_e32 v17, 0x7b, v58
; %bb.5584:                             ;   in Loop: Header=BB2_5193 Depth=3
	s_or_b32 exec_lo, exec_lo, s14
                                        ; implicit-def: $vgpr56
                                        ; implicit-def: $vgpr8_vgpr9
                                        ; implicit-def: $vgpr57
.LBB2_5585:                             ;   in Loop: Header=BB2_5193 Depth=3
	s_and_not1_saveexec_b32 s14, s42
	s_cbranch_execz .LBB2_5591
; %bb.5586:                             ;   in Loop: Header=BB2_5193 Depth=3
	s_mov_b32 s42, exec_lo
                                        ; implicit-def: $vgpr17
	v_cmpx_ne_u64_e32 0, v[8:9]
	s_xor_b32 s42, exec_lo, s42
; %bb.5587:                             ;   in Loop: Header=BB2_5193 Depth=3
	v_or_b32_e32 v17, 0x7f, v57
                                        ; implicit-def: $vgpr56
; %bb.5588:                             ;   in Loop: Header=BB2_5193 Depth=3
	s_and_not1_saveexec_b32 s42, s42
; %bb.5589:                             ;   in Loop: Header=BB2_5193 Depth=3
	v_cmp_lt_i32_e32 vcc_lo, -1, v56
	v_cndmask_b32_e32 v17, 0xfc, v120, vcc_lo
; %bb.5590:                             ;   in Loop: Header=BB2_5193 Depth=3
	s_or_b32 exec_lo, exec_lo, s42
.LBB2_5591:                             ;   in Loop: Header=BB2_5193 Depth=3
	s_delay_alu instid0(SALU_CYCLE_1) | instskip(SKIP_3) | instid1(VALU_DEP_2)
	s_or_b32 exec_lo, exec_lo, s14
	v_lshrrev_b16 v8, 8, v2
	v_mov_b32_e32 v56, 0
	s_mov_b32 s14, exec_lo
	v_cmpx_ne_u16_e32 0, v8
	s_cbranch_execz .LBB2_5601
; %bb.5592:                             ;   in Loop: Header=BB2_5193 Depth=3
	v_bfrev_b32_e32 v56, 1
	s_mov_b32 s42, exec_lo
	v_cmpx_ne_u16_e32 0x80, v8
	s_cbranch_execz .LBB2_5600
; %bb.5593:                             ;   in Loop: Header=BB2_5193 Depth=3
	v_and_b32_e32 v57, 0xffff, v8
	s_mov_b32 s43, exec_lo
                                        ; implicit-def: $vgpr56
	s_delay_alu instid0(VALU_DEP_1) | instskip(SKIP_1) | instid1(VALU_DEP_2)
	v_and_b32_e32 v18, 0x7c, v57
	v_and_b32_e32 v9, 3, v57
	v_cmpx_ne_u32_e32 0x7c, v18
	s_xor_b32 s43, exec_lo, s43
	s_cbranch_execz .LBB2_5597
; %bb.5594:                             ;   in Loop: Header=BB2_5193 Depth=3
	v_bfe_u32 v56, v57, 2, 5
	s_mov_b32 s77, exec_lo
	s_delay_alu instid0(VALU_DEP_1)
	v_cmpx_eq_u32_e32 0, v56
; %bb.5595:                             ;   in Loop: Header=BB2_5193 Depth=3
	v_clz_i32_u32_e32 v9, v9
	s_delay_alu instid0(VALU_DEP_1) | instskip(NEXT) | instid1(VALU_DEP_1)
	v_min_u32_e32 v18, 32, v9
	v_dual_mov_b32 v9, v3 :: v_dual_sub_nc_u32 v56, 30, v18
	v_subrev_nc_u32_e32 v19, 29, v18
	s_delay_alu instid0(VALU_DEP_1) | instskip(NEXT) | instid1(VALU_DEP_1)
	v_lshlrev_b64_e32 v[8:9], v19, v[8:9]
	v_and_b32_e32 v9, 3, v8
; %bb.5596:                             ;   in Loop: Header=BB2_5193 Depth=3
	s_or_b32 exec_lo, exec_lo, s77
	v_lshlrev_b32_e32 v2, 16, v2
	s_delay_alu instid0(VALU_DEP_1) | instskip(NEXT) | instid1(VALU_DEP_1)
	v_and_b32_e32 v2, 0x80000000, v2
	v_lshl_add_u32 v2, v56, 23, v2
	s_delay_alu instid0(VALU_DEP_1) | instskip(NEXT) | instid1(VALU_DEP_1)
	v_lshl_or_b32 v2, v9, 21, v2
                                        ; implicit-def: $vgpr9
	v_add_nc_u32_e32 v56, 0x38000000, v2
.LBB2_5597:                             ;   in Loop: Header=BB2_5193 Depth=3
	s_and_not1_saveexec_b32 s43, s43
; %bb.5598:                             ;   in Loop: Header=BB2_5193 Depth=3
	v_cmp_lt_i16_e32 vcc_lo, -1, v2
	v_cndmask_b32_e32 v2, 0xff800000, v111, vcc_lo
	v_cmp_eq_u32_e32 vcc_lo, 0, v9
	s_delay_alu instid0(VALU_DEP_2)
	v_cndmask_b32_e32 v56, 0x7f800001, v2, vcc_lo
; %bb.5599:                             ;   in Loop: Header=BB2_5193 Depth=3
	s_or_b32 exec_lo, exec_lo, s43
.LBB2_5600:                             ;   in Loop: Header=BB2_5193 Depth=3
	s_delay_alu instid0(SALU_CYCLE_1)
	s_or_b32 exec_lo, exec_lo, s42
.LBB2_5601:                             ;   in Loop: Header=BB2_5193 Depth=3
	s_delay_alu instid0(SALU_CYCLE_1) | instskip(NEXT) | instid1(VALU_DEP_1)
	s_or_b32 exec_lo, exec_lo, s14
	v_dual_mul_f32 v8, s15, v56 :: v_dual_mov_b32 v19, v3
                                        ; implicit-def: $vgpr75
	s_mov_b32 s14, exec_lo
	s_delay_alu instid0(VALU_DEP_1) | instskip(SKIP_2) | instid1(VALU_DEP_3)
	v_and_b32_e32 v18, 0x7f800000, v8
	v_and_b32_e32 v2, 0x7fffff, v8
	v_lshrrev_b32_e32 v9, 24, v8
	v_cmpx_ne_u64_e32 0x7f800000, v[18:19]
	s_xor_b32 s42, exec_lo, s14
	s_cbranch_execz .LBB2_5615
; %bb.5602:                             ;   in Loop: Header=BB2_5193 Depth=3
	v_and_b32_e32 v18, 0x7fffffff, v8
	v_mov_b32_e32 v19, v3
	v_and_b32_e32 v58, 0x80, v9
                                        ; implicit-def: $vgpr75
	s_mov_b32 s14, exec_lo
	s_delay_alu instid0(VALU_DEP_2)
	v_cmpx_gt_u64_e32 0x47600001, v[18:19]
	s_xor_b32 s43, exec_lo, s14
	s_cbranch_execz .LBB2_5612
; %bb.5603:                             ;   in Loop: Header=BB2_5193 Depth=3
	v_mov_b32_e32 v75, 0
	s_mov_b32 s77, exec_lo
	v_cmpx_ne_u32_e32 0, v8
	s_cbranch_execz .LBB2_5611
; %bb.5604:                             ;   in Loop: Header=BB2_5193 Depth=3
	v_bfe_u32 v59, v8, 23, 8
	v_or_b32_e32 v18, 0x800000, v2
	s_delay_alu instid0(VALU_DEP_2) | instskip(SKIP_1) | instid1(VALU_DEP_2)
	v_dual_mov_b32 v19, v3 :: v_dual_sub_nc_u32 v8, 0x71, v59
	v_cmp_gt_u32_e32 vcc_lo, 0x72, v59
	v_cndmask_b32_e32 v8, 0, v8, vcc_lo
	v_cmp_eq_u32_e32 vcc_lo, 0, v59
	s_delay_alu instid0(VALU_DEP_2) | instskip(NEXT) | instid1(VALU_DEP_1)
	v_cndmask_b32_e64 v75, v8, 0x70, vcc_lo
	v_dual_cndmask_b32 v18, v18, v2, vcc_lo :: v_dual_add_nc_u32 v8, 21, v75
	v_add_nc_u32_e32 v56, 20, v75
	s_delay_alu instid0(VALU_DEP_2) | instskip(NEXT) | instid1(VALU_DEP_2)
	v_lshlrev_b64_e64 v[8:9], v8, -1
	v_lshlrev_b64_e64 v[56:57], v56, 1
	s_delay_alu instid0(VALU_DEP_2) | instskip(NEXT) | instid1(VALU_DEP_3)
	v_bfi_b32 v95, v9, 0, 0
	v_bfi_b32 v94, v8, 0, v18
	v_lshrrev_b64 v[8:9], v75, v[18:19]
	s_delay_alu instid0(VALU_DEP_2) | instskip(NEXT) | instid1(VALU_DEP_2)
	v_cmp_eq_u64_e64 s14, v[94:95], v[56:57]
	v_mov_b64_e32 v[56:57], v[8:9]
	s_and_saveexec_b32 s78, s14
; %bb.5605:                             ;   in Loop: Header=BB2_5193 Depth=3
	v_bfe_u32 v18, v8, 21, 1
	v_mov_b32_e32 v19, v3
	s_delay_alu instid0(VALU_DEP_1) | instskip(NEXT) | instid1(VALU_DEP_1)
	v_add_nc_u64_e32 v[18:19], v[8:9], v[18:19]
	v_add_nc_u64_e32 v[56:57], -1, v[18:19]
; %bb.5606:                             ;   in Loop: Header=BB2_5193 Depth=3
	s_or_b32 exec_lo, exec_lo, s78
	v_add_nc_u32_e32 v2, 0xffffff81, v59
	s_delay_alu instid0(VALU_DEP_2) | instskip(SKIP_2) | instid1(VALU_DEP_3)
	v_and_b32_e32 v18, 0x1fffff, v56
	v_lshrrev_b32_e32 v9, 23, v8
	s_mov_b32 s14, exec_lo
                                        ; implicit-def: $vgpr56
	v_cndmask_b32_e64 v2, v2, 0xffffff82, vcc_lo
	s_delay_alu instid0(VALU_DEP_1) | instskip(SKIP_1) | instid1(VALU_DEP_2)
	v_add3_u32 v57, v75, v2, v9
	v_add_nc_u32_e32 v2, v18, v8
                                        ; implicit-def: $vgpr8_vgpr9
	v_add_nc_u32_e32 v59, 14, v57
	s_delay_alu instid0(VALU_DEP_1)
	v_cmpx_ne_u32_e32 0, v59
	s_xor_b32 s14, exec_lo, s14
; %bb.5607:                             ;   in Loop: Header=BB2_5193 Depth=3
	s_delay_alu instid0(VALU_DEP_3) | instskip(SKIP_1) | instid1(VALU_DEP_1)
	v_cmp_lt_u64_e32 vcc_lo, 0xffffff, v[2:3]
	v_add_nc_u32_e32 v8, 15, v57
	v_cndmask_b32_e32 v56, v59, v8, vcc_lo
	v_cndmask_b32_e64 v8, 0, 1, vcc_lo
	s_delay_alu instid0(VALU_DEP_1)
	v_lshrrev_b64 v[8:9], v8, v[2:3]
; %bb.5608:                             ;   in Loop: Header=BB2_5193 Depth=3
	s_and_not1_saveexec_b32 s14, s14
; %bb.5609:                             ;   in Loop: Header=BB2_5193 Depth=3
	v_mov_b64_e32 v[8:9], v[2:3]
	v_bfe_u32 v56, v2, 23, 1
; %bb.5610:                             ;   in Loop: Header=BB2_5193 Depth=3
	s_or_b32 exec_lo, exec_lo, s14
	s_delay_alu instid0(VALU_DEP_2) | instskip(NEXT) | instid1(VALU_DEP_2)
	v_lshrrev_b64 v[8:9], 21, v[8:9]
	v_cmp_gt_i32_e32 vcc_lo, 32, v56
	v_min_i32_e32 v2, 31, v56
	v_cmp_eq_u32_e64 s14, 0, v56
	s_delay_alu instid0(VALU_DEP_2) | instskip(SKIP_1) | instid1(VALU_DEP_2)
	v_dual_cndmask_b32 v9, 0, v9 :: v_dual_lshlrev_b32 v2, 2, v2
	v_cndmask_b32_e32 v8, 3, v8, vcc_lo
	v_and_b32_e32 v2, 0xfc, v2
	s_delay_alu instid0(VALU_DEP_2) | instskip(NEXT) | instid1(VALU_DEP_2)
	v_cmp_eq_u64_e32 vcc_lo, 0, v[8:9]
	v_and_or_b32 v2, v8, 3, v2
	s_and_b32 s14, s14, vcc_lo
	s_delay_alu instid0(VALU_DEP_1) | instid1(SALU_CYCLE_1)
	v_cndmask_b32_e64 v2, v2, 0, s14
	s_delay_alu instid0(VALU_DEP_1)
	v_or_b32_e32 v75, v2, v58
.LBB2_5611:                             ;   in Loop: Header=BB2_5193 Depth=3
	s_or_b32 exec_lo, exec_lo, s77
                                        ; implicit-def: $vgpr58
.LBB2_5612:                             ;   in Loop: Header=BB2_5193 Depth=3
	s_and_not1_saveexec_b32 s14, s43
; %bb.5613:                             ;   in Loop: Header=BB2_5193 Depth=3
	v_or_b32_e32 v75, 0x7b, v58
; %bb.5614:                             ;   in Loop: Header=BB2_5193 Depth=3
	s_or_b32 exec_lo, exec_lo, s14
                                        ; implicit-def: $vgpr8
                                        ; implicit-def: $vgpr9
.LBB2_5615:                             ;   in Loop: Header=BB2_5193 Depth=3
	s_and_not1_saveexec_b32 s14, s42
	s_cbranch_execz .LBB2_5621
; %bb.5616:                             ;   in Loop: Header=BB2_5193 Depth=3
	s_mov_b32 s42, exec_lo
                                        ; implicit-def: $vgpr75
	v_cmpx_ne_u64_e32 0, v[2:3]
	s_xor_b32 s42, exec_lo, s42
; %bb.5617:                             ;   in Loop: Header=BB2_5193 Depth=3
	v_or_b32_e32 v75, 0x7f, v9
                                        ; implicit-def: $vgpr8
; %bb.5618:                             ;   in Loop: Header=BB2_5193 Depth=3
	s_and_not1_saveexec_b32 s42, s42
; %bb.5619:                             ;   in Loop: Header=BB2_5193 Depth=3
	v_cmp_lt_i32_e32 vcc_lo, -1, v8
	v_cndmask_b32_e32 v75, 0xfc, v120, vcc_lo
; %bb.5620:                             ;   in Loop: Header=BB2_5193 Depth=3
	s_or_b32 exec_lo, exec_lo, s42
.LBB2_5621:                             ;   in Loop: Header=BB2_5193 Depth=3
	s_delay_alu instid0(SALU_CYCLE_1) | instskip(SKIP_2) | instid1(VALU_DEP_1)
	s_or_b32 exec_lo, exec_lo, s14
	v_dual_lshrrev_b32 v2, 16, v11 :: v_dual_mov_b32 v8, 0
	s_mov_b32 s14, exec_lo
	v_and_b32_e32 v9, 0xff, v2
	s_delay_alu instid0(VALU_DEP_1)
	v_cmpx_ne_u16_e32 0, v9
	s_cbranch_execz .LBB2_5631
; %bb.5622:                             ;   in Loop: Header=BB2_5193 Depth=3
	v_bfrev_b32_e32 v8, 1
	s_mov_b32 s42, exec_lo
	v_cmpx_ne_u16_e32 0x80, v9
	s_cbranch_execz .LBB2_5630
; %bb.5623:                             ;   in Loop: Header=BB2_5193 Depth=3
	v_and_b32_e32 v8, 0x7c0000, v11
	v_bfe_u32 v9, v11, 16, 2
	s_delay_alu instid0(VALU_DEP_2) | instskip(SKIP_1) | instid1(SALU_CYCLE_1)
	v_cmp_ne_u32_e32 vcc_lo, 0x7c0000, v8
                                        ; implicit-def: $vgpr8
	s_and_saveexec_b32 s43, vcc_lo
	s_xor_b32 s43, exec_lo, s43
	s_cbranch_execz .LBB2_5627
; %bb.5624:                             ;   in Loop: Header=BB2_5193 Depth=3
	v_bfe_u32 v8, v11, 18, 5
	s_mov_b32 s77, exec_lo
	s_delay_alu instid0(VALU_DEP_1)
	v_cmpx_eq_u32_e32 0, v8
; %bb.5625:                             ;   in Loop: Header=BB2_5193 Depth=3
	v_clz_i32_u32_e32 v8, v9
	s_delay_alu instid0(VALU_DEP_1) | instskip(NEXT) | instid1(VALU_DEP_1)
	v_min_u32_e32 v8, 32, v8
	v_subrev_nc_u32_e32 v9, 29, v8
	s_delay_alu instid0(VALU_DEP_1) | instskip(NEXT) | instid1(VALU_DEP_1)
	v_lshlrev_b64_e32 v[18:19], v9, v[2:3]
	v_dual_sub_nc_u32 v8, 30, v8 :: v_dual_bitop2_b32 v9, 3, v18 bitop3:0x40
; %bb.5626:                             ;   in Loop: Header=BB2_5193 Depth=3
	s_or_b32 exec_lo, exec_lo, s77
	v_lshlrev_b32_e32 v2, 24, v2
	s_delay_alu instid0(VALU_DEP_1) | instskip(NEXT) | instid1(VALU_DEP_1)
	v_and_b32_e32 v2, 0x80000000, v2
	v_lshl_add_u32 v2, v8, 23, v2
	s_delay_alu instid0(VALU_DEP_1) | instskip(NEXT) | instid1(VALU_DEP_1)
	v_lshl_or_b32 v2, v9, 21, v2
                                        ; implicit-def: $vgpr9
	v_add_nc_u32_e32 v8, 0x38000000, v2
                                        ; implicit-def: $vgpr2
.LBB2_5627:                             ;   in Loop: Header=BB2_5193 Depth=3
	s_and_not1_saveexec_b32 s43, s43
; %bb.5628:                             ;   in Loop: Header=BB2_5193 Depth=3
	v_bfe_i32 v2, v2, 0, 8
	s_delay_alu instid0(VALU_DEP_1) | instskip(SKIP_2) | instid1(VALU_DEP_2)
	v_cmp_lt_i16_e32 vcc_lo, -1, v2
	v_cndmask_b32_e32 v2, 0xff800000, v111, vcc_lo
	v_cmp_eq_u32_e32 vcc_lo, 0, v9
	v_cndmask_b32_e32 v8, 0x7f800001, v2, vcc_lo
; %bb.5629:                             ;   in Loop: Header=BB2_5193 Depth=3
	s_or_b32 exec_lo, exec_lo, s43
.LBB2_5630:                             ;   in Loop: Header=BB2_5193 Depth=3
	s_delay_alu instid0(SALU_CYCLE_1)
	s_or_b32 exec_lo, exec_lo, s42
.LBB2_5631:                             ;   in Loop: Header=BB2_5193 Depth=3
	s_delay_alu instid0(SALU_CYCLE_1) | instskip(NEXT) | instid1(VALU_DEP_1)
	s_or_b32 exec_lo, exec_lo, s14
	v_dual_mul_f32 v8, s15, v8 :: v_dual_mov_b32 v19, v3
                                        ; implicit-def: $vgpr77
	s_mov_b32 s14, exec_lo
	s_delay_alu instid0(VALU_DEP_1) | instskip(SKIP_2) | instid1(VALU_DEP_3)
	v_and_b32_e32 v18, 0x7f800000, v8
	v_and_b32_e32 v2, 0x7fffff, v8
	v_lshrrev_b32_e32 v9, 24, v8
	v_cmpx_ne_u64_e32 0x7f800000, v[18:19]
	s_xor_b32 s42, exec_lo, s14
	s_cbranch_execz .LBB2_5645
; %bb.5632:                             ;   in Loop: Header=BB2_5193 Depth=3
	v_and_b32_e32 v18, 0x7fffffff, v8
	v_mov_b32_e32 v19, v3
	v_and_b32_e32 v58, 0x80, v9
                                        ; implicit-def: $vgpr77
	s_mov_b32 s14, exec_lo
	s_delay_alu instid0(VALU_DEP_2)
	v_cmpx_gt_u64_e32 0x47600001, v[18:19]
	s_xor_b32 s43, exec_lo, s14
	s_cbranch_execz .LBB2_5642
; %bb.5633:                             ;   in Loop: Header=BB2_5193 Depth=3
	v_mov_b32_e32 v77, 0
	s_mov_b32 s77, exec_lo
	v_cmpx_ne_u32_e32 0, v8
	s_cbranch_execz .LBB2_5641
; %bb.5634:                             ;   in Loop: Header=BB2_5193 Depth=3
	v_bfe_u32 v59, v8, 23, 8
	v_or_b32_e32 v18, 0x800000, v2
	s_delay_alu instid0(VALU_DEP_2) | instskip(SKIP_1) | instid1(VALU_DEP_2)
	v_dual_mov_b32 v19, v3 :: v_dual_sub_nc_u32 v8, 0x71, v59
	v_cmp_gt_u32_e32 vcc_lo, 0x72, v59
	v_cndmask_b32_e32 v8, 0, v8, vcc_lo
	v_cmp_eq_u32_e32 vcc_lo, 0, v59
	s_delay_alu instid0(VALU_DEP_2) | instskip(NEXT) | instid1(VALU_DEP_1)
	v_cndmask_b32_e64 v77, v8, 0x70, vcc_lo
	v_dual_cndmask_b32 v18, v18, v2, vcc_lo :: v_dual_add_nc_u32 v8, 21, v77
	v_add_nc_u32_e32 v56, 20, v77
	s_delay_alu instid0(VALU_DEP_2) | instskip(NEXT) | instid1(VALU_DEP_2)
	v_lshlrev_b64_e64 v[8:9], v8, -1
	v_lshlrev_b64_e64 v[56:57], v56, 1
	s_delay_alu instid0(VALU_DEP_2) | instskip(NEXT) | instid1(VALU_DEP_3)
	v_bfi_b32 v95, v9, 0, 0
	v_bfi_b32 v94, v8, 0, v18
	v_lshrrev_b64 v[8:9], v77, v[18:19]
	s_delay_alu instid0(VALU_DEP_2) | instskip(NEXT) | instid1(VALU_DEP_2)
	v_cmp_eq_u64_e64 s14, v[94:95], v[56:57]
	v_mov_b64_e32 v[56:57], v[8:9]
	s_and_saveexec_b32 s78, s14
; %bb.5635:                             ;   in Loop: Header=BB2_5193 Depth=3
	v_bfe_u32 v18, v8, 21, 1
	v_mov_b32_e32 v19, v3
	s_delay_alu instid0(VALU_DEP_1) | instskip(NEXT) | instid1(VALU_DEP_1)
	v_add_nc_u64_e32 v[18:19], v[8:9], v[18:19]
	v_add_nc_u64_e32 v[56:57], -1, v[18:19]
; %bb.5636:                             ;   in Loop: Header=BB2_5193 Depth=3
	s_or_b32 exec_lo, exec_lo, s78
	v_add_nc_u32_e32 v2, 0xffffff81, v59
	s_delay_alu instid0(VALU_DEP_2) | instskip(SKIP_2) | instid1(VALU_DEP_3)
	v_and_b32_e32 v18, 0x1fffff, v56
	v_lshrrev_b32_e32 v9, 23, v8
	s_mov_b32 s14, exec_lo
                                        ; implicit-def: $vgpr56
	v_cndmask_b32_e64 v2, v2, 0xffffff82, vcc_lo
	s_delay_alu instid0(VALU_DEP_1) | instskip(SKIP_1) | instid1(VALU_DEP_2)
	v_add3_u32 v57, v77, v2, v9
	v_add_nc_u32_e32 v2, v18, v8
                                        ; implicit-def: $vgpr8_vgpr9
	v_add_nc_u32_e32 v59, 14, v57
	s_delay_alu instid0(VALU_DEP_1)
	v_cmpx_ne_u32_e32 0, v59
	s_xor_b32 s14, exec_lo, s14
; %bb.5637:                             ;   in Loop: Header=BB2_5193 Depth=3
	s_delay_alu instid0(VALU_DEP_3) | instskip(SKIP_1) | instid1(VALU_DEP_1)
	v_cmp_lt_u64_e32 vcc_lo, 0xffffff, v[2:3]
	v_add_nc_u32_e32 v8, 15, v57
	v_cndmask_b32_e32 v56, v59, v8, vcc_lo
	v_cndmask_b32_e64 v8, 0, 1, vcc_lo
	s_delay_alu instid0(VALU_DEP_1)
	v_lshrrev_b64 v[8:9], v8, v[2:3]
; %bb.5638:                             ;   in Loop: Header=BB2_5193 Depth=3
	s_and_not1_saveexec_b32 s14, s14
; %bb.5639:                             ;   in Loop: Header=BB2_5193 Depth=3
	v_mov_b64_e32 v[8:9], v[2:3]
	v_bfe_u32 v56, v2, 23, 1
; %bb.5640:                             ;   in Loop: Header=BB2_5193 Depth=3
	s_or_b32 exec_lo, exec_lo, s14
	s_delay_alu instid0(VALU_DEP_2) | instskip(NEXT) | instid1(VALU_DEP_2)
	v_lshrrev_b64 v[8:9], 21, v[8:9]
	v_cmp_gt_i32_e32 vcc_lo, 32, v56
	v_min_i32_e32 v2, 31, v56
	v_cmp_eq_u32_e64 s14, 0, v56
	s_delay_alu instid0(VALU_DEP_2) | instskip(SKIP_1) | instid1(VALU_DEP_2)
	v_dual_cndmask_b32 v9, 0, v9 :: v_dual_lshlrev_b32 v2, 2, v2
	v_cndmask_b32_e32 v8, 3, v8, vcc_lo
	v_and_b32_e32 v2, 0xfc, v2
	s_delay_alu instid0(VALU_DEP_2) | instskip(NEXT) | instid1(VALU_DEP_2)
	v_cmp_eq_u64_e32 vcc_lo, 0, v[8:9]
	v_and_or_b32 v2, v8, 3, v2
	s_and_b32 s14, s14, vcc_lo
	s_delay_alu instid0(VALU_DEP_1) | instid1(SALU_CYCLE_1)
	v_cndmask_b32_e64 v2, v2, 0, s14
	s_delay_alu instid0(VALU_DEP_1)
	v_or_b32_e32 v77, v2, v58
.LBB2_5641:                             ;   in Loop: Header=BB2_5193 Depth=3
	s_or_b32 exec_lo, exec_lo, s77
                                        ; implicit-def: $vgpr58
.LBB2_5642:                             ;   in Loop: Header=BB2_5193 Depth=3
	s_and_not1_saveexec_b32 s14, s43
; %bb.5643:                             ;   in Loop: Header=BB2_5193 Depth=3
	v_or_b32_e32 v77, 0x7b, v58
; %bb.5644:                             ;   in Loop: Header=BB2_5193 Depth=3
	s_or_b32 exec_lo, exec_lo, s14
                                        ; implicit-def: $vgpr8
                                        ; implicit-def: $vgpr9
.LBB2_5645:                             ;   in Loop: Header=BB2_5193 Depth=3
	s_and_not1_saveexec_b32 s14, s42
	s_cbranch_execz .LBB2_5651
; %bb.5646:                             ;   in Loop: Header=BB2_5193 Depth=3
	s_mov_b32 s42, exec_lo
                                        ; implicit-def: $vgpr77
	v_cmpx_ne_u64_e32 0, v[2:3]
	s_xor_b32 s42, exec_lo, s42
; %bb.5647:                             ;   in Loop: Header=BB2_5193 Depth=3
	v_or_b32_e32 v77, 0x7f, v9
                                        ; implicit-def: $vgpr8
; %bb.5648:                             ;   in Loop: Header=BB2_5193 Depth=3
	s_and_not1_saveexec_b32 s42, s42
; %bb.5649:                             ;   in Loop: Header=BB2_5193 Depth=3
	v_cmp_lt_i32_e32 vcc_lo, -1, v8
	v_cndmask_b32_e32 v77, 0xfc, v120, vcc_lo
; %bb.5650:                             ;   in Loop: Header=BB2_5193 Depth=3
	s_or_b32 exec_lo, exec_lo, s42
.LBB2_5651:                             ;   in Loop: Header=BB2_5193 Depth=3
	s_delay_alu instid0(SALU_CYCLE_1)
	s_or_b32 exec_lo, exec_lo, s14
	v_mov_b32_e32 v8, 0
	s_mov_b32 s14, exec_lo
	v_cmpx_lt_u64_e64 s[22:23], v[10:11]
	s_cbranch_execz .LBB2_5661
; %bb.5652:                             ;   in Loop: Header=BB2_5193 Depth=3
	v_lshrrev_b32_e32 v2, 24, v11
	v_bfrev_b32_e32 v8, 1
	s_mov_b32 s42, exec_lo
	s_delay_alu instid0(VALU_DEP_2)
	v_cmpx_ne_u32_e32 0x80, v2
	s_cbranch_execz .LBB2_5660
; %bb.5653:                             ;   in Loop: Header=BB2_5193 Depth=3
	v_and_b32_e32 v8, 0x7c000000, v11
	v_bfe_u32 v9, v11, 24, 2
	s_delay_alu instid0(VALU_DEP_2) | instskip(SKIP_1) | instid1(SALU_CYCLE_1)
	v_cmp_ne_u32_e32 vcc_lo, 0x7c000000, v8
                                        ; implicit-def: $vgpr8
	s_and_saveexec_b32 s43, vcc_lo
	s_xor_b32 s43, exec_lo, s43
	s_cbranch_execz .LBB2_5657
; %bb.5654:                             ;   in Loop: Header=BB2_5193 Depth=3
	v_bfe_u32 v8, v11, 26, 5
	s_mov_b32 s77, exec_lo
	s_delay_alu instid0(VALU_DEP_1)
	v_cmpx_eq_u32_e32 0, v8
; %bb.5655:                             ;   in Loop: Header=BB2_5193 Depth=3
	v_clz_i32_u32_e32 v8, v9
	s_delay_alu instid0(VALU_DEP_1) | instskip(NEXT) | instid1(VALU_DEP_1)
	v_min_u32_e32 v8, 32, v8
	v_subrev_nc_u32_e32 v9, 29, v8
	s_delay_alu instid0(VALU_DEP_1) | instskip(NEXT) | instid1(VALU_DEP_1)
	v_lshlrev_b64_e32 v[18:19], v9, v[2:3]
	v_dual_sub_nc_u32 v8, 30, v8 :: v_dual_bitop2_b32 v9, 3, v18 bitop3:0x40
; %bb.5656:                             ;   in Loop: Header=BB2_5193 Depth=3
	s_or_b32 exec_lo, exec_lo, s77
	v_and_b32_e32 v2, 0x80000000, v11
                                        ; implicit-def: $vgpr10_vgpr11
	s_delay_alu instid0(VALU_DEP_1) | instskip(NEXT) | instid1(VALU_DEP_1)
	v_lshl_add_u32 v2, v8, 23, v2
	v_lshl_or_b32 v2, v9, 21, v2
                                        ; implicit-def: $vgpr9
	s_delay_alu instid0(VALU_DEP_1)
	v_add_nc_u32_e32 v8, 0x38000000, v2
.LBB2_5657:                             ;   in Loop: Header=BB2_5193 Depth=3
	s_and_not1_saveexec_b32 s43, s43
; %bb.5658:                             ;   in Loop: Header=BB2_5193 Depth=3
	v_cmp_lt_i64_e32 vcc_lo, -1, v[10:11]
	v_cndmask_b32_e32 v2, 0xff800000, v111, vcc_lo
	v_cmp_eq_u32_e32 vcc_lo, 0, v9
	s_delay_alu instid0(VALU_DEP_2)
	v_cndmask_b32_e32 v8, 0x7f800001, v2, vcc_lo
; %bb.5659:                             ;   in Loop: Header=BB2_5193 Depth=3
	s_or_b32 exec_lo, exec_lo, s43
.LBB2_5660:                             ;   in Loop: Header=BB2_5193 Depth=3
	s_delay_alu instid0(SALU_CYCLE_1)
	s_or_b32 exec_lo, exec_lo, s42
.LBB2_5661:                             ;   in Loop: Header=BB2_5193 Depth=3
	s_delay_alu instid0(SALU_CYCLE_1) | instskip(NEXT) | instid1(VALU_DEP_1)
	s_or_b32 exec_lo, exec_lo, s14
	v_dual_mul_f32 v8, s15, v8 :: v_dual_mov_b32 v11, v3
                                        ; implicit-def: $vgpr88
	s_mov_b32 s14, exec_lo
	s_delay_alu instid0(VALU_DEP_1) | instskip(SKIP_2) | instid1(VALU_DEP_3)
	v_and_b32_e32 v10, 0x7f800000, v8
	v_and_b32_e32 v2, 0x7fffff, v8
	v_lshrrev_b32_e32 v9, 24, v8
	v_cmpx_ne_u64_e32 0x7f800000, v[10:11]
	s_xor_b32 s15, exec_lo, s14
	s_cbranch_execz .LBB2_5675
; %bb.5662:                             ;   in Loop: Header=BB2_5193 Depth=3
	v_and_b32_e32 v10, 0x7fffffff, v8
	v_mov_b32_e32 v11, v3
	v_and_b32_e32 v56, 0x80, v9
                                        ; implicit-def: $vgpr88
	s_mov_b32 s14, exec_lo
	s_delay_alu instid0(VALU_DEP_2)
	v_cmpx_gt_u64_e32 0x47600001, v[10:11]
	s_xor_b32 s42, exec_lo, s14
	s_cbranch_execz .LBB2_5672
; %bb.5663:                             ;   in Loop: Header=BB2_5193 Depth=3
	v_mov_b32_e32 v88, 0
	s_mov_b32 s43, exec_lo
	v_cmpx_ne_u32_e32 0, v8
	s_cbranch_execz .LBB2_5671
; %bb.5664:                             ;   in Loop: Header=BB2_5193 Depth=3
	v_bfe_u32 v57, v8, 23, 8
	v_or_b32_e32 v10, 0x800000, v2
	s_mov_b32 s77, exec_lo
	s_delay_alu instid0(VALU_DEP_2) | instskip(SKIP_1) | instid1(VALU_DEP_2)
	v_dual_mov_b32 v11, v3 :: v_dual_sub_nc_u32 v8, 0x71, v57
	v_cmp_gt_u32_e32 vcc_lo, 0x72, v57
	v_cndmask_b32_e32 v8, 0, v8, vcc_lo
	v_cmp_eq_u32_e32 vcc_lo, 0, v57
	s_delay_alu instid0(VALU_DEP_2) | instskip(SKIP_1) | instid1(VALU_DEP_2)
	v_cndmask_b32_e64 v58, v8, 0x70, vcc_lo
	v_cndmask_b32_e32 v10, v10, v2, vcc_lo
	v_dual_add_nc_u32 v8, 21, v58 :: v_dual_add_nc_u32 v18, 20, v58
	s_delay_alu instid0(VALU_DEP_1) | instskip(NEXT) | instid1(VALU_DEP_2)
	v_lshlrev_b64_e64 v[8:9], v8, -1
	v_lshlrev_b64_e64 v[18:19], v18, 1
	s_delay_alu instid0(VALU_DEP_2) | instskip(NEXT) | instid1(VALU_DEP_3)
	v_bfi_b32 v95, v9, 0, 0
	v_bfi_b32 v94, v8, 0, v10
	v_lshrrev_b64 v[8:9], v58, v[10:11]
	s_delay_alu instid0(VALU_DEP_1) | instskip(NEXT) | instid1(VALU_DEP_3)
	v_mov_b64_e32 v[10:11], v[8:9]
	v_cmpx_eq_u64_e64 v[94:95], v[18:19]
; %bb.5665:                             ;   in Loop: Header=BB2_5193 Depth=3
	v_bfe_u32 v10, v8, 21, 1
	v_mov_b32_e32 v11, v3
	s_delay_alu instid0(VALU_DEP_1) | instskip(NEXT) | instid1(VALU_DEP_1)
	v_add_nc_u64_e32 v[10:11], v[8:9], v[10:11]
	v_add_nc_u64_e32 v[10:11], -1, v[10:11]
; %bb.5666:                             ;   in Loop: Header=BB2_5193 Depth=3
	s_or_b32 exec_lo, exec_lo, s77
	v_add_nc_u32_e32 v2, 0xffffff81, v57
	s_delay_alu instid0(VALU_DEP_2) | instskip(SKIP_2) | instid1(VALU_DEP_3)
	v_and_b32_e32 v10, 0x1fffff, v10
	v_lshrrev_b32_e32 v9, 23, v8
	s_mov_b32 s14, exec_lo
	v_cndmask_b32_e64 v2, v2, 0xffffff82, vcc_lo
	s_delay_alu instid0(VALU_DEP_1) | instskip(SKIP_1) | instid1(VALU_DEP_2)
	v_add3_u32 v11, v58, v2, v9
	v_add_nc_u32_e32 v2, v10, v8
                                        ; implicit-def: $vgpr8_vgpr9
                                        ; implicit-def: $vgpr10
	v_add_nc_u32_e32 v57, 14, v11
	s_delay_alu instid0(VALU_DEP_1)
	v_cmpx_ne_u32_e32 0, v57
	s_xor_b32 s14, exec_lo, s14
; %bb.5667:                             ;   in Loop: Header=BB2_5193 Depth=3
	s_delay_alu instid0(VALU_DEP_3) | instskip(SKIP_1) | instid1(VALU_DEP_1)
	v_cmp_lt_u64_e32 vcc_lo, 0xffffff, v[2:3]
	v_add_nc_u32_e32 v8, 15, v11
	v_cndmask_b32_e32 v10, v57, v8, vcc_lo
	v_cndmask_b32_e64 v8, 0, 1, vcc_lo
	s_delay_alu instid0(VALU_DEP_1)
	v_lshrrev_b64 v[8:9], v8, v[2:3]
; %bb.5668:                             ;   in Loop: Header=BB2_5193 Depth=3
	s_and_not1_saveexec_b32 s14, s14
; %bb.5669:                             ;   in Loop: Header=BB2_5193 Depth=3
	v_mov_b64_e32 v[8:9], v[2:3]
	v_bfe_u32 v10, v2, 23, 1
; %bb.5670:                             ;   in Loop: Header=BB2_5193 Depth=3
	s_or_b32 exec_lo, exec_lo, s14
	s_delay_alu instid0(VALU_DEP_2) | instskip(NEXT) | instid1(VALU_DEP_2)
	v_lshrrev_b64 v[8:9], 21, v[8:9]
	v_cmp_gt_i32_e32 vcc_lo, 32, v10
	v_min_i32_e32 v2, 31, v10
	v_cmp_eq_u32_e64 s14, 0, v10
	s_delay_alu instid0(VALU_DEP_2) | instskip(SKIP_1) | instid1(VALU_DEP_2)
	v_dual_cndmask_b32 v9, 0, v9 :: v_dual_lshlrev_b32 v2, 2, v2
	v_cndmask_b32_e32 v8, 3, v8, vcc_lo
	v_and_b32_e32 v2, 0xfc, v2
	s_delay_alu instid0(VALU_DEP_2) | instskip(NEXT) | instid1(VALU_DEP_2)
	v_cmp_eq_u64_e32 vcc_lo, 0, v[8:9]
	v_and_or_b32 v2, v8, 3, v2
	s_and_b32 s14, s14, vcc_lo
	s_delay_alu instid0(VALU_DEP_1) | instid1(SALU_CYCLE_1)
	v_cndmask_b32_e64 v2, v2, 0, s14
	s_delay_alu instid0(VALU_DEP_1)
	v_or_b32_e32 v88, v2, v56
.LBB2_5671:                             ;   in Loop: Header=BB2_5193 Depth=3
	s_or_b32 exec_lo, exec_lo, s43
                                        ; implicit-def: $vgpr56
.LBB2_5672:                             ;   in Loop: Header=BB2_5193 Depth=3
	s_and_not1_saveexec_b32 s14, s42
; %bb.5673:                             ;   in Loop: Header=BB2_5193 Depth=3
	v_or_b32_e32 v88, 0x7b, v56
; %bb.5674:                             ;   in Loop: Header=BB2_5193 Depth=3
	s_or_b32 exec_lo, exec_lo, s14
                                        ; implicit-def: $vgpr8
                                        ; implicit-def: $vgpr9
.LBB2_5675:                             ;   in Loop: Header=BB2_5193 Depth=3
	s_and_not1_saveexec_b32 s14, s15
	s_cbranch_execz .LBB2_5681
; %bb.5676:                             ;   in Loop: Header=BB2_5193 Depth=3
	s_mov_b32 s15, exec_lo
                                        ; implicit-def: $vgpr88
	v_cmpx_ne_u64_e32 0, v[2:3]
	s_xor_b32 s15, exec_lo, s15
; %bb.5677:                             ;   in Loop: Header=BB2_5193 Depth=3
	v_or_b32_e32 v88, 0x7f, v9
                                        ; implicit-def: $vgpr8
; %bb.5678:                             ;   in Loop: Header=BB2_5193 Depth=3
	s_and_not1_saveexec_b32 s15, s15
; %bb.5679:                             ;   in Loop: Header=BB2_5193 Depth=3
	v_cmp_lt_i32_e32 vcc_lo, -1, v8
	v_cndmask_b32_e32 v88, 0xfc, v120, vcc_lo
; %bb.5680:                             ;   in Loop: Header=BB2_5193 Depth=3
	s_or_b32 exec_lo, exec_lo, s15
.LBB2_5681:                             ;   in Loop: Header=BB2_5193 Depth=3
	s_delay_alu instid0(SALU_CYCLE_1)
	s_or_b32 exec_lo, exec_lo, s14
	global_load_b128 v[8:11], v[46:47], off th:TH_LOAD_NT
	v_lshl_or_b32 v30, v30, 8, v16
	v_dual_lshlrev_b32 v2, 16, v63 :: v_dual_lshlrev_b32 v18, 24, v76
	v_mov_b32_e32 v56, 0
	s_mov_b32 s14, exec_lo
	s_delay_alu instid0(VALU_DEP_2)
	v_or3_b32 v2, v2, v18, v30
	s_wait_xcnt 0x0
	v_cmpx_ne_u32_e32 0, v16
	s_cbranch_execz .LBB2_5691
; %bb.5682:                             ;   in Loop: Header=BB2_5193 Depth=3
	v_bfrev_b32_e32 v56, 1
	s_mov_b32 s15, exec_lo
	v_cmpx_ne_u32_e32 0x80, v16
	s_cbranch_execz .LBB2_5690
; %bb.5683:                             ;   in Loop: Header=BB2_5193 Depth=3
	v_and_b32_e32 v18, 0x7c, v16
	v_and_b32_e32 v57, 3, v16
	s_mov_b32 s42, exec_lo
                                        ; implicit-def: $vgpr56
	s_delay_alu instid0(VALU_DEP_2)
	v_cmpx_ne_u32_e32 0x7c, v18
	s_xor_b32 s42, exec_lo, s42
	s_cbranch_execz .LBB2_5687
; %bb.5684:                             ;   in Loop: Header=BB2_5193 Depth=3
	v_bfe_u32 v56, v16, 2, 5
	s_mov_b32 s43, exec_lo
	s_delay_alu instid0(VALU_DEP_1)
	v_cmpx_eq_u32_e32 0, v56
; %bb.5685:                             ;   in Loop: Header=BB2_5193 Depth=3
	v_clz_i32_u32_e32 v18, v57
	s_delay_alu instid0(VALU_DEP_1) | instskip(NEXT) | instid1(VALU_DEP_1)
	v_min_u32_e32 v56, 32, v18
	v_subrev_nc_u32_e32 v18, 29, v56
	s_delay_alu instid0(VALU_DEP_1) | instskip(NEXT) | instid1(VALU_DEP_1)
	v_lshlrev_b64_e32 v[18:19], v18, v[2:3]
	v_dual_sub_nc_u32 v56, 30, v56 :: v_dual_bitop2_b32 v57, 3, v18 bitop3:0x40
; %bb.5686:                             ;   in Loop: Header=BB2_5193 Depth=3
	s_or_b32 exec_lo, exec_lo, s43
	v_lshlrev_b32_e32 v16, 24, v16
	s_delay_alu instid0(VALU_DEP_1) | instskip(NEXT) | instid1(VALU_DEP_1)
	v_and_b32_e32 v16, 0x80000000, v16
	v_lshl_add_u32 v16, v56, 23, v16
	s_delay_alu instid0(VALU_DEP_1) | instskip(NEXT) | instid1(VALU_DEP_1)
	v_lshl_or_b32 v16, v57, 21, v16
                                        ; implicit-def: $vgpr57
	v_add_nc_u32_e32 v56, 0x38000000, v16
                                        ; implicit-def: $vgpr16
.LBB2_5687:                             ;   in Loop: Header=BB2_5193 Depth=3
	s_and_not1_saveexec_b32 s42, s42
; %bb.5688:                             ;   in Loop: Header=BB2_5193 Depth=3
	v_and_b32_e32 v16, 0x80, v16
	s_delay_alu instid0(VALU_DEP_1) | instskip(SKIP_2) | instid1(VALU_DEP_2)
	v_cmp_eq_u32_e32 vcc_lo, 0, v16
	v_cndmask_b32_e32 v16, 0xff800000, v111, vcc_lo
	v_cmp_eq_u32_e32 vcc_lo, 0, v57
	v_cndmask_b32_e32 v56, 0x7f800001, v16, vcc_lo
; %bb.5689:                             ;   in Loop: Header=BB2_5193 Depth=3
	s_or_b32 exec_lo, exec_lo, s42
.LBB2_5690:                             ;   in Loop: Header=BB2_5193 Depth=3
	s_delay_alu instid0(SALU_CYCLE_1)
	s_or_b32 exec_lo, exec_lo, s15
.LBB2_5691:                             ;   in Loop: Header=BB2_5193 Depth=3
	s_delay_alu instid0(SALU_CYCLE_1) | instskip(SKIP_4) | instid1(VALU_DEP_1)
	s_or_b32 exec_lo, exec_lo, s14
	s_wait_loadcnt 0x0
	v_and_b32_e32 v57, 0xff, v8
	s_mov_b32 s15, 0
	s_mov_b32 s14, exec_lo
	v_cmpx_lt_i16_e32 0x7f, v57
	s_xor_b32 s14, exec_lo, s14
	s_cbranch_execz .LBB2_6236
; %bb.5692:                             ;   in Loop: Header=BB2_5193 Depth=3
	s_mov_b32 s15, -1
	s_mov_b32 s42, exec_lo
	v_cmpx_eq_u16_e32 0x80, v57
; %bb.5693:                             ;   in Loop: Header=BB2_5193 Depth=3
	s_xor_b32 s15, exec_lo, -1
; %bb.5694:                             ;   in Loop: Header=BB2_5193 Depth=3
	s_or_b32 exec_lo, exec_lo, s42
	s_delay_alu instid0(SALU_CYCLE_1)
	s_and_b32 s15, s15, exec_lo
                                        ; implicit-def: $vgpr57
	s_or_saveexec_b32 s14, s14
	v_bfrev_b32_e32 v16, 1
	s_xor_b32 exec_lo, exec_lo, s14
	s_cbranch_execnz .LBB2_6237
.LBB2_5695:                             ;   in Loop: Header=BB2_5193 Depth=3
	s_or_b32 exec_lo, exec_lo, s14
	s_and_saveexec_b32 s14, s15
	s_cbranch_execz .LBB2_5697
.LBB2_5696:                             ;   in Loop: Header=BB2_5193 Depth=3
	v_and_b32_e32 v16, 3, v8
	v_bfe_u32 v58, v8, 2, 5
	s_delay_alu instid0(VALU_DEP_2) | instskip(NEXT) | instid1(VALU_DEP_2)
	v_clz_i32_u32_e32 v18, v16
	v_cmp_eq_u32_e32 vcc_lo, 0, v58
	s_delay_alu instid0(VALU_DEP_2) | instskip(NEXT) | instid1(VALU_DEP_1)
	v_min_u32_e32 v57, 32, v18
	v_subrev_nc_u32_e32 v18, 29, v57
	s_delay_alu instid0(VALU_DEP_1) | instskip(SKIP_1) | instid1(VALU_DEP_1)
	v_lshlrev_b64_e32 v[18:19], v18, v[8:9]
	v_dual_lshlrev_b32 v19, 24, v8 :: v_dual_sub_nc_u32 v57, 30, v57
	v_and_b32_e32 v19, 0x80000000, v19
	s_delay_alu instid0(VALU_DEP_2) | instskip(SKIP_1) | instid1(VALU_DEP_2)
	v_dual_cndmask_b32 v57, v58, v57, vcc_lo :: v_dual_bitop2_b32 v18, 3, v18 bitop3:0x40
	v_bfe_i32 v58, v8, 0, 8
	v_cndmask_b32_e32 v18, v16, v18, vcc_lo
	s_delay_alu instid0(VALU_DEP_3) | instskip(NEXT) | instid1(VALU_DEP_3)
	v_lshl_add_u32 v19, v57, 23, v19
	v_cmp_lt_i16_e32 vcc_lo, -1, v58
	s_delay_alu instid0(VALU_DEP_2) | instskip(SKIP_3) | instid1(VALU_DEP_4)
	v_lshl_or_b32 v18, v18, 21, v19
	v_cndmask_b32_e32 v57, 0xff800000, v111, vcc_lo
	v_and_b32_e32 v19, 0x7c, v8
	v_cmp_eq_u32_e32 vcc_lo, 0, v16
	v_add_nc_u32_e32 v18, 0x38000000, v18
	s_delay_alu instid0(VALU_DEP_4) | instskip(NEXT) | instid1(VALU_DEP_4)
	v_cndmask_b32_e32 v16, 0x7f800001, v57, vcc_lo
	v_cmp_eq_u32_e32 vcc_lo, 0x7c, v19
	s_delay_alu instid0(VALU_DEP_2)
	v_cndmask_b32_e32 v16, v18, v16, vcc_lo
.LBB2_5697:                             ;   in Loop: Header=BB2_5193 Depth=3
	s_or_b32 exec_lo, exec_lo, s14
	s_delay_alu instid0(VALU_DEP_1) | instskip(SKIP_2) | instid1(VALU_DEP_2)
	v_dual_add_f32 v58, v56, v16 :: v_dual_mov_b32 v19, v3
	v_mov_b32_e32 v57, v3
                                        ; implicit-def: $vgpr16
	s_mov_b32 s14, exec_lo
	v_and_b32_e32 v18, 0x7f800000, v58
	v_and_b32_e32 v56, 0x7fffff, v58
	v_lshrrev_b32_e32 v59, 24, v58
	s_delay_alu instid0(VALU_DEP_3)
	v_cmpx_ne_u64_e32 0x7f800000, v[18:19]
	s_xor_b32 s15, exec_lo, s14
	s_cbranch_execz .LBB2_5711
; %bb.5698:                             ;   in Loop: Header=BB2_5193 Depth=3
	v_and_b32_e32 v18, 0x7fffffff, v58
	v_mov_b32_e32 v19, v3
	v_and_b32_e32 v63, 0x80, v59
                                        ; implicit-def: $vgpr16
	s_mov_b32 s14, exec_lo
	s_delay_alu instid0(VALU_DEP_2)
	v_cmpx_gt_u64_e32 0x47600001, v[18:19]
	s_xor_b32 s42, exec_lo, s14
	s_cbranch_execz .LBB2_5708
; %bb.5699:                             ;   in Loop: Header=BB2_5193 Depth=3
	v_mov_b32_e32 v16, 0
	s_mov_b32 s43, exec_lo
	v_cmpx_ne_u32_e32 0, v58
	s_cbranch_execz .LBB2_5707
; %bb.5700:                             ;   in Loop: Header=BB2_5193 Depth=3
	v_bfe_u32 v16, v58, 23, 8
	v_or_b32_e32 v58, 0x800000, v56
	s_delay_alu instid0(VALU_DEP_2) | instskip(SKIP_1) | instid1(VALU_DEP_2)
	v_sub_nc_u32_e32 v18, 0x71, v16
	v_cmp_gt_u32_e32 vcc_lo, 0x72, v16
	v_cndmask_b32_e32 v18, 0, v18, vcc_lo
	v_cmp_eq_u32_e32 vcc_lo, 0, v16
	s_delay_alu instid0(VALU_DEP_2) | instskip(SKIP_1) | instid1(VALU_DEP_2)
	v_cndmask_b32_e64 v76, v18, 0x70, vcc_lo
	v_cndmask_b32_e32 v56, v58, v56, vcc_lo
	v_dual_add_nc_u32 v18, 21, v76 :: v_dual_add_nc_u32 v59, 20, v76
	s_delay_alu instid0(VALU_DEP_1) | instskip(NEXT) | instid1(VALU_DEP_2)
	v_lshlrev_b64_e64 v[18:19], v18, -1
	v_lshlrev_b64_e64 v[58:59], v59, 1
	s_delay_alu instid0(VALU_DEP_2) | instskip(SKIP_1) | instid1(VALU_DEP_4)
	v_bfi_b32 v18, v18, 0, v56
	v_lshrrev_b64 v[56:57], v76, v[56:57]
	v_bfi_b32 v19, v19, 0, 0
	s_delay_alu instid0(VALU_DEP_1) | instskip(NEXT) | instid1(VALU_DEP_3)
	v_cmp_eq_u64_e64 s14, v[18:19], v[58:59]
	v_mov_b64_e32 v[58:59], v[56:57]
	s_and_saveexec_b32 s77, s14
; %bb.5701:                             ;   in Loop: Header=BB2_5193 Depth=3
	v_bfe_u32 v18, v56, 21, 1
	v_mov_b32_e32 v19, v3
	s_delay_alu instid0(VALU_DEP_1) | instskip(NEXT) | instid1(VALU_DEP_1)
	v_add_nc_u64_e32 v[18:19], v[56:57], v[18:19]
	v_add_nc_u64_e32 v[58:59], -1, v[18:19]
; %bb.5702:                             ;   in Loop: Header=BB2_5193 Depth=3
	s_or_b32 exec_lo, exec_lo, s77
	v_dual_mov_b32 v57, v3 :: v_dual_add_nc_u32 v16, 0xffffff81, v16
	v_lshrrev_b32_e32 v18, 23, v56
	s_mov_b32 s14, exec_lo
	s_delay_alu instid0(VALU_DEP_2) | instskip(NEXT) | instid1(VALU_DEP_1)
	v_cndmask_b32_e64 v16, v16, 0xffffff82, vcc_lo
	v_add3_u32 v59, v76, v16, v18
	v_and_b32_e32 v16, 0x1fffff, v58
	s_delay_alu instid0(VALU_DEP_1) | instskip(NEXT) | instid1(VALU_DEP_1)
	v_dual_add_nc_u32 v58, 14, v59 :: v_dual_add_nc_u32 v56, v16, v56
                                        ; implicit-def: $vgpr16
	v_cmpx_ne_u32_e32 0, v58
	s_xor_b32 s14, exec_lo, s14
; %bb.5703:                             ;   in Loop: Header=BB2_5193 Depth=3
	s_delay_alu instid0(VALU_DEP_2) | instskip(SKIP_2) | instid1(VALU_DEP_2)
	v_cmp_lt_u64_e32 vcc_lo, 0xffffff, v[56:57]
	v_add_nc_u32_e32 v16, 15, v59
	v_cndmask_b32_e64 v18, 0, 1, vcc_lo
	v_cndmask_b32_e32 v16, v58, v16, vcc_lo
	s_delay_alu instid0(VALU_DEP_2)
	v_lshrrev_b64 v[56:57], v18, v[56:57]
; %bb.5704:                             ;   in Loop: Header=BB2_5193 Depth=3
	s_and_not1_saveexec_b32 s14, s14
; %bb.5705:                             ;   in Loop: Header=BB2_5193 Depth=3
	s_delay_alu instid0(VALU_DEP_1)
	v_bfe_u32 v16, v56, 23, 1
; %bb.5706:                             ;   in Loop: Header=BB2_5193 Depth=3
	s_or_b32 exec_lo, exec_lo, s14
	s_delay_alu instid0(VALU_DEP_2) | instskip(NEXT) | instid1(VALU_DEP_2)
	v_lshrrev_b64 v[18:19], 21, v[56:57]
	v_cmp_gt_i32_e32 vcc_lo, 32, v16
	v_min_i32_e32 v56, 31, v16
	v_cmp_eq_u32_e64 s14, 0, v16
	s_delay_alu instid0(VALU_DEP_2) | instskip(SKIP_1) | instid1(VALU_DEP_2)
	v_dual_cndmask_b32 v19, 0, v19 :: v_dual_lshlrev_b32 v56, 2, v56
	v_cndmask_b32_e32 v18, 3, v18, vcc_lo
	v_and_b32_e32 v56, 0xfc, v56
	s_delay_alu instid0(VALU_DEP_2) | instskip(NEXT) | instid1(VALU_DEP_2)
	v_cmp_eq_u64_e32 vcc_lo, 0, v[18:19]
	v_and_or_b32 v16, v18, 3, v56
	s_and_b32 s14, s14, vcc_lo
	s_delay_alu instid0(VALU_DEP_1) | instid1(SALU_CYCLE_1)
	v_cndmask_b32_e64 v16, v16, 0, s14
	s_delay_alu instid0(VALU_DEP_1)
	v_or_b32_e32 v16, v16, v63
.LBB2_5707:                             ;   in Loop: Header=BB2_5193 Depth=3
	s_or_b32 exec_lo, exec_lo, s43
                                        ; implicit-def: $vgpr63
.LBB2_5708:                             ;   in Loop: Header=BB2_5193 Depth=3
	s_and_not1_saveexec_b32 s14, s42
; %bb.5709:                             ;   in Loop: Header=BB2_5193 Depth=3
	v_or_b32_e32 v16, 0x7b, v63
; %bb.5710:                             ;   in Loop: Header=BB2_5193 Depth=3
	s_or_b32 exec_lo, exec_lo, s14
                                        ; implicit-def: $vgpr58
                                        ; implicit-def: $vgpr56_vgpr57
                                        ; implicit-def: $vgpr59
.LBB2_5711:                             ;   in Loop: Header=BB2_5193 Depth=3
	s_and_not1_saveexec_b32 s14, s15
	s_cbranch_execz .LBB2_5717
; %bb.5712:                             ;   in Loop: Header=BB2_5193 Depth=3
	s_mov_b32 s15, exec_lo
                                        ; implicit-def: $vgpr16
	v_cmpx_ne_u64_e32 0, v[56:57]
	s_xor_b32 s15, exec_lo, s15
; %bb.5713:                             ;   in Loop: Header=BB2_5193 Depth=3
	v_or_b32_e32 v16, 0x7f, v59
                                        ; implicit-def: $vgpr58
; %bb.5714:                             ;   in Loop: Header=BB2_5193 Depth=3
	s_and_not1_saveexec_b32 s15, s15
; %bb.5715:                             ;   in Loop: Header=BB2_5193 Depth=3
	v_cmp_lt_i32_e32 vcc_lo, -1, v58
	v_cndmask_b32_e32 v16, 0xfc, v120, vcc_lo
; %bb.5716:                             ;   in Loop: Header=BB2_5193 Depth=3
	s_or_b32 exec_lo, exec_lo, s15
.LBB2_5717:                             ;   in Loop: Header=BB2_5193 Depth=3
	s_delay_alu instid0(SALU_CYCLE_1) | instskip(SKIP_3) | instid1(VALU_DEP_2)
	s_or_b32 exec_lo, exec_lo, s14
	v_lshrrev_b16 v56, 8, v30
	v_mov_b32_e32 v58, 0
	s_mov_b32 s14, exec_lo
	v_cmpx_ne_u16_e32 0, v56
	s_cbranch_execz .LBB2_5727
; %bb.5718:                             ;   in Loop: Header=BB2_5193 Depth=3
	v_bfrev_b32_e32 v58, 1
	s_mov_b32 s15, exec_lo
	v_cmpx_ne_u16_e32 0x80, v56
	s_cbranch_execz .LBB2_5726
; %bb.5719:                             ;   in Loop: Header=BB2_5193 Depth=3
	v_and_b32_e32 v59, 0xffff, v56
	s_mov_b32 s42, exec_lo
                                        ; implicit-def: $vgpr58
	s_delay_alu instid0(VALU_DEP_1) | instskip(SKIP_1) | instid1(VALU_DEP_2)
	v_and_b32_e32 v18, 0x7c, v59
	v_and_b32_e32 v57, 3, v59
	v_cmpx_ne_u32_e32 0x7c, v18
	s_xor_b32 s42, exec_lo, s42
	s_cbranch_execz .LBB2_5723
; %bb.5720:                             ;   in Loop: Header=BB2_5193 Depth=3
	v_bfe_u32 v58, v59, 2, 5
	s_mov_b32 s43, exec_lo
	s_delay_alu instid0(VALU_DEP_1)
	v_cmpx_eq_u32_e32 0, v58
	s_cbranch_execz .LBB2_5722
; %bb.5721:                             ;   in Loop: Header=BB2_5193 Depth=3
	v_clz_i32_u32_e32 v18, v57
	s_delay_alu instid0(VALU_DEP_1) | instskip(SKIP_1) | instid1(VALU_DEP_2)
	v_min_u32_e32 v58, 32, v18
	v_mov_b32_e32 v57, v3
	v_subrev_nc_u32_e32 v18, 29, v58
	v_sub_nc_u32_e32 v58, 30, v58
	s_delay_alu instid0(VALU_DEP_2) | instskip(NEXT) | instid1(VALU_DEP_1)
	v_lshlrev_b64_e32 v[18:19], v18, v[56:57]
	v_and_b32_e32 v57, 3, v18
.LBB2_5722:                             ;   in Loop: Header=BB2_5193 Depth=3
	s_or_b32 exec_lo, exec_lo, s43
	v_lshlrev_b32_e32 v18, 16, v30
                                        ; implicit-def: $vgpr30
	s_delay_alu instid0(VALU_DEP_1) | instskip(NEXT) | instid1(VALU_DEP_1)
	v_and_b32_e32 v18, 0x80000000, v18
	v_lshl_add_u32 v18, v58, 23, v18
	s_delay_alu instid0(VALU_DEP_1) | instskip(NEXT) | instid1(VALU_DEP_1)
	v_lshl_or_b32 v18, v57, 21, v18
                                        ; implicit-def: $vgpr57
	v_add_nc_u32_e32 v58, 0x38000000, v18
.LBB2_5723:                             ;   in Loop: Header=BB2_5193 Depth=3
	s_and_not1_saveexec_b32 s42, s42
; %bb.5724:                             ;   in Loop: Header=BB2_5193 Depth=3
	v_cmp_lt_i16_e32 vcc_lo, -1, v30
	v_cndmask_b32_e32 v18, 0xff800000, v111, vcc_lo
	v_cmp_eq_u32_e32 vcc_lo, 0, v57
	s_delay_alu instid0(VALU_DEP_2)
	v_cndmask_b32_e32 v58, 0x7f800001, v18, vcc_lo
; %bb.5725:                             ;   in Loop: Header=BB2_5193 Depth=3
	s_or_b32 exec_lo, exec_lo, s42
.LBB2_5726:                             ;   in Loop: Header=BB2_5193 Depth=3
	s_delay_alu instid0(SALU_CYCLE_1)
	s_or_b32 exec_lo, exec_lo, s15
.LBB2_5727:                             ;   in Loop: Header=BB2_5193 Depth=3
	s_delay_alu instid0(SALU_CYCLE_1) | instskip(SKIP_3) | instid1(VALU_DEP_1)
	s_or_b32 exec_lo, exec_lo, s14
	v_lshrrev_b16 v56, 8, v8
	s_mov_b32 s15, 0
	s_mov_b32 s14, exec_lo
	v_cmpx_lt_i16_e32 0x7f, v56
	s_xor_b32 s14, exec_lo, s14
	s_cbranch_execz .LBB2_6238
; %bb.5728:                             ;   in Loop: Header=BB2_5193 Depth=3
	s_mov_b32 s15, -1
	s_mov_b32 s42, exec_lo
	v_cmpx_eq_u16_e32 0x80, v56
; %bb.5729:                             ;   in Loop: Header=BB2_5193 Depth=3
	s_xor_b32 s15, exec_lo, -1
; %bb.5730:                             ;   in Loop: Header=BB2_5193 Depth=3
	s_or_b32 exec_lo, exec_lo, s42
	s_delay_alu instid0(SALU_CYCLE_1)
	s_and_b32 s15, s15, exec_lo
	s_or_saveexec_b32 s14, s14
	v_bfrev_b32_e32 v30, 1
	s_xor_b32 exec_lo, exec_lo, s14
	s_cbranch_execnz .LBB2_6239
.LBB2_5731:                             ;   in Loop: Header=BB2_5193 Depth=3
	s_or_b32 exec_lo, exec_lo, s14
	s_and_saveexec_b32 s14, s15
	s_cbranch_execz .LBB2_5733
.LBB2_5732:                             ;   in Loop: Header=BB2_5193 Depth=3
	v_and_b32_e32 v30, 0xffff, v56
	s_delay_alu instid0(VALU_DEP_1) | instskip(NEXT) | instid1(VALU_DEP_1)
	v_dual_mov_b32 v57, v3 :: v_dual_bitop2_b32 v59, 3, v30 bitop3:0x40
	v_clz_i32_u32_e32 v18, v59
	s_delay_alu instid0(VALU_DEP_1) | instskip(NEXT) | instid1(VALU_DEP_1)
	v_min_u32_e32 v63, 32, v18
	v_subrev_nc_u32_e32 v18, 29, v63
	s_delay_alu instid0(VALU_DEP_1) | instskip(SKIP_2) | instid1(VALU_DEP_2)
	v_lshlrev_b64_e32 v[18:19], v18, v[56:57]
	v_dual_lshlrev_b32 v19, 24, v56 :: v_dual_sub_nc_u32 v57, 30, v63
	v_bfe_u32 v56, v30, 2, 5
	v_and_b32_e32 v19, 0x80000000, v19
	s_delay_alu instid0(VALU_DEP_2) | instskip(NEXT) | instid1(VALU_DEP_4)
	v_cmp_eq_u32_e32 vcc_lo, 0, v56
	v_dual_cndmask_b32 v56, v56, v57, vcc_lo :: v_dual_bitop2_b32 v18, 3, v18 bitop3:0x40
	s_delay_alu instid0(VALU_DEP_1) | instskip(SKIP_1) | instid1(VALU_DEP_3)
	v_cndmask_b32_e32 v18, v59, v18, vcc_lo
	v_cmp_lt_i16_e32 vcc_lo, -1, v8
	v_lshl_add_u32 v19, v56, 23, v19
	v_cndmask_b32_e32 v56, 0xff800000, v111, vcc_lo
	v_cmp_eq_u32_e32 vcc_lo, 0, v59
	s_delay_alu instid0(VALU_DEP_3) | instskip(SKIP_1) | instid1(VALU_DEP_4)
	v_lshl_or_b32 v18, v18, 21, v19
	v_and_b32_e32 v19, 0x7c, v30
	v_cndmask_b32_e32 v30, 0x7f800001, v56, vcc_lo
	s_delay_alu instid0(VALU_DEP_3) | instskip(NEXT) | instid1(VALU_DEP_3)
	v_add_nc_u32_e32 v18, 0x38000000, v18
	v_cmp_eq_u32_e32 vcc_lo, 0x7c, v19
	s_delay_alu instid0(VALU_DEP_2)
	v_cndmask_b32_e32 v30, v18, v30, vcc_lo
.LBB2_5733:                             ;   in Loop: Header=BB2_5193 Depth=3
	s_or_b32 exec_lo, exec_lo, s14
	s_delay_alu instid0(VALU_DEP_1) | instskip(SKIP_2) | instid1(VALU_DEP_2)
	v_dual_add_f32 v58, v58, v30 :: v_dual_mov_b32 v19, v3
	v_mov_b32_e32 v57, v3
                                        ; implicit-def: $vgpr63
	s_mov_b32 s14, exec_lo
	v_and_b32_e32 v18, 0x7f800000, v58
	v_and_b32_e32 v56, 0x7fffff, v58
	v_lshrrev_b32_e32 v30, 24, v58
	s_delay_alu instid0(VALU_DEP_3)
	v_cmpx_ne_u64_e32 0x7f800000, v[18:19]
	s_xor_b32 s15, exec_lo, s14
	s_cbranch_execz .LBB2_5747
; %bb.5734:                             ;   in Loop: Header=BB2_5193 Depth=3
	v_and_b32_e32 v18, 0x7fffffff, v58
	v_mov_b32_e32 v19, v3
	v_and_b32_e32 v30, 0x80, v30
                                        ; implicit-def: $vgpr63
	s_mov_b32 s14, exec_lo
	s_delay_alu instid0(VALU_DEP_2)
	v_cmpx_gt_u64_e32 0x47600001, v[18:19]
	s_xor_b32 s42, exec_lo, s14
	s_cbranch_execz .LBB2_5744
; %bb.5735:                             ;   in Loop: Header=BB2_5193 Depth=3
	v_mov_b32_e32 v63, 0
	s_mov_b32 s43, exec_lo
	v_cmpx_ne_u32_e32 0, v58
	s_cbranch_execz .LBB2_5743
; %bb.5736:                             ;   in Loop: Header=BB2_5193 Depth=3
	v_bfe_u32 v63, v58, 23, 8
	v_or_b32_e32 v58, 0x800000, v56
	s_delay_alu instid0(VALU_DEP_2) | instskip(SKIP_1) | instid1(VALU_DEP_2)
	v_sub_nc_u32_e32 v18, 0x71, v63
	v_cmp_gt_u32_e32 vcc_lo, 0x72, v63
	v_cndmask_b32_e32 v18, 0, v18, vcc_lo
	v_cmp_eq_u32_e32 vcc_lo, 0, v63
	s_delay_alu instid0(VALU_DEP_2) | instskip(SKIP_1) | instid1(VALU_DEP_2)
	v_cndmask_b32_e64 v76, v18, 0x70, vcc_lo
	v_cndmask_b32_e32 v56, v58, v56, vcc_lo
	v_dual_add_nc_u32 v18, 21, v76 :: v_dual_add_nc_u32 v59, 20, v76
	s_delay_alu instid0(VALU_DEP_1) | instskip(NEXT) | instid1(VALU_DEP_2)
	v_lshlrev_b64_e64 v[18:19], v18, -1
	v_lshlrev_b64_e64 v[58:59], v59, 1
	s_delay_alu instid0(VALU_DEP_2) | instskip(SKIP_1) | instid1(VALU_DEP_4)
	v_bfi_b32 v18, v18, 0, v56
	v_lshrrev_b64 v[56:57], v76, v[56:57]
	v_bfi_b32 v19, v19, 0, 0
	s_delay_alu instid0(VALU_DEP_1) | instskip(NEXT) | instid1(VALU_DEP_3)
	v_cmp_eq_u64_e64 s14, v[18:19], v[58:59]
	v_mov_b64_e32 v[58:59], v[56:57]
	s_and_saveexec_b32 s77, s14
; %bb.5737:                             ;   in Loop: Header=BB2_5193 Depth=3
	v_bfe_u32 v18, v56, 21, 1
	v_mov_b32_e32 v19, v3
	s_delay_alu instid0(VALU_DEP_1) | instskip(NEXT) | instid1(VALU_DEP_1)
	v_add_nc_u64_e32 v[18:19], v[56:57], v[18:19]
	v_add_nc_u64_e32 v[58:59], -1, v[18:19]
; %bb.5738:                             ;   in Loop: Header=BB2_5193 Depth=3
	s_or_b32 exec_lo, exec_lo, s77
	v_dual_mov_b32 v57, v3 :: v_dual_add_nc_u32 v18, 0xffffff81, v63
	v_lshrrev_b32_e32 v19, 23, v56
	s_mov_b32 s14, exec_lo
	s_delay_alu instid0(VALU_DEP_2) | instskip(NEXT) | instid1(VALU_DEP_1)
	v_cndmask_b32_e64 v18, v18, 0xffffff82, vcc_lo
	v_add3_u32 v59, v76, v18, v19
	v_and_b32_e32 v18, 0x1fffff, v58
                                        ; implicit-def: $vgpr58
	s_delay_alu instid0(VALU_DEP_1) | instskip(NEXT) | instid1(VALU_DEP_1)
	v_dual_add_nc_u32 v63, 14, v59 :: v_dual_add_nc_u32 v56, v18, v56
	v_cmpx_ne_u32_e32 0, v63
	s_xor_b32 s14, exec_lo, s14
; %bb.5739:                             ;   in Loop: Header=BB2_5193 Depth=3
	s_delay_alu instid0(VALU_DEP_2) | instskip(SKIP_1) | instid1(VALU_DEP_1)
	v_cmp_lt_u64_e32 vcc_lo, 0xffffff, v[56:57]
	v_add_nc_u32_e32 v18, 15, v59
	v_cndmask_b32_e32 v58, v63, v18, vcc_lo
	v_cndmask_b32_e64 v18, 0, 1, vcc_lo
	s_delay_alu instid0(VALU_DEP_1)
	v_lshrrev_b64 v[56:57], v18, v[56:57]
; %bb.5740:                             ;   in Loop: Header=BB2_5193 Depth=3
	s_and_not1_saveexec_b32 s14, s14
; %bb.5741:                             ;   in Loop: Header=BB2_5193 Depth=3
	s_delay_alu instid0(VALU_DEP_1)
	v_bfe_u32 v58, v56, 23, 1
; %bb.5742:                             ;   in Loop: Header=BB2_5193 Depth=3
	s_or_b32 exec_lo, exec_lo, s14
	s_delay_alu instid0(VALU_DEP_2) | instskip(NEXT) | instid1(VALU_DEP_2)
	v_lshrrev_b64 v[18:19], 21, v[56:57]
	v_cmp_gt_i32_e32 vcc_lo, 32, v58
	v_min_i32_e32 v56, 31, v58
	v_cmp_eq_u32_e64 s14, 0, v58
	s_delay_alu instid0(VALU_DEP_2) | instskip(SKIP_1) | instid1(VALU_DEP_2)
	v_dual_cndmask_b32 v19, 0, v19 :: v_dual_lshlrev_b32 v56, 2, v56
	v_cndmask_b32_e32 v18, 3, v18, vcc_lo
	v_and_b32_e32 v56, 0xfc, v56
	s_delay_alu instid0(VALU_DEP_2) | instskip(NEXT) | instid1(VALU_DEP_2)
	v_cmp_eq_u64_e32 vcc_lo, 0, v[18:19]
	v_and_or_b32 v18, v18, 3, v56
	s_and_b32 s14, s14, vcc_lo
	s_delay_alu instid0(VALU_DEP_1) | instid1(SALU_CYCLE_1)
	v_cndmask_b32_e64 v18, v18, 0, s14
	s_delay_alu instid0(VALU_DEP_1)
	v_or_b32_e32 v63, v18, v30
.LBB2_5743:                             ;   in Loop: Header=BB2_5193 Depth=3
	s_or_b32 exec_lo, exec_lo, s43
                                        ; implicit-def: $vgpr30
.LBB2_5744:                             ;   in Loop: Header=BB2_5193 Depth=3
	s_and_not1_saveexec_b32 s14, s42
; %bb.5745:                             ;   in Loop: Header=BB2_5193 Depth=3
	v_or_b32_e32 v63, 0x7b, v30
; %bb.5746:                             ;   in Loop: Header=BB2_5193 Depth=3
	s_or_b32 exec_lo, exec_lo, s14
                                        ; implicit-def: $vgpr58
                                        ; implicit-def: $vgpr56_vgpr57
                                        ; implicit-def: $vgpr30
.LBB2_5747:                             ;   in Loop: Header=BB2_5193 Depth=3
	s_and_not1_saveexec_b32 s14, s15
	s_cbranch_execz .LBB2_5753
; %bb.5748:                             ;   in Loop: Header=BB2_5193 Depth=3
	s_mov_b32 s15, exec_lo
                                        ; implicit-def: $vgpr63
	v_cmpx_ne_u64_e32 0, v[56:57]
	s_xor_b32 s15, exec_lo, s15
; %bb.5749:                             ;   in Loop: Header=BB2_5193 Depth=3
	v_or_b32_e32 v63, 0x7f, v30
                                        ; implicit-def: $vgpr58
; %bb.5750:                             ;   in Loop: Header=BB2_5193 Depth=3
	s_and_not1_saveexec_b32 s15, s15
; %bb.5751:                             ;   in Loop: Header=BB2_5193 Depth=3
	v_cmp_lt_i32_e32 vcc_lo, -1, v58
	v_cndmask_b32_e32 v63, 0xfc, v120, vcc_lo
; %bb.5752:                             ;   in Loop: Header=BB2_5193 Depth=3
	s_or_b32 exec_lo, exec_lo, s15
.LBB2_5753:                             ;   in Loop: Header=BB2_5193 Depth=3
	s_delay_alu instid0(SALU_CYCLE_1) | instskip(SKIP_2) | instid1(VALU_DEP_1)
	s_or_b32 exec_lo, exec_lo, s14
	v_dual_lshrrev_b32 v30, 16, v2 :: v_dual_mov_b32 v56, 0
	s_mov_b32 s14, exec_lo
	v_and_b32_e32 v57, 0xff, v30
	s_delay_alu instid0(VALU_DEP_1)
	v_cmpx_ne_u16_e32 0, v57
	s_cbranch_execz .LBB2_5763
; %bb.5754:                             ;   in Loop: Header=BB2_5193 Depth=3
	v_bfrev_b32_e32 v56, 1
	s_mov_b32 s15, exec_lo
	v_cmpx_ne_u16_e32 0x80, v57
	s_cbranch_execz .LBB2_5762
; %bb.5755:                             ;   in Loop: Header=BB2_5193 Depth=3
	v_and_b32_e32 v18, 0x7c0000, v2
	v_bfe_u32 v57, v2, 16, 2
	s_mov_b32 s42, exec_lo
                                        ; implicit-def: $vgpr56
	s_delay_alu instid0(VALU_DEP_2)
	v_cmpx_ne_u32_e32 0x7c0000, v18
	s_xor_b32 s42, exec_lo, s42
	s_cbranch_execz .LBB2_5759
; %bb.5756:                             ;   in Loop: Header=BB2_5193 Depth=3
	v_bfe_u32 v56, v2, 18, 5
	v_lshrrev_b32_e32 v30, 16, v2
	s_mov_b32 s43, exec_lo
	s_delay_alu instid0(VALU_DEP_2)
	v_cmpx_eq_u32_e32 0, v56
; %bb.5757:                             ;   in Loop: Header=BB2_5193 Depth=3
	v_clz_i32_u32_e32 v18, v57
	s_delay_alu instid0(VALU_DEP_1) | instskip(NEXT) | instid1(VALU_DEP_1)
	v_min_u32_e32 v56, 32, v18
	v_subrev_nc_u32_e32 v18, 29, v56
	s_delay_alu instid0(VALU_DEP_1) | instskip(NEXT) | instid1(VALU_DEP_1)
	v_lshlrev_b64_e32 v[18:19], v18, v[30:31]
	v_dual_sub_nc_u32 v56, 30, v56 :: v_dual_bitop2_b32 v57, 3, v18 bitop3:0x40
; %bb.5758:                             ;   in Loop: Header=BB2_5193 Depth=3
	s_or_b32 exec_lo, exec_lo, s43
	v_lshlrev_b32_e32 v18, 24, v30
                                        ; implicit-def: $vgpr30
	s_delay_alu instid0(VALU_DEP_1) | instskip(NEXT) | instid1(VALU_DEP_1)
	v_and_b32_e32 v18, 0x80000000, v18
	v_lshl_add_u32 v18, v56, 23, v18
	s_delay_alu instid0(VALU_DEP_1) | instskip(NEXT) | instid1(VALU_DEP_1)
	v_lshl_or_b32 v18, v57, 21, v18
                                        ; implicit-def: $vgpr57
	v_add_nc_u32_e32 v56, 0x38000000, v18
.LBB2_5759:                             ;   in Loop: Header=BB2_5193 Depth=3
	s_and_not1_saveexec_b32 s42, s42
; %bb.5760:                             ;   in Loop: Header=BB2_5193 Depth=3
	v_bfe_i32 v18, v30, 0, 8
	s_delay_alu instid0(VALU_DEP_1) | instskip(SKIP_2) | instid1(VALU_DEP_2)
	v_cmp_lt_i16_e32 vcc_lo, -1, v18
	v_cndmask_b32_e32 v18, 0xff800000, v111, vcc_lo
	v_cmp_eq_u32_e32 vcc_lo, 0, v57
	v_cndmask_b32_e32 v56, 0x7f800001, v18, vcc_lo
; %bb.5761:                             ;   in Loop: Header=BB2_5193 Depth=3
	s_or_b32 exec_lo, exec_lo, s42
.LBB2_5762:                             ;   in Loop: Header=BB2_5193 Depth=3
	s_delay_alu instid0(SALU_CYCLE_1)
	s_or_b32 exec_lo, exec_lo, s15
.LBB2_5763:                             ;   in Loop: Header=BB2_5193 Depth=3
	s_delay_alu instid0(SALU_CYCLE_1) | instskip(SKIP_3) | instid1(VALU_DEP_1)
	s_or_b32 exec_lo, exec_lo, s14
	v_lshrrev_b32_e32 v30, 16, v8
	s_mov_b32 s15, 0
	s_mov_b32 s14, exec_lo
	v_and_b32_e32 v58, 0xff, v30
	s_delay_alu instid0(VALU_DEP_1)
	v_cmpx_lt_i16_e32 0x7f, v58
	s_xor_b32 s14, exec_lo, s14
	s_cbranch_execz .LBB2_6240
; %bb.5764:                             ;   in Loop: Header=BB2_5193 Depth=3
	s_mov_b32 s15, -1
	s_mov_b32 s42, exec_lo
	v_cmpx_eq_u16_e32 0x80, v58
; %bb.5765:                             ;   in Loop: Header=BB2_5193 Depth=3
	s_xor_b32 s15, exec_lo, -1
; %bb.5766:                             ;   in Loop: Header=BB2_5193 Depth=3
	s_or_b32 exec_lo, exec_lo, s42
	s_delay_alu instid0(SALU_CYCLE_1)
	s_and_b32 s15, s15, exec_lo
                                        ; implicit-def: $vgpr58
	s_or_saveexec_b32 s14, s14
	v_bfrev_b32_e32 v57, 1
	s_xor_b32 exec_lo, exec_lo, s14
	s_cbranch_execnz .LBB2_6241
.LBB2_5767:                             ;   in Loop: Header=BB2_5193 Depth=3
	s_or_b32 exec_lo, exec_lo, s14
	s_and_saveexec_b32 s14, s15
	s_cbranch_execz .LBB2_5769
.LBB2_5768:                             ;   in Loop: Header=BB2_5193 Depth=3
	v_and_b32_e32 v57, 3, v30
	v_bfe_u32 v59, v8, 18, 5
	s_delay_alu instid0(VALU_DEP_2) | instskip(NEXT) | instid1(VALU_DEP_2)
	v_clz_i32_u32_e32 v18, v57
	v_cmp_eq_u32_e32 vcc_lo, 0, v59
	s_delay_alu instid0(VALU_DEP_2) | instskip(NEXT) | instid1(VALU_DEP_1)
	v_min_u32_e32 v58, 32, v18
	v_subrev_nc_u32_e32 v18, 29, v58
	v_sub_nc_u32_e32 v58, 30, v58
	s_delay_alu instid0(VALU_DEP_2) | instskip(SKIP_1) | instid1(VALU_DEP_3)
	v_lshlrev_b64_e32 v[18:19], v18, v[30:31]
	v_lshlrev_b32_e32 v19, 24, v30
	v_cndmask_b32_e32 v58, v59, v58, vcc_lo
	v_bfe_i32 v30, v30, 0, 8
	s_delay_alu instid0(VALU_DEP_3) | instskip(SKIP_1) | instid1(VALU_DEP_2)
	v_and_b32_e32 v19, 0x80000000, v19
	v_and_b32_e32 v18, 3, v18
	v_lshl_add_u32 v19, v58, 23, v19
	s_delay_alu instid0(VALU_DEP_2) | instskip(SKIP_1) | instid1(VALU_DEP_2)
	v_cndmask_b32_e32 v18, v57, v18, vcc_lo
	v_cmp_lt_i16_e32 vcc_lo, -1, v30
	v_lshl_or_b32 v18, v18, 21, v19
	v_cndmask_b32_e32 v30, 0xff800000, v111, vcc_lo
	v_and_b32_e32 v19, 0x7c0000, v8
	v_cmp_eq_u32_e32 vcc_lo, 0, v57
	s_delay_alu instid0(VALU_DEP_4) | instskip(NEXT) | instid1(VALU_DEP_4)
	v_add_nc_u32_e32 v18, 0x38000000, v18
	v_cndmask_b32_e32 v30, 0x7f800001, v30, vcc_lo
	s_delay_alu instid0(VALU_DEP_4) | instskip(NEXT) | instid1(VALU_DEP_2)
	v_cmp_eq_u32_e32 vcc_lo, 0x7c0000, v19
	v_cndmask_b32_e32 v57, v18, v30, vcc_lo
.LBB2_5769:                             ;   in Loop: Header=BB2_5193 Depth=3
	s_or_b32 exec_lo, exec_lo, s14
	s_delay_alu instid0(VALU_DEP_1) | instskip(SKIP_2) | instid1(VALU_DEP_2)
	v_dual_add_f32 v58, v56, v57 :: v_dual_mov_b32 v19, v3
	v_mov_b32_e32 v57, v3
                                        ; implicit-def: $vgpr76
	s_mov_b32 s14, exec_lo
	v_and_b32_e32 v18, 0x7f800000, v58
	v_and_b32_e32 v56, 0x7fffff, v58
	v_lshrrev_b32_e32 v30, 24, v58
	s_delay_alu instid0(VALU_DEP_3)
	v_cmpx_ne_u64_e32 0x7f800000, v[18:19]
	s_xor_b32 s15, exec_lo, s14
	s_cbranch_execz .LBB2_5783
; %bb.5770:                             ;   in Loop: Header=BB2_5193 Depth=3
	v_and_b32_e32 v18, 0x7fffffff, v58
	v_mov_b32_e32 v19, v3
	v_and_b32_e32 v30, 0x80, v30
                                        ; implicit-def: $vgpr76
	s_mov_b32 s14, exec_lo
	s_delay_alu instid0(VALU_DEP_2)
	v_cmpx_gt_u64_e32 0x47600001, v[18:19]
	s_xor_b32 s42, exec_lo, s14
	s_cbranch_execz .LBB2_5780
; %bb.5771:                             ;   in Loop: Header=BB2_5193 Depth=3
	v_mov_b32_e32 v76, 0
	s_mov_b32 s43, exec_lo
	v_cmpx_ne_u32_e32 0, v58
	s_cbranch_execz .LBB2_5779
; %bb.5772:                             ;   in Loop: Header=BB2_5193 Depth=3
	v_bfe_u32 v76, v58, 23, 8
	v_or_b32_e32 v58, 0x800000, v56
	s_delay_alu instid0(VALU_DEP_2) | instskip(SKIP_1) | instid1(VALU_DEP_2)
	v_sub_nc_u32_e32 v18, 0x71, v76
	v_cmp_gt_u32_e32 vcc_lo, 0x72, v76
	v_cndmask_b32_e32 v18, 0, v18, vcc_lo
	v_cmp_eq_u32_e32 vcc_lo, 0, v76
	s_delay_alu instid0(VALU_DEP_2) | instskip(NEXT) | instid1(VALU_DEP_1)
	v_cndmask_b32_e64 v79, v18, 0x70, vcc_lo
	v_dual_cndmask_b32 v56, v58, v56, vcc_lo :: v_dual_add_nc_u32 v18, 21, v79
	v_add_nc_u32_e32 v59, 20, v79
	s_delay_alu instid0(VALU_DEP_2) | instskip(NEXT) | instid1(VALU_DEP_2)
	v_lshlrev_b64_e64 v[18:19], v18, -1
	v_lshlrev_b64_e64 v[58:59], v59, 1
	s_delay_alu instid0(VALU_DEP_2) | instskip(SKIP_1) | instid1(VALU_DEP_4)
	v_bfi_b32 v18, v18, 0, v56
	v_lshrrev_b64 v[56:57], v79, v[56:57]
	v_bfi_b32 v19, v19, 0, 0
	s_delay_alu instid0(VALU_DEP_1) | instskip(NEXT) | instid1(VALU_DEP_3)
	v_cmp_eq_u64_e64 s14, v[18:19], v[58:59]
	v_mov_b64_e32 v[58:59], v[56:57]
	s_and_saveexec_b32 s77, s14
; %bb.5773:                             ;   in Loop: Header=BB2_5193 Depth=3
	v_bfe_u32 v18, v56, 21, 1
	v_mov_b32_e32 v19, v3
	s_delay_alu instid0(VALU_DEP_1) | instskip(NEXT) | instid1(VALU_DEP_1)
	v_add_nc_u64_e32 v[18:19], v[56:57], v[18:19]
	v_add_nc_u64_e32 v[58:59], -1, v[18:19]
; %bb.5774:                             ;   in Loop: Header=BB2_5193 Depth=3
	s_or_b32 exec_lo, exec_lo, s77
	v_dual_mov_b32 v57, v3 :: v_dual_add_nc_u32 v18, 0xffffff81, v76
	v_lshrrev_b32_e32 v19, 23, v56
	s_mov_b32 s14, exec_lo
	s_delay_alu instid0(VALU_DEP_2) | instskip(NEXT) | instid1(VALU_DEP_1)
	v_cndmask_b32_e64 v18, v18, 0xffffff82, vcc_lo
	v_add3_u32 v59, v79, v18, v19
	v_and_b32_e32 v18, 0x1fffff, v58
                                        ; implicit-def: $vgpr58
	s_delay_alu instid0(VALU_DEP_1) | instskip(NEXT) | instid1(VALU_DEP_1)
	v_dual_add_nc_u32 v76, 14, v59 :: v_dual_add_nc_u32 v56, v18, v56
	v_cmpx_ne_u32_e32 0, v76
	s_xor_b32 s14, exec_lo, s14
; %bb.5775:                             ;   in Loop: Header=BB2_5193 Depth=3
	s_delay_alu instid0(VALU_DEP_2) | instskip(SKIP_1) | instid1(VALU_DEP_1)
	v_cmp_lt_u64_e32 vcc_lo, 0xffffff, v[56:57]
	v_add_nc_u32_e32 v18, 15, v59
	v_cndmask_b32_e32 v58, v76, v18, vcc_lo
	v_cndmask_b32_e64 v18, 0, 1, vcc_lo
	s_delay_alu instid0(VALU_DEP_1)
	v_lshrrev_b64 v[56:57], v18, v[56:57]
; %bb.5776:                             ;   in Loop: Header=BB2_5193 Depth=3
	s_and_not1_saveexec_b32 s14, s14
; %bb.5777:                             ;   in Loop: Header=BB2_5193 Depth=3
	s_delay_alu instid0(VALU_DEP_1)
	v_bfe_u32 v58, v56, 23, 1
; %bb.5778:                             ;   in Loop: Header=BB2_5193 Depth=3
	s_or_b32 exec_lo, exec_lo, s14
	s_delay_alu instid0(VALU_DEP_2) | instskip(NEXT) | instid1(VALU_DEP_2)
	v_lshrrev_b64 v[18:19], 21, v[56:57]
	v_cmp_gt_i32_e32 vcc_lo, 32, v58
	v_min_i32_e32 v56, 31, v58
	v_cmp_eq_u32_e64 s14, 0, v58
	s_delay_alu instid0(VALU_DEP_2) | instskip(SKIP_1) | instid1(VALU_DEP_2)
	v_dual_cndmask_b32 v19, 0, v19 :: v_dual_lshlrev_b32 v56, 2, v56
	v_cndmask_b32_e32 v18, 3, v18, vcc_lo
	v_and_b32_e32 v56, 0xfc, v56
	s_delay_alu instid0(VALU_DEP_2) | instskip(NEXT) | instid1(VALU_DEP_2)
	v_cmp_eq_u64_e32 vcc_lo, 0, v[18:19]
	v_and_or_b32 v18, v18, 3, v56
	s_and_b32 s14, s14, vcc_lo
	s_delay_alu instid0(VALU_DEP_1) | instid1(SALU_CYCLE_1)
	v_cndmask_b32_e64 v18, v18, 0, s14
	s_delay_alu instid0(VALU_DEP_1)
	v_or_b32_e32 v76, v18, v30
.LBB2_5779:                             ;   in Loop: Header=BB2_5193 Depth=3
	s_or_b32 exec_lo, exec_lo, s43
                                        ; implicit-def: $vgpr30
.LBB2_5780:                             ;   in Loop: Header=BB2_5193 Depth=3
	s_and_not1_saveexec_b32 s14, s42
; %bb.5781:                             ;   in Loop: Header=BB2_5193 Depth=3
	v_or_b32_e32 v76, 0x7b, v30
; %bb.5782:                             ;   in Loop: Header=BB2_5193 Depth=3
	s_or_b32 exec_lo, exec_lo, s14
                                        ; implicit-def: $vgpr58
                                        ; implicit-def: $vgpr56_vgpr57
                                        ; implicit-def: $vgpr30
.LBB2_5783:                             ;   in Loop: Header=BB2_5193 Depth=3
	s_and_not1_saveexec_b32 s14, s15
	s_cbranch_execz .LBB2_5789
; %bb.5784:                             ;   in Loop: Header=BB2_5193 Depth=3
	s_mov_b32 s15, exec_lo
                                        ; implicit-def: $vgpr76
	v_cmpx_ne_u64_e32 0, v[56:57]
	s_xor_b32 s15, exec_lo, s15
; %bb.5785:                             ;   in Loop: Header=BB2_5193 Depth=3
	v_or_b32_e32 v76, 0x7f, v30
                                        ; implicit-def: $vgpr58
; %bb.5786:                             ;   in Loop: Header=BB2_5193 Depth=3
	s_and_not1_saveexec_b32 s15, s15
; %bb.5787:                             ;   in Loop: Header=BB2_5193 Depth=3
	v_cmp_lt_i32_e32 vcc_lo, -1, v58
	v_cndmask_b32_e32 v76, 0xfc, v120, vcc_lo
; %bb.5788:                             ;   in Loop: Header=BB2_5193 Depth=3
	s_or_b32 exec_lo, exec_lo, s15
.LBB2_5789:                             ;   in Loop: Header=BB2_5193 Depth=3
	s_delay_alu instid0(SALU_CYCLE_1)
	s_or_b32 exec_lo, exec_lo, s14
	v_mov_b32_e32 v56, 0
	s_mov_b32 s14, exec_lo
	v_cmpx_lt_u32_e32 0xffffff, v2
	s_cbranch_execz .LBB2_5799
; %bb.5790:                             ;   in Loop: Header=BB2_5193 Depth=3
	v_lshrrev_b32_e32 v30, 24, v2
	v_bfrev_b32_e32 v56, 1
	s_mov_b32 s15, exec_lo
	s_delay_alu instid0(VALU_DEP_2)
	v_cmpx_ne_u32_e32 0x80, v30
	s_cbranch_execz .LBB2_5798
; %bb.5791:                             ;   in Loop: Header=BB2_5193 Depth=3
	v_and_b32_e32 v18, 0x7c000000, v2
	v_bfe_u32 v57, v2, 24, 2
	s_mov_b32 s42, exec_lo
                                        ; implicit-def: $vgpr56
	s_delay_alu instid0(VALU_DEP_2)
	v_cmpx_ne_u32_e32 0x7c000000, v18
	s_xor_b32 s42, exec_lo, s42
	s_cbranch_execz .LBB2_5795
; %bb.5792:                             ;   in Loop: Header=BB2_5193 Depth=3
	v_bfe_u32 v56, v2, 26, 5
	s_mov_b32 s43, exec_lo
	s_delay_alu instid0(VALU_DEP_1)
	v_cmpx_eq_u32_e32 0, v56
; %bb.5793:                             ;   in Loop: Header=BB2_5193 Depth=3
	v_clz_i32_u32_e32 v18, v57
	s_delay_alu instid0(VALU_DEP_1) | instskip(NEXT) | instid1(VALU_DEP_1)
	v_min_u32_e32 v56, 32, v18
	v_subrev_nc_u32_e32 v18, 29, v56
	s_delay_alu instid0(VALU_DEP_1) | instskip(NEXT) | instid1(VALU_DEP_1)
	v_lshlrev_b64_e32 v[18:19], v18, v[30:31]
	v_dual_sub_nc_u32 v56, 30, v56 :: v_dual_bitop2_b32 v57, 3, v18 bitop3:0x40
; %bb.5794:                             ;   in Loop: Header=BB2_5193 Depth=3
	s_or_b32 exec_lo, exec_lo, s43
	v_and_b32_e32 v2, 0x80000000, v2
	s_delay_alu instid0(VALU_DEP_1) | instskip(NEXT) | instid1(VALU_DEP_1)
	v_lshl_add_u32 v2, v56, 23, v2
	v_lshl_or_b32 v2, v57, 21, v2
                                        ; implicit-def: $vgpr57
	s_delay_alu instid0(VALU_DEP_1)
	v_add_nc_u32_e32 v56, 0x38000000, v2
.LBB2_5795:                             ;   in Loop: Header=BB2_5193 Depth=3
	s_and_not1_saveexec_b32 s42, s42
; %bb.5796:                             ;   in Loop: Header=BB2_5193 Depth=3
	v_cmp_lt_i32_e32 vcc_lo, -1, v2
	v_cndmask_b32_e32 v2, 0xff800000, v111, vcc_lo
	v_cmp_eq_u32_e32 vcc_lo, 0, v57
	s_delay_alu instid0(VALU_DEP_2)
	v_cndmask_b32_e32 v56, 0x7f800001, v2, vcc_lo
; %bb.5797:                             ;   in Loop: Header=BB2_5193 Depth=3
	s_or_b32 exec_lo, exec_lo, s42
.LBB2_5798:                             ;   in Loop: Header=BB2_5193 Depth=3
	s_delay_alu instid0(SALU_CYCLE_1)
	s_or_b32 exec_lo, exec_lo, s15
.LBB2_5799:                             ;   in Loop: Header=BB2_5193 Depth=3
	s_delay_alu instid0(SALU_CYCLE_1) | instskip(SKIP_3) | instid1(VALU_DEP_2)
	s_or_b32 exec_lo, exec_lo, s14
	v_bfe_u32 v30, v8, 24, 2
	v_bfe_u32 v58, v8, 26, 5
                                        ; implicit-def: $vgpr79
	s_mov_b32 s14, exec_lo
	v_clz_i32_u32_e32 v2, v30
	s_delay_alu instid0(VALU_DEP_2) | instskip(NEXT) | instid1(VALU_DEP_2)
	v_cmp_eq_u32_e32 vcc_lo, 0, v58
	v_min_u32_e32 v57, 32, v2
	v_lshrrev_b32_e32 v2, 24, v8
	s_delay_alu instid0(VALU_DEP_2) | instskip(NEXT) | instid1(VALU_DEP_1)
	v_subrev_nc_u32_e32 v18, 29, v57
	v_lshlrev_b64_e32 v[18:19], v18, v[2:3]
	v_sub_nc_u32_e32 v19, 30, v57
	v_and_b32_e32 v57, 0x80000000, v8
	s_delay_alu instid0(VALU_DEP_2) | instskip(NEXT) | instid1(VALU_DEP_1)
	v_dual_cndmask_b32 v19, v58, v19, vcc_lo :: v_dual_bitop2_b32 v18, 3, v18 bitop3:0x40
	v_lshl_add_u32 v19, v19, 23, v57
	s_delay_alu instid0(VALU_DEP_2) | instskip(SKIP_1) | instid1(VALU_DEP_2)
	v_cndmask_b32_e32 v18, v30, v18, vcc_lo
	v_cmp_lt_i32_e32 vcc_lo, -1, v8
	v_lshl_or_b32 v18, v18, 21, v19
	v_cndmask_b32_e32 v57, 0xff800000, v111, vcc_lo
	v_and_b32_e32 v19, 0x7c000000, v8
	v_cmp_eq_u32_e32 vcc_lo, 0, v30
	s_delay_alu instid0(VALU_DEP_4) | instskip(NEXT) | instid1(VALU_DEP_4)
	v_add_nc_u32_e32 v18, 0x38000000, v18
	v_cndmask_b32_e32 v30, 0x7f800001, v57, vcc_lo
	s_delay_alu instid0(VALU_DEP_4) | instskip(NEXT) | instid1(VALU_DEP_2)
	v_cmp_eq_u32_e32 vcc_lo, 0x7c000000, v19
	v_dual_mov_b32 v19, v3 :: v_dual_cndmask_b32 v18, v18, v30
	v_cmp_ne_u32_e32 vcc_lo, 0x80, v2
	s_delay_alu instid0(VALU_DEP_2) | instskip(SKIP_1) | instid1(VALU_DEP_2)
	v_cndmask_b32_e32 v2, 0x80000000, v18, vcc_lo
	v_cmp_lt_u32_e32 vcc_lo, 0xffffff, v8
	v_cndmask_b32_e32 v2, 0, v2, vcc_lo
	s_delay_alu instid0(VALU_DEP_1) | instskip(NEXT) | instid1(VALU_DEP_1)
	v_add_f32_e32 v56, v2, v56
	v_and_b32_e32 v18, 0x7f800000, v56
	v_and_b32_e32 v2, 0x7fffff, v56
	v_lshrrev_b32_e32 v30, 24, v56
	s_delay_alu instid0(VALU_DEP_3)
	v_cmpx_ne_u64_e32 0x7f800000, v[18:19]
	s_xor_b32 s15, exec_lo, s14
	s_cbranch_execz .LBB2_5813
; %bb.5800:                             ;   in Loop: Header=BB2_5193 Depth=3
	v_and_b32_e32 v18, 0x7fffffff, v56
	v_mov_b32_e32 v19, v3
	v_and_b32_e32 v30, 0x80, v30
                                        ; implicit-def: $vgpr79
	s_mov_b32 s14, exec_lo
	s_delay_alu instid0(VALU_DEP_2)
	v_cmpx_gt_u64_e32 0x47600001, v[18:19]
	s_xor_b32 s42, exec_lo, s14
	s_cbranch_execz .LBB2_5810
; %bb.5801:                             ;   in Loop: Header=BB2_5193 Depth=3
	v_mov_b32_e32 v79, 0
	s_mov_b32 s43, exec_lo
	v_cmpx_ne_u32_e32 0, v56
	s_cbranch_execz .LBB2_5809
; %bb.5802:                             ;   in Loop: Header=BB2_5193 Depth=3
	v_bfe_u32 v79, v56, 23, 8
	v_or_b32_e32 v56, 0x800000, v2
	s_delay_alu instid0(VALU_DEP_2) | instskip(SKIP_1) | instid1(VALU_DEP_2)
	v_dual_mov_b32 v57, v3 :: v_dual_sub_nc_u32 v18, 0x71, v79
	v_cmp_gt_u32_e32 vcc_lo, 0x72, v79
	v_cndmask_b32_e32 v18, 0, v18, vcc_lo
	v_cmp_eq_u32_e32 vcc_lo, 0, v79
	s_delay_alu instid0(VALU_DEP_2) | instskip(NEXT) | instid1(VALU_DEP_1)
	v_cndmask_b32_e64 v93, v18, 0x70, vcc_lo
	v_dual_cndmask_b32 v56, v56, v2, vcc_lo :: v_dual_add_nc_u32 v18, 21, v93
	v_add_nc_u32_e32 v58, 20, v93
	s_delay_alu instid0(VALU_DEP_2) | instskip(NEXT) | instid1(VALU_DEP_2)
	v_lshlrev_b64_e64 v[18:19], v18, -1
	v_lshlrev_b64_e64 v[58:59], v58, 1
	s_delay_alu instid0(VALU_DEP_2) | instskip(SKIP_1) | instid1(VALU_DEP_4)
	v_bfi_b32 v18, v18, 0, v56
	v_lshrrev_b64 v[56:57], v93, v[56:57]
	v_bfi_b32 v19, v19, 0, 0
	s_delay_alu instid0(VALU_DEP_1) | instskip(NEXT) | instid1(VALU_DEP_3)
	v_cmp_eq_u64_e64 s14, v[18:19], v[58:59]
	v_mov_b64_e32 v[58:59], v[56:57]
	s_and_saveexec_b32 s77, s14
; %bb.5803:                             ;   in Loop: Header=BB2_5193 Depth=3
	v_bfe_u32 v18, v56, 21, 1
	v_mov_b32_e32 v19, v3
	s_delay_alu instid0(VALU_DEP_1) | instskip(NEXT) | instid1(VALU_DEP_1)
	v_add_nc_u64_e32 v[18:19], v[56:57], v[18:19]
	v_add_nc_u64_e32 v[58:59], -1, v[18:19]
; %bb.5804:                             ;   in Loop: Header=BB2_5193 Depth=3
	s_or_b32 exec_lo, exec_lo, s77
	v_add_nc_u32_e32 v2, 0xffffff81, v79
	s_delay_alu instid0(VALU_DEP_2) | instskip(SKIP_2) | instid1(VALU_DEP_3)
	v_and_b32_e32 v19, 0x1fffff, v58
	v_lshrrev_b32_e32 v18, 23, v56
	s_mov_b32 s14, exec_lo
                                        ; implicit-def: $vgpr58
	v_cndmask_b32_e64 v2, v2, 0xffffff82, vcc_lo
	s_delay_alu instid0(VALU_DEP_1) | instskip(SKIP_1) | instid1(VALU_DEP_2)
	v_add3_u32 v59, v93, v2, v18
	v_add_nc_u32_e32 v2, v19, v56
                                        ; implicit-def: $vgpr56_vgpr57
	v_add_nc_u32_e32 v79, 14, v59
	s_delay_alu instid0(VALU_DEP_1)
	v_cmpx_ne_u32_e32 0, v79
	s_xor_b32 s14, exec_lo, s14
; %bb.5805:                             ;   in Loop: Header=BB2_5193 Depth=3
	s_delay_alu instid0(VALU_DEP_3) | instskip(SKIP_1) | instid1(VALU_DEP_1)
	v_cmp_lt_u64_e32 vcc_lo, 0xffffff, v[2:3]
	v_add_nc_u32_e32 v18, 15, v59
	v_cndmask_b32_e32 v58, v79, v18, vcc_lo
	v_cndmask_b32_e64 v18, 0, 1, vcc_lo
	s_delay_alu instid0(VALU_DEP_1)
	v_lshrrev_b64 v[56:57], v18, v[2:3]
; %bb.5806:                             ;   in Loop: Header=BB2_5193 Depth=3
	s_and_not1_saveexec_b32 s14, s14
; %bb.5807:                             ;   in Loop: Header=BB2_5193 Depth=3
	v_mov_b64_e32 v[56:57], v[2:3]
	v_bfe_u32 v58, v2, 23, 1
; %bb.5808:                             ;   in Loop: Header=BB2_5193 Depth=3
	s_or_b32 exec_lo, exec_lo, s14
	s_delay_alu instid0(VALU_DEP_2) | instskip(NEXT) | instid1(VALU_DEP_2)
	v_lshrrev_b64 v[18:19], 21, v[56:57]
	v_cmp_gt_i32_e32 vcc_lo, 32, v58
	v_min_i32_e32 v2, 31, v58
	v_cmp_eq_u32_e64 s14, 0, v58
	s_delay_alu instid0(VALU_DEP_2) | instskip(SKIP_1) | instid1(VALU_DEP_2)
	v_dual_cndmask_b32 v19, 0, v19 :: v_dual_lshlrev_b32 v2, 2, v2
	v_cndmask_b32_e32 v18, 3, v18, vcc_lo
	v_and_b32_e32 v2, 0xfc, v2
	s_delay_alu instid0(VALU_DEP_2) | instskip(NEXT) | instid1(VALU_DEP_2)
	v_cmp_eq_u64_e32 vcc_lo, 0, v[18:19]
	v_and_or_b32 v2, v18, 3, v2
	s_and_b32 s14, s14, vcc_lo
	s_delay_alu instid0(VALU_DEP_1) | instid1(SALU_CYCLE_1)
	v_cndmask_b32_e64 v2, v2, 0, s14
	s_delay_alu instid0(VALU_DEP_1)
	v_or_b32_e32 v79, v2, v30
.LBB2_5809:                             ;   in Loop: Header=BB2_5193 Depth=3
	s_or_b32 exec_lo, exec_lo, s43
                                        ; implicit-def: $vgpr30
.LBB2_5810:                             ;   in Loop: Header=BB2_5193 Depth=3
	s_and_not1_saveexec_b32 s14, s42
; %bb.5811:                             ;   in Loop: Header=BB2_5193 Depth=3
	v_or_b32_e32 v79, 0x7b, v30
; %bb.5812:                             ;   in Loop: Header=BB2_5193 Depth=3
	s_or_b32 exec_lo, exec_lo, s14
                                        ; implicit-def: $vgpr56
                                        ; implicit-def: $vgpr30
.LBB2_5813:                             ;   in Loop: Header=BB2_5193 Depth=3
	s_and_not1_saveexec_b32 s14, s15
	s_cbranch_execz .LBB2_5819
; %bb.5814:                             ;   in Loop: Header=BB2_5193 Depth=3
	s_mov_b32 s15, exec_lo
                                        ; implicit-def: $vgpr79
	v_cmpx_ne_u64_e32 0, v[2:3]
	s_xor_b32 s15, exec_lo, s15
; %bb.5815:                             ;   in Loop: Header=BB2_5193 Depth=3
	v_or_b32_e32 v79, 0x7f, v30
                                        ; implicit-def: $vgpr56
; %bb.5816:                             ;   in Loop: Header=BB2_5193 Depth=3
	s_and_not1_saveexec_b32 s15, s15
; %bb.5817:                             ;   in Loop: Header=BB2_5193 Depth=3
	v_cmp_lt_i32_e32 vcc_lo, -1, v56
	v_cndmask_b32_e32 v79, 0xfc, v120, vcc_lo
; %bb.5818:                             ;   in Loop: Header=BB2_5193 Depth=3
	s_or_b32 exec_lo, exec_lo, s15
.LBB2_5819:                             ;   in Loop: Header=BB2_5193 Depth=3
	s_delay_alu instid0(SALU_CYCLE_1) | instskip(SKIP_4) | instid1(VALU_DEP_2)
	s_or_b32 exec_lo, exec_lo, s14
	v_lshl_or_b32 v30, v61, 8, v60
	v_dual_lshlrev_b32 v2, 16, v91 :: v_dual_lshlrev_b32 v18, 24, v92
	v_mov_b32_e32 v58, 0
	s_mov_b32 s14, exec_lo
	v_or3_b32 v2, v2, v18, v30
	v_cmpx_ne_u32_e32 0, v60
	s_cbranch_execz .LBB2_5829
; %bb.5820:                             ;   in Loop: Header=BB2_5193 Depth=3
	v_bfrev_b32_e32 v58, 1
	s_mov_b32 s15, exec_lo
	v_cmpx_ne_u32_e32 0x80, v60
	s_cbranch_execz .LBB2_5828
; %bb.5821:                             ;   in Loop: Header=BB2_5193 Depth=3
	v_and_b32_e32 v18, 0x7c, v60
	v_and_b32_e32 v56, 3, v60
	s_mov_b32 s42, exec_lo
                                        ; implicit-def: $vgpr58
	s_delay_alu instid0(VALU_DEP_2)
	v_cmpx_ne_u32_e32 0x7c, v18
	s_xor_b32 s42, exec_lo, s42
	s_cbranch_execz .LBB2_5825
; %bb.5822:                             ;   in Loop: Header=BB2_5193 Depth=3
	v_bfe_u32 v57, v60, 2, 5
	s_mov_b32 s43, exec_lo
	s_delay_alu instid0(VALU_DEP_1)
	v_cmpx_eq_u32_e32 0, v57
; %bb.5823:                             ;   in Loop: Header=BB2_5193 Depth=3
	v_clz_i32_u32_e32 v18, v56
	s_delay_alu instid0(VALU_DEP_1) | instskip(NEXT) | instid1(VALU_DEP_1)
	v_min_u32_e32 v56, 32, v18
	v_subrev_nc_u32_e32 v18, 29, v56
	s_delay_alu instid0(VALU_DEP_1) | instskip(NEXT) | instid1(VALU_DEP_1)
	v_lshlrev_b64_e32 v[18:19], v18, v[2:3]
	v_dual_sub_nc_u32 v57, 30, v56 :: v_dual_bitop2_b32 v56, 3, v18 bitop3:0x40
; %bb.5824:                             ;   in Loop: Header=BB2_5193 Depth=3
	s_or_b32 exec_lo, exec_lo, s43
	v_lshlrev_b32_e32 v18, 24, v60
                                        ; implicit-def: $vgpr60
	s_delay_alu instid0(VALU_DEP_1) | instskip(NEXT) | instid1(VALU_DEP_1)
	v_and_b32_e32 v18, 0x80000000, v18
	v_lshl_add_u32 v18, v57, 23, v18
	s_delay_alu instid0(VALU_DEP_1) | instskip(NEXT) | instid1(VALU_DEP_1)
	v_lshl_or_b32 v18, v56, 21, v18
                                        ; implicit-def: $vgpr56
	v_add_nc_u32_e32 v58, 0x38000000, v18
.LBB2_5825:                             ;   in Loop: Header=BB2_5193 Depth=3
	s_and_not1_saveexec_b32 s42, s42
; %bb.5826:                             ;   in Loop: Header=BB2_5193 Depth=3
	v_and_b32_e32 v18, 0x80, v60
	s_delay_alu instid0(VALU_DEP_1) | instskip(SKIP_2) | instid1(VALU_DEP_2)
	v_cmp_eq_u32_e32 vcc_lo, 0, v18
	v_cndmask_b32_e32 v18, 0xff800000, v111, vcc_lo
	v_cmp_eq_u32_e32 vcc_lo, 0, v56
	v_cndmask_b32_e32 v58, 0x7f800001, v18, vcc_lo
; %bb.5827:                             ;   in Loop: Header=BB2_5193 Depth=3
	s_or_b32 exec_lo, exec_lo, s42
.LBB2_5828:                             ;   in Loop: Header=BB2_5193 Depth=3
	s_delay_alu instid0(SALU_CYCLE_1)
	s_or_b32 exec_lo, exec_lo, s15
.LBB2_5829:                             ;   in Loop: Header=BB2_5193 Depth=3
	s_delay_alu instid0(SALU_CYCLE_1) | instskip(SKIP_4) | instid1(VALU_DEP_2)
	s_or_b32 exec_lo, exec_lo, s14
	v_and_b32_e32 v57, 0xff, v9
	v_mov_b32_e32 v56, v9
	s_mov_b32 s15, 0
	s_mov_b32 s14, exec_lo
	v_cmpx_lt_i16_e32 0x7f, v57
	s_xor_b32 s14, exec_lo, s14
	s_cbranch_execz .LBB2_6242
; %bb.5830:                             ;   in Loop: Header=BB2_5193 Depth=3
	s_mov_b32 s15, -1
	s_mov_b32 s42, exec_lo
	v_cmpx_eq_u16_e32 0x80, v57
; %bb.5831:                             ;   in Loop: Header=BB2_5193 Depth=3
	s_xor_b32 s15, exec_lo, -1
; %bb.5832:                             ;   in Loop: Header=BB2_5193 Depth=3
	s_or_b32 exec_lo, exec_lo, s42
	s_delay_alu instid0(SALU_CYCLE_1)
	s_and_b32 s15, s15, exec_lo
                                        ; implicit-def: $vgpr57
	s_or_saveexec_b32 s14, s14
	v_bfrev_b32_e32 v59, 1
	s_xor_b32 exec_lo, exec_lo, s14
	s_cbranch_execnz .LBB2_6243
.LBB2_5833:                             ;   in Loop: Header=BB2_5193 Depth=3
	s_or_b32 exec_lo, exec_lo, s14
	v_mov_b32_e32 v57, v3
	s_and_saveexec_b32 s14, s15
	s_cbranch_execz .LBB2_5835
.LBB2_5834:                             ;   in Loop: Header=BB2_5193 Depth=3
	v_and_b32_e32 v59, 3, v9
	s_delay_alu instid0(VALU_DEP_1) | instskip(NEXT) | instid1(VALU_DEP_1)
	v_clz_i32_u32_e32 v18, v59
	v_min_u32_e32 v60, 32, v18
	s_delay_alu instid0(VALU_DEP_1) | instskip(NEXT) | instid1(VALU_DEP_1)
	v_subrev_nc_u32_e32 v18, 29, v60
	v_lshlrev_b64_e32 v[18:19], v18, v[56:57]
	v_bfe_u32 v57, v9, 2, 5
	v_dual_lshlrev_b32 v19, 24, v9 :: v_dual_sub_nc_u32 v60, 30, v60
	s_delay_alu instid0(VALU_DEP_2) | instskip(NEXT) | instid1(VALU_DEP_2)
	v_cmp_eq_u32_e32 vcc_lo, 0, v57
	v_and_b32_e32 v19, 0x80000000, v19
	s_delay_alu instid0(VALU_DEP_3) | instskip(SKIP_1) | instid1(VALU_DEP_2)
	v_dual_cndmask_b32 v57, v57, v60, vcc_lo :: v_dual_bitop2_b32 v18, 3, v18 bitop3:0x40
	v_bfe_i32 v60, v9, 0, 8
	v_cndmask_b32_e32 v18, v59, v18, vcc_lo
	s_delay_alu instid0(VALU_DEP_3) | instskip(NEXT) | instid1(VALU_DEP_3)
	v_lshl_add_u32 v19, v57, 23, v19
	v_cmp_lt_i16_e32 vcc_lo, -1, v60
	s_delay_alu instid0(VALU_DEP_2) | instskip(SKIP_3) | instid1(VALU_DEP_4)
	v_lshl_or_b32 v18, v18, 21, v19
	v_cndmask_b32_e32 v57, 0xff800000, v111, vcc_lo
	v_and_b32_e32 v19, 0x7c, v9
	v_cmp_eq_u32_e32 vcc_lo, 0, v59
	v_add_nc_u32_e32 v18, 0x38000000, v18
	s_delay_alu instid0(VALU_DEP_4) | instskip(NEXT) | instid1(VALU_DEP_4)
	v_cndmask_b32_e32 v57, 0x7f800001, v57, vcc_lo
	v_cmp_eq_u32_e32 vcc_lo, 0x7c, v19
	s_delay_alu instid0(VALU_DEP_2)
	v_cndmask_b32_e32 v59, v18, v57, vcc_lo
.LBB2_5835:                             ;   in Loop: Header=BB2_5193 Depth=3
	s_or_b32 exec_lo, exec_lo, s14
	s_delay_alu instid0(VALU_DEP_1) | instskip(SKIP_2) | instid1(VALU_DEP_2)
	v_dual_add_f32 v61, v58, v59 :: v_dual_mov_b32 v19, v3
	v_mov_b32_e32 v59, v3
                                        ; implicit-def: $vgpr60
	s_mov_b32 s14, exec_lo
	v_and_b32_e32 v18, 0x7f800000, v61
	v_and_b32_e32 v58, 0x7fffff, v61
	v_lshrrev_b32_e32 v57, 24, v61
	s_delay_alu instid0(VALU_DEP_3)
	v_cmpx_ne_u64_e32 0x7f800000, v[18:19]
	s_xor_b32 s15, exec_lo, s14
	s_cbranch_execz .LBB2_5849
; %bb.5836:                             ;   in Loop: Header=BB2_5193 Depth=3
	v_and_b32_e32 v18, 0x7fffffff, v61
	v_mov_b32_e32 v19, v3
	v_and_b32_e32 v57, 0x80, v57
                                        ; implicit-def: $vgpr60
	s_mov_b32 s14, exec_lo
	s_delay_alu instid0(VALU_DEP_2)
	v_cmpx_gt_u64_e32 0x47600001, v[18:19]
	s_xor_b32 s42, exec_lo, s14
	s_cbranch_execz .LBB2_5846
; %bb.5837:                             ;   in Loop: Header=BB2_5193 Depth=3
	v_mov_b32_e32 v60, 0
	s_mov_b32 s43, exec_lo
	v_cmpx_ne_u32_e32 0, v61
	s_cbranch_execz .LBB2_5845
; %bb.5838:                             ;   in Loop: Header=BB2_5193 Depth=3
	v_bfe_u32 v91, v61, 23, 8
	v_or_b32_e32 v60, 0x800000, v58
	s_delay_alu instid0(VALU_DEP_2) | instskip(SKIP_1) | instid1(VALU_DEP_2)
	v_sub_nc_u32_e32 v18, 0x71, v91
	v_cmp_gt_u32_e32 vcc_lo, 0x72, v91
	v_cndmask_b32_e32 v18, 0, v18, vcc_lo
	v_cmp_eq_u32_e32 vcc_lo, 0, v91
	s_delay_alu instid0(VALU_DEP_2) | instskip(NEXT) | instid1(VALU_DEP_1)
	v_cndmask_b32_e64 v92, v18, 0x70, vcc_lo
	v_dual_cndmask_b32 v58, v60, v58, vcc_lo :: v_dual_add_nc_u32 v18, 21, v92
	v_add_nc_u32_e32 v61, 20, v92
	s_delay_alu instid0(VALU_DEP_2) | instskip(NEXT) | instid1(VALU_DEP_2)
	v_lshlrev_b64_e64 v[18:19], v18, -1
	v_lshlrev_b64_e64 v[60:61], v61, 1
	s_delay_alu instid0(VALU_DEP_2) | instskip(SKIP_1) | instid1(VALU_DEP_4)
	v_bfi_b32 v18, v18, 0, v58
	v_lshrrev_b64 v[58:59], v92, v[58:59]
	v_bfi_b32 v19, v19, 0, 0
	s_delay_alu instid0(VALU_DEP_1) | instskip(NEXT) | instid1(VALU_DEP_3)
	v_cmp_eq_u64_e64 s14, v[18:19], v[60:61]
	v_mov_b64_e32 v[60:61], v[58:59]
	s_and_saveexec_b32 s77, s14
; %bb.5839:                             ;   in Loop: Header=BB2_5193 Depth=3
	v_bfe_u32 v18, v58, 21, 1
	v_mov_b32_e32 v19, v3
	s_delay_alu instid0(VALU_DEP_1) | instskip(NEXT) | instid1(VALU_DEP_1)
	v_add_nc_u64_e32 v[18:19], v[58:59], v[18:19]
	v_add_nc_u64_e32 v[60:61], -1, v[18:19]
; %bb.5840:                             ;   in Loop: Header=BB2_5193 Depth=3
	s_or_b32 exec_lo, exec_lo, s77
	v_dual_mov_b32 v59, v3 :: v_dual_add_nc_u32 v18, 0xffffff81, v91
	v_lshrrev_b32_e32 v19, 23, v58
	s_mov_b32 s14, exec_lo
	s_delay_alu instid0(VALU_DEP_2) | instskip(NEXT) | instid1(VALU_DEP_1)
	v_cndmask_b32_e64 v18, v18, 0xffffff82, vcc_lo
	v_add3_u32 v61, v92, v18, v19
	v_and_b32_e32 v18, 0x1fffff, v60
                                        ; implicit-def: $vgpr60
	s_delay_alu instid0(VALU_DEP_1) | instskip(NEXT) | instid1(VALU_DEP_1)
	v_dual_add_nc_u32 v91, 14, v61 :: v_dual_add_nc_u32 v58, v18, v58
	v_cmpx_ne_u32_e32 0, v91
	s_xor_b32 s14, exec_lo, s14
; %bb.5841:                             ;   in Loop: Header=BB2_5193 Depth=3
	s_delay_alu instid0(VALU_DEP_2) | instskip(SKIP_1) | instid1(VALU_DEP_1)
	v_cmp_lt_u64_e32 vcc_lo, 0xffffff, v[58:59]
	v_add_nc_u32_e32 v18, 15, v61
	v_cndmask_b32_e32 v60, v91, v18, vcc_lo
	v_cndmask_b32_e64 v18, 0, 1, vcc_lo
	s_delay_alu instid0(VALU_DEP_1)
	v_lshrrev_b64 v[58:59], v18, v[58:59]
; %bb.5842:                             ;   in Loop: Header=BB2_5193 Depth=3
	s_and_not1_saveexec_b32 s14, s14
; %bb.5843:                             ;   in Loop: Header=BB2_5193 Depth=3
	s_delay_alu instid0(VALU_DEP_1)
	v_bfe_u32 v60, v58, 23, 1
; %bb.5844:                             ;   in Loop: Header=BB2_5193 Depth=3
	s_or_b32 exec_lo, exec_lo, s14
	s_delay_alu instid0(VALU_DEP_2) | instskip(NEXT) | instid1(VALU_DEP_2)
	v_lshrrev_b64 v[18:19], 21, v[58:59]
	v_cmp_gt_i32_e32 vcc_lo, 32, v60
	v_min_i32_e32 v58, 31, v60
	v_cmp_eq_u32_e64 s14, 0, v60
	s_delay_alu instid0(VALU_DEP_2) | instskip(SKIP_1) | instid1(VALU_DEP_2)
	v_dual_cndmask_b32 v19, 0, v19 :: v_dual_lshlrev_b32 v58, 2, v58
	v_cndmask_b32_e32 v18, 3, v18, vcc_lo
	v_and_b32_e32 v58, 0xfc, v58
	s_delay_alu instid0(VALU_DEP_2) | instskip(NEXT) | instid1(VALU_DEP_2)
	v_cmp_eq_u64_e32 vcc_lo, 0, v[18:19]
	v_and_or_b32 v18, v18, 3, v58
	s_and_b32 s14, s14, vcc_lo
	s_delay_alu instid0(VALU_DEP_1) | instid1(SALU_CYCLE_1)
	v_cndmask_b32_e64 v18, v18, 0, s14
	s_delay_alu instid0(VALU_DEP_1)
	v_or_b32_e32 v60, v18, v57
.LBB2_5845:                             ;   in Loop: Header=BB2_5193 Depth=3
	s_or_b32 exec_lo, exec_lo, s43
                                        ; implicit-def: $vgpr57
.LBB2_5846:                             ;   in Loop: Header=BB2_5193 Depth=3
	s_and_not1_saveexec_b32 s14, s42
; %bb.5847:                             ;   in Loop: Header=BB2_5193 Depth=3
	v_or_b32_e32 v60, 0x7b, v57
; %bb.5848:                             ;   in Loop: Header=BB2_5193 Depth=3
	s_or_b32 exec_lo, exec_lo, s14
                                        ; implicit-def: $vgpr61
                                        ; implicit-def: $vgpr58_vgpr59
                                        ; implicit-def: $vgpr57
.LBB2_5849:                             ;   in Loop: Header=BB2_5193 Depth=3
	s_and_not1_saveexec_b32 s14, s15
	s_cbranch_execz .LBB2_5855
; %bb.5850:                             ;   in Loop: Header=BB2_5193 Depth=3
	s_mov_b32 s15, exec_lo
                                        ; implicit-def: $vgpr60
	v_cmpx_ne_u64_e32 0, v[58:59]
	s_xor_b32 s15, exec_lo, s15
; %bb.5851:                             ;   in Loop: Header=BB2_5193 Depth=3
	v_or_b32_e32 v60, 0x7f, v57
                                        ; implicit-def: $vgpr61
; %bb.5852:                             ;   in Loop: Header=BB2_5193 Depth=3
	s_and_not1_saveexec_b32 s15, s15
; %bb.5853:                             ;   in Loop: Header=BB2_5193 Depth=3
	v_cmp_lt_i32_e32 vcc_lo, -1, v61
	v_cndmask_b32_e32 v60, 0xfc, v120, vcc_lo
; %bb.5854:                             ;   in Loop: Header=BB2_5193 Depth=3
	s_or_b32 exec_lo, exec_lo, s15
.LBB2_5855:                             ;   in Loop: Header=BB2_5193 Depth=3
	s_delay_alu instid0(SALU_CYCLE_1) | instskip(SKIP_3) | instid1(VALU_DEP_2)
	s_or_b32 exec_lo, exec_lo, s14
	v_lshrrev_b16 v58, 8, v30
	v_mov_b32_e32 v57, 0
	s_mov_b32 s14, exec_lo
	v_cmpx_ne_u16_e32 0, v58
	s_cbranch_execz .LBB2_5865
; %bb.5856:                             ;   in Loop: Header=BB2_5193 Depth=3
	v_bfrev_b32_e32 v57, 1
	s_mov_b32 s15, exec_lo
	v_cmpx_ne_u16_e32 0x80, v58
	s_cbranch_execz .LBB2_5864
; %bb.5857:                             ;   in Loop: Header=BB2_5193 Depth=3
	v_and_b32_e32 v61, 0xffff, v58
	s_mov_b32 s42, exec_lo
                                        ; implicit-def: $vgpr57
	s_delay_alu instid0(VALU_DEP_1) | instskip(SKIP_1) | instid1(VALU_DEP_2)
	v_and_b32_e32 v18, 0x7c, v61
	v_and_b32_e32 v59, 3, v61
	v_cmpx_ne_u32_e32 0x7c, v18
	s_xor_b32 s42, exec_lo, s42
	s_cbranch_execz .LBB2_5861
; %bb.5858:                             ;   in Loop: Header=BB2_5193 Depth=3
	v_bfe_u32 v57, v61, 2, 5
	s_mov_b32 s43, exec_lo
	s_delay_alu instid0(VALU_DEP_1)
	v_cmpx_eq_u32_e32 0, v57
	s_cbranch_execz .LBB2_5860
; %bb.5859:                             ;   in Loop: Header=BB2_5193 Depth=3
	v_clz_i32_u32_e32 v18, v59
	s_delay_alu instid0(VALU_DEP_1) | instskip(SKIP_1) | instid1(VALU_DEP_2)
	v_min_u32_e32 v57, 32, v18
	v_mov_b32_e32 v59, v3
	v_subrev_nc_u32_e32 v18, 29, v57
	v_sub_nc_u32_e32 v57, 30, v57
	s_delay_alu instid0(VALU_DEP_2) | instskip(NEXT) | instid1(VALU_DEP_1)
	v_lshlrev_b64_e32 v[18:19], v18, v[58:59]
	v_and_b32_e32 v59, 3, v18
.LBB2_5860:                             ;   in Loop: Header=BB2_5193 Depth=3
	s_or_b32 exec_lo, exec_lo, s43
	v_lshlrev_b32_e32 v18, 16, v30
                                        ; implicit-def: $vgpr30
	s_delay_alu instid0(VALU_DEP_1) | instskip(NEXT) | instid1(VALU_DEP_1)
	v_and_b32_e32 v18, 0x80000000, v18
	v_lshl_add_u32 v18, v57, 23, v18
	s_delay_alu instid0(VALU_DEP_1) | instskip(NEXT) | instid1(VALU_DEP_1)
	v_lshl_or_b32 v18, v59, 21, v18
                                        ; implicit-def: $vgpr59
	v_add_nc_u32_e32 v57, 0x38000000, v18
.LBB2_5861:                             ;   in Loop: Header=BB2_5193 Depth=3
	s_and_not1_saveexec_b32 s42, s42
; %bb.5862:                             ;   in Loop: Header=BB2_5193 Depth=3
	v_cmp_lt_i16_e32 vcc_lo, -1, v30
	v_cndmask_b32_e32 v18, 0xff800000, v111, vcc_lo
	v_cmp_eq_u32_e32 vcc_lo, 0, v59
	s_delay_alu instid0(VALU_DEP_2)
	v_cndmask_b32_e32 v57, 0x7f800001, v18, vcc_lo
; %bb.5863:                             ;   in Loop: Header=BB2_5193 Depth=3
	s_or_b32 exec_lo, exec_lo, s42
.LBB2_5864:                             ;   in Loop: Header=BB2_5193 Depth=3
	s_delay_alu instid0(SALU_CYCLE_1)
	s_or_b32 exec_lo, exec_lo, s15
.LBB2_5865:                             ;   in Loop: Header=BB2_5193 Depth=3
	s_delay_alu instid0(SALU_CYCLE_1) | instskip(SKIP_3) | instid1(VALU_DEP_1)
	s_or_b32 exec_lo, exec_lo, s14
	v_lshrrev_b16 v58, 8, v56
	s_mov_b32 s15, 0
	s_mov_b32 s14, exec_lo
	v_cmpx_lt_i16_e32 0x7f, v58
	s_xor_b32 s14, exec_lo, s14
	s_cbranch_execz .LBB2_6244
; %bb.5866:                             ;   in Loop: Header=BB2_5193 Depth=3
	s_mov_b32 s15, -1
	s_mov_b32 s42, exec_lo
	v_cmpx_eq_u16_e32 0x80, v58
; %bb.5867:                             ;   in Loop: Header=BB2_5193 Depth=3
	s_xor_b32 s15, exec_lo, -1
; %bb.5868:                             ;   in Loop: Header=BB2_5193 Depth=3
	s_or_b32 exec_lo, exec_lo, s42
	s_delay_alu instid0(SALU_CYCLE_1)
	s_and_b32 s15, s15, exec_lo
	s_or_saveexec_b32 s14, s14
	v_bfrev_b32_e32 v30, 1
	s_xor_b32 exec_lo, exec_lo, s14
	s_cbranch_execnz .LBB2_6245
.LBB2_5869:                             ;   in Loop: Header=BB2_5193 Depth=3
	s_or_b32 exec_lo, exec_lo, s14
	s_and_saveexec_b32 s14, s15
	s_cbranch_execz .LBB2_5871
.LBB2_5870:                             ;   in Loop: Header=BB2_5193 Depth=3
	v_and_b32_e32 v30, 0xffff, v58
	s_delay_alu instid0(VALU_DEP_1) | instskip(NEXT) | instid1(VALU_DEP_1)
	v_dual_mov_b32 v59, v3 :: v_dual_bitop2_b32 v61, 3, v30 bitop3:0x40
	v_clz_i32_u32_e32 v18, v61
	s_delay_alu instid0(VALU_DEP_1) | instskip(NEXT) | instid1(VALU_DEP_1)
	v_min_u32_e32 v91, 32, v18
	v_subrev_nc_u32_e32 v18, 29, v91
	s_delay_alu instid0(VALU_DEP_1) | instskip(SKIP_2) | instid1(VALU_DEP_2)
	v_lshlrev_b64_e32 v[18:19], v18, v[58:59]
	v_dual_lshlrev_b32 v19, 24, v58 :: v_dual_sub_nc_u32 v59, 30, v91
	v_bfe_u32 v58, v30, 2, 5
	v_and_b32_e32 v19, 0x80000000, v19
	s_delay_alu instid0(VALU_DEP_2) | instskip(NEXT) | instid1(VALU_DEP_4)
	v_cmp_eq_u32_e32 vcc_lo, 0, v58
	v_dual_cndmask_b32 v58, v58, v59, vcc_lo :: v_dual_bitop2_b32 v18, 3, v18 bitop3:0x40
	s_delay_alu instid0(VALU_DEP_1) | instskip(SKIP_1) | instid1(VALU_DEP_3)
	v_cndmask_b32_e32 v18, v61, v18, vcc_lo
	v_cmp_lt_i16_e32 vcc_lo, -1, v56
	v_lshl_add_u32 v19, v58, 23, v19
	v_cndmask_b32_e32 v56, 0xff800000, v111, vcc_lo
	v_cmp_eq_u32_e32 vcc_lo, 0, v61
	s_delay_alu instid0(VALU_DEP_3) | instskip(SKIP_1) | instid1(VALU_DEP_4)
	v_lshl_or_b32 v18, v18, 21, v19
	v_and_b32_e32 v19, 0x7c, v30
	v_cndmask_b32_e32 v30, 0x7f800001, v56, vcc_lo
	s_delay_alu instid0(VALU_DEP_3) | instskip(NEXT) | instid1(VALU_DEP_3)
	v_add_nc_u32_e32 v18, 0x38000000, v18
	v_cmp_eq_u32_e32 vcc_lo, 0x7c, v19
	s_delay_alu instid0(VALU_DEP_2)
	v_cndmask_b32_e32 v30, v18, v30, vcc_lo
.LBB2_5871:                             ;   in Loop: Header=BB2_5193 Depth=3
	s_or_b32 exec_lo, exec_lo, s14
	s_delay_alu instid0(VALU_DEP_1) | instskip(SKIP_2) | instid1(VALU_DEP_2)
	v_dual_add_f32 v58, v57, v30 :: v_dual_mov_b32 v19, v3
	v_mov_b32_e32 v57, v3
                                        ; implicit-def: $vgpr61
	s_mov_b32 s14, exec_lo
	v_and_b32_e32 v18, 0x7f800000, v58
	v_and_b32_e32 v56, 0x7fffff, v58
	v_lshrrev_b32_e32 v30, 24, v58
	s_delay_alu instid0(VALU_DEP_3)
	v_cmpx_ne_u64_e32 0x7f800000, v[18:19]
	s_xor_b32 s15, exec_lo, s14
	s_cbranch_execz .LBB2_5885
; %bb.5872:                             ;   in Loop: Header=BB2_5193 Depth=3
	v_and_b32_e32 v18, 0x7fffffff, v58
	v_mov_b32_e32 v19, v3
	v_and_b32_e32 v30, 0x80, v30
                                        ; implicit-def: $vgpr61
	s_mov_b32 s14, exec_lo
	s_delay_alu instid0(VALU_DEP_2)
	v_cmpx_gt_u64_e32 0x47600001, v[18:19]
	s_xor_b32 s42, exec_lo, s14
	s_cbranch_execz .LBB2_5882
; %bb.5873:                             ;   in Loop: Header=BB2_5193 Depth=3
	v_mov_b32_e32 v61, 0
	s_mov_b32 s43, exec_lo
	v_cmpx_ne_u32_e32 0, v58
	s_cbranch_execz .LBB2_5881
; %bb.5874:                             ;   in Loop: Header=BB2_5193 Depth=3
	v_bfe_u32 v61, v58, 23, 8
	v_or_b32_e32 v58, 0x800000, v56
	s_delay_alu instid0(VALU_DEP_2) | instskip(SKIP_1) | instid1(VALU_DEP_2)
	v_sub_nc_u32_e32 v18, 0x71, v61
	v_cmp_gt_u32_e32 vcc_lo, 0x72, v61
	v_cndmask_b32_e32 v18, 0, v18, vcc_lo
	v_cmp_eq_u32_e32 vcc_lo, 0, v61
	s_delay_alu instid0(VALU_DEP_2) | instskip(NEXT) | instid1(VALU_DEP_1)
	v_cndmask_b32_e64 v91, v18, 0x70, vcc_lo
	v_dual_cndmask_b32 v56, v58, v56, vcc_lo :: v_dual_add_nc_u32 v18, 21, v91
	v_add_nc_u32_e32 v59, 20, v91
	s_delay_alu instid0(VALU_DEP_2) | instskip(NEXT) | instid1(VALU_DEP_2)
	v_lshlrev_b64_e64 v[18:19], v18, -1
	v_lshlrev_b64_e64 v[58:59], v59, 1
	s_delay_alu instid0(VALU_DEP_2) | instskip(SKIP_1) | instid1(VALU_DEP_4)
	v_bfi_b32 v18, v18, 0, v56
	v_lshrrev_b64 v[56:57], v91, v[56:57]
	v_bfi_b32 v19, v19, 0, 0
	s_delay_alu instid0(VALU_DEP_1) | instskip(NEXT) | instid1(VALU_DEP_3)
	v_cmp_eq_u64_e64 s14, v[18:19], v[58:59]
	v_mov_b64_e32 v[58:59], v[56:57]
	s_and_saveexec_b32 s77, s14
; %bb.5875:                             ;   in Loop: Header=BB2_5193 Depth=3
	v_bfe_u32 v18, v56, 21, 1
	v_mov_b32_e32 v19, v3
	s_delay_alu instid0(VALU_DEP_1) | instskip(NEXT) | instid1(VALU_DEP_1)
	v_add_nc_u64_e32 v[18:19], v[56:57], v[18:19]
	v_add_nc_u64_e32 v[58:59], -1, v[18:19]
; %bb.5876:                             ;   in Loop: Header=BB2_5193 Depth=3
	s_or_b32 exec_lo, exec_lo, s77
	v_dual_mov_b32 v57, v3 :: v_dual_add_nc_u32 v18, 0xffffff81, v61
	v_lshrrev_b32_e32 v19, 23, v56
	s_mov_b32 s14, exec_lo
	s_delay_alu instid0(VALU_DEP_2) | instskip(NEXT) | instid1(VALU_DEP_1)
	v_cndmask_b32_e64 v18, v18, 0xffffff82, vcc_lo
	v_add3_u32 v59, v91, v18, v19
	v_and_b32_e32 v18, 0x1fffff, v58
                                        ; implicit-def: $vgpr58
	s_delay_alu instid0(VALU_DEP_1) | instskip(NEXT) | instid1(VALU_DEP_1)
	v_dual_add_nc_u32 v61, 14, v59 :: v_dual_add_nc_u32 v56, v18, v56
	v_cmpx_ne_u32_e32 0, v61
	s_xor_b32 s14, exec_lo, s14
; %bb.5877:                             ;   in Loop: Header=BB2_5193 Depth=3
	s_delay_alu instid0(VALU_DEP_2) | instskip(SKIP_1) | instid1(VALU_DEP_1)
	v_cmp_lt_u64_e32 vcc_lo, 0xffffff, v[56:57]
	v_add_nc_u32_e32 v18, 15, v59
	v_cndmask_b32_e32 v58, v61, v18, vcc_lo
	v_cndmask_b32_e64 v18, 0, 1, vcc_lo
	s_delay_alu instid0(VALU_DEP_1)
	v_lshrrev_b64 v[56:57], v18, v[56:57]
; %bb.5878:                             ;   in Loop: Header=BB2_5193 Depth=3
	s_and_not1_saveexec_b32 s14, s14
; %bb.5879:                             ;   in Loop: Header=BB2_5193 Depth=3
	s_delay_alu instid0(VALU_DEP_1)
	v_bfe_u32 v58, v56, 23, 1
; %bb.5880:                             ;   in Loop: Header=BB2_5193 Depth=3
	s_or_b32 exec_lo, exec_lo, s14
	s_delay_alu instid0(VALU_DEP_2) | instskip(NEXT) | instid1(VALU_DEP_2)
	v_lshrrev_b64 v[18:19], 21, v[56:57]
	v_cmp_gt_i32_e32 vcc_lo, 32, v58
	v_min_i32_e32 v56, 31, v58
	v_cmp_eq_u32_e64 s14, 0, v58
	s_delay_alu instid0(VALU_DEP_2) | instskip(SKIP_1) | instid1(VALU_DEP_2)
	v_dual_cndmask_b32 v19, 0, v19 :: v_dual_lshlrev_b32 v56, 2, v56
	v_cndmask_b32_e32 v18, 3, v18, vcc_lo
	v_and_b32_e32 v56, 0xfc, v56
	s_delay_alu instid0(VALU_DEP_2) | instskip(NEXT) | instid1(VALU_DEP_2)
	v_cmp_eq_u64_e32 vcc_lo, 0, v[18:19]
	v_and_or_b32 v18, v18, 3, v56
	s_and_b32 s14, s14, vcc_lo
	s_delay_alu instid0(VALU_DEP_1) | instid1(SALU_CYCLE_1)
	v_cndmask_b32_e64 v18, v18, 0, s14
	s_delay_alu instid0(VALU_DEP_1)
	v_or_b32_e32 v61, v18, v30
.LBB2_5881:                             ;   in Loop: Header=BB2_5193 Depth=3
	s_or_b32 exec_lo, exec_lo, s43
                                        ; implicit-def: $vgpr30
.LBB2_5882:                             ;   in Loop: Header=BB2_5193 Depth=3
	s_and_not1_saveexec_b32 s14, s42
; %bb.5883:                             ;   in Loop: Header=BB2_5193 Depth=3
	v_or_b32_e32 v61, 0x7b, v30
; %bb.5884:                             ;   in Loop: Header=BB2_5193 Depth=3
	s_or_b32 exec_lo, exec_lo, s14
                                        ; implicit-def: $vgpr58
                                        ; implicit-def: $vgpr56_vgpr57
                                        ; implicit-def: $vgpr30
.LBB2_5885:                             ;   in Loop: Header=BB2_5193 Depth=3
	s_and_not1_saveexec_b32 s14, s15
	s_cbranch_execz .LBB2_5891
; %bb.5886:                             ;   in Loop: Header=BB2_5193 Depth=3
	s_mov_b32 s15, exec_lo
                                        ; implicit-def: $vgpr61
	v_cmpx_ne_u64_e32 0, v[56:57]
	s_xor_b32 s15, exec_lo, s15
; %bb.5887:                             ;   in Loop: Header=BB2_5193 Depth=3
	v_or_b32_e32 v61, 0x7f, v30
                                        ; implicit-def: $vgpr58
; %bb.5888:                             ;   in Loop: Header=BB2_5193 Depth=3
	s_and_not1_saveexec_b32 s15, s15
; %bb.5889:                             ;   in Loop: Header=BB2_5193 Depth=3
	v_cmp_lt_i32_e32 vcc_lo, -1, v58
	v_cndmask_b32_e32 v61, 0xfc, v120, vcc_lo
; %bb.5890:                             ;   in Loop: Header=BB2_5193 Depth=3
	s_or_b32 exec_lo, exec_lo, s15
.LBB2_5891:                             ;   in Loop: Header=BB2_5193 Depth=3
	s_delay_alu instid0(SALU_CYCLE_1) | instskip(SKIP_2) | instid1(VALU_DEP_1)
	s_or_b32 exec_lo, exec_lo, s14
	v_dual_lshrrev_b32 v30, 16, v2 :: v_dual_mov_b32 v56, 0
	s_mov_b32 s14, exec_lo
	v_and_b32_e32 v57, 0xff, v30
	s_delay_alu instid0(VALU_DEP_1)
	v_cmpx_ne_u16_e32 0, v57
	s_cbranch_execz .LBB2_5901
; %bb.5892:                             ;   in Loop: Header=BB2_5193 Depth=3
	v_bfrev_b32_e32 v56, 1
	s_mov_b32 s15, exec_lo
	v_cmpx_ne_u16_e32 0x80, v57
	s_cbranch_execz .LBB2_5900
; %bb.5893:                             ;   in Loop: Header=BB2_5193 Depth=3
	v_and_b32_e32 v18, 0x7c0000, v2
	v_bfe_u32 v57, v2, 16, 2
	s_mov_b32 s42, exec_lo
                                        ; implicit-def: $vgpr56
	s_delay_alu instid0(VALU_DEP_2)
	v_cmpx_ne_u32_e32 0x7c0000, v18
	s_xor_b32 s42, exec_lo, s42
	s_cbranch_execz .LBB2_5897
; %bb.5894:                             ;   in Loop: Header=BB2_5193 Depth=3
	v_bfe_u32 v56, v2, 18, 5
	s_mov_b32 s43, exec_lo
	s_delay_alu instid0(VALU_DEP_1)
	v_cmpx_eq_u32_e32 0, v56
; %bb.5895:                             ;   in Loop: Header=BB2_5193 Depth=3
	v_clz_i32_u32_e32 v18, v57
	s_delay_alu instid0(VALU_DEP_1) | instskip(NEXT) | instid1(VALU_DEP_1)
	v_min_u32_e32 v56, 32, v18
	v_subrev_nc_u32_e32 v18, 29, v56
	s_delay_alu instid0(VALU_DEP_1) | instskip(NEXT) | instid1(VALU_DEP_1)
	v_lshlrev_b64_e32 v[18:19], v18, v[30:31]
	v_dual_sub_nc_u32 v56, 30, v56 :: v_dual_bitop2_b32 v57, 3, v18 bitop3:0x40
; %bb.5896:                             ;   in Loop: Header=BB2_5193 Depth=3
	s_or_b32 exec_lo, exec_lo, s43
	v_lshlrev_b32_e32 v18, 24, v30
                                        ; implicit-def: $vgpr30
	s_delay_alu instid0(VALU_DEP_1) | instskip(NEXT) | instid1(VALU_DEP_1)
	v_and_b32_e32 v18, 0x80000000, v18
	v_lshl_add_u32 v18, v56, 23, v18
	s_delay_alu instid0(VALU_DEP_1) | instskip(NEXT) | instid1(VALU_DEP_1)
	v_lshl_or_b32 v18, v57, 21, v18
                                        ; implicit-def: $vgpr57
	v_add_nc_u32_e32 v56, 0x38000000, v18
.LBB2_5897:                             ;   in Loop: Header=BB2_5193 Depth=3
	s_and_not1_saveexec_b32 s42, s42
; %bb.5898:                             ;   in Loop: Header=BB2_5193 Depth=3
	v_bfe_i32 v18, v30, 0, 8
	s_delay_alu instid0(VALU_DEP_1) | instskip(SKIP_2) | instid1(VALU_DEP_2)
	v_cmp_lt_i16_e32 vcc_lo, -1, v18
	v_cndmask_b32_e32 v18, 0xff800000, v111, vcc_lo
	v_cmp_eq_u32_e32 vcc_lo, 0, v57
	v_cndmask_b32_e32 v56, 0x7f800001, v18, vcc_lo
; %bb.5899:                             ;   in Loop: Header=BB2_5193 Depth=3
	s_or_b32 exec_lo, exec_lo, s42
.LBB2_5900:                             ;   in Loop: Header=BB2_5193 Depth=3
	s_delay_alu instid0(SALU_CYCLE_1)
	s_or_b32 exec_lo, exec_lo, s15
.LBB2_5901:                             ;   in Loop: Header=BB2_5193 Depth=3
	s_delay_alu instid0(SALU_CYCLE_1) | instskip(SKIP_3) | instid1(VALU_DEP_1)
	s_or_b32 exec_lo, exec_lo, s14
	v_lshrrev_b32_e32 v30, 16, v9
	s_mov_b32 s15, 0
	s_mov_b32 s14, exec_lo
	v_and_b32_e32 v58, 0xff, v30
	s_delay_alu instid0(VALU_DEP_1)
	v_cmpx_lt_i16_e32 0x7f, v58
	s_xor_b32 s14, exec_lo, s14
	s_cbranch_execz .LBB2_6246
; %bb.5902:                             ;   in Loop: Header=BB2_5193 Depth=3
	s_mov_b32 s15, -1
	s_mov_b32 s42, exec_lo
	v_cmpx_eq_u16_e32 0x80, v58
; %bb.5903:                             ;   in Loop: Header=BB2_5193 Depth=3
	s_xor_b32 s15, exec_lo, -1
; %bb.5904:                             ;   in Loop: Header=BB2_5193 Depth=3
	s_or_b32 exec_lo, exec_lo, s42
	s_delay_alu instid0(SALU_CYCLE_1)
	s_and_b32 s15, s15, exec_lo
                                        ; implicit-def: $vgpr58
	s_or_saveexec_b32 s14, s14
	v_bfrev_b32_e32 v57, 1
	s_xor_b32 exec_lo, exec_lo, s14
	s_cbranch_execnz .LBB2_6247
.LBB2_5905:                             ;   in Loop: Header=BB2_5193 Depth=3
	s_or_b32 exec_lo, exec_lo, s14
	s_and_saveexec_b32 s14, s15
	s_cbranch_execz .LBB2_5907
.LBB2_5906:                             ;   in Loop: Header=BB2_5193 Depth=3
	v_and_b32_e32 v57, 3, v30
	v_bfe_u32 v59, v9, 18, 5
	s_delay_alu instid0(VALU_DEP_2) | instskip(NEXT) | instid1(VALU_DEP_2)
	v_clz_i32_u32_e32 v18, v57
	v_cmp_eq_u32_e32 vcc_lo, 0, v59
	s_delay_alu instid0(VALU_DEP_2) | instskip(NEXT) | instid1(VALU_DEP_1)
	v_min_u32_e32 v58, 32, v18
	v_subrev_nc_u32_e32 v18, 29, v58
	v_sub_nc_u32_e32 v58, 30, v58
	s_delay_alu instid0(VALU_DEP_2) | instskip(SKIP_1) | instid1(VALU_DEP_3)
	v_lshlrev_b64_e32 v[18:19], v18, v[30:31]
	v_lshlrev_b32_e32 v19, 24, v30
	v_cndmask_b32_e32 v58, v59, v58, vcc_lo
	v_bfe_i32 v30, v30, 0, 8
	s_delay_alu instid0(VALU_DEP_3) | instskip(SKIP_1) | instid1(VALU_DEP_2)
	v_and_b32_e32 v19, 0x80000000, v19
	v_and_b32_e32 v18, 3, v18
	v_lshl_add_u32 v19, v58, 23, v19
	s_delay_alu instid0(VALU_DEP_2) | instskip(SKIP_1) | instid1(VALU_DEP_2)
	v_cndmask_b32_e32 v18, v57, v18, vcc_lo
	v_cmp_lt_i16_e32 vcc_lo, -1, v30
	v_lshl_or_b32 v18, v18, 21, v19
	v_cndmask_b32_e32 v30, 0xff800000, v111, vcc_lo
	v_and_b32_e32 v19, 0x7c0000, v9
	v_cmp_eq_u32_e32 vcc_lo, 0, v57
	s_delay_alu instid0(VALU_DEP_4) | instskip(NEXT) | instid1(VALU_DEP_4)
	v_add_nc_u32_e32 v18, 0x38000000, v18
	v_cndmask_b32_e32 v30, 0x7f800001, v30, vcc_lo
	s_delay_alu instid0(VALU_DEP_4) | instskip(NEXT) | instid1(VALU_DEP_2)
	v_cmp_eq_u32_e32 vcc_lo, 0x7c0000, v19
	v_cndmask_b32_e32 v57, v18, v30, vcc_lo
.LBB2_5907:                             ;   in Loop: Header=BB2_5193 Depth=3
	s_or_b32 exec_lo, exec_lo, s14
	s_delay_alu instid0(VALU_DEP_1) | instskip(SKIP_2) | instid1(VALU_DEP_2)
	v_dual_add_f32 v58, v56, v57 :: v_dual_mov_b32 v19, v3
	v_mov_b32_e32 v57, v3
                                        ; implicit-def: $vgpr91
	s_mov_b32 s14, exec_lo
	v_and_b32_e32 v18, 0x7f800000, v58
	v_and_b32_e32 v56, 0x7fffff, v58
	v_lshrrev_b32_e32 v30, 24, v58
	s_delay_alu instid0(VALU_DEP_3)
	v_cmpx_ne_u64_e32 0x7f800000, v[18:19]
	s_xor_b32 s15, exec_lo, s14
	s_cbranch_execz .LBB2_5921
; %bb.5908:                             ;   in Loop: Header=BB2_5193 Depth=3
	v_and_b32_e32 v18, 0x7fffffff, v58
	v_mov_b32_e32 v19, v3
	v_and_b32_e32 v30, 0x80, v30
                                        ; implicit-def: $vgpr91
	s_mov_b32 s14, exec_lo
	s_delay_alu instid0(VALU_DEP_2)
	v_cmpx_gt_u64_e32 0x47600001, v[18:19]
	s_xor_b32 s42, exec_lo, s14
	s_cbranch_execz .LBB2_5918
; %bb.5909:                             ;   in Loop: Header=BB2_5193 Depth=3
	v_mov_b32_e32 v91, 0
	s_mov_b32 s43, exec_lo
	v_cmpx_ne_u32_e32 0, v58
	s_cbranch_execz .LBB2_5917
; %bb.5910:                             ;   in Loop: Header=BB2_5193 Depth=3
	v_bfe_u32 v91, v58, 23, 8
	v_or_b32_e32 v58, 0x800000, v56
	s_delay_alu instid0(VALU_DEP_2) | instskip(SKIP_1) | instid1(VALU_DEP_2)
	v_sub_nc_u32_e32 v18, 0x71, v91
	v_cmp_gt_u32_e32 vcc_lo, 0x72, v91
	v_cndmask_b32_e32 v18, 0, v18, vcc_lo
	v_cmp_eq_u32_e32 vcc_lo, 0, v91
	s_delay_alu instid0(VALU_DEP_2) | instskip(SKIP_1) | instid1(VALU_DEP_2)
	v_cndmask_b32_e64 v92, v18, 0x70, vcc_lo
	v_cndmask_b32_e32 v56, v58, v56, vcc_lo
	v_dual_add_nc_u32 v18, 21, v92 :: v_dual_add_nc_u32 v59, 20, v92
	s_delay_alu instid0(VALU_DEP_1) | instskip(NEXT) | instid1(VALU_DEP_2)
	v_lshlrev_b64_e64 v[18:19], v18, -1
	v_lshlrev_b64_e64 v[58:59], v59, 1
	s_delay_alu instid0(VALU_DEP_2) | instskip(SKIP_1) | instid1(VALU_DEP_4)
	v_bfi_b32 v18, v18, 0, v56
	v_lshrrev_b64 v[56:57], v92, v[56:57]
	v_bfi_b32 v19, v19, 0, 0
	s_delay_alu instid0(VALU_DEP_1) | instskip(NEXT) | instid1(VALU_DEP_3)
	v_cmp_eq_u64_e64 s14, v[18:19], v[58:59]
	v_mov_b64_e32 v[58:59], v[56:57]
	s_and_saveexec_b32 s77, s14
; %bb.5911:                             ;   in Loop: Header=BB2_5193 Depth=3
	v_bfe_u32 v18, v56, 21, 1
	v_mov_b32_e32 v19, v3
	s_delay_alu instid0(VALU_DEP_1) | instskip(NEXT) | instid1(VALU_DEP_1)
	v_add_nc_u64_e32 v[18:19], v[56:57], v[18:19]
	v_add_nc_u64_e32 v[58:59], -1, v[18:19]
; %bb.5912:                             ;   in Loop: Header=BB2_5193 Depth=3
	s_or_b32 exec_lo, exec_lo, s77
	v_dual_mov_b32 v57, v3 :: v_dual_add_nc_u32 v18, 0xffffff81, v91
	v_lshrrev_b32_e32 v19, 23, v56
	s_mov_b32 s14, exec_lo
	s_delay_alu instid0(VALU_DEP_2) | instskip(NEXT) | instid1(VALU_DEP_1)
	v_cndmask_b32_e64 v18, v18, 0xffffff82, vcc_lo
	v_add3_u32 v59, v92, v18, v19
	v_and_b32_e32 v18, 0x1fffff, v58
                                        ; implicit-def: $vgpr58
	s_delay_alu instid0(VALU_DEP_1) | instskip(NEXT) | instid1(VALU_DEP_1)
	v_dual_add_nc_u32 v91, 14, v59 :: v_dual_add_nc_u32 v56, v18, v56
	v_cmpx_ne_u32_e32 0, v91
	s_xor_b32 s14, exec_lo, s14
; %bb.5913:                             ;   in Loop: Header=BB2_5193 Depth=3
	s_delay_alu instid0(VALU_DEP_2) | instskip(SKIP_1) | instid1(VALU_DEP_1)
	v_cmp_lt_u64_e32 vcc_lo, 0xffffff, v[56:57]
	v_add_nc_u32_e32 v18, 15, v59
	v_cndmask_b32_e32 v58, v91, v18, vcc_lo
	v_cndmask_b32_e64 v18, 0, 1, vcc_lo
	s_delay_alu instid0(VALU_DEP_1)
	v_lshrrev_b64 v[56:57], v18, v[56:57]
; %bb.5914:                             ;   in Loop: Header=BB2_5193 Depth=3
	s_and_not1_saveexec_b32 s14, s14
; %bb.5915:                             ;   in Loop: Header=BB2_5193 Depth=3
	s_delay_alu instid0(VALU_DEP_1)
	v_bfe_u32 v58, v56, 23, 1
; %bb.5916:                             ;   in Loop: Header=BB2_5193 Depth=3
	s_or_b32 exec_lo, exec_lo, s14
	s_delay_alu instid0(VALU_DEP_2) | instskip(NEXT) | instid1(VALU_DEP_2)
	v_lshrrev_b64 v[18:19], 21, v[56:57]
	v_cmp_gt_i32_e32 vcc_lo, 32, v58
	v_min_i32_e32 v56, 31, v58
	v_cmp_eq_u32_e64 s14, 0, v58
	s_delay_alu instid0(VALU_DEP_2) | instskip(SKIP_1) | instid1(VALU_DEP_2)
	v_dual_cndmask_b32 v19, 0, v19 :: v_dual_lshlrev_b32 v56, 2, v56
	v_cndmask_b32_e32 v18, 3, v18, vcc_lo
	v_and_b32_e32 v56, 0xfc, v56
	s_delay_alu instid0(VALU_DEP_2) | instskip(NEXT) | instid1(VALU_DEP_2)
	v_cmp_eq_u64_e32 vcc_lo, 0, v[18:19]
	v_and_or_b32 v18, v18, 3, v56
	s_and_b32 s14, s14, vcc_lo
	s_delay_alu instid0(VALU_DEP_1) | instid1(SALU_CYCLE_1)
	v_cndmask_b32_e64 v18, v18, 0, s14
	s_delay_alu instid0(VALU_DEP_1)
	v_or_b32_e32 v91, v18, v30
.LBB2_5917:                             ;   in Loop: Header=BB2_5193 Depth=3
	s_or_b32 exec_lo, exec_lo, s43
                                        ; implicit-def: $vgpr30
.LBB2_5918:                             ;   in Loop: Header=BB2_5193 Depth=3
	s_and_not1_saveexec_b32 s14, s42
; %bb.5919:                             ;   in Loop: Header=BB2_5193 Depth=3
	v_or_b32_e32 v91, 0x7b, v30
; %bb.5920:                             ;   in Loop: Header=BB2_5193 Depth=3
	s_or_b32 exec_lo, exec_lo, s14
                                        ; implicit-def: $vgpr58
                                        ; implicit-def: $vgpr56_vgpr57
                                        ; implicit-def: $vgpr30
.LBB2_5921:                             ;   in Loop: Header=BB2_5193 Depth=3
	s_and_not1_saveexec_b32 s14, s15
	s_cbranch_execz .LBB2_5927
; %bb.5922:                             ;   in Loop: Header=BB2_5193 Depth=3
	s_mov_b32 s15, exec_lo
                                        ; implicit-def: $vgpr91
	v_cmpx_ne_u64_e32 0, v[56:57]
	s_xor_b32 s15, exec_lo, s15
; %bb.5923:                             ;   in Loop: Header=BB2_5193 Depth=3
	v_or_b32_e32 v91, 0x7f, v30
                                        ; implicit-def: $vgpr58
; %bb.5924:                             ;   in Loop: Header=BB2_5193 Depth=3
	s_and_not1_saveexec_b32 s15, s15
; %bb.5925:                             ;   in Loop: Header=BB2_5193 Depth=3
	v_cmp_lt_i32_e32 vcc_lo, -1, v58
	v_cndmask_b32_e32 v91, 0xfc, v120, vcc_lo
; %bb.5926:                             ;   in Loop: Header=BB2_5193 Depth=3
	s_or_b32 exec_lo, exec_lo, s15
.LBB2_5927:                             ;   in Loop: Header=BB2_5193 Depth=3
	s_delay_alu instid0(SALU_CYCLE_1)
	s_or_b32 exec_lo, exec_lo, s14
	v_mov_b32_e32 v56, 0
	s_mov_b32 s14, exec_lo
	v_cmpx_lt_u32_e32 0xffffff, v2
	s_cbranch_execz .LBB2_5937
; %bb.5928:                             ;   in Loop: Header=BB2_5193 Depth=3
	v_lshrrev_b32_e32 v30, 24, v2
	v_bfrev_b32_e32 v56, 1
	s_mov_b32 s15, exec_lo
	s_delay_alu instid0(VALU_DEP_2)
	v_cmpx_ne_u32_e32 0x80, v30
	s_cbranch_execz .LBB2_5936
; %bb.5929:                             ;   in Loop: Header=BB2_5193 Depth=3
	v_and_b32_e32 v18, 0x7c000000, v2
	v_bfe_u32 v57, v2, 24, 2
	s_mov_b32 s42, exec_lo
                                        ; implicit-def: $vgpr56
	s_delay_alu instid0(VALU_DEP_2)
	v_cmpx_ne_u32_e32 0x7c000000, v18
	s_xor_b32 s42, exec_lo, s42
	s_cbranch_execz .LBB2_5933
; %bb.5930:                             ;   in Loop: Header=BB2_5193 Depth=3
	v_bfe_u32 v56, v2, 26, 5
	s_mov_b32 s43, exec_lo
	s_delay_alu instid0(VALU_DEP_1)
	v_cmpx_eq_u32_e32 0, v56
; %bb.5931:                             ;   in Loop: Header=BB2_5193 Depth=3
	v_clz_i32_u32_e32 v18, v57
	s_delay_alu instid0(VALU_DEP_1) | instskip(NEXT) | instid1(VALU_DEP_1)
	v_min_u32_e32 v56, 32, v18
	v_subrev_nc_u32_e32 v18, 29, v56
	s_delay_alu instid0(VALU_DEP_1) | instskip(NEXT) | instid1(VALU_DEP_1)
	v_lshlrev_b64_e32 v[18:19], v18, v[30:31]
	v_dual_sub_nc_u32 v56, 30, v56 :: v_dual_bitop2_b32 v57, 3, v18 bitop3:0x40
; %bb.5932:                             ;   in Loop: Header=BB2_5193 Depth=3
	s_or_b32 exec_lo, exec_lo, s43
	v_and_b32_e32 v2, 0x80000000, v2
	s_delay_alu instid0(VALU_DEP_1) | instskip(NEXT) | instid1(VALU_DEP_1)
	v_lshl_add_u32 v2, v56, 23, v2
	v_lshl_or_b32 v2, v57, 21, v2
                                        ; implicit-def: $vgpr57
	s_delay_alu instid0(VALU_DEP_1)
	v_add_nc_u32_e32 v56, 0x38000000, v2
.LBB2_5933:                             ;   in Loop: Header=BB2_5193 Depth=3
	s_and_not1_saveexec_b32 s42, s42
; %bb.5934:                             ;   in Loop: Header=BB2_5193 Depth=3
	v_cmp_lt_i32_e32 vcc_lo, -1, v2
	v_cndmask_b32_e32 v2, 0xff800000, v111, vcc_lo
	v_cmp_eq_u32_e32 vcc_lo, 0, v57
	s_delay_alu instid0(VALU_DEP_2)
	v_cndmask_b32_e32 v56, 0x7f800001, v2, vcc_lo
; %bb.5935:                             ;   in Loop: Header=BB2_5193 Depth=3
	s_or_b32 exec_lo, exec_lo, s42
.LBB2_5936:                             ;   in Loop: Header=BB2_5193 Depth=3
	s_delay_alu instid0(SALU_CYCLE_1)
	s_or_b32 exec_lo, exec_lo, s15
.LBB2_5937:                             ;   in Loop: Header=BB2_5193 Depth=3
	s_delay_alu instid0(SALU_CYCLE_1) | instskip(SKIP_3) | instid1(VALU_DEP_2)
	s_or_b32 exec_lo, exec_lo, s14
	v_bfe_u32 v30, v9, 24, 2
	v_bfe_u32 v58, v9, 26, 5
	s_mov_b32 s14, exec_lo
	v_clz_i32_u32_e32 v2, v30
	s_delay_alu instid0(VALU_DEP_2) | instskip(NEXT) | instid1(VALU_DEP_2)
	v_cmp_eq_u32_e32 vcc_lo, 0, v58
	v_min_u32_e32 v57, 32, v2
	v_lshrrev_b32_e32 v2, 24, v9
	s_delay_alu instid0(VALU_DEP_2) | instskip(NEXT) | instid1(VALU_DEP_1)
	v_subrev_nc_u32_e32 v18, 29, v57
	v_lshlrev_b64_e32 v[18:19], v18, v[2:3]
	v_sub_nc_u32_e32 v19, 30, v57
	v_and_b32_e32 v57, 0x80000000, v9
	s_delay_alu instid0(VALU_DEP_2) | instskip(NEXT) | instid1(VALU_DEP_1)
	v_dual_cndmask_b32 v19, v58, v19, vcc_lo :: v_dual_bitop2_b32 v18, 3, v18 bitop3:0x40
	v_cndmask_b32_e32 v18, v30, v18, vcc_lo
	v_cmp_lt_i64_e32 vcc_lo, -1, v[8:9]
	s_delay_alu instid0(VALU_DEP_3) | instskip(NEXT) | instid1(VALU_DEP_1)
	v_lshl_add_u32 v19, v19, 23, v57
	v_lshl_or_b32 v18, v18, 21, v19
	v_cndmask_b32_e32 v57, 0xff800000, v111, vcc_lo
	v_and_b32_e32 v19, 0x7c000000, v9
	v_cmp_eq_u32_e32 vcc_lo, 0, v30
	s_delay_alu instid0(VALU_DEP_4) | instskip(NEXT) | instid1(VALU_DEP_4)
	v_add_nc_u32_e32 v18, 0x38000000, v18
	v_cndmask_b32_e32 v30, 0x7f800001, v57, vcc_lo
	s_delay_alu instid0(VALU_DEP_4) | instskip(NEXT) | instid1(VALU_DEP_2)
	v_cmp_eq_u32_e32 vcc_lo, 0x7c000000, v19
	v_dual_mov_b32 v19, v3 :: v_dual_cndmask_b32 v18, v18, v30
	v_cmp_ne_u32_e32 vcc_lo, 0x80, v2
                                        ; implicit-def: $vgpr30
	s_delay_alu instid0(VALU_DEP_2) | instskip(SKIP_1) | instid1(VALU_DEP_2)
	v_cndmask_b32_e32 v2, 0x80000000, v18, vcc_lo
	v_cmp_lt_u64_e32 vcc_lo, s[22:23], v[8:9]
	v_cndmask_b32_e32 v2, 0, v2, vcc_lo
	s_delay_alu instid0(VALU_DEP_1) | instskip(NEXT) | instid1(VALU_DEP_1)
	v_add_f32_e32 v8, v2, v56
	v_and_b32_e32 v18, 0x7f800000, v8
	v_and_b32_e32 v2, 0x7fffff, v8
	v_lshrrev_b32_e32 v9, 24, v8
	s_delay_alu instid0(VALU_DEP_3)
	v_cmpx_ne_u64_e32 0x7f800000, v[18:19]
	s_xor_b32 s15, exec_lo, s14
	s_cbranch_execz .LBB2_5951
; %bb.5938:                             ;   in Loop: Header=BB2_5193 Depth=3
	v_and_b32_e32 v18, 0x7fffffff, v8
	v_mov_b32_e32 v19, v3
	v_and_b32_e32 v58, 0x80, v9
                                        ; implicit-def: $vgpr30
	s_mov_b32 s14, exec_lo
	s_delay_alu instid0(VALU_DEP_2)
	v_cmpx_gt_u64_e32 0x47600001, v[18:19]
	s_xor_b32 s42, exec_lo, s14
	s_cbranch_execz .LBB2_5948
; %bb.5939:                             ;   in Loop: Header=BB2_5193 Depth=3
	v_mov_b32_e32 v30, 0
	s_mov_b32 s43, exec_lo
	v_cmpx_ne_u32_e32 0, v8
	s_cbranch_execz .LBB2_5947
; %bb.5940:                             ;   in Loop: Header=BB2_5193 Depth=3
	v_bfe_u32 v30, v8, 23, 8
	v_or_b32_e32 v18, 0x800000, v2
	s_delay_alu instid0(VALU_DEP_2) | instskip(SKIP_1) | instid1(VALU_DEP_2)
	v_dual_mov_b32 v19, v3 :: v_dual_sub_nc_u32 v8, 0x71, v30
	v_cmp_gt_u32_e32 vcc_lo, 0x72, v30
	v_cndmask_b32_e32 v8, 0, v8, vcc_lo
	v_cmp_eq_u32_e32 vcc_lo, 0, v30
	s_delay_alu instid0(VALU_DEP_2) | instskip(NEXT) | instid1(VALU_DEP_1)
	v_cndmask_b32_e64 v59, v8, 0x70, vcc_lo
	v_dual_cndmask_b32 v18, v18, v2, vcc_lo :: v_dual_add_nc_u32 v8, 21, v59
	v_add_nc_u32_e32 v56, 20, v59
	s_delay_alu instid0(VALU_DEP_2) | instskip(NEXT) | instid1(VALU_DEP_2)
	v_lshlrev_b64_e64 v[8:9], v8, -1
	v_lshlrev_b64_e64 v[56:57], v56, 1
	s_delay_alu instid0(VALU_DEP_2) | instskip(NEXT) | instid1(VALU_DEP_3)
	v_bfi_b32 v93, v9, 0, 0
	v_bfi_b32 v92, v8, 0, v18
	v_lshrrev_b64 v[8:9], v59, v[18:19]
	s_delay_alu instid0(VALU_DEP_2) | instskip(NEXT) | instid1(VALU_DEP_2)
	v_cmp_eq_u64_e64 s14, v[92:93], v[56:57]
	v_mov_b64_e32 v[56:57], v[8:9]
	s_and_saveexec_b32 s77, s14
; %bb.5941:                             ;   in Loop: Header=BB2_5193 Depth=3
	v_bfe_u32 v18, v8, 21, 1
	v_mov_b32_e32 v19, v3
	s_delay_alu instid0(VALU_DEP_1) | instskip(NEXT) | instid1(VALU_DEP_1)
	v_add_nc_u64_e32 v[18:19], v[8:9], v[18:19]
	v_add_nc_u64_e32 v[56:57], -1, v[18:19]
; %bb.5942:                             ;   in Loop: Header=BB2_5193 Depth=3
	s_or_b32 exec_lo, exec_lo, s77
	v_add_nc_u32_e32 v2, 0xffffff81, v30
	s_delay_alu instid0(VALU_DEP_2) | instskip(SKIP_2) | instid1(VALU_DEP_3)
	v_and_b32_e32 v18, 0x1fffff, v56
	v_lshrrev_b32_e32 v9, 23, v8
	s_mov_b32 s14, exec_lo
                                        ; implicit-def: $vgpr30
	v_cndmask_b32_e64 v2, v2, 0xffffff82, vcc_lo
	s_delay_alu instid0(VALU_DEP_1) | instskip(SKIP_1) | instid1(VALU_DEP_2)
	v_add3_u32 v56, v59, v2, v9
	v_add_nc_u32_e32 v2, v18, v8
                                        ; implicit-def: $vgpr8_vgpr9
	v_add_nc_u32_e32 v57, 14, v56
	s_delay_alu instid0(VALU_DEP_1)
	v_cmpx_ne_u32_e32 0, v57
	s_xor_b32 s14, exec_lo, s14
; %bb.5943:                             ;   in Loop: Header=BB2_5193 Depth=3
	s_delay_alu instid0(VALU_DEP_3) | instskip(SKIP_1) | instid1(VALU_DEP_1)
	v_cmp_lt_u64_e32 vcc_lo, 0xffffff, v[2:3]
	v_add_nc_u32_e32 v8, 15, v56
	v_cndmask_b32_e32 v30, v57, v8, vcc_lo
	v_cndmask_b32_e64 v8, 0, 1, vcc_lo
	s_delay_alu instid0(VALU_DEP_1)
	v_lshrrev_b64 v[8:9], v8, v[2:3]
; %bb.5944:                             ;   in Loop: Header=BB2_5193 Depth=3
	s_and_not1_saveexec_b32 s14, s14
; %bb.5945:                             ;   in Loop: Header=BB2_5193 Depth=3
	v_mov_b64_e32 v[8:9], v[2:3]
	v_bfe_u32 v30, v2, 23, 1
; %bb.5946:                             ;   in Loop: Header=BB2_5193 Depth=3
	s_or_b32 exec_lo, exec_lo, s14
	s_delay_alu instid0(VALU_DEP_2) | instskip(NEXT) | instid1(VALU_DEP_2)
	v_lshrrev_b64 v[8:9], 21, v[8:9]
	v_cmp_gt_i32_e32 vcc_lo, 32, v30
	v_min_i32_e32 v2, 31, v30
	v_cmp_eq_u32_e64 s14, 0, v30
	s_delay_alu instid0(VALU_DEP_2) | instskip(SKIP_1) | instid1(VALU_DEP_2)
	v_dual_cndmask_b32 v9, 0, v9 :: v_dual_lshlrev_b32 v2, 2, v2
	v_cndmask_b32_e32 v8, 3, v8, vcc_lo
	v_and_b32_e32 v2, 0xfc, v2
	s_delay_alu instid0(VALU_DEP_2) | instskip(NEXT) | instid1(VALU_DEP_2)
	v_cmp_eq_u64_e32 vcc_lo, 0, v[8:9]
	v_and_or_b32 v2, v8, 3, v2
	s_and_b32 s14, s14, vcc_lo
	s_delay_alu instid0(VALU_DEP_1) | instid1(SALU_CYCLE_1)
	v_cndmask_b32_e64 v2, v2, 0, s14
	s_delay_alu instid0(VALU_DEP_1)
	v_or_b32_e32 v30, v2, v58
.LBB2_5947:                             ;   in Loop: Header=BB2_5193 Depth=3
	s_or_b32 exec_lo, exec_lo, s43
                                        ; implicit-def: $vgpr58
.LBB2_5948:                             ;   in Loop: Header=BB2_5193 Depth=3
	s_and_not1_saveexec_b32 s14, s42
; %bb.5949:                             ;   in Loop: Header=BB2_5193 Depth=3
	v_or_b32_e32 v30, 0x7b, v58
; %bb.5950:                             ;   in Loop: Header=BB2_5193 Depth=3
	s_or_b32 exec_lo, exec_lo, s14
                                        ; implicit-def: $vgpr8
                                        ; implicit-def: $vgpr9
.LBB2_5951:                             ;   in Loop: Header=BB2_5193 Depth=3
	s_and_not1_saveexec_b32 s14, s15
	s_cbranch_execz .LBB2_5957
; %bb.5952:                             ;   in Loop: Header=BB2_5193 Depth=3
	s_mov_b32 s15, exec_lo
                                        ; implicit-def: $vgpr30
	v_cmpx_ne_u64_e32 0, v[2:3]
	s_xor_b32 s15, exec_lo, s15
; %bb.5953:                             ;   in Loop: Header=BB2_5193 Depth=3
	v_or_b32_e32 v30, 0x7f, v9
                                        ; implicit-def: $vgpr8
; %bb.5954:                             ;   in Loop: Header=BB2_5193 Depth=3
	s_and_not1_saveexec_b32 s15, s15
; %bb.5955:                             ;   in Loop: Header=BB2_5193 Depth=3
	v_cmp_lt_i32_e32 vcc_lo, -1, v8
	v_cndmask_b32_e32 v30, 0xfc, v120, vcc_lo
; %bb.5956:                             ;   in Loop: Header=BB2_5193 Depth=3
	s_or_b32 exec_lo, exec_lo, s15
.LBB2_5957:                             ;   in Loop: Header=BB2_5193 Depth=3
	s_delay_alu instid0(SALU_CYCLE_1) | instskip(SKIP_3) | instid1(VALU_DEP_1)
	s_or_b32 exec_lo, exec_lo, s14
	v_lshl_or_b32 v58, v78, 8, v74
	v_dual_lshlrev_b32 v2, 16, v89 :: v_dual_lshlrev_b32 v8, 24, v90
	s_mov_b32 s14, exec_lo
	v_or3_b32 v2, v2, v8, v58
	v_mov_b32_e32 v8, 0
	v_cmpx_ne_u32_e32 0, v74
	s_cbranch_execz .LBB2_5967
; %bb.5958:                             ;   in Loop: Header=BB2_5193 Depth=3
	v_bfrev_b32_e32 v8, 1
	s_mov_b32 s15, exec_lo
	v_cmpx_ne_u32_e32 0x80, v74
	s_cbranch_execz .LBB2_5966
; %bb.5959:                             ;   in Loop: Header=BB2_5193 Depth=3
	v_and_b32_e32 v8, 0x7c, v74
	v_and_b32_e32 v9, 3, v74
	s_delay_alu instid0(VALU_DEP_2) | instskip(SKIP_1) | instid1(SALU_CYCLE_1)
	v_cmp_ne_u32_e32 vcc_lo, 0x7c, v8
                                        ; implicit-def: $vgpr8
	s_and_saveexec_b32 s42, vcc_lo
	s_xor_b32 s42, exec_lo, s42
	s_cbranch_execz .LBB2_5963
; %bb.5960:                             ;   in Loop: Header=BB2_5193 Depth=3
	v_bfe_u32 v8, v74, 2, 5
	s_mov_b32 s43, exec_lo
	s_delay_alu instid0(VALU_DEP_1)
	v_cmpx_eq_u32_e32 0, v8
; %bb.5961:                             ;   in Loop: Header=BB2_5193 Depth=3
	v_clz_i32_u32_e32 v8, v9
	s_delay_alu instid0(VALU_DEP_1) | instskip(NEXT) | instid1(VALU_DEP_1)
	v_min_u32_e32 v8, 32, v8
	v_subrev_nc_u32_e32 v9, 29, v8
	s_delay_alu instid0(VALU_DEP_1) | instskip(NEXT) | instid1(VALU_DEP_1)
	v_lshlrev_b64_e32 v[18:19], v9, v[2:3]
	v_dual_sub_nc_u32 v8, 30, v8 :: v_dual_bitop2_b32 v9, 3, v18 bitop3:0x40
; %bb.5962:                             ;   in Loop: Header=BB2_5193 Depth=3
	s_or_b32 exec_lo, exec_lo, s43
	v_lshlrev_b32_e32 v18, 24, v74
                                        ; implicit-def: $vgpr74
	s_delay_alu instid0(VALU_DEP_1) | instskip(NEXT) | instid1(VALU_DEP_1)
	v_and_b32_e32 v18, 0x80000000, v18
	v_lshl_add_u32 v8, v8, 23, v18
	s_delay_alu instid0(VALU_DEP_1) | instskip(NEXT) | instid1(VALU_DEP_1)
	v_lshl_or_b32 v8, v9, 21, v8
                                        ; implicit-def: $vgpr9
	v_add_nc_u32_e32 v8, 0x38000000, v8
.LBB2_5963:                             ;   in Loop: Header=BB2_5193 Depth=3
	s_and_not1_saveexec_b32 s42, s42
; %bb.5964:                             ;   in Loop: Header=BB2_5193 Depth=3
	v_and_b32_e32 v8, 0x80, v74
	s_delay_alu instid0(VALU_DEP_1) | instskip(SKIP_2) | instid1(VALU_DEP_2)
	v_cmp_eq_u32_e32 vcc_lo, 0, v8
	v_cndmask_b32_e32 v8, 0xff800000, v111, vcc_lo
	v_cmp_eq_u32_e32 vcc_lo, 0, v9
	v_cndmask_b32_e32 v8, 0x7f800001, v8, vcc_lo
; %bb.5965:                             ;   in Loop: Header=BB2_5193 Depth=3
	s_or_b32 exec_lo, exec_lo, s42
.LBB2_5966:                             ;   in Loop: Header=BB2_5193 Depth=3
	s_delay_alu instid0(SALU_CYCLE_1)
	s_or_b32 exec_lo, exec_lo, s15
.LBB2_5967:                             ;   in Loop: Header=BB2_5193 Depth=3
	s_delay_alu instid0(SALU_CYCLE_1) | instskip(SKIP_3) | instid1(VALU_DEP_1)
	s_or_b32 exec_lo, exec_lo, s14
	v_and_b32_e32 v56, 0xff, v10
	s_mov_b32 s15, 0
	s_mov_b32 s14, exec_lo
	v_cmpx_lt_i16_e32 0x7f, v56
	s_xor_b32 s14, exec_lo, s14
	s_cbranch_execz .LBB2_6248
; %bb.5968:                             ;   in Loop: Header=BB2_5193 Depth=3
	s_mov_b32 s15, -1
	s_mov_b32 s42, exec_lo
	v_cmpx_eq_u16_e32 0x80, v56
; %bb.5969:                             ;   in Loop: Header=BB2_5193 Depth=3
	s_xor_b32 s15, exec_lo, -1
; %bb.5970:                             ;   in Loop: Header=BB2_5193 Depth=3
	s_or_b32 exec_lo, exec_lo, s42
	s_delay_alu instid0(SALU_CYCLE_1)
	s_and_b32 s15, s15, exec_lo
                                        ; implicit-def: $vgpr56
	s_or_saveexec_b32 s14, s14
	v_bfrev_b32_e32 v9, 1
	s_xor_b32 exec_lo, exec_lo, s14
	s_cbranch_execnz .LBB2_6249
.LBB2_5971:                             ;   in Loop: Header=BB2_5193 Depth=3
	s_or_b32 exec_lo, exec_lo, s14
	s_and_saveexec_b32 s14, s15
	s_cbranch_execz .LBB2_5973
.LBB2_5972:                             ;   in Loop: Header=BB2_5193 Depth=3
	v_and_b32_e32 v9, 3, v10
	v_bfe_u32 v57, v10, 2, 5
	s_delay_alu instid0(VALU_DEP_2) | instskip(NEXT) | instid1(VALU_DEP_2)
	v_clz_i32_u32_e32 v18, v9
	v_cmp_eq_u32_e32 vcc_lo, 0, v57
	s_delay_alu instid0(VALU_DEP_2) | instskip(NEXT) | instid1(VALU_DEP_1)
	v_min_u32_e32 v56, 32, v18
	v_subrev_nc_u32_e32 v18, 29, v56
	s_delay_alu instid0(VALU_DEP_1) | instskip(SKIP_1) | instid1(VALU_DEP_1)
	v_lshlrev_b64_e32 v[18:19], v18, v[10:11]
	v_dual_lshlrev_b32 v19, 24, v10 :: v_dual_sub_nc_u32 v56, 30, v56
	v_and_b32_e32 v19, 0x80000000, v19
	s_delay_alu instid0(VALU_DEP_2) | instskip(SKIP_1) | instid1(VALU_DEP_2)
	v_dual_cndmask_b32 v56, v57, v56, vcc_lo :: v_dual_bitop2_b32 v18, 3, v18 bitop3:0x40
	v_bfe_i32 v57, v10, 0, 8
	v_cndmask_b32_e32 v18, v9, v18, vcc_lo
	s_delay_alu instid0(VALU_DEP_3) | instskip(NEXT) | instid1(VALU_DEP_3)
	v_lshl_add_u32 v19, v56, 23, v19
	v_cmp_lt_i16_e32 vcc_lo, -1, v57
	s_delay_alu instid0(VALU_DEP_2) | instskip(SKIP_3) | instid1(VALU_DEP_4)
	v_lshl_or_b32 v18, v18, 21, v19
	v_cndmask_b32_e32 v56, 0xff800000, v111, vcc_lo
	v_and_b32_e32 v19, 0x7c, v10
	v_cmp_eq_u32_e32 vcc_lo, 0, v9
	v_add_nc_u32_e32 v18, 0x38000000, v18
	s_delay_alu instid0(VALU_DEP_4) | instskip(NEXT) | instid1(VALU_DEP_4)
	v_cndmask_b32_e32 v9, 0x7f800001, v56, vcc_lo
	v_cmp_eq_u32_e32 vcc_lo, 0x7c, v19
	s_delay_alu instid0(VALU_DEP_2)
	v_cndmask_b32_e32 v9, v18, v9, vcc_lo
.LBB2_5973:                             ;   in Loop: Header=BB2_5193 Depth=3
	s_or_b32 exec_lo, exec_lo, s14
	s_delay_alu instid0(VALU_DEP_1) | instskip(SKIP_2) | instid1(VALU_DEP_2)
	v_dual_add_f32 v56, v8, v9 :: v_dual_mov_b32 v19, v3
	v_mov_b32_e32 v9, v3
                                        ; implicit-def: $vgpr74
	s_mov_b32 s14, exec_lo
	v_and_b32_e32 v18, 0x7f800000, v56
	v_and_b32_e32 v8, 0x7fffff, v56
	v_lshrrev_b32_e32 v57, 24, v56
	s_delay_alu instid0(VALU_DEP_3)
	v_cmpx_ne_u64_e32 0x7f800000, v[18:19]
	s_xor_b32 s15, exec_lo, s14
	s_cbranch_execz .LBB2_5987
; %bb.5974:                             ;   in Loop: Header=BB2_5193 Depth=3
	v_and_b32_e32 v18, 0x7fffffff, v56
	v_mov_b32_e32 v19, v3
	v_and_b32_e32 v59, 0x80, v57
                                        ; implicit-def: $vgpr74
	s_mov_b32 s14, exec_lo
	s_delay_alu instid0(VALU_DEP_2)
	v_cmpx_gt_u64_e32 0x47600001, v[18:19]
	s_xor_b32 s42, exec_lo, s14
	s_cbranch_execz .LBB2_5984
; %bb.5975:                             ;   in Loop: Header=BB2_5193 Depth=3
	v_mov_b32_e32 v74, 0
	s_mov_b32 s43, exec_lo
	v_cmpx_ne_u32_e32 0, v56
	s_cbranch_execz .LBB2_5983
; %bb.5976:                             ;   in Loop: Header=BB2_5193 Depth=3
	v_bfe_u32 v74, v56, 23, 8
	v_or_b32_e32 v56, 0x800000, v8
	s_delay_alu instid0(VALU_DEP_2) | instskip(SKIP_1) | instid1(VALU_DEP_2)
	v_sub_nc_u32_e32 v18, 0x71, v74
	v_cmp_gt_u32_e32 vcc_lo, 0x72, v74
	v_cndmask_b32_e32 v18, 0, v18, vcc_lo
	v_cmp_eq_u32_e32 vcc_lo, 0, v74
	v_cndmask_b32_e32 v8, v56, v8, vcc_lo
	s_delay_alu instid0(VALU_DEP_3) | instskip(NEXT) | instid1(VALU_DEP_1)
	v_cndmask_b32_e64 v78, v18, 0x70, vcc_lo
	v_dual_add_nc_u32 v18, 21, v78 :: v_dual_add_nc_u32 v57, 20, v78
	s_delay_alu instid0(VALU_DEP_1) | instskip(NEXT) | instid1(VALU_DEP_2)
	v_lshlrev_b64_e64 v[18:19], v18, -1
	v_lshlrev_b64_e64 v[56:57], v57, 1
	s_delay_alu instid0(VALU_DEP_2) | instskip(SKIP_1) | instid1(VALU_DEP_4)
	v_bfi_b32 v18, v18, 0, v8
	v_lshrrev_b64 v[8:9], v78, v[8:9]
	v_bfi_b32 v19, v19, 0, 0
	s_delay_alu instid0(VALU_DEP_1) | instskip(NEXT) | instid1(VALU_DEP_3)
	v_cmp_eq_u64_e64 s14, v[18:19], v[56:57]
	v_mov_b64_e32 v[56:57], v[8:9]
	s_and_saveexec_b32 s77, s14
; %bb.5977:                             ;   in Loop: Header=BB2_5193 Depth=3
	v_bfe_u32 v18, v8, 21, 1
	v_mov_b32_e32 v19, v3
	s_delay_alu instid0(VALU_DEP_1) | instskip(NEXT) | instid1(VALU_DEP_1)
	v_add_nc_u64_e32 v[18:19], v[8:9], v[18:19]
	v_add_nc_u64_e32 v[56:57], -1, v[18:19]
; %bb.5978:                             ;   in Loop: Header=BB2_5193 Depth=3
	s_or_b32 exec_lo, exec_lo, s77
	v_add_nc_u32_e32 v9, 0xffffff81, v74
	v_lshrrev_b32_e32 v18, 23, v8
	s_mov_b32 s14, exec_lo
	s_delay_alu instid0(VALU_DEP_2) | instskip(NEXT) | instid1(VALU_DEP_1)
	v_cndmask_b32_e64 v9, v9, 0xffffff82, vcc_lo
	v_add3_u32 v57, v78, v9, v18
	v_and_b32_e32 v9, 0x1fffff, v56
                                        ; implicit-def: $vgpr56
	s_delay_alu instid0(VALU_DEP_1) | instskip(SKIP_1) | instid1(VALU_DEP_2)
	v_dual_add_nc_u32 v74, 14, v57 :: v_dual_add_nc_u32 v8, v9, v8
	v_mov_b32_e32 v9, v3
	v_cmpx_ne_u32_e32 0, v74
	s_xor_b32 s14, exec_lo, s14
; %bb.5979:                             ;   in Loop: Header=BB2_5193 Depth=3
	s_delay_alu instid0(VALU_DEP_2) | instskip(SKIP_1) | instid1(VALU_DEP_1)
	v_cmp_lt_u64_e32 vcc_lo, 0xffffff, v[8:9]
	v_add_nc_u32_e32 v18, 15, v57
	v_cndmask_b32_e32 v56, v74, v18, vcc_lo
	v_cndmask_b32_e64 v18, 0, 1, vcc_lo
	s_delay_alu instid0(VALU_DEP_1)
	v_lshrrev_b64 v[8:9], v18, v[8:9]
; %bb.5980:                             ;   in Loop: Header=BB2_5193 Depth=3
	s_and_not1_saveexec_b32 s14, s14
; %bb.5981:                             ;   in Loop: Header=BB2_5193 Depth=3
	s_delay_alu instid0(VALU_DEP_1)
	v_bfe_u32 v56, v8, 23, 1
; %bb.5982:                             ;   in Loop: Header=BB2_5193 Depth=3
	s_or_b32 exec_lo, exec_lo, s14
	s_delay_alu instid0(VALU_DEP_2) | instskip(NEXT) | instid1(VALU_DEP_2)
	v_lshrrev_b64 v[8:9], 21, v[8:9]
	v_cmp_gt_i32_e32 vcc_lo, 32, v56
	v_min_i32_e32 v18, 31, v56
	v_cmp_eq_u32_e64 s14, 0, v56
	s_delay_alu instid0(VALU_DEP_2) | instskip(SKIP_1) | instid1(VALU_DEP_2)
	v_dual_cndmask_b32 v9, 0, v9 :: v_dual_lshlrev_b32 v18, 2, v18
	v_cndmask_b32_e32 v8, 3, v8, vcc_lo
	v_and_b32_e32 v18, 0xfc, v18
	s_delay_alu instid0(VALU_DEP_2) | instskip(NEXT) | instid1(VALU_DEP_2)
	v_cmp_eq_u64_e32 vcc_lo, 0, v[8:9]
	v_and_or_b32 v8, v8, 3, v18
	s_and_b32 s14, s14, vcc_lo
	s_delay_alu instid0(VALU_DEP_1) | instid1(SALU_CYCLE_1)
	v_cndmask_b32_e64 v8, v8, 0, s14
	s_delay_alu instid0(VALU_DEP_1)
	v_or_b32_e32 v74, v8, v59
.LBB2_5983:                             ;   in Loop: Header=BB2_5193 Depth=3
	s_or_b32 exec_lo, exec_lo, s43
                                        ; implicit-def: $vgpr59
.LBB2_5984:                             ;   in Loop: Header=BB2_5193 Depth=3
	s_and_not1_saveexec_b32 s14, s42
; %bb.5985:                             ;   in Loop: Header=BB2_5193 Depth=3
	v_or_b32_e32 v74, 0x7b, v59
; %bb.5986:                             ;   in Loop: Header=BB2_5193 Depth=3
	s_or_b32 exec_lo, exec_lo, s14
                                        ; implicit-def: $vgpr56
                                        ; implicit-def: $vgpr8_vgpr9
                                        ; implicit-def: $vgpr57
.LBB2_5987:                             ;   in Loop: Header=BB2_5193 Depth=3
	s_and_not1_saveexec_b32 s14, s15
	s_cbranch_execz .LBB2_5993
; %bb.5988:                             ;   in Loop: Header=BB2_5193 Depth=3
	s_mov_b32 s15, exec_lo
                                        ; implicit-def: $vgpr74
	v_cmpx_ne_u64_e32 0, v[8:9]
	s_xor_b32 s15, exec_lo, s15
; %bb.5989:                             ;   in Loop: Header=BB2_5193 Depth=3
	v_or_b32_e32 v74, 0x7f, v57
                                        ; implicit-def: $vgpr56
; %bb.5990:                             ;   in Loop: Header=BB2_5193 Depth=3
	s_and_not1_saveexec_b32 s15, s15
; %bb.5991:                             ;   in Loop: Header=BB2_5193 Depth=3
	v_cmp_lt_i32_e32 vcc_lo, -1, v56
	v_cndmask_b32_e32 v74, 0xfc, v120, vcc_lo
; %bb.5992:                             ;   in Loop: Header=BB2_5193 Depth=3
	s_or_b32 exec_lo, exec_lo, s15
.LBB2_5993:                             ;   in Loop: Header=BB2_5193 Depth=3
	s_delay_alu instid0(SALU_CYCLE_1) | instskip(SKIP_3) | instid1(VALU_DEP_2)
	s_or_b32 exec_lo, exec_lo, s14
	v_lshrrev_b16 v8, 8, v58
	v_mov_b32_e32 v56, 0
	s_mov_b32 s14, exec_lo
	v_cmpx_ne_u16_e32 0, v8
	s_cbranch_execz .LBB2_6003
; %bb.5994:                             ;   in Loop: Header=BB2_5193 Depth=3
	v_bfrev_b32_e32 v56, 1
	s_mov_b32 s15, exec_lo
	v_cmpx_ne_u16_e32 0x80, v8
	s_cbranch_execz .LBB2_6002
; %bb.5995:                             ;   in Loop: Header=BB2_5193 Depth=3
	v_and_b32_e32 v57, 0xffff, v8
	s_mov_b32 s42, exec_lo
                                        ; implicit-def: $vgpr56
	s_delay_alu instid0(VALU_DEP_1) | instskip(SKIP_1) | instid1(VALU_DEP_2)
	v_and_b32_e32 v18, 0x7c, v57
	v_and_b32_e32 v9, 3, v57
	v_cmpx_ne_u32_e32 0x7c, v18
	s_xor_b32 s42, exec_lo, s42
	s_cbranch_execz .LBB2_5999
; %bb.5996:                             ;   in Loop: Header=BB2_5193 Depth=3
	v_bfe_u32 v56, v57, 2, 5
	s_mov_b32 s43, exec_lo
	s_delay_alu instid0(VALU_DEP_1)
	v_cmpx_eq_u32_e32 0, v56
; %bb.5997:                             ;   in Loop: Header=BB2_5193 Depth=3
	v_clz_i32_u32_e32 v9, v9
	s_delay_alu instid0(VALU_DEP_1) | instskip(NEXT) | instid1(VALU_DEP_1)
	v_min_u32_e32 v18, 32, v9
	v_dual_mov_b32 v9, v3 :: v_dual_sub_nc_u32 v56, 30, v18
	v_subrev_nc_u32_e32 v19, 29, v18
	s_delay_alu instid0(VALU_DEP_1) | instskip(NEXT) | instid1(VALU_DEP_1)
	v_lshlrev_b64_e32 v[8:9], v19, v[8:9]
	v_and_b32_e32 v9, 3, v8
; %bb.5998:                             ;   in Loop: Header=BB2_5193 Depth=3
	s_or_b32 exec_lo, exec_lo, s43
	v_lshlrev_b32_e32 v8, 16, v58
                                        ; implicit-def: $vgpr58
	s_delay_alu instid0(VALU_DEP_1) | instskip(NEXT) | instid1(VALU_DEP_1)
	v_and_b32_e32 v8, 0x80000000, v8
	v_lshl_add_u32 v8, v56, 23, v8
	s_delay_alu instid0(VALU_DEP_1) | instskip(NEXT) | instid1(VALU_DEP_1)
	v_lshl_or_b32 v8, v9, 21, v8
                                        ; implicit-def: $vgpr9
	v_add_nc_u32_e32 v56, 0x38000000, v8
.LBB2_5999:                             ;   in Loop: Header=BB2_5193 Depth=3
	s_and_not1_saveexec_b32 s42, s42
; %bb.6000:                             ;   in Loop: Header=BB2_5193 Depth=3
	v_cmp_lt_i16_e32 vcc_lo, -1, v58
	v_cndmask_b32_e32 v8, 0xff800000, v111, vcc_lo
	v_cmp_eq_u32_e32 vcc_lo, 0, v9
	s_delay_alu instid0(VALU_DEP_2)
	v_cndmask_b32_e32 v56, 0x7f800001, v8, vcc_lo
; %bb.6001:                             ;   in Loop: Header=BB2_5193 Depth=3
	s_or_b32 exec_lo, exec_lo, s42
.LBB2_6002:                             ;   in Loop: Header=BB2_5193 Depth=3
	s_delay_alu instid0(SALU_CYCLE_1)
	s_or_b32 exec_lo, exec_lo, s15
.LBB2_6003:                             ;   in Loop: Header=BB2_5193 Depth=3
	s_delay_alu instid0(SALU_CYCLE_1) | instskip(SKIP_3) | instid1(VALU_DEP_1)
	s_or_b32 exec_lo, exec_lo, s14
	v_lshrrev_b16 v8, 8, v10
	s_mov_b32 s15, 0
	s_mov_b32 s14, exec_lo
	v_cmpx_lt_i16_e32 0x7f, v8
	s_xor_b32 s14, exec_lo, s14
	s_cbranch_execz .LBB2_6250
; %bb.6004:                             ;   in Loop: Header=BB2_5193 Depth=3
	s_mov_b32 s15, -1
	s_mov_b32 s42, exec_lo
	v_cmpx_eq_u16_e32 0x80, v8
; %bb.6005:                             ;   in Loop: Header=BB2_5193 Depth=3
	s_xor_b32 s15, exec_lo, -1
; %bb.6006:                             ;   in Loop: Header=BB2_5193 Depth=3
	s_or_b32 exec_lo, exec_lo, s42
	s_delay_alu instid0(SALU_CYCLE_1)
	s_and_b32 s15, s15, exec_lo
	s_or_saveexec_b32 s14, s14
	v_bfrev_b32_e32 v9, 1
	s_xor_b32 exec_lo, exec_lo, s14
	s_cbranch_execnz .LBB2_6251
.LBB2_6007:                             ;   in Loop: Header=BB2_5193 Depth=3
	s_or_b32 exec_lo, exec_lo, s14
	s_and_saveexec_b32 s14, s15
	s_cbranch_execz .LBB2_6009
.LBB2_6008:                             ;   in Loop: Header=BB2_5193 Depth=3
	v_and_b32_e32 v57, 0xffff, v8
	s_delay_alu instid0(VALU_DEP_1) | instskip(NEXT) | instid1(VALU_DEP_1)
	v_and_b32_e32 v58, 3, v57
	v_clz_i32_u32_e32 v9, v58
	s_delay_alu instid0(VALU_DEP_1) | instskip(SKIP_1) | instid1(VALU_DEP_2)
	v_min_u32_e32 v59, 32, v9
	v_mov_b32_e32 v9, v3
	v_subrev_nc_u32_e32 v18, 29, v59
	s_delay_alu instid0(VALU_DEP_1) | instskip(SKIP_2) | instid1(VALU_DEP_2)
	v_lshlrev_b64_e32 v[18:19], v18, v[8:9]
	v_bfe_u32 v9, v57, 2, 5
	v_dual_lshlrev_b32 v8, 24, v8 :: v_dual_sub_nc_u32 v19, 30, v59
	v_cmp_eq_u32_e32 vcc_lo, 0, v9
	s_delay_alu instid0(VALU_DEP_2) | instskip(NEXT) | instid1(VALU_DEP_3)
	v_and_b32_e32 v8, 0x80000000, v8
	v_dual_cndmask_b32 v9, v9, v19, vcc_lo :: v_dual_bitop2_b32 v18, 3, v18 bitop3:0x40
	s_delay_alu instid0(VALU_DEP_1) | instskip(SKIP_1) | instid1(VALU_DEP_3)
	v_cndmask_b32_e32 v18, v58, v18, vcc_lo
	v_cmp_lt_i16_e32 vcc_lo, -1, v10
	v_lshl_add_u32 v8, v9, 23, v8
	v_cndmask_b32_e32 v9, 0xff800000, v111, vcc_lo
	v_cmp_eq_u32_e32 vcc_lo, 0, v58
	s_delay_alu instid0(VALU_DEP_3) | instskip(SKIP_1) | instid1(VALU_DEP_4)
	v_lshl_or_b32 v8, v18, 21, v8
	v_and_b32_e32 v18, 0x7c, v57
	v_cndmask_b32_e32 v9, 0x7f800001, v9, vcc_lo
	s_delay_alu instid0(VALU_DEP_3) | instskip(NEXT) | instid1(VALU_DEP_3)
	v_add_nc_u32_e32 v8, 0x38000000, v8
	v_cmp_eq_u32_e32 vcc_lo, 0x7c, v18
	s_delay_alu instid0(VALU_DEP_2)
	v_cndmask_b32_e32 v9, v8, v9, vcc_lo
.LBB2_6009:                             ;   in Loop: Header=BB2_5193 Depth=3
	s_or_b32 exec_lo, exec_lo, s14
	s_delay_alu instid0(VALU_DEP_1) | instskip(SKIP_2) | instid1(VALU_DEP_2)
	v_dual_add_f32 v56, v56, v9 :: v_dual_mov_b32 v19, v3
	v_mov_b32_e32 v9, v3
                                        ; implicit-def: $vgpr78
	s_mov_b32 s14, exec_lo
	v_and_b32_e32 v18, 0x7f800000, v56
	v_and_b32_e32 v8, 0x7fffff, v56
	v_lshrrev_b32_e32 v57, 24, v56
	s_delay_alu instid0(VALU_DEP_3)
	v_cmpx_ne_u64_e32 0x7f800000, v[18:19]
	s_xor_b32 s15, exec_lo, s14
	s_cbranch_execz .LBB2_6023
; %bb.6010:                             ;   in Loop: Header=BB2_5193 Depth=3
	v_and_b32_e32 v18, 0x7fffffff, v56
	v_mov_b32_e32 v19, v3
	v_and_b32_e32 v58, 0x80, v57
                                        ; implicit-def: $vgpr78
	s_mov_b32 s14, exec_lo
	s_delay_alu instid0(VALU_DEP_2)
	v_cmpx_gt_u64_e32 0x47600001, v[18:19]
	s_xor_b32 s42, exec_lo, s14
	s_cbranch_execz .LBB2_6020
; %bb.6011:                             ;   in Loop: Header=BB2_5193 Depth=3
	v_mov_b32_e32 v78, 0
	s_mov_b32 s43, exec_lo
	v_cmpx_ne_u32_e32 0, v56
	s_cbranch_execz .LBB2_6019
; %bb.6012:                             ;   in Loop: Header=BB2_5193 Depth=3
	v_bfe_u32 v59, v56, 23, 8
	v_or_b32_e32 v56, 0x800000, v8
	s_delay_alu instid0(VALU_DEP_2) | instskip(SKIP_1) | instid1(VALU_DEP_2)
	v_sub_nc_u32_e32 v18, 0x71, v59
	v_cmp_gt_u32_e32 vcc_lo, 0x72, v59
	v_cndmask_b32_e32 v18, 0, v18, vcc_lo
	v_cmp_eq_u32_e32 vcc_lo, 0, v59
	v_cndmask_b32_e32 v8, v56, v8, vcc_lo
	s_delay_alu instid0(VALU_DEP_3) | instskip(NEXT) | instid1(VALU_DEP_1)
	v_cndmask_b32_e64 v78, v18, 0x70, vcc_lo
	v_dual_add_nc_u32 v18, 21, v78 :: v_dual_add_nc_u32 v57, 20, v78
	s_delay_alu instid0(VALU_DEP_1) | instskip(NEXT) | instid1(VALU_DEP_2)
	v_lshlrev_b64_e64 v[18:19], v18, -1
	v_lshlrev_b64_e64 v[56:57], v57, 1
	s_delay_alu instid0(VALU_DEP_2) | instskip(SKIP_1) | instid1(VALU_DEP_4)
	v_bfi_b32 v18, v18, 0, v8
	v_lshrrev_b64 v[8:9], v78, v[8:9]
	v_bfi_b32 v19, v19, 0, 0
	s_delay_alu instid0(VALU_DEP_1) | instskip(NEXT) | instid1(VALU_DEP_3)
	v_cmp_eq_u64_e64 s14, v[18:19], v[56:57]
	v_mov_b64_e32 v[56:57], v[8:9]
	s_and_saveexec_b32 s77, s14
; %bb.6013:                             ;   in Loop: Header=BB2_5193 Depth=3
	v_bfe_u32 v18, v8, 21, 1
	v_mov_b32_e32 v19, v3
	s_delay_alu instid0(VALU_DEP_1) | instskip(NEXT) | instid1(VALU_DEP_1)
	v_add_nc_u64_e32 v[18:19], v[8:9], v[18:19]
	v_add_nc_u64_e32 v[56:57], -1, v[18:19]
; %bb.6014:                             ;   in Loop: Header=BB2_5193 Depth=3
	s_or_b32 exec_lo, exec_lo, s77
	v_add_nc_u32_e32 v9, 0xffffff81, v59
	v_lshrrev_b32_e32 v18, 23, v8
	s_mov_b32 s14, exec_lo
	s_delay_alu instid0(VALU_DEP_2) | instskip(NEXT) | instid1(VALU_DEP_1)
	v_cndmask_b32_e64 v9, v9, 0xffffff82, vcc_lo
	v_add3_u32 v57, v78, v9, v18
	v_and_b32_e32 v9, 0x1fffff, v56
                                        ; implicit-def: $vgpr56
	s_delay_alu instid0(VALU_DEP_1) | instskip(SKIP_1) | instid1(VALU_DEP_2)
	v_dual_add_nc_u32 v59, 14, v57 :: v_dual_add_nc_u32 v8, v9, v8
	v_mov_b32_e32 v9, v3
	v_cmpx_ne_u32_e32 0, v59
	s_xor_b32 s14, exec_lo, s14
; %bb.6015:                             ;   in Loop: Header=BB2_5193 Depth=3
	s_delay_alu instid0(VALU_DEP_2) | instskip(SKIP_1) | instid1(VALU_DEP_1)
	v_cmp_lt_u64_e32 vcc_lo, 0xffffff, v[8:9]
	v_add_nc_u32_e32 v18, 15, v57
	v_cndmask_b32_e32 v56, v59, v18, vcc_lo
	v_cndmask_b32_e64 v18, 0, 1, vcc_lo
	s_delay_alu instid0(VALU_DEP_1)
	v_lshrrev_b64 v[8:9], v18, v[8:9]
; %bb.6016:                             ;   in Loop: Header=BB2_5193 Depth=3
	s_and_not1_saveexec_b32 s14, s14
; %bb.6017:                             ;   in Loop: Header=BB2_5193 Depth=3
	s_delay_alu instid0(VALU_DEP_1)
	v_bfe_u32 v56, v8, 23, 1
; %bb.6018:                             ;   in Loop: Header=BB2_5193 Depth=3
	s_or_b32 exec_lo, exec_lo, s14
	s_delay_alu instid0(VALU_DEP_2) | instskip(NEXT) | instid1(VALU_DEP_2)
	v_lshrrev_b64 v[8:9], 21, v[8:9]
	v_cmp_gt_i32_e32 vcc_lo, 32, v56
	v_min_i32_e32 v18, 31, v56
	v_cmp_eq_u32_e64 s14, 0, v56
	s_delay_alu instid0(VALU_DEP_2) | instskip(SKIP_1) | instid1(VALU_DEP_2)
	v_dual_cndmask_b32 v9, 0, v9 :: v_dual_lshlrev_b32 v18, 2, v18
	v_cndmask_b32_e32 v8, 3, v8, vcc_lo
	v_and_b32_e32 v18, 0xfc, v18
	s_delay_alu instid0(VALU_DEP_2) | instskip(NEXT) | instid1(VALU_DEP_2)
	v_cmp_eq_u64_e32 vcc_lo, 0, v[8:9]
	v_and_or_b32 v8, v8, 3, v18
	s_and_b32 s14, s14, vcc_lo
	s_delay_alu instid0(VALU_DEP_1) | instid1(SALU_CYCLE_1)
	v_cndmask_b32_e64 v8, v8, 0, s14
	s_delay_alu instid0(VALU_DEP_1)
	v_or_b32_e32 v78, v8, v58
.LBB2_6019:                             ;   in Loop: Header=BB2_5193 Depth=3
	s_or_b32 exec_lo, exec_lo, s43
                                        ; implicit-def: $vgpr58
.LBB2_6020:                             ;   in Loop: Header=BB2_5193 Depth=3
	s_and_not1_saveexec_b32 s14, s42
; %bb.6021:                             ;   in Loop: Header=BB2_5193 Depth=3
	v_or_b32_e32 v78, 0x7b, v58
; %bb.6022:                             ;   in Loop: Header=BB2_5193 Depth=3
	s_or_b32 exec_lo, exec_lo, s14
                                        ; implicit-def: $vgpr56
                                        ; implicit-def: $vgpr8_vgpr9
                                        ; implicit-def: $vgpr57
.LBB2_6023:                             ;   in Loop: Header=BB2_5193 Depth=3
	s_and_not1_saveexec_b32 s14, s15
	s_cbranch_execz .LBB2_6029
; %bb.6024:                             ;   in Loop: Header=BB2_5193 Depth=3
	s_mov_b32 s15, exec_lo
                                        ; implicit-def: $vgpr78
	v_cmpx_ne_u64_e32 0, v[8:9]
	s_xor_b32 s15, exec_lo, s15
; %bb.6025:                             ;   in Loop: Header=BB2_5193 Depth=3
	v_or_b32_e32 v78, 0x7f, v57
                                        ; implicit-def: $vgpr56
; %bb.6026:                             ;   in Loop: Header=BB2_5193 Depth=3
	s_and_not1_saveexec_b32 s15, s15
; %bb.6027:                             ;   in Loop: Header=BB2_5193 Depth=3
	v_cmp_lt_i32_e32 vcc_lo, -1, v56
	v_cndmask_b32_e32 v78, 0xfc, v120, vcc_lo
; %bb.6028:                             ;   in Loop: Header=BB2_5193 Depth=3
	s_or_b32 exec_lo, exec_lo, s15
.LBB2_6029:                             ;   in Loop: Header=BB2_5193 Depth=3
	s_delay_alu instid0(SALU_CYCLE_1) | instskip(SKIP_2) | instid1(VALU_DEP_1)
	s_or_b32 exec_lo, exec_lo, s14
	v_dual_mov_b32 v9, 0 :: v_dual_lshrrev_b32 v8, 16, v2
	s_mov_b32 s14, exec_lo
	v_and_b32_e32 v56, 0xff, v8
	s_delay_alu instid0(VALU_DEP_1)
	v_cmpx_ne_u16_e32 0, v56
	s_cbranch_execz .LBB2_6039
; %bb.6030:                             ;   in Loop: Header=BB2_5193 Depth=3
	v_bfrev_b32_e32 v9, 1
	s_mov_b32 s15, exec_lo
	v_cmpx_ne_u16_e32 0x80, v56
	s_cbranch_execz .LBB2_6038
; %bb.6031:                             ;   in Loop: Header=BB2_5193 Depth=3
	v_and_b32_e32 v9, 0x7c0000, v2
	v_bfe_u32 v56, v2, 16, 2
	s_delay_alu instid0(VALU_DEP_2) | instskip(SKIP_1) | instid1(SALU_CYCLE_1)
	v_cmp_ne_u32_e32 vcc_lo, 0x7c0000, v9
                                        ; implicit-def: $vgpr9
	s_and_saveexec_b32 s42, vcc_lo
	s_xor_b32 s42, exec_lo, s42
	s_cbranch_execz .LBB2_6035
; %bb.6032:                             ;   in Loop: Header=BB2_5193 Depth=3
	v_bfe_u32 v9, v2, 18, 5
	s_mov_b32 s43, exec_lo
	s_delay_alu instid0(VALU_DEP_1)
	v_cmpx_eq_u32_e32 0, v9
; %bb.6033:                             ;   in Loop: Header=BB2_5193 Depth=3
	v_clz_i32_u32_e32 v9, v56
	s_delay_alu instid0(VALU_DEP_1) | instskip(NEXT) | instid1(VALU_DEP_1)
	v_min_u32_e32 v9, 32, v9
	v_subrev_nc_u32_e32 v18, 29, v9
	s_delay_alu instid0(VALU_DEP_1) | instskip(NEXT) | instid1(VALU_DEP_1)
	v_lshlrev_b64_e32 v[18:19], v18, v[8:9]
	v_dual_sub_nc_u32 v9, 30, v9 :: v_dual_bitop2_b32 v56, 3, v18 bitop3:0x40
; %bb.6034:                             ;   in Loop: Header=BB2_5193 Depth=3
	s_or_b32 exec_lo, exec_lo, s43
	v_lshlrev_b32_e32 v8, 24, v8
	s_delay_alu instid0(VALU_DEP_1) | instskip(NEXT) | instid1(VALU_DEP_1)
	v_and_b32_e32 v8, 0x80000000, v8
	v_lshl_add_u32 v8, v9, 23, v8
	s_delay_alu instid0(VALU_DEP_1) | instskip(NEXT) | instid1(VALU_DEP_1)
	v_lshl_or_b32 v8, v56, 21, v8
                                        ; implicit-def: $vgpr56
	v_add_nc_u32_e32 v9, 0x38000000, v8
                                        ; implicit-def: $vgpr8
.LBB2_6035:                             ;   in Loop: Header=BB2_5193 Depth=3
	s_and_not1_saveexec_b32 s42, s42
; %bb.6036:                             ;   in Loop: Header=BB2_5193 Depth=3
	v_bfe_i32 v8, v8, 0, 8
	s_delay_alu instid0(VALU_DEP_1) | instskip(SKIP_2) | instid1(VALU_DEP_2)
	v_cmp_lt_i16_e32 vcc_lo, -1, v8
	v_cndmask_b32_e32 v8, 0xff800000, v111, vcc_lo
	v_cmp_eq_u32_e32 vcc_lo, 0, v56
	v_cndmask_b32_e32 v9, 0x7f800001, v8, vcc_lo
; %bb.6037:                             ;   in Loop: Header=BB2_5193 Depth=3
	s_or_b32 exec_lo, exec_lo, s42
.LBB2_6038:                             ;   in Loop: Header=BB2_5193 Depth=3
	s_delay_alu instid0(SALU_CYCLE_1)
	s_or_b32 exec_lo, exec_lo, s15
.LBB2_6039:                             ;   in Loop: Header=BB2_5193 Depth=3
	s_delay_alu instid0(SALU_CYCLE_1) | instskip(SKIP_3) | instid1(VALU_DEP_1)
	s_or_b32 exec_lo, exec_lo, s14
	v_lshrrev_b32_e32 v8, 16, v10
	s_mov_b32 s15, 0
	s_mov_b32 s14, exec_lo
	v_and_b32_e32 v57, 0xff, v8
	s_delay_alu instid0(VALU_DEP_1)
	v_cmpx_lt_i16_e32 0x7f, v57
	s_xor_b32 s14, exec_lo, s14
	s_cbranch_execz .LBB2_6252
; %bb.6040:                             ;   in Loop: Header=BB2_5193 Depth=3
	s_mov_b32 s15, -1
	s_mov_b32 s42, exec_lo
	v_cmpx_eq_u16_e32 0x80, v57
; %bb.6041:                             ;   in Loop: Header=BB2_5193 Depth=3
	s_xor_b32 s15, exec_lo, -1
; %bb.6042:                             ;   in Loop: Header=BB2_5193 Depth=3
	s_or_b32 exec_lo, exec_lo, s42
	s_delay_alu instid0(SALU_CYCLE_1)
	s_and_b32 s15, s15, exec_lo
                                        ; implicit-def: $vgpr57
	s_or_saveexec_b32 s14, s14
	v_bfrev_b32_e32 v56, 1
	s_xor_b32 exec_lo, exec_lo, s14
	s_cbranch_execnz .LBB2_6253
.LBB2_6043:                             ;   in Loop: Header=BB2_5193 Depth=3
	s_or_b32 exec_lo, exec_lo, s14
	s_and_saveexec_b32 s14, s15
	s_cbranch_execz .LBB2_6045
.LBB2_6044:                             ;   in Loop: Header=BB2_5193 Depth=3
	v_and_b32_e32 v56, 3, v8
	v_bfe_u32 v58, v10, 18, 5
	s_delay_alu instid0(VALU_DEP_2) | instskip(NEXT) | instid1(VALU_DEP_2)
	v_clz_i32_u32_e32 v18, v56
	v_cmp_eq_u32_e32 vcc_lo, 0, v58
	s_delay_alu instid0(VALU_DEP_2) | instskip(NEXT) | instid1(VALU_DEP_1)
	v_min_u32_e32 v57, 32, v18
	v_subrev_nc_u32_e32 v18, 29, v57
	s_delay_alu instid0(VALU_DEP_1) | instskip(SKIP_2) | instid1(VALU_DEP_2)
	v_lshlrev_b64_e32 v[18:19], v18, v[8:9]
	v_dual_lshlrev_b32 v19, 24, v8 :: v_dual_sub_nc_u32 v57, 30, v57
	v_bfe_i32 v8, v8, 0, 8
	v_and_b32_e32 v19, 0x80000000, v19
	s_delay_alu instid0(VALU_DEP_3) | instskip(NEXT) | instid1(VALU_DEP_1)
	v_dual_cndmask_b32 v57, v58, v57, vcc_lo :: v_dual_bitop2_b32 v18, 3, v18 bitop3:0x40
	v_cndmask_b32_e32 v18, v56, v18, vcc_lo
	s_delay_alu instid0(VALU_DEP_2) | instskip(SKIP_1) | instid1(VALU_DEP_2)
	v_lshl_add_u32 v19, v57, 23, v19
	v_cmp_lt_i16_e32 vcc_lo, -1, v8
	v_lshl_or_b32 v18, v18, 21, v19
	v_cndmask_b32_e32 v8, 0xff800000, v111, vcc_lo
	v_and_b32_e32 v19, 0x7c0000, v10
	v_cmp_eq_u32_e32 vcc_lo, 0, v56
	s_delay_alu instid0(VALU_DEP_4) | instskip(NEXT) | instid1(VALU_DEP_4)
	v_add_nc_u32_e32 v18, 0x38000000, v18
	v_cndmask_b32_e32 v8, 0x7f800001, v8, vcc_lo
	s_delay_alu instid0(VALU_DEP_4) | instskip(NEXT) | instid1(VALU_DEP_2)
	v_cmp_eq_u32_e32 vcc_lo, 0x7c0000, v19
	v_cndmask_b32_e32 v56, v18, v8, vcc_lo
.LBB2_6045:                             ;   in Loop: Header=BB2_5193 Depth=3
	s_or_b32 exec_lo, exec_lo, s14
	s_delay_alu instid0(VALU_DEP_1) | instskip(SKIP_2) | instid1(VALU_DEP_2)
	v_dual_add_f32 v56, v9, v56 :: v_dual_mov_b32 v19, v3
	v_mov_b32_e32 v9, v3
                                        ; implicit-def: $vgpr89
	s_mov_b32 s14, exec_lo
	v_and_b32_e32 v18, 0x7f800000, v56
	v_and_b32_e32 v8, 0x7fffff, v56
	v_lshrrev_b32_e32 v57, 24, v56
	s_delay_alu instid0(VALU_DEP_3)
	v_cmpx_ne_u64_e32 0x7f800000, v[18:19]
	s_xor_b32 s15, exec_lo, s14
	s_cbranch_execz .LBB2_6059
; %bb.6046:                             ;   in Loop: Header=BB2_5193 Depth=3
	v_and_b32_e32 v18, 0x7fffffff, v56
	v_mov_b32_e32 v19, v3
	v_and_b32_e32 v58, 0x80, v57
                                        ; implicit-def: $vgpr89
	s_mov_b32 s14, exec_lo
	s_delay_alu instid0(VALU_DEP_2)
	v_cmpx_gt_u64_e32 0x47600001, v[18:19]
	s_xor_b32 s42, exec_lo, s14
	s_cbranch_execz .LBB2_6056
; %bb.6047:                             ;   in Loop: Header=BB2_5193 Depth=3
	v_mov_b32_e32 v89, 0
	s_mov_b32 s43, exec_lo
	v_cmpx_ne_u32_e32 0, v56
	s_cbranch_execz .LBB2_6055
; %bb.6048:                             ;   in Loop: Header=BB2_5193 Depth=3
	v_bfe_u32 v59, v56, 23, 8
	v_or_b32_e32 v56, 0x800000, v8
	s_delay_alu instid0(VALU_DEP_2) | instskip(SKIP_1) | instid1(VALU_DEP_2)
	v_sub_nc_u32_e32 v18, 0x71, v59
	v_cmp_gt_u32_e32 vcc_lo, 0x72, v59
	v_cndmask_b32_e32 v18, 0, v18, vcc_lo
	v_cmp_eq_u32_e32 vcc_lo, 0, v59
	s_delay_alu instid0(VALU_DEP_2) | instskip(NEXT) | instid1(VALU_DEP_1)
	v_cndmask_b32_e64 v89, v18, 0x70, vcc_lo
	v_dual_cndmask_b32 v8, v56, v8, vcc_lo :: v_dual_add_nc_u32 v18, 21, v89
	v_add_nc_u32_e32 v57, 20, v89
	s_delay_alu instid0(VALU_DEP_2) | instskip(NEXT) | instid1(VALU_DEP_2)
	v_lshlrev_b64_e64 v[18:19], v18, -1
	v_lshlrev_b64_e64 v[56:57], v57, 1
	s_delay_alu instid0(VALU_DEP_2) | instskip(SKIP_1) | instid1(VALU_DEP_4)
	v_bfi_b32 v18, v18, 0, v8
	v_lshrrev_b64 v[8:9], v89, v[8:9]
	v_bfi_b32 v19, v19, 0, 0
	s_delay_alu instid0(VALU_DEP_1) | instskip(NEXT) | instid1(VALU_DEP_3)
	v_cmp_eq_u64_e64 s14, v[18:19], v[56:57]
	v_mov_b64_e32 v[56:57], v[8:9]
	s_and_saveexec_b32 s77, s14
; %bb.6049:                             ;   in Loop: Header=BB2_5193 Depth=3
	v_bfe_u32 v18, v8, 21, 1
	v_mov_b32_e32 v19, v3
	s_delay_alu instid0(VALU_DEP_1) | instskip(NEXT) | instid1(VALU_DEP_1)
	v_add_nc_u64_e32 v[18:19], v[8:9], v[18:19]
	v_add_nc_u64_e32 v[56:57], -1, v[18:19]
; %bb.6050:                             ;   in Loop: Header=BB2_5193 Depth=3
	s_or_b32 exec_lo, exec_lo, s77
	v_add_nc_u32_e32 v9, 0xffffff81, v59
	v_lshrrev_b32_e32 v18, 23, v8
	s_mov_b32 s14, exec_lo
	s_delay_alu instid0(VALU_DEP_2) | instskip(NEXT) | instid1(VALU_DEP_1)
	v_cndmask_b32_e64 v9, v9, 0xffffff82, vcc_lo
	v_add3_u32 v57, v89, v9, v18
	v_and_b32_e32 v9, 0x1fffff, v56
                                        ; implicit-def: $vgpr56
	s_delay_alu instid0(VALU_DEP_1) | instskip(SKIP_1) | instid1(VALU_DEP_2)
	v_dual_add_nc_u32 v59, 14, v57 :: v_dual_add_nc_u32 v8, v9, v8
	v_mov_b32_e32 v9, v3
	v_cmpx_ne_u32_e32 0, v59
	s_xor_b32 s14, exec_lo, s14
; %bb.6051:                             ;   in Loop: Header=BB2_5193 Depth=3
	s_delay_alu instid0(VALU_DEP_2) | instskip(SKIP_1) | instid1(VALU_DEP_1)
	v_cmp_lt_u64_e32 vcc_lo, 0xffffff, v[8:9]
	v_add_nc_u32_e32 v18, 15, v57
	v_cndmask_b32_e32 v56, v59, v18, vcc_lo
	v_cndmask_b32_e64 v18, 0, 1, vcc_lo
	s_delay_alu instid0(VALU_DEP_1)
	v_lshrrev_b64 v[8:9], v18, v[8:9]
; %bb.6052:                             ;   in Loop: Header=BB2_5193 Depth=3
	s_and_not1_saveexec_b32 s14, s14
; %bb.6053:                             ;   in Loop: Header=BB2_5193 Depth=3
	s_delay_alu instid0(VALU_DEP_1)
	v_bfe_u32 v56, v8, 23, 1
; %bb.6054:                             ;   in Loop: Header=BB2_5193 Depth=3
	s_or_b32 exec_lo, exec_lo, s14
	s_delay_alu instid0(VALU_DEP_2) | instskip(NEXT) | instid1(VALU_DEP_2)
	v_lshrrev_b64 v[8:9], 21, v[8:9]
	v_cmp_gt_i32_e32 vcc_lo, 32, v56
	v_min_i32_e32 v18, 31, v56
	v_cmp_eq_u32_e64 s14, 0, v56
	s_delay_alu instid0(VALU_DEP_2) | instskip(SKIP_1) | instid1(VALU_DEP_2)
	v_dual_cndmask_b32 v9, 0, v9 :: v_dual_lshlrev_b32 v18, 2, v18
	v_cndmask_b32_e32 v8, 3, v8, vcc_lo
	v_and_b32_e32 v18, 0xfc, v18
	s_delay_alu instid0(VALU_DEP_2) | instskip(NEXT) | instid1(VALU_DEP_2)
	v_cmp_eq_u64_e32 vcc_lo, 0, v[8:9]
	v_and_or_b32 v8, v8, 3, v18
	s_and_b32 s14, s14, vcc_lo
	s_delay_alu instid0(VALU_DEP_1) | instid1(SALU_CYCLE_1)
	v_cndmask_b32_e64 v8, v8, 0, s14
	s_delay_alu instid0(VALU_DEP_1)
	v_or_b32_e32 v89, v8, v58
.LBB2_6055:                             ;   in Loop: Header=BB2_5193 Depth=3
	s_or_b32 exec_lo, exec_lo, s43
                                        ; implicit-def: $vgpr58
.LBB2_6056:                             ;   in Loop: Header=BB2_5193 Depth=3
	s_and_not1_saveexec_b32 s14, s42
; %bb.6057:                             ;   in Loop: Header=BB2_5193 Depth=3
	v_or_b32_e32 v89, 0x7b, v58
; %bb.6058:                             ;   in Loop: Header=BB2_5193 Depth=3
	s_or_b32 exec_lo, exec_lo, s14
                                        ; implicit-def: $vgpr56
                                        ; implicit-def: $vgpr8_vgpr9
                                        ; implicit-def: $vgpr57
.LBB2_6059:                             ;   in Loop: Header=BB2_5193 Depth=3
	s_and_not1_saveexec_b32 s14, s15
	s_cbranch_execz .LBB2_6065
; %bb.6060:                             ;   in Loop: Header=BB2_5193 Depth=3
	s_mov_b32 s15, exec_lo
                                        ; implicit-def: $vgpr89
	v_cmpx_ne_u64_e32 0, v[8:9]
	s_xor_b32 s15, exec_lo, s15
; %bb.6061:                             ;   in Loop: Header=BB2_5193 Depth=3
	v_or_b32_e32 v89, 0x7f, v57
                                        ; implicit-def: $vgpr56
; %bb.6062:                             ;   in Loop: Header=BB2_5193 Depth=3
	s_and_not1_saveexec_b32 s15, s15
; %bb.6063:                             ;   in Loop: Header=BB2_5193 Depth=3
	v_cmp_lt_i32_e32 vcc_lo, -1, v56
	v_cndmask_b32_e32 v89, 0xfc, v120, vcc_lo
; %bb.6064:                             ;   in Loop: Header=BB2_5193 Depth=3
	s_or_b32 exec_lo, exec_lo, s15
.LBB2_6065:                             ;   in Loop: Header=BB2_5193 Depth=3
	s_delay_alu instid0(SALU_CYCLE_1)
	s_or_b32 exec_lo, exec_lo, s14
	v_mov_b32_e32 v9, 0
	s_mov_b32 s14, exec_lo
	v_cmpx_lt_u32_e32 0xffffff, v2
	s_cbranch_execz .LBB2_6075
; %bb.6066:                             ;   in Loop: Header=BB2_5193 Depth=3
	v_lshrrev_b32_e32 v8, 24, v2
	v_bfrev_b32_e32 v9, 1
	s_mov_b32 s15, exec_lo
	s_delay_alu instid0(VALU_DEP_2)
	v_cmpx_ne_u32_e32 0x80, v8
	s_cbranch_execz .LBB2_6074
; %bb.6067:                             ;   in Loop: Header=BB2_5193 Depth=3
	v_and_b32_e32 v9, 0x7c000000, v2
	v_bfe_u32 v56, v2, 24, 2
	s_delay_alu instid0(VALU_DEP_2) | instskip(SKIP_1) | instid1(SALU_CYCLE_1)
	v_cmp_ne_u32_e32 vcc_lo, 0x7c000000, v9
                                        ; implicit-def: $vgpr9
	s_and_saveexec_b32 s42, vcc_lo
	s_xor_b32 s42, exec_lo, s42
	s_cbranch_execz .LBB2_6071
; %bb.6068:                             ;   in Loop: Header=BB2_5193 Depth=3
	v_bfe_u32 v9, v2, 26, 5
	s_mov_b32 s43, exec_lo
	s_delay_alu instid0(VALU_DEP_1)
	v_cmpx_eq_u32_e32 0, v9
; %bb.6069:                             ;   in Loop: Header=BB2_5193 Depth=3
	v_clz_i32_u32_e32 v9, v56
	s_delay_alu instid0(VALU_DEP_1) | instskip(NEXT) | instid1(VALU_DEP_1)
	v_min_u32_e32 v18, 32, v9
	v_subrev_nc_u32_e32 v9, 29, v18
	s_delay_alu instid0(VALU_DEP_1) | instskip(NEXT) | instid1(VALU_DEP_1)
	v_lshlrev_b64_e32 v[8:9], v9, v[8:9]
	v_dual_sub_nc_u32 v9, 30, v18 :: v_dual_bitop2_b32 v56, 3, v8 bitop3:0x40
; %bb.6070:                             ;   in Loop: Header=BB2_5193 Depth=3
	s_or_b32 exec_lo, exec_lo, s43
	v_and_b32_e32 v2, 0x80000000, v2
	s_delay_alu instid0(VALU_DEP_1) | instskip(NEXT) | instid1(VALU_DEP_1)
	v_lshl_add_u32 v2, v9, 23, v2
	v_lshl_or_b32 v2, v56, 21, v2
                                        ; implicit-def: $vgpr56
	s_delay_alu instid0(VALU_DEP_1)
	v_add_nc_u32_e32 v9, 0x38000000, v2
.LBB2_6071:                             ;   in Loop: Header=BB2_5193 Depth=3
	s_and_not1_saveexec_b32 s42, s42
; %bb.6072:                             ;   in Loop: Header=BB2_5193 Depth=3
	v_cmp_lt_i32_e32 vcc_lo, -1, v2
	v_cndmask_b32_e32 v2, 0xff800000, v111, vcc_lo
	v_cmp_eq_u32_e32 vcc_lo, 0, v56
	s_delay_alu instid0(VALU_DEP_2)
	v_cndmask_b32_e32 v9, 0x7f800001, v2, vcc_lo
; %bb.6073:                             ;   in Loop: Header=BB2_5193 Depth=3
	s_or_b32 exec_lo, exec_lo, s42
.LBB2_6074:                             ;   in Loop: Header=BB2_5193 Depth=3
	s_delay_alu instid0(SALU_CYCLE_1)
	s_or_b32 exec_lo, exec_lo, s15
.LBB2_6075:                             ;   in Loop: Header=BB2_5193 Depth=3
	s_delay_alu instid0(SALU_CYCLE_1) | instskip(SKIP_3) | instid1(VALU_DEP_2)
	s_or_b32 exec_lo, exec_lo, s14
	v_bfe_u32 v8, v10, 24, 2
	v_bfe_u32 v57, v10, 26, 5
                                        ; implicit-def: $vgpr90
	s_mov_b32 s14, exec_lo
	v_clz_i32_u32_e32 v2, v8
	s_delay_alu instid0(VALU_DEP_2) | instskip(NEXT) | instid1(VALU_DEP_2)
	v_cmp_eq_u32_e32 vcc_lo, 0, v57
	v_min_u32_e32 v56, 32, v2
	v_lshrrev_b32_e32 v2, 24, v10
	s_delay_alu instid0(VALU_DEP_2) | instskip(NEXT) | instid1(VALU_DEP_1)
	v_subrev_nc_u32_e32 v18, 29, v56
	v_lshlrev_b64_e32 v[18:19], v18, v[2:3]
	v_sub_nc_u32_e32 v19, 30, v56
	v_and_b32_e32 v56, 0x80000000, v10
	s_delay_alu instid0(VALU_DEP_2) | instskip(NEXT) | instid1(VALU_DEP_1)
	v_dual_cndmask_b32 v19, v57, v19, vcc_lo :: v_dual_bitop2_b32 v18, 3, v18 bitop3:0x40
	v_lshl_add_u32 v19, v19, 23, v56
	s_delay_alu instid0(VALU_DEP_2) | instskip(SKIP_1) | instid1(VALU_DEP_2)
	v_cndmask_b32_e32 v18, v8, v18, vcc_lo
	v_cmp_lt_i32_e32 vcc_lo, -1, v10
	v_lshl_or_b32 v18, v18, 21, v19
	v_cndmask_b32_e32 v56, 0xff800000, v111, vcc_lo
	v_and_b32_e32 v19, 0x7c000000, v10
	v_cmp_eq_u32_e32 vcc_lo, 0, v8
	s_delay_alu instid0(VALU_DEP_4) | instskip(NEXT) | instid1(VALU_DEP_4)
	v_add_nc_u32_e32 v18, 0x38000000, v18
	v_cndmask_b32_e32 v8, 0x7f800001, v56, vcc_lo
	s_delay_alu instid0(VALU_DEP_4) | instskip(NEXT) | instid1(VALU_DEP_2)
	v_cmp_eq_u32_e32 vcc_lo, 0x7c000000, v19
	v_dual_mov_b32 v19, v3 :: v_dual_cndmask_b32 v8, v18, v8
	v_cmp_ne_u32_e32 vcc_lo, 0x80, v2
	s_delay_alu instid0(VALU_DEP_2) | instskip(SKIP_1) | instid1(VALU_DEP_2)
	v_cndmask_b32_e32 v2, 0x80000000, v8, vcc_lo
	v_cmp_lt_u32_e32 vcc_lo, 0xffffff, v10
	v_cndmask_b32_e32 v2, 0, v2, vcc_lo
	s_delay_alu instid0(VALU_DEP_1) | instskip(NEXT) | instid1(VALU_DEP_1)
	v_add_f32_e32 v8, v2, v9
	v_and_b32_e32 v18, 0x7f800000, v8
	v_and_b32_e32 v2, 0x7fffff, v8
	v_lshrrev_b32_e32 v9, 24, v8
	s_delay_alu instid0(VALU_DEP_3)
	v_cmpx_ne_u64_e32 0x7f800000, v[18:19]
	s_xor_b32 s15, exec_lo, s14
	s_cbranch_execz .LBB2_6089
; %bb.6076:                             ;   in Loop: Header=BB2_5193 Depth=3
	v_and_b32_e32 v18, 0x7fffffff, v8
	v_mov_b32_e32 v19, v3
	v_and_b32_e32 v58, 0x80, v9
                                        ; implicit-def: $vgpr90
	s_mov_b32 s14, exec_lo
	s_delay_alu instid0(VALU_DEP_2)
	v_cmpx_gt_u64_e32 0x47600001, v[18:19]
	s_xor_b32 s42, exec_lo, s14
	s_cbranch_execz .LBB2_6086
; %bb.6077:                             ;   in Loop: Header=BB2_5193 Depth=3
	v_mov_b32_e32 v90, 0
	s_mov_b32 s43, exec_lo
	v_cmpx_ne_u32_e32 0, v8
	s_cbranch_execz .LBB2_6085
; %bb.6078:                             ;   in Loop: Header=BB2_5193 Depth=3
	v_bfe_u32 v59, v8, 23, 8
	v_or_b32_e32 v18, 0x800000, v2
	s_delay_alu instid0(VALU_DEP_2) | instskip(SKIP_1) | instid1(VALU_DEP_2)
	v_dual_mov_b32 v19, v3 :: v_dual_sub_nc_u32 v8, 0x71, v59
	v_cmp_gt_u32_e32 vcc_lo, 0x72, v59
	v_cndmask_b32_e32 v8, 0, v8, vcc_lo
	v_cmp_eq_u32_e32 vcc_lo, 0, v59
	s_delay_alu instid0(VALU_DEP_2) | instskip(SKIP_1) | instid1(VALU_DEP_2)
	v_cndmask_b32_e64 v90, v8, 0x70, vcc_lo
	v_cndmask_b32_e32 v18, v18, v2, vcc_lo
	v_dual_add_nc_u32 v8, 21, v90 :: v_dual_add_nc_u32 v56, 20, v90
	s_delay_alu instid0(VALU_DEP_1) | instskip(NEXT) | instid1(VALU_DEP_2)
	v_lshlrev_b64_e64 v[8:9], v8, -1
	v_lshlrev_b64_e64 v[56:57], v56, 1
	s_delay_alu instid0(VALU_DEP_2) | instskip(NEXT) | instid1(VALU_DEP_3)
	v_bfi_b32 v93, v9, 0, 0
	v_bfi_b32 v92, v8, 0, v18
	v_lshrrev_b64 v[8:9], v90, v[18:19]
	s_delay_alu instid0(VALU_DEP_2) | instskip(NEXT) | instid1(VALU_DEP_2)
	v_cmp_eq_u64_e64 s14, v[92:93], v[56:57]
	v_mov_b64_e32 v[56:57], v[8:9]
	s_and_saveexec_b32 s77, s14
; %bb.6079:                             ;   in Loop: Header=BB2_5193 Depth=3
	v_bfe_u32 v18, v8, 21, 1
	v_mov_b32_e32 v19, v3
	s_delay_alu instid0(VALU_DEP_1) | instskip(NEXT) | instid1(VALU_DEP_1)
	v_add_nc_u64_e32 v[18:19], v[8:9], v[18:19]
	v_add_nc_u64_e32 v[56:57], -1, v[18:19]
; %bb.6080:                             ;   in Loop: Header=BB2_5193 Depth=3
	s_or_b32 exec_lo, exec_lo, s77
	v_add_nc_u32_e32 v2, 0xffffff81, v59
	s_delay_alu instid0(VALU_DEP_2) | instskip(SKIP_2) | instid1(VALU_DEP_3)
	v_and_b32_e32 v18, 0x1fffff, v56
	v_lshrrev_b32_e32 v9, 23, v8
	s_mov_b32 s14, exec_lo
                                        ; implicit-def: $vgpr56
	v_cndmask_b32_e64 v2, v2, 0xffffff82, vcc_lo
	s_delay_alu instid0(VALU_DEP_1) | instskip(SKIP_1) | instid1(VALU_DEP_2)
	v_add3_u32 v57, v90, v2, v9
	v_add_nc_u32_e32 v2, v18, v8
                                        ; implicit-def: $vgpr8_vgpr9
	v_add_nc_u32_e32 v59, 14, v57
	s_delay_alu instid0(VALU_DEP_1)
	v_cmpx_ne_u32_e32 0, v59
	s_xor_b32 s14, exec_lo, s14
; %bb.6081:                             ;   in Loop: Header=BB2_5193 Depth=3
	s_delay_alu instid0(VALU_DEP_3) | instskip(SKIP_1) | instid1(VALU_DEP_1)
	v_cmp_lt_u64_e32 vcc_lo, 0xffffff, v[2:3]
	v_add_nc_u32_e32 v8, 15, v57
	v_cndmask_b32_e32 v56, v59, v8, vcc_lo
	v_cndmask_b32_e64 v8, 0, 1, vcc_lo
	s_delay_alu instid0(VALU_DEP_1)
	v_lshrrev_b64 v[8:9], v8, v[2:3]
; %bb.6082:                             ;   in Loop: Header=BB2_5193 Depth=3
	s_and_not1_saveexec_b32 s14, s14
; %bb.6083:                             ;   in Loop: Header=BB2_5193 Depth=3
	v_mov_b64_e32 v[8:9], v[2:3]
	v_bfe_u32 v56, v2, 23, 1
; %bb.6084:                             ;   in Loop: Header=BB2_5193 Depth=3
	s_or_b32 exec_lo, exec_lo, s14
	s_delay_alu instid0(VALU_DEP_2) | instskip(NEXT) | instid1(VALU_DEP_2)
	v_lshrrev_b64 v[8:9], 21, v[8:9]
	v_cmp_gt_i32_e32 vcc_lo, 32, v56
	v_min_i32_e32 v2, 31, v56
	v_cmp_eq_u32_e64 s14, 0, v56
	s_delay_alu instid0(VALU_DEP_2) | instskip(SKIP_1) | instid1(VALU_DEP_2)
	v_dual_cndmask_b32 v9, 0, v9 :: v_dual_lshlrev_b32 v2, 2, v2
	v_cndmask_b32_e32 v8, 3, v8, vcc_lo
	v_and_b32_e32 v2, 0xfc, v2
	s_delay_alu instid0(VALU_DEP_2) | instskip(NEXT) | instid1(VALU_DEP_2)
	v_cmp_eq_u64_e32 vcc_lo, 0, v[8:9]
	v_and_or_b32 v2, v8, 3, v2
	s_and_b32 s14, s14, vcc_lo
	s_delay_alu instid0(VALU_DEP_1) | instid1(SALU_CYCLE_1)
	v_cndmask_b32_e64 v2, v2, 0, s14
	s_delay_alu instid0(VALU_DEP_1)
	v_or_b32_e32 v90, v2, v58
.LBB2_6085:                             ;   in Loop: Header=BB2_5193 Depth=3
	s_or_b32 exec_lo, exec_lo, s43
                                        ; implicit-def: $vgpr58
.LBB2_6086:                             ;   in Loop: Header=BB2_5193 Depth=3
	s_and_not1_saveexec_b32 s14, s42
; %bb.6087:                             ;   in Loop: Header=BB2_5193 Depth=3
	v_or_b32_e32 v90, 0x7b, v58
; %bb.6088:                             ;   in Loop: Header=BB2_5193 Depth=3
	s_or_b32 exec_lo, exec_lo, s14
                                        ; implicit-def: $vgpr8
                                        ; implicit-def: $vgpr9
.LBB2_6089:                             ;   in Loop: Header=BB2_5193 Depth=3
	s_and_not1_saveexec_b32 s14, s15
	s_cbranch_execz .LBB2_6095
; %bb.6090:                             ;   in Loop: Header=BB2_5193 Depth=3
	s_mov_b32 s15, exec_lo
                                        ; implicit-def: $vgpr90
	v_cmpx_ne_u64_e32 0, v[2:3]
	s_xor_b32 s15, exec_lo, s15
; %bb.6091:                             ;   in Loop: Header=BB2_5193 Depth=3
	v_or_b32_e32 v90, 0x7f, v9
                                        ; implicit-def: $vgpr8
; %bb.6092:                             ;   in Loop: Header=BB2_5193 Depth=3
	s_and_not1_saveexec_b32 s15, s15
; %bb.6093:                             ;   in Loop: Header=BB2_5193 Depth=3
	v_cmp_lt_i32_e32 vcc_lo, -1, v8
	v_cndmask_b32_e32 v90, 0xfc, v120, vcc_lo
; %bb.6094:                             ;   in Loop: Header=BB2_5193 Depth=3
	s_or_b32 exec_lo, exec_lo, s15
.LBB2_6095:                             ;   in Loop: Header=BB2_5193 Depth=3
	s_delay_alu instid0(SALU_CYCLE_1) | instskip(SKIP_4) | instid1(VALU_DEP_2)
	s_or_b32 exec_lo, exec_lo, s14
	v_dual_lshlrev_b32 v2, 24, v88 :: v_dual_lshlrev_b32 v8, 16, v77
	v_lshl_or_b32 v75, v75, 8, v17
	v_mov_b32_e32 v56, 0
	s_mov_b32 s14, exec_lo
	v_or3_b32 v2, v8, v2, v75
	v_cmpx_ne_u32_e32 0, v17
	s_cbranch_execz .LBB2_6105
; %bb.6096:                             ;   in Loop: Header=BB2_5193 Depth=3
	v_bfrev_b32_e32 v56, 1
	s_mov_b32 s15, exec_lo
	v_cmpx_ne_u32_e32 0x80, v17
	s_cbranch_execz .LBB2_6104
; %bb.6097:                             ;   in Loop: Header=BB2_5193 Depth=3
	v_and_b32_e32 v9, 0x7c, v17
	v_and_b32_e32 v8, 3, v17
	s_mov_b32 s42, exec_lo
                                        ; implicit-def: $vgpr56
	s_delay_alu instid0(VALU_DEP_2)
	v_cmpx_ne_u32_e32 0x7c, v9
	s_xor_b32 s42, exec_lo, s42
	s_cbranch_execz .LBB2_6101
; %bb.6098:                             ;   in Loop: Header=BB2_5193 Depth=3
	v_bfe_u32 v9, v17, 2, 5
	s_mov_b32 s43, exec_lo
	s_delay_alu instid0(VALU_DEP_1)
	v_cmpx_eq_u32_e32 0, v9
; %bb.6099:                             ;   in Loop: Header=BB2_5193 Depth=3
	v_clz_i32_u32_e32 v8, v8
	s_delay_alu instid0(VALU_DEP_1) | instskip(NEXT) | instid1(VALU_DEP_1)
	v_min_u32_e32 v18, 32, v8
	v_subrev_nc_u32_e32 v8, 29, v18
	s_delay_alu instid0(VALU_DEP_1) | instskip(NEXT) | instid1(VALU_DEP_1)
	v_lshlrev_b64_e32 v[8:9], v8, v[2:3]
	v_dual_sub_nc_u32 v9, 30, v18 :: v_dual_bitop2_b32 v8, 3, v8 bitop3:0x40
; %bb.6100:                             ;   in Loop: Header=BB2_5193 Depth=3
	s_or_b32 exec_lo, exec_lo, s43
	v_lshlrev_b32_e32 v17, 24, v17
	s_delay_alu instid0(VALU_DEP_1) | instskip(NEXT) | instid1(VALU_DEP_1)
	v_and_b32_e32 v17, 0x80000000, v17
	v_lshl_add_u32 v9, v9, 23, v17
                                        ; implicit-def: $vgpr17
	s_delay_alu instid0(VALU_DEP_1) | instskip(NEXT) | instid1(VALU_DEP_1)
	v_lshl_or_b32 v8, v8, 21, v9
	v_add_nc_u32_e32 v56, 0x38000000, v8
                                        ; implicit-def: $vgpr8
.LBB2_6101:                             ;   in Loop: Header=BB2_5193 Depth=3
	s_and_not1_saveexec_b32 s42, s42
; %bb.6102:                             ;   in Loop: Header=BB2_5193 Depth=3
	v_and_b32_e32 v9, 0x80, v17
	s_delay_alu instid0(VALU_DEP_1) | instskip(SKIP_2) | instid1(VALU_DEP_2)
	v_cmp_eq_u32_e32 vcc_lo, 0, v9
	v_cndmask_b32_e32 v9, 0xff800000, v111, vcc_lo
	v_cmp_eq_u32_e32 vcc_lo, 0, v8
	v_cndmask_b32_e32 v56, 0x7f800001, v9, vcc_lo
; %bb.6103:                             ;   in Loop: Header=BB2_5193 Depth=3
	s_or_b32 exec_lo, exec_lo, s42
.LBB2_6104:                             ;   in Loop: Header=BB2_5193 Depth=3
	s_delay_alu instid0(SALU_CYCLE_1)
	s_or_b32 exec_lo, exec_lo, s15
.LBB2_6105:                             ;   in Loop: Header=BB2_5193 Depth=3
	s_delay_alu instid0(SALU_CYCLE_1) | instskip(SKIP_4) | instid1(VALU_DEP_2)
	s_or_b32 exec_lo, exec_lo, s14
	v_and_b32_e32 v9, 0xff, v11
	v_mov_b32_e32 v8, v11
	s_mov_b32 s15, 0
	s_mov_b32 s14, exec_lo
	v_cmpx_lt_i16_e32 0x7f, v9
	s_xor_b32 s14, exec_lo, s14
	s_cbranch_execz .LBB2_6254
; %bb.6106:                             ;   in Loop: Header=BB2_5193 Depth=3
	s_mov_b32 s15, -1
	s_mov_b32 s42, exec_lo
	v_cmpx_eq_u16_e32 0x80, v9
; %bb.6107:                             ;   in Loop: Header=BB2_5193 Depth=3
	s_xor_b32 s15, exec_lo, -1
; %bb.6108:                             ;   in Loop: Header=BB2_5193 Depth=3
	s_or_b32 exec_lo, exec_lo, s42
	s_delay_alu instid0(SALU_CYCLE_1)
	s_and_b32 s15, s15, exec_lo
                                        ; implicit-def: $vgpr9
	s_or_saveexec_b32 s14, s14
	v_bfrev_b32_e32 v17, 1
	s_xor_b32 exec_lo, exec_lo, s14
	s_cbranch_execnz .LBB2_6255
.LBB2_6109:                             ;   in Loop: Header=BB2_5193 Depth=3
	s_or_b32 exec_lo, exec_lo, s14
	v_mov_b32_e32 v9, v3
	s_and_saveexec_b32 s14, s15
	s_cbranch_execz .LBB2_6111
.LBB2_6110:                             ;   in Loop: Header=BB2_5193 Depth=3
	v_and_b32_e32 v17, 3, v11
	s_delay_alu instid0(VALU_DEP_1) | instskip(NEXT) | instid1(VALU_DEP_1)
	v_clz_i32_u32_e32 v18, v17
	v_min_u32_e32 v57, 32, v18
	s_delay_alu instid0(VALU_DEP_1) | instskip(NEXT) | instid1(VALU_DEP_1)
	v_subrev_nc_u32_e32 v18, 29, v57
	v_lshlrev_b64_e32 v[18:19], v18, v[8:9]
	v_bfe_u32 v19, v11, 2, 5
	v_dual_lshlrev_b32 v9, 24, v11 :: v_dual_sub_nc_u32 v57, 30, v57
	s_delay_alu instid0(VALU_DEP_2) | instskip(NEXT) | instid1(VALU_DEP_2)
	v_cmp_eq_u32_e32 vcc_lo, 0, v19
	v_and_b32_e32 v9, 0x80000000, v9
	s_delay_alu instid0(VALU_DEP_3) | instskip(SKIP_1) | instid1(VALU_DEP_2)
	v_dual_cndmask_b32 v19, v19, v57, vcc_lo :: v_dual_bitop2_b32 v18, 3, v18 bitop3:0x40
	v_bfe_i32 v57, v11, 0, 8
	v_cndmask_b32_e32 v18, v17, v18, vcc_lo
	s_delay_alu instid0(VALU_DEP_3) | instskip(NEXT) | instid1(VALU_DEP_3)
	v_lshl_add_u32 v9, v19, 23, v9
	v_cmp_lt_i16_e32 vcc_lo, -1, v57
	s_delay_alu instid0(VALU_DEP_2) | instskip(SKIP_3) | instid1(VALU_DEP_4)
	v_lshl_or_b32 v9, v18, 21, v9
	v_cndmask_b32_e32 v19, 0xff800000, v111, vcc_lo
	v_and_b32_e32 v18, 0x7c, v11
	v_cmp_eq_u32_e32 vcc_lo, 0, v17
	v_add_nc_u32_e32 v9, 0x38000000, v9
	s_delay_alu instid0(VALU_DEP_4) | instskip(NEXT) | instid1(VALU_DEP_4)
	v_cndmask_b32_e32 v17, 0x7f800001, v19, vcc_lo
	v_cmp_eq_u32_e32 vcc_lo, 0x7c, v18
	s_delay_alu instid0(VALU_DEP_2)
	v_cndmask_b32_e32 v17, v9, v17, vcc_lo
.LBB2_6111:                             ;   in Loop: Header=BB2_5193 Depth=3
	s_or_b32 exec_lo, exec_lo, s14
	s_delay_alu instid0(VALU_DEP_1) | instskip(SKIP_2) | instid1(VALU_DEP_2)
	v_dual_add_f32 v58, v56, v17 :: v_dual_mov_b32 v19, v3
	v_mov_b32_e32 v57, v3
                                        ; implicit-def: $vgpr17
	s_mov_b32 s14, exec_lo
	v_and_b32_e32 v18, 0x7f800000, v58
	v_and_b32_e32 v56, 0x7fffff, v58
	v_lshrrev_b32_e32 v9, 24, v58
	s_delay_alu instid0(VALU_DEP_3)
	v_cmpx_ne_u64_e32 0x7f800000, v[18:19]
	s_xor_b32 s15, exec_lo, s14
	s_cbranch_execz .LBB2_6125
; %bb.6112:                             ;   in Loop: Header=BB2_5193 Depth=3
	v_and_b32_e32 v18, 0x7fffffff, v58
	v_mov_b32_e32 v19, v3
	v_and_b32_e32 v9, 0x80, v9
                                        ; implicit-def: $vgpr17
	s_mov_b32 s14, exec_lo
	s_delay_alu instid0(VALU_DEP_2)
	v_cmpx_gt_u64_e32 0x47600001, v[18:19]
	s_xor_b32 s42, exec_lo, s14
	s_cbranch_execz .LBB2_6122
; %bb.6113:                             ;   in Loop: Header=BB2_5193 Depth=3
	v_mov_b32_e32 v17, 0
	s_mov_b32 s43, exec_lo
	v_cmpx_ne_u32_e32 0, v58
	s_cbranch_execz .LBB2_6121
; %bb.6114:                             ;   in Loop: Header=BB2_5193 Depth=3
	v_bfe_u32 v17, v58, 23, 8
	v_or_b32_e32 v58, 0x800000, v56
	s_delay_alu instid0(VALU_DEP_2) | instskip(SKIP_1) | instid1(VALU_DEP_2)
	v_sub_nc_u32_e32 v18, 0x71, v17
	v_cmp_gt_u32_e32 vcc_lo, 0x72, v17
	v_cndmask_b32_e32 v18, 0, v18, vcc_lo
	v_cmp_eq_u32_e32 vcc_lo, 0, v17
	s_delay_alu instid0(VALU_DEP_2) | instskip(NEXT) | instid1(VALU_DEP_1)
	v_cndmask_b32_e64 v77, v18, 0x70, vcc_lo
	v_dual_cndmask_b32 v56, v58, v56, vcc_lo :: v_dual_add_nc_u32 v18, 21, v77
	v_add_nc_u32_e32 v59, 20, v77
	s_delay_alu instid0(VALU_DEP_2) | instskip(NEXT) | instid1(VALU_DEP_2)
	v_lshlrev_b64_e64 v[18:19], v18, -1
	v_lshlrev_b64_e64 v[58:59], v59, 1
	s_delay_alu instid0(VALU_DEP_2) | instskip(SKIP_1) | instid1(VALU_DEP_4)
	v_bfi_b32 v18, v18, 0, v56
	v_lshrrev_b64 v[56:57], v77, v[56:57]
	v_bfi_b32 v19, v19, 0, 0
	s_delay_alu instid0(VALU_DEP_1) | instskip(NEXT) | instid1(VALU_DEP_3)
	v_cmp_eq_u64_e64 s14, v[18:19], v[58:59]
	v_mov_b64_e32 v[58:59], v[56:57]
	s_and_saveexec_b32 s77, s14
; %bb.6115:                             ;   in Loop: Header=BB2_5193 Depth=3
	v_bfe_u32 v18, v56, 21, 1
	v_mov_b32_e32 v19, v3
	s_delay_alu instid0(VALU_DEP_1) | instskip(NEXT) | instid1(VALU_DEP_1)
	v_add_nc_u64_e32 v[18:19], v[56:57], v[18:19]
	v_add_nc_u64_e32 v[58:59], -1, v[18:19]
; %bb.6116:                             ;   in Loop: Header=BB2_5193 Depth=3
	s_or_b32 exec_lo, exec_lo, s77
	v_add_nc_u32_e32 v17, 0xffffff81, v17
	v_lshrrev_b32_e32 v18, 23, v56
	s_mov_b32 s14, exec_lo
	v_mov_b32_e32 v57, v3
	s_delay_alu instid0(VALU_DEP_3) | instskip(NEXT) | instid1(VALU_DEP_1)
	v_cndmask_b32_e64 v17, v17, 0xffffff82, vcc_lo
	v_add3_u32 v59, v77, v17, v18
	v_and_b32_e32 v17, 0x1fffff, v58
	s_delay_alu instid0(VALU_DEP_1) | instskip(NEXT) | instid1(VALU_DEP_1)
	v_dual_add_nc_u32 v58, 14, v59 :: v_dual_add_nc_u32 v56, v17, v56
                                        ; implicit-def: $vgpr17
	v_cmpx_ne_u32_e32 0, v58
	s_xor_b32 s14, exec_lo, s14
; %bb.6117:                             ;   in Loop: Header=BB2_5193 Depth=3
	s_delay_alu instid0(VALU_DEP_2) | instskip(SKIP_2) | instid1(VALU_DEP_2)
	v_cmp_lt_u64_e32 vcc_lo, 0xffffff, v[56:57]
	v_add_nc_u32_e32 v17, 15, v59
	v_cndmask_b32_e64 v18, 0, 1, vcc_lo
	v_cndmask_b32_e32 v17, v58, v17, vcc_lo
	s_delay_alu instid0(VALU_DEP_2)
	v_lshrrev_b64 v[56:57], v18, v[56:57]
; %bb.6118:                             ;   in Loop: Header=BB2_5193 Depth=3
	s_and_not1_saveexec_b32 s14, s14
; %bb.6119:                             ;   in Loop: Header=BB2_5193 Depth=3
	s_delay_alu instid0(VALU_DEP_1)
	v_bfe_u32 v17, v56, 23, 1
; %bb.6120:                             ;   in Loop: Header=BB2_5193 Depth=3
	s_or_b32 exec_lo, exec_lo, s14
	s_delay_alu instid0(VALU_DEP_2) | instskip(NEXT) | instid1(VALU_DEP_2)
	v_lshrrev_b64 v[18:19], 21, v[56:57]
	v_cmp_gt_i32_e32 vcc_lo, 32, v17
	v_min_i32_e32 v56, 31, v17
	v_cmp_eq_u32_e64 s14, 0, v17
	s_delay_alu instid0(VALU_DEP_2) | instskip(SKIP_1) | instid1(VALU_DEP_2)
	v_dual_cndmask_b32 v19, 0, v19 :: v_dual_lshlrev_b32 v56, 2, v56
	v_cndmask_b32_e32 v18, 3, v18, vcc_lo
	v_and_b32_e32 v56, 0xfc, v56
	s_delay_alu instid0(VALU_DEP_2) | instskip(NEXT) | instid1(VALU_DEP_2)
	v_cmp_eq_u64_e32 vcc_lo, 0, v[18:19]
	v_and_or_b32 v17, v18, 3, v56
	s_and_b32 s14, s14, vcc_lo
	s_delay_alu instid0(VALU_DEP_1) | instid1(SALU_CYCLE_1)
	v_cndmask_b32_e64 v17, v17, 0, s14
	s_delay_alu instid0(VALU_DEP_1)
	v_or_b32_e32 v17, v17, v9
.LBB2_6121:                             ;   in Loop: Header=BB2_5193 Depth=3
	s_or_b32 exec_lo, exec_lo, s43
                                        ; implicit-def: $vgpr9
.LBB2_6122:                             ;   in Loop: Header=BB2_5193 Depth=3
	s_and_not1_saveexec_b32 s14, s42
; %bb.6123:                             ;   in Loop: Header=BB2_5193 Depth=3
	v_or_b32_e32 v17, 0x7b, v9
; %bb.6124:                             ;   in Loop: Header=BB2_5193 Depth=3
	s_or_b32 exec_lo, exec_lo, s14
                                        ; implicit-def: $vgpr58
                                        ; implicit-def: $vgpr56_vgpr57
                                        ; implicit-def: $vgpr9
.LBB2_6125:                             ;   in Loop: Header=BB2_5193 Depth=3
	s_and_not1_saveexec_b32 s14, s15
	s_cbranch_execz .LBB2_6131
; %bb.6126:                             ;   in Loop: Header=BB2_5193 Depth=3
	s_mov_b32 s15, exec_lo
                                        ; implicit-def: $vgpr17
	v_cmpx_ne_u64_e32 0, v[56:57]
	s_xor_b32 s15, exec_lo, s15
; %bb.6127:                             ;   in Loop: Header=BB2_5193 Depth=3
	v_or_b32_e32 v17, 0x7f, v9
                                        ; implicit-def: $vgpr58
; %bb.6128:                             ;   in Loop: Header=BB2_5193 Depth=3
	s_and_not1_saveexec_b32 s15, s15
; %bb.6129:                             ;   in Loop: Header=BB2_5193 Depth=3
	v_cmp_lt_i32_e32 vcc_lo, -1, v58
	v_cndmask_b32_e32 v17, 0xfc, v120, vcc_lo
; %bb.6130:                             ;   in Loop: Header=BB2_5193 Depth=3
	s_or_b32 exec_lo, exec_lo, s15
.LBB2_6131:                             ;   in Loop: Header=BB2_5193 Depth=3
	s_delay_alu instid0(SALU_CYCLE_1) | instskip(SKIP_3) | instid1(VALU_DEP_2)
	s_or_b32 exec_lo, exec_lo, s14
	v_lshrrev_b16 v56, 8, v75
	v_mov_b32_e32 v9, 0
	s_mov_b32 s14, exec_lo
	v_cmpx_ne_u16_e32 0, v56
	s_cbranch_execz .LBB2_6141
; %bb.6132:                             ;   in Loop: Header=BB2_5193 Depth=3
	v_bfrev_b32_e32 v9, 1
	s_mov_b32 s15, exec_lo
	v_cmpx_ne_u16_e32 0x80, v56
	s_cbranch_execz .LBB2_6140
; %bb.6133:                             ;   in Loop: Header=BB2_5193 Depth=3
	v_and_b32_e32 v58, 0xffff, v56
	s_delay_alu instid0(VALU_DEP_1) | instskip(SKIP_1) | instid1(VALU_DEP_2)
	v_and_b32_e32 v9, 0x7c, v58
	v_and_b32_e32 v57, 3, v58
	v_cmp_ne_u32_e32 vcc_lo, 0x7c, v9
                                        ; implicit-def: $vgpr9
	s_and_saveexec_b32 s42, vcc_lo
	s_delay_alu instid0(SALU_CYCLE_1)
	s_xor_b32 s42, exec_lo, s42
	s_cbranch_execz .LBB2_6137
; %bb.6134:                             ;   in Loop: Header=BB2_5193 Depth=3
	v_bfe_u32 v9, v58, 2, 5
	s_mov_b32 s43, exec_lo
	s_delay_alu instid0(VALU_DEP_1)
	v_cmpx_eq_u32_e32 0, v9
	s_cbranch_execz .LBB2_6136
; %bb.6135:                             ;   in Loop: Header=BB2_5193 Depth=3
	v_clz_i32_u32_e32 v9, v57
	s_delay_alu instid0(VALU_DEP_1) | instskip(SKIP_1) | instid1(VALU_DEP_2)
	v_min_u32_e32 v9, 32, v9
	v_mov_b32_e32 v57, v3
	v_subrev_nc_u32_e32 v18, 29, v9
	v_sub_nc_u32_e32 v9, 30, v9
	s_delay_alu instid0(VALU_DEP_2) | instskip(NEXT) | instid1(VALU_DEP_1)
	v_lshlrev_b64_e32 v[18:19], v18, v[56:57]
	v_and_b32_e32 v57, 3, v18
.LBB2_6136:                             ;   in Loop: Header=BB2_5193 Depth=3
	s_or_b32 exec_lo, exec_lo, s43
	v_lshlrev_b32_e32 v18, 16, v75
                                        ; implicit-def: $vgpr75
	s_delay_alu instid0(VALU_DEP_1) | instskip(NEXT) | instid1(VALU_DEP_1)
	v_and_b32_e32 v18, 0x80000000, v18
	v_lshl_add_u32 v9, v9, 23, v18
	s_delay_alu instid0(VALU_DEP_1) | instskip(NEXT) | instid1(VALU_DEP_1)
	v_lshl_or_b32 v9, v57, 21, v9
                                        ; implicit-def: $vgpr57
	v_add_nc_u32_e32 v9, 0x38000000, v9
.LBB2_6137:                             ;   in Loop: Header=BB2_5193 Depth=3
	s_and_not1_saveexec_b32 s42, s42
; %bb.6138:                             ;   in Loop: Header=BB2_5193 Depth=3
	v_cmp_lt_i16_e32 vcc_lo, -1, v75
	v_cndmask_b32_e32 v9, 0xff800000, v111, vcc_lo
	v_cmp_eq_u32_e32 vcc_lo, 0, v57
	s_delay_alu instid0(VALU_DEP_2)
	v_cndmask_b32_e32 v9, 0x7f800001, v9, vcc_lo
; %bb.6139:                             ;   in Loop: Header=BB2_5193 Depth=3
	s_or_b32 exec_lo, exec_lo, s42
.LBB2_6140:                             ;   in Loop: Header=BB2_5193 Depth=3
	s_delay_alu instid0(SALU_CYCLE_1)
	s_or_b32 exec_lo, exec_lo, s15
.LBB2_6141:                             ;   in Loop: Header=BB2_5193 Depth=3
	s_delay_alu instid0(SALU_CYCLE_1) | instskip(SKIP_3) | instid1(VALU_DEP_1)
	s_or_b32 exec_lo, exec_lo, s14
	v_lshrrev_b16 v56, 8, v8
	s_mov_b32 s15, 0
	s_mov_b32 s14, exec_lo
	v_cmpx_lt_i16_e32 0x7f, v56
	s_xor_b32 s14, exec_lo, s14
	s_cbranch_execz .LBB2_6256
; %bb.6142:                             ;   in Loop: Header=BB2_5193 Depth=3
	s_mov_b32 s15, -1
	s_mov_b32 s42, exec_lo
	v_cmpx_eq_u16_e32 0x80, v56
; %bb.6143:                             ;   in Loop: Header=BB2_5193 Depth=3
	s_xor_b32 s15, exec_lo, -1
; %bb.6144:                             ;   in Loop: Header=BB2_5193 Depth=3
	s_or_b32 exec_lo, exec_lo, s42
	s_delay_alu instid0(SALU_CYCLE_1)
	s_and_b32 s15, s15, exec_lo
	s_or_saveexec_b32 s14, s14
	v_bfrev_b32_e32 v57, 1
	s_xor_b32 exec_lo, exec_lo, s14
	s_cbranch_execnz .LBB2_6257
.LBB2_6145:                             ;   in Loop: Header=BB2_5193 Depth=3
	s_or_b32 exec_lo, exec_lo, s14
	s_and_saveexec_b32 s14, s15
	s_cbranch_execz .LBB2_6147
.LBB2_6146:                             ;   in Loop: Header=BB2_5193 Depth=3
	v_and_b32_e32 v58, 0xffff, v56
	s_delay_alu instid0(VALU_DEP_1) | instskip(NEXT) | instid1(VALU_DEP_1)
	v_dual_mov_b32 v57, v3 :: v_dual_bitop2_b32 v59, 3, v58 bitop3:0x40
	v_clz_i32_u32_e32 v18, v59
	s_delay_alu instid0(VALU_DEP_1) | instskip(NEXT) | instid1(VALU_DEP_1)
	v_min_u32_e32 v75, 32, v18
	v_subrev_nc_u32_e32 v18, 29, v75
	s_delay_alu instid0(VALU_DEP_1) | instskip(SKIP_2) | instid1(VALU_DEP_2)
	v_lshlrev_b64_e32 v[18:19], v18, v[56:57]
	v_dual_lshlrev_b32 v19, 24, v56 :: v_dual_sub_nc_u32 v57, 30, v75
	v_bfe_u32 v56, v58, 2, 5
	v_and_b32_e32 v19, 0x80000000, v19
	s_delay_alu instid0(VALU_DEP_2) | instskip(NEXT) | instid1(VALU_DEP_4)
	v_cmp_eq_u32_e32 vcc_lo, 0, v56
	v_dual_cndmask_b32 v56, v56, v57, vcc_lo :: v_dual_bitop2_b32 v18, 3, v18 bitop3:0x40
	s_delay_alu instid0(VALU_DEP_1) | instskip(SKIP_1) | instid1(VALU_DEP_3)
	v_cndmask_b32_e32 v18, v59, v18, vcc_lo
	v_cmp_lt_i16_e32 vcc_lo, -1, v8
	v_lshl_add_u32 v19, v56, 23, v19
	v_cndmask_b32_e32 v8, 0xff800000, v111, vcc_lo
	v_cmp_eq_u32_e32 vcc_lo, 0, v59
	s_delay_alu instid0(VALU_DEP_3) | instskip(SKIP_1) | instid1(VALU_DEP_4)
	v_lshl_or_b32 v18, v18, 21, v19
	v_and_b32_e32 v19, 0x7c, v58
	v_cndmask_b32_e32 v8, 0x7f800001, v8, vcc_lo
	s_delay_alu instid0(VALU_DEP_3) | instskip(NEXT) | instid1(VALU_DEP_3)
	v_add_nc_u32_e32 v18, 0x38000000, v18
	v_cmp_eq_u32_e32 vcc_lo, 0x7c, v19
	s_delay_alu instid0(VALU_DEP_2)
	v_cndmask_b32_e32 v57, v18, v8, vcc_lo
.LBB2_6147:                             ;   in Loop: Header=BB2_5193 Depth=3
	s_or_b32 exec_lo, exec_lo, s14
	s_delay_alu instid0(VALU_DEP_1) | instskip(SKIP_2) | instid1(VALU_DEP_2)
	v_dual_add_f32 v56, v9, v57 :: v_dual_mov_b32 v19, v3
	v_mov_b32_e32 v9, v3
                                        ; implicit-def: $vgpr58
	s_mov_b32 s14, exec_lo
	v_and_b32_e32 v18, 0x7f800000, v56
	v_and_b32_e32 v8, 0x7fffff, v56
	v_lshrrev_b32_e32 v57, 24, v56
	s_delay_alu instid0(VALU_DEP_3)
	v_cmpx_ne_u64_e32 0x7f800000, v[18:19]
	s_xor_b32 s15, exec_lo, s14
	s_cbranch_execz .LBB2_6161
; %bb.6148:                             ;   in Loop: Header=BB2_5193 Depth=3
	v_and_b32_e32 v18, 0x7fffffff, v56
	v_mov_b32_e32 v19, v3
	v_and_b32_e32 v59, 0x80, v57
                                        ; implicit-def: $vgpr58
	s_mov_b32 s14, exec_lo
	s_delay_alu instid0(VALU_DEP_2)
	v_cmpx_gt_u64_e32 0x47600001, v[18:19]
	s_xor_b32 s42, exec_lo, s14
	s_cbranch_execz .LBB2_6158
; %bb.6149:                             ;   in Loop: Header=BB2_5193 Depth=3
	v_mov_b32_e32 v58, 0
	s_mov_b32 s43, exec_lo
	v_cmpx_ne_u32_e32 0, v56
	s_cbranch_execz .LBB2_6157
; %bb.6150:                             ;   in Loop: Header=BB2_5193 Depth=3
	v_bfe_u32 v58, v56, 23, 8
	v_or_b32_e32 v56, 0x800000, v8
	s_delay_alu instid0(VALU_DEP_2) | instskip(SKIP_1) | instid1(VALU_DEP_2)
	v_sub_nc_u32_e32 v18, 0x71, v58
	v_cmp_gt_u32_e32 vcc_lo, 0x72, v58
	v_cndmask_b32_e32 v18, 0, v18, vcc_lo
	v_cmp_eq_u32_e32 vcc_lo, 0, v58
	s_delay_alu instid0(VALU_DEP_2) | instskip(NEXT) | instid1(VALU_DEP_1)
	v_cndmask_b32_e64 v75, v18, 0x70, vcc_lo
	v_dual_cndmask_b32 v8, v56, v8, vcc_lo :: v_dual_add_nc_u32 v18, 21, v75
	v_add_nc_u32_e32 v57, 20, v75
	s_delay_alu instid0(VALU_DEP_2) | instskip(NEXT) | instid1(VALU_DEP_2)
	v_lshlrev_b64_e64 v[18:19], v18, -1
	v_lshlrev_b64_e64 v[56:57], v57, 1
	s_delay_alu instid0(VALU_DEP_2) | instskip(SKIP_1) | instid1(VALU_DEP_4)
	v_bfi_b32 v18, v18, 0, v8
	v_lshrrev_b64 v[8:9], v75, v[8:9]
	v_bfi_b32 v19, v19, 0, 0
	s_delay_alu instid0(VALU_DEP_1) | instskip(NEXT) | instid1(VALU_DEP_3)
	v_cmp_eq_u64_e64 s14, v[18:19], v[56:57]
	v_mov_b64_e32 v[56:57], v[8:9]
	s_and_saveexec_b32 s77, s14
; %bb.6151:                             ;   in Loop: Header=BB2_5193 Depth=3
	v_bfe_u32 v18, v8, 21, 1
	v_mov_b32_e32 v19, v3
	s_delay_alu instid0(VALU_DEP_1) | instskip(NEXT) | instid1(VALU_DEP_1)
	v_add_nc_u64_e32 v[18:19], v[8:9], v[18:19]
	v_add_nc_u64_e32 v[56:57], -1, v[18:19]
; %bb.6152:                             ;   in Loop: Header=BB2_5193 Depth=3
	s_or_b32 exec_lo, exec_lo, s77
	v_add_nc_u32_e32 v9, 0xffffff81, v58
	v_lshrrev_b32_e32 v18, 23, v8
	s_mov_b32 s14, exec_lo
	s_delay_alu instid0(VALU_DEP_2) | instskip(NEXT) | instid1(VALU_DEP_1)
	v_cndmask_b32_e64 v9, v9, 0xffffff82, vcc_lo
	v_add3_u32 v57, v75, v9, v18
	v_and_b32_e32 v9, 0x1fffff, v56
                                        ; implicit-def: $vgpr56
	s_delay_alu instid0(VALU_DEP_1) | instskip(SKIP_1) | instid1(VALU_DEP_2)
	v_dual_add_nc_u32 v58, 14, v57 :: v_dual_add_nc_u32 v8, v9, v8
	v_mov_b32_e32 v9, v3
	v_cmpx_ne_u32_e32 0, v58
	s_xor_b32 s14, exec_lo, s14
; %bb.6153:                             ;   in Loop: Header=BB2_5193 Depth=3
	s_delay_alu instid0(VALU_DEP_2) | instskip(SKIP_1) | instid1(VALU_DEP_1)
	v_cmp_lt_u64_e32 vcc_lo, 0xffffff, v[8:9]
	v_add_nc_u32_e32 v18, 15, v57
	v_cndmask_b32_e32 v56, v58, v18, vcc_lo
	v_cndmask_b32_e64 v18, 0, 1, vcc_lo
	s_delay_alu instid0(VALU_DEP_1)
	v_lshrrev_b64 v[8:9], v18, v[8:9]
; %bb.6154:                             ;   in Loop: Header=BB2_5193 Depth=3
	s_and_not1_saveexec_b32 s14, s14
; %bb.6155:                             ;   in Loop: Header=BB2_5193 Depth=3
	s_delay_alu instid0(VALU_DEP_1)
	v_bfe_u32 v56, v8, 23, 1
; %bb.6156:                             ;   in Loop: Header=BB2_5193 Depth=3
	s_or_b32 exec_lo, exec_lo, s14
	s_delay_alu instid0(VALU_DEP_2) | instskip(NEXT) | instid1(VALU_DEP_2)
	v_lshrrev_b64 v[8:9], 21, v[8:9]
	v_cmp_gt_i32_e32 vcc_lo, 32, v56
	v_min_i32_e32 v18, 31, v56
	v_cmp_eq_u32_e64 s14, 0, v56
	s_delay_alu instid0(VALU_DEP_2) | instskip(SKIP_1) | instid1(VALU_DEP_2)
	v_dual_cndmask_b32 v9, 0, v9 :: v_dual_lshlrev_b32 v18, 2, v18
	v_cndmask_b32_e32 v8, 3, v8, vcc_lo
	v_and_b32_e32 v18, 0xfc, v18
	s_delay_alu instid0(VALU_DEP_2) | instskip(NEXT) | instid1(VALU_DEP_2)
	v_cmp_eq_u64_e32 vcc_lo, 0, v[8:9]
	v_and_or_b32 v8, v8, 3, v18
	s_and_b32 s14, s14, vcc_lo
	s_delay_alu instid0(VALU_DEP_1) | instid1(SALU_CYCLE_1)
	v_cndmask_b32_e64 v8, v8, 0, s14
	s_delay_alu instid0(VALU_DEP_1)
	v_or_b32_e32 v58, v8, v59
.LBB2_6157:                             ;   in Loop: Header=BB2_5193 Depth=3
	s_or_b32 exec_lo, exec_lo, s43
                                        ; implicit-def: $vgpr59
.LBB2_6158:                             ;   in Loop: Header=BB2_5193 Depth=3
	s_and_not1_saveexec_b32 s14, s42
; %bb.6159:                             ;   in Loop: Header=BB2_5193 Depth=3
	v_or_b32_e32 v58, 0x7b, v59
; %bb.6160:                             ;   in Loop: Header=BB2_5193 Depth=3
	s_or_b32 exec_lo, exec_lo, s14
                                        ; implicit-def: $vgpr56
                                        ; implicit-def: $vgpr8_vgpr9
                                        ; implicit-def: $vgpr57
.LBB2_6161:                             ;   in Loop: Header=BB2_5193 Depth=3
	s_and_not1_saveexec_b32 s14, s15
	s_cbranch_execz .LBB2_6167
; %bb.6162:                             ;   in Loop: Header=BB2_5193 Depth=3
	s_mov_b32 s15, exec_lo
                                        ; implicit-def: $vgpr58
	v_cmpx_ne_u64_e32 0, v[8:9]
	s_xor_b32 s15, exec_lo, s15
; %bb.6163:                             ;   in Loop: Header=BB2_5193 Depth=3
	v_or_b32_e32 v58, 0x7f, v57
                                        ; implicit-def: $vgpr56
; %bb.6164:                             ;   in Loop: Header=BB2_5193 Depth=3
	s_and_not1_saveexec_b32 s15, s15
; %bb.6165:                             ;   in Loop: Header=BB2_5193 Depth=3
	v_cmp_lt_i32_e32 vcc_lo, -1, v56
	v_cndmask_b32_e32 v58, 0xfc, v120, vcc_lo
; %bb.6166:                             ;   in Loop: Header=BB2_5193 Depth=3
	s_or_b32 exec_lo, exec_lo, s15
.LBB2_6167:                             ;   in Loop: Header=BB2_5193 Depth=3
	s_delay_alu instid0(SALU_CYCLE_1) | instskip(SKIP_2) | instid1(VALU_DEP_1)
	s_or_b32 exec_lo, exec_lo, s14
	v_dual_mov_b32 v9, 0 :: v_dual_lshrrev_b32 v8, 16, v2
	s_mov_b32 s14, exec_lo
	v_and_b32_e32 v56, 0xff, v8
	s_delay_alu instid0(VALU_DEP_1)
	v_cmpx_ne_u16_e32 0, v56
	s_cbranch_execz .LBB2_6177
; %bb.6168:                             ;   in Loop: Header=BB2_5193 Depth=3
	v_bfrev_b32_e32 v9, 1
	s_mov_b32 s15, exec_lo
	v_cmpx_ne_u16_e32 0x80, v56
	s_cbranch_execz .LBB2_6176
; %bb.6169:                             ;   in Loop: Header=BB2_5193 Depth=3
	v_and_b32_e32 v9, 0x7c0000, v2
	v_bfe_u32 v56, v2, 16, 2
	s_delay_alu instid0(VALU_DEP_2) | instskip(SKIP_1) | instid1(SALU_CYCLE_1)
	v_cmp_ne_u32_e32 vcc_lo, 0x7c0000, v9
                                        ; implicit-def: $vgpr9
	s_and_saveexec_b32 s42, vcc_lo
	s_xor_b32 s42, exec_lo, s42
	s_cbranch_execz .LBB2_6173
; %bb.6170:                             ;   in Loop: Header=BB2_5193 Depth=3
	v_bfe_u32 v9, v2, 18, 5
	s_mov_b32 s43, exec_lo
	s_delay_alu instid0(VALU_DEP_1)
	v_cmpx_eq_u32_e32 0, v9
; %bb.6171:                             ;   in Loop: Header=BB2_5193 Depth=3
	v_clz_i32_u32_e32 v9, v56
	s_delay_alu instid0(VALU_DEP_1) | instskip(NEXT) | instid1(VALU_DEP_1)
	v_min_u32_e32 v9, 32, v9
	v_subrev_nc_u32_e32 v18, 29, v9
	s_delay_alu instid0(VALU_DEP_1) | instskip(NEXT) | instid1(VALU_DEP_1)
	v_lshlrev_b64_e32 v[18:19], v18, v[8:9]
	v_dual_sub_nc_u32 v9, 30, v9 :: v_dual_bitop2_b32 v56, 3, v18 bitop3:0x40
; %bb.6172:                             ;   in Loop: Header=BB2_5193 Depth=3
	s_or_b32 exec_lo, exec_lo, s43
	v_lshlrev_b32_e32 v8, 24, v8
	s_delay_alu instid0(VALU_DEP_1) | instskip(NEXT) | instid1(VALU_DEP_1)
	v_and_b32_e32 v8, 0x80000000, v8
	v_lshl_add_u32 v8, v9, 23, v8
	s_delay_alu instid0(VALU_DEP_1) | instskip(NEXT) | instid1(VALU_DEP_1)
	v_lshl_or_b32 v8, v56, 21, v8
                                        ; implicit-def: $vgpr56
	v_add_nc_u32_e32 v9, 0x38000000, v8
                                        ; implicit-def: $vgpr8
.LBB2_6173:                             ;   in Loop: Header=BB2_5193 Depth=3
	s_and_not1_saveexec_b32 s42, s42
; %bb.6174:                             ;   in Loop: Header=BB2_5193 Depth=3
	v_bfe_i32 v8, v8, 0, 8
	s_delay_alu instid0(VALU_DEP_1) | instskip(SKIP_2) | instid1(VALU_DEP_2)
	v_cmp_lt_i16_e32 vcc_lo, -1, v8
	v_cndmask_b32_e32 v8, 0xff800000, v111, vcc_lo
	v_cmp_eq_u32_e32 vcc_lo, 0, v56
	v_cndmask_b32_e32 v9, 0x7f800001, v8, vcc_lo
; %bb.6175:                             ;   in Loop: Header=BB2_5193 Depth=3
	s_or_b32 exec_lo, exec_lo, s42
.LBB2_6176:                             ;   in Loop: Header=BB2_5193 Depth=3
	s_delay_alu instid0(SALU_CYCLE_1)
	s_or_b32 exec_lo, exec_lo, s15
.LBB2_6177:                             ;   in Loop: Header=BB2_5193 Depth=3
	s_delay_alu instid0(SALU_CYCLE_1) | instskip(SKIP_3) | instid1(VALU_DEP_1)
	s_or_b32 exec_lo, exec_lo, s14
	v_lshrrev_b32_e32 v8, 16, v11
	s_mov_b32 s15, 0
	s_mov_b32 s14, exec_lo
	v_and_b32_e32 v57, 0xff, v8
	s_delay_alu instid0(VALU_DEP_1)
	v_cmpx_lt_i16_e32 0x7f, v57
	s_xor_b32 s14, exec_lo, s14
	s_cbranch_execz .LBB2_6258
; %bb.6178:                             ;   in Loop: Header=BB2_5193 Depth=3
	s_mov_b32 s15, -1
	s_mov_b32 s42, exec_lo
	v_cmpx_eq_u16_e32 0x80, v57
; %bb.6179:                             ;   in Loop: Header=BB2_5193 Depth=3
	s_xor_b32 s15, exec_lo, -1
; %bb.6180:                             ;   in Loop: Header=BB2_5193 Depth=3
	s_or_b32 exec_lo, exec_lo, s42
	s_delay_alu instid0(SALU_CYCLE_1)
	s_and_b32 s15, s15, exec_lo
                                        ; implicit-def: $vgpr57
	s_or_saveexec_b32 s14, s14
	v_bfrev_b32_e32 v56, 1
	s_xor_b32 exec_lo, exec_lo, s14
	s_cbranch_execnz .LBB2_6259
.LBB2_6181:                             ;   in Loop: Header=BB2_5193 Depth=3
	s_or_b32 exec_lo, exec_lo, s14
	s_and_saveexec_b32 s14, s15
	s_cbranch_execz .LBB2_6183
.LBB2_6182:                             ;   in Loop: Header=BB2_5193 Depth=3
	v_and_b32_e32 v56, 3, v8
	v_bfe_u32 v59, v11, 18, 5
	s_delay_alu instid0(VALU_DEP_2) | instskip(NEXT) | instid1(VALU_DEP_2)
	v_clz_i32_u32_e32 v18, v56
	v_cmp_eq_u32_e32 vcc_lo, 0, v59
	s_delay_alu instid0(VALU_DEP_2) | instskip(NEXT) | instid1(VALU_DEP_1)
	v_min_u32_e32 v57, 32, v18
	v_subrev_nc_u32_e32 v18, 29, v57
	s_delay_alu instid0(VALU_DEP_1) | instskip(SKIP_2) | instid1(VALU_DEP_2)
	v_lshlrev_b64_e32 v[18:19], v18, v[8:9]
	v_dual_lshlrev_b32 v19, 24, v8 :: v_dual_sub_nc_u32 v57, 30, v57
	v_bfe_i32 v8, v8, 0, 8
	v_and_b32_e32 v19, 0x80000000, v19
	s_delay_alu instid0(VALU_DEP_3) | instskip(NEXT) | instid1(VALU_DEP_1)
	v_dual_cndmask_b32 v57, v59, v57, vcc_lo :: v_dual_bitop2_b32 v18, 3, v18 bitop3:0x40
	v_cndmask_b32_e32 v18, v56, v18, vcc_lo
	s_delay_alu instid0(VALU_DEP_2) | instskip(SKIP_1) | instid1(VALU_DEP_2)
	v_lshl_add_u32 v19, v57, 23, v19
	v_cmp_lt_i16_e32 vcc_lo, -1, v8
	v_lshl_or_b32 v18, v18, 21, v19
	v_cndmask_b32_e32 v8, 0xff800000, v111, vcc_lo
	v_and_b32_e32 v19, 0x7c0000, v11
	v_cmp_eq_u32_e32 vcc_lo, 0, v56
	s_delay_alu instid0(VALU_DEP_4) | instskip(NEXT) | instid1(VALU_DEP_4)
	v_add_nc_u32_e32 v18, 0x38000000, v18
	v_cndmask_b32_e32 v8, 0x7f800001, v8, vcc_lo
	s_delay_alu instid0(VALU_DEP_4) | instskip(NEXT) | instid1(VALU_DEP_2)
	v_cmp_eq_u32_e32 vcc_lo, 0x7c0000, v19
	v_cndmask_b32_e32 v56, v18, v8, vcc_lo
.LBB2_6183:                             ;   in Loop: Header=BB2_5193 Depth=3
	s_or_b32 exec_lo, exec_lo, s14
	s_delay_alu instid0(VALU_DEP_1) | instskip(SKIP_2) | instid1(VALU_DEP_2)
	v_dual_add_f32 v57, v9, v56 :: v_dual_mov_b32 v19, v3
	v_mov_b32_e32 v9, v3
                                        ; implicit-def: $vgpr56
	s_mov_b32 s14, exec_lo
	v_and_b32_e32 v18, 0x7f800000, v57
	v_and_b32_e32 v8, 0x7fffff, v57
	v_lshrrev_b32_e32 v59, 24, v57
	s_delay_alu instid0(VALU_DEP_3)
	v_cmpx_ne_u64_e32 0x7f800000, v[18:19]
	s_xor_b32 s15, exec_lo, s14
	s_cbranch_execz .LBB2_6197
; %bb.6184:                             ;   in Loop: Header=BB2_5193 Depth=3
	v_and_b32_e32 v18, 0x7fffffff, v57
	v_mov_b32_e32 v19, v3
	v_and_b32_e32 v59, 0x80, v59
                                        ; implicit-def: $vgpr56
	s_mov_b32 s14, exec_lo
	s_delay_alu instid0(VALU_DEP_2)
	v_cmpx_gt_u64_e32 0x47600001, v[18:19]
	s_xor_b32 s42, exec_lo, s14
	s_cbranch_execz .LBB2_6194
; %bb.6185:                             ;   in Loop: Header=BB2_5193 Depth=3
	v_mov_b32_e32 v56, 0
	s_mov_b32 s43, exec_lo
	v_cmpx_ne_u32_e32 0, v57
	s_cbranch_execz .LBB2_6193
; %bb.6186:                             ;   in Loop: Header=BB2_5193 Depth=3
	v_bfe_u32 v75, v57, 23, 8
	v_or_b32_e32 v56, 0x800000, v8
	s_delay_alu instid0(VALU_DEP_2) | instskip(SKIP_1) | instid1(VALU_DEP_2)
	v_sub_nc_u32_e32 v18, 0x71, v75
	v_cmp_gt_u32_e32 vcc_lo, 0x72, v75
	v_cndmask_b32_e32 v18, 0, v18, vcc_lo
	v_cmp_eq_u32_e32 vcc_lo, 0, v75
	s_delay_alu instid0(VALU_DEP_2) | instskip(NEXT) | instid1(VALU_DEP_1)
	v_cndmask_b32_e64 v77, v18, 0x70, vcc_lo
	v_dual_cndmask_b32 v8, v56, v8, vcc_lo :: v_dual_add_nc_u32 v18, 21, v77
	v_add_nc_u32_e32 v57, 20, v77
	s_delay_alu instid0(VALU_DEP_2) | instskip(NEXT) | instid1(VALU_DEP_2)
	v_lshlrev_b64_e64 v[18:19], v18, -1
	v_lshlrev_b64_e64 v[56:57], v57, 1
	s_delay_alu instid0(VALU_DEP_2) | instskip(SKIP_1) | instid1(VALU_DEP_4)
	v_bfi_b32 v18, v18, 0, v8
	v_lshrrev_b64 v[8:9], v77, v[8:9]
	v_bfi_b32 v19, v19, 0, 0
	s_delay_alu instid0(VALU_DEP_1) | instskip(NEXT) | instid1(VALU_DEP_3)
	v_cmp_eq_u64_e64 s14, v[18:19], v[56:57]
	v_mov_b64_e32 v[56:57], v[8:9]
	s_and_saveexec_b32 s77, s14
; %bb.6187:                             ;   in Loop: Header=BB2_5193 Depth=3
	v_bfe_u32 v18, v8, 21, 1
	v_mov_b32_e32 v19, v3
	s_delay_alu instid0(VALU_DEP_1) | instskip(NEXT) | instid1(VALU_DEP_1)
	v_add_nc_u64_e32 v[18:19], v[8:9], v[18:19]
	v_add_nc_u64_e32 v[56:57], -1, v[18:19]
; %bb.6188:                             ;   in Loop: Header=BB2_5193 Depth=3
	s_or_b32 exec_lo, exec_lo, s77
	v_add_nc_u32_e32 v9, 0xffffff81, v75
	v_lshrrev_b32_e32 v18, 23, v8
	s_mov_b32 s14, exec_lo
	s_delay_alu instid0(VALU_DEP_2) | instskip(NEXT) | instid1(VALU_DEP_1)
	v_cndmask_b32_e64 v9, v9, 0xffffff82, vcc_lo
	v_add3_u32 v57, v77, v9, v18
	v_and_b32_e32 v9, 0x1fffff, v56
                                        ; implicit-def: $vgpr56
	s_delay_alu instid0(VALU_DEP_1) | instskip(SKIP_1) | instid1(VALU_DEP_2)
	v_dual_add_nc_u32 v75, 14, v57 :: v_dual_add_nc_u32 v8, v9, v8
	v_mov_b32_e32 v9, v3
	v_cmpx_ne_u32_e32 0, v75
	s_xor_b32 s14, exec_lo, s14
; %bb.6189:                             ;   in Loop: Header=BB2_5193 Depth=3
	s_delay_alu instid0(VALU_DEP_2) | instskip(SKIP_1) | instid1(VALU_DEP_1)
	v_cmp_lt_u64_e32 vcc_lo, 0xffffff, v[8:9]
	v_add_nc_u32_e32 v18, 15, v57
	v_cndmask_b32_e32 v56, v75, v18, vcc_lo
	v_cndmask_b32_e64 v18, 0, 1, vcc_lo
	s_delay_alu instid0(VALU_DEP_1)
	v_lshrrev_b64 v[8:9], v18, v[8:9]
; %bb.6190:                             ;   in Loop: Header=BB2_5193 Depth=3
	s_and_not1_saveexec_b32 s14, s14
; %bb.6191:                             ;   in Loop: Header=BB2_5193 Depth=3
	s_delay_alu instid0(VALU_DEP_1)
	v_bfe_u32 v56, v8, 23, 1
; %bb.6192:                             ;   in Loop: Header=BB2_5193 Depth=3
	s_or_b32 exec_lo, exec_lo, s14
	s_delay_alu instid0(VALU_DEP_2) | instskip(NEXT) | instid1(VALU_DEP_2)
	v_lshrrev_b64 v[8:9], 21, v[8:9]
	v_cmp_gt_i32_e32 vcc_lo, 32, v56
	v_min_i32_e32 v18, 31, v56
	v_cmp_eq_u32_e64 s14, 0, v56
	s_delay_alu instid0(VALU_DEP_2) | instskip(SKIP_1) | instid1(VALU_DEP_2)
	v_dual_cndmask_b32 v9, 0, v9 :: v_dual_lshlrev_b32 v18, 2, v18
	v_cndmask_b32_e32 v8, 3, v8, vcc_lo
	v_and_b32_e32 v18, 0xfc, v18
	s_delay_alu instid0(VALU_DEP_2) | instskip(NEXT) | instid1(VALU_DEP_2)
	v_cmp_eq_u64_e32 vcc_lo, 0, v[8:9]
	v_and_or_b32 v8, v8, 3, v18
	s_and_b32 s14, s14, vcc_lo
	s_delay_alu instid0(VALU_DEP_1) | instid1(SALU_CYCLE_1)
	v_cndmask_b32_e64 v8, v8, 0, s14
	s_delay_alu instid0(VALU_DEP_1)
	v_or_b32_e32 v56, v8, v59
.LBB2_6193:                             ;   in Loop: Header=BB2_5193 Depth=3
	s_or_b32 exec_lo, exec_lo, s43
                                        ; implicit-def: $vgpr59
.LBB2_6194:                             ;   in Loop: Header=BB2_5193 Depth=3
	s_and_not1_saveexec_b32 s14, s42
; %bb.6195:                             ;   in Loop: Header=BB2_5193 Depth=3
	v_or_b32_e32 v56, 0x7b, v59
; %bb.6196:                             ;   in Loop: Header=BB2_5193 Depth=3
	s_or_b32 exec_lo, exec_lo, s14
                                        ; implicit-def: $vgpr57
                                        ; implicit-def: $vgpr8_vgpr9
                                        ; implicit-def: $vgpr59
.LBB2_6197:                             ;   in Loop: Header=BB2_5193 Depth=3
	s_and_not1_saveexec_b32 s14, s15
	s_cbranch_execz .LBB2_6203
; %bb.6198:                             ;   in Loop: Header=BB2_5193 Depth=3
	s_mov_b32 s15, exec_lo
                                        ; implicit-def: $vgpr56
	v_cmpx_ne_u64_e32 0, v[8:9]
	s_xor_b32 s15, exec_lo, s15
; %bb.6199:                             ;   in Loop: Header=BB2_5193 Depth=3
	v_or_b32_e32 v56, 0x7f, v59
                                        ; implicit-def: $vgpr57
; %bb.6200:                             ;   in Loop: Header=BB2_5193 Depth=3
	s_and_not1_saveexec_b32 s15, s15
; %bb.6201:                             ;   in Loop: Header=BB2_5193 Depth=3
	v_cmp_lt_i32_e32 vcc_lo, -1, v57
	v_cndmask_b32_e32 v56, 0xfc, v120, vcc_lo
; %bb.6202:                             ;   in Loop: Header=BB2_5193 Depth=3
	s_or_b32 exec_lo, exec_lo, s15
.LBB2_6203:                             ;   in Loop: Header=BB2_5193 Depth=3
	s_delay_alu instid0(SALU_CYCLE_1)
	s_or_b32 exec_lo, exec_lo, s14
	v_mov_b32_e32 v9, 0
	s_mov_b32 s14, exec_lo
	v_cmpx_lt_u32_e32 0xffffff, v2
	s_cbranch_execz .LBB2_6213
; %bb.6204:                             ;   in Loop: Header=BB2_5193 Depth=3
	v_lshrrev_b32_e32 v8, 24, v2
	v_bfrev_b32_e32 v9, 1
	s_mov_b32 s15, exec_lo
	s_delay_alu instid0(VALU_DEP_2)
	v_cmpx_ne_u32_e32 0x80, v8
	s_cbranch_execz .LBB2_6212
; %bb.6205:                             ;   in Loop: Header=BB2_5193 Depth=3
	v_and_b32_e32 v9, 0x7c000000, v2
	v_bfe_u32 v57, v2, 24, 2
	s_delay_alu instid0(VALU_DEP_2) | instskip(SKIP_1) | instid1(SALU_CYCLE_1)
	v_cmp_ne_u32_e32 vcc_lo, 0x7c000000, v9
                                        ; implicit-def: $vgpr9
	s_and_saveexec_b32 s42, vcc_lo
	s_xor_b32 s42, exec_lo, s42
	s_cbranch_execz .LBB2_6209
; %bb.6206:                             ;   in Loop: Header=BB2_5193 Depth=3
	v_bfe_u32 v9, v2, 26, 5
	s_mov_b32 s43, exec_lo
	s_delay_alu instid0(VALU_DEP_1)
	v_cmpx_eq_u32_e32 0, v9
; %bb.6207:                             ;   in Loop: Header=BB2_5193 Depth=3
	v_clz_i32_u32_e32 v9, v57
	s_delay_alu instid0(VALU_DEP_1) | instskip(NEXT) | instid1(VALU_DEP_1)
	v_min_u32_e32 v18, 32, v9
	v_subrev_nc_u32_e32 v9, 29, v18
	s_delay_alu instid0(VALU_DEP_1) | instskip(NEXT) | instid1(VALU_DEP_1)
	v_lshlrev_b64_e32 v[8:9], v9, v[8:9]
	v_dual_sub_nc_u32 v9, 30, v18 :: v_dual_bitop2_b32 v57, 3, v8 bitop3:0x40
; %bb.6208:                             ;   in Loop: Header=BB2_5193 Depth=3
	s_or_b32 exec_lo, exec_lo, s43
	v_and_b32_e32 v2, 0x80000000, v2
	s_delay_alu instid0(VALU_DEP_1) | instskip(NEXT) | instid1(VALU_DEP_1)
	v_lshl_add_u32 v2, v9, 23, v2
	v_lshl_or_b32 v2, v57, 21, v2
                                        ; implicit-def: $vgpr57
	s_delay_alu instid0(VALU_DEP_1)
	v_add_nc_u32_e32 v9, 0x38000000, v2
.LBB2_6209:                             ;   in Loop: Header=BB2_5193 Depth=3
	s_and_not1_saveexec_b32 s42, s42
; %bb.6210:                             ;   in Loop: Header=BB2_5193 Depth=3
	v_cmp_lt_i32_e32 vcc_lo, -1, v2
	v_cndmask_b32_e32 v2, 0xff800000, v111, vcc_lo
	v_cmp_eq_u32_e32 vcc_lo, 0, v57
	s_delay_alu instid0(VALU_DEP_2)
	v_cndmask_b32_e32 v9, 0x7f800001, v2, vcc_lo
; %bb.6211:                             ;   in Loop: Header=BB2_5193 Depth=3
	s_or_b32 exec_lo, exec_lo, s42
.LBB2_6212:                             ;   in Loop: Header=BB2_5193 Depth=3
	s_delay_alu instid0(SALU_CYCLE_1)
	s_or_b32 exec_lo, exec_lo, s15
.LBB2_6213:                             ;   in Loop: Header=BB2_5193 Depth=3
	s_delay_alu instid0(SALU_CYCLE_1) | instskip(SKIP_2) | instid1(VALU_DEP_2)
	s_or_b32 exec_lo, exec_lo, s14
	v_bfe_u32 v8, v11, 24, 2
	v_bfe_u32 v59, v11, 26, 5
	v_clz_i32_u32_e32 v2, v8
	s_delay_alu instid0(VALU_DEP_2) | instskip(NEXT) | instid1(VALU_DEP_2)
	v_cmp_eq_u32_e32 vcc_lo, 0, v59
	v_min_u32_e32 v57, 32, v2
	v_lshrrev_b32_e32 v2, 24, v11
	s_delay_alu instid0(VALU_DEP_2) | instskip(NEXT) | instid1(VALU_DEP_1)
	v_subrev_nc_u32_e32 v18, 29, v57
	v_lshlrev_b64_e32 v[18:19], v18, v[2:3]
	v_sub_nc_u32_e32 v19, 30, v57
	v_and_b32_e32 v57, 0x80000000, v11
	s_delay_alu instid0(VALU_DEP_2) | instskip(NEXT) | instid1(VALU_DEP_1)
	v_dual_cndmask_b32 v19, v59, v19, vcc_lo :: v_dual_bitop2_b32 v18, 3, v18 bitop3:0x40
	v_lshl_add_u32 v19, v19, 23, v57
	s_delay_alu instid0(VALU_DEP_2) | instskip(SKIP_1) | instid1(VALU_DEP_2)
	v_cndmask_b32_e32 v18, v8, v18, vcc_lo
	v_cmp_lt_i64_e32 vcc_lo, -1, v[10:11]
	v_lshl_or_b32 v18, v18, 21, v19
	v_and_b32_e32 v19, 0x7c000000, v11
	v_cndmask_b32_e32 v57, 0xff800000, v111, vcc_lo
	v_cmp_eq_u32_e32 vcc_lo, 0, v8
	s_delay_alu instid0(VALU_DEP_4) | instskip(NEXT) | instid1(VALU_DEP_3)
	v_add_nc_u32_e32 v18, 0x38000000, v18
	v_cndmask_b32_e32 v8, 0x7f800001, v57, vcc_lo
	v_cmp_eq_u32_e32 vcc_lo, 0x7c000000, v19
	s_delay_alu instid0(VALU_DEP_2) | instskip(SKIP_1) | instid1(VALU_DEP_2)
	v_cndmask_b32_e32 v8, v18, v8, vcc_lo
	v_cmp_ne_u32_e32 vcc_lo, 0x80, v2
	v_cndmask_b32_e32 v2, 0x80000000, v8, vcc_lo
	v_cmp_lt_u64_e32 vcc_lo, s[22:23], v[10:11]
	v_mov_b32_e32 v11, v3
                                        ; implicit-def: $vgpr8
	s_delay_alu instid0(VALU_DEP_3) | instskip(NEXT) | instid1(VALU_DEP_1)
	v_cndmask_b32_e32 v2, 0, v2, vcc_lo
	v_add_f32_e32 v9, v2, v9
	s_delay_alu instid0(VALU_DEP_1) | instskip(SKIP_1) | instid1(VALU_DEP_2)
	v_and_b32_e32 v10, 0x7f800000, v9
	v_and_b32_e32 v2, 0x7fffff, v9
	v_cmp_ne_u64_e32 vcc_lo, 0x7f800000, v[10:11]
	v_lshrrev_b32_e32 v10, 24, v9
	s_and_saveexec_b32 s14, vcc_lo
	s_delay_alu instid0(SALU_CYCLE_1)
	s_xor_b32 s15, exec_lo, s14
	s_cbranch_execz .LBB2_6227
; %bb.6214:                             ;   in Loop: Header=BB2_5193 Depth=3
	v_and_b32_e32 v18, 0x7fffffff, v9
	v_mov_b32_e32 v19, v3
	v_and_b32_e32 v57, 0x80, v10
                                        ; implicit-def: $vgpr8
	s_mov_b32 s14, exec_lo
	s_delay_alu instid0(VALU_DEP_2)
	v_cmpx_gt_u64_e32 0x47600001, v[18:19]
	s_xor_b32 s42, exec_lo, s14
	s_cbranch_execz .LBB2_6224
; %bb.6215:                             ;   in Loop: Header=BB2_5193 Depth=3
	v_mov_b32_e32 v8, 0
	s_mov_b32 s43, exec_lo
	v_cmpx_ne_u32_e32 0, v9
	s_cbranch_execz .LBB2_6223
; %bb.6216:                             ;   in Loop: Header=BB2_5193 Depth=3
	v_bfe_u32 v59, v9, 23, 8
	v_or_b32_e32 v10, 0x800000, v2
	s_mov_b32 s77, exec_lo
	s_delay_alu instid0(VALU_DEP_2) | instskip(SKIP_1) | instid1(VALU_DEP_2)
	v_dual_mov_b32 v11, v3 :: v_dual_sub_nc_u32 v8, 0x71, v59
	v_cmp_gt_u32_e32 vcc_lo, 0x72, v59
	v_cndmask_b32_e32 v8, 0, v8, vcc_lo
	v_cmp_eq_u32_e32 vcc_lo, 0, v59
	s_delay_alu instid0(VALU_DEP_2) | instskip(NEXT) | instid1(VALU_DEP_1)
	v_cndmask_b32_e64 v75, v8, 0x70, vcc_lo
	v_dual_cndmask_b32 v10, v10, v2, vcc_lo :: v_dual_add_nc_u32 v8, 21, v75
	v_add_nc_u32_e32 v18, 20, v75
	s_delay_alu instid0(VALU_DEP_2) | instskip(NEXT) | instid1(VALU_DEP_2)
	v_lshlrev_b64_e64 v[8:9], v8, -1
	v_lshlrev_b64_e64 v[18:19], v18, 1
	s_delay_alu instid0(VALU_DEP_2) | instskip(NEXT) | instid1(VALU_DEP_3)
	v_bfi_b32 v93, v9, 0, 0
	v_bfi_b32 v92, v8, 0, v10
	v_lshrrev_b64 v[8:9], v75, v[10:11]
	s_delay_alu instid0(VALU_DEP_1) | instskip(NEXT) | instid1(VALU_DEP_3)
	v_mov_b64_e32 v[10:11], v[8:9]
	v_cmpx_eq_u64_e64 v[92:93], v[18:19]
; %bb.6217:                             ;   in Loop: Header=BB2_5193 Depth=3
	v_bfe_u32 v10, v8, 21, 1
	v_mov_b32_e32 v11, v3
	s_delay_alu instid0(VALU_DEP_1) | instskip(NEXT) | instid1(VALU_DEP_1)
	v_add_nc_u64_e32 v[10:11], v[8:9], v[10:11]
	v_add_nc_u64_e32 v[10:11], -1, v[10:11]
; %bb.6218:                             ;   in Loop: Header=BB2_5193 Depth=3
	s_or_b32 exec_lo, exec_lo, s77
	v_add_nc_u32_e32 v2, 0xffffff81, v59
	s_delay_alu instid0(VALU_DEP_2) | instskip(SKIP_2) | instid1(VALU_DEP_3)
	v_and_b32_e32 v10, 0x1fffff, v10
	v_lshrrev_b32_e32 v9, 23, v8
	s_mov_b32 s14, exec_lo
	v_cndmask_b32_e64 v2, v2, 0xffffff82, vcc_lo
	s_delay_alu instid0(VALU_DEP_1) | instskip(SKIP_1) | instid1(VALU_DEP_2)
	v_add3_u32 v11, v75, v2, v9
	v_add_nc_u32_e32 v2, v10, v8
                                        ; implicit-def: $vgpr8_vgpr9
                                        ; implicit-def: $vgpr10
	v_add_nc_u32_e32 v59, 14, v11
	s_delay_alu instid0(VALU_DEP_1)
	v_cmpx_ne_u32_e32 0, v59
	s_xor_b32 s14, exec_lo, s14
; %bb.6219:                             ;   in Loop: Header=BB2_5193 Depth=3
	s_delay_alu instid0(VALU_DEP_3) | instskip(SKIP_1) | instid1(VALU_DEP_1)
	v_cmp_lt_u64_e32 vcc_lo, 0xffffff, v[2:3]
	v_add_nc_u32_e32 v8, 15, v11
	v_cndmask_b32_e32 v10, v59, v8, vcc_lo
	v_cndmask_b32_e64 v8, 0, 1, vcc_lo
	s_delay_alu instid0(VALU_DEP_1)
	v_lshrrev_b64 v[8:9], v8, v[2:3]
; %bb.6220:                             ;   in Loop: Header=BB2_5193 Depth=3
	s_and_not1_saveexec_b32 s14, s14
; %bb.6221:                             ;   in Loop: Header=BB2_5193 Depth=3
	v_mov_b64_e32 v[8:9], v[2:3]
	v_bfe_u32 v10, v2, 23, 1
; %bb.6222:                             ;   in Loop: Header=BB2_5193 Depth=3
	s_or_b32 exec_lo, exec_lo, s14
	s_delay_alu instid0(VALU_DEP_2) | instskip(NEXT) | instid1(VALU_DEP_2)
	v_lshrrev_b64 v[8:9], 21, v[8:9]
	v_cmp_gt_i32_e32 vcc_lo, 32, v10
	v_min_i32_e32 v2, 31, v10
	v_cmp_eq_u32_e64 s14, 0, v10
	s_delay_alu instid0(VALU_DEP_2) | instskip(SKIP_1) | instid1(VALU_DEP_2)
	v_dual_cndmask_b32 v9, 0, v9 :: v_dual_lshlrev_b32 v2, 2, v2
	v_cndmask_b32_e32 v8, 3, v8, vcc_lo
	v_and_b32_e32 v2, 0xfc, v2
	s_delay_alu instid0(VALU_DEP_2) | instskip(NEXT) | instid1(VALU_DEP_2)
	v_cmp_eq_u64_e32 vcc_lo, 0, v[8:9]
	v_and_or_b32 v2, v8, 3, v2
	s_and_b32 s14, s14, vcc_lo
	s_delay_alu instid0(VALU_DEP_1) | instid1(SALU_CYCLE_1)
	v_cndmask_b32_e64 v2, v2, 0, s14
	s_delay_alu instid0(VALU_DEP_1)
	v_or_b32_e32 v8, v2, v57
.LBB2_6223:                             ;   in Loop: Header=BB2_5193 Depth=3
	s_or_b32 exec_lo, exec_lo, s43
                                        ; implicit-def: $vgpr57
.LBB2_6224:                             ;   in Loop: Header=BB2_5193 Depth=3
	s_and_not1_saveexec_b32 s14, s42
; %bb.6225:                             ;   in Loop: Header=BB2_5193 Depth=3
	v_or_b32_e32 v8, 0x7b, v57
; %bb.6226:                             ;   in Loop: Header=BB2_5193 Depth=3
	s_or_b32 exec_lo, exec_lo, s14
                                        ; implicit-def: $vgpr9
                                        ; implicit-def: $vgpr10
.LBB2_6227:                             ;   in Loop: Header=BB2_5193 Depth=3
	s_and_not1_saveexec_b32 s14, s15
	s_cbranch_execz .LBB2_6233
; %bb.6228:                             ;   in Loop: Header=BB2_5193 Depth=3
	s_mov_b32 s15, exec_lo
                                        ; implicit-def: $vgpr8
	v_cmpx_ne_u64_e32 0, v[2:3]
	s_xor_b32 s15, exec_lo, s15
; %bb.6229:                             ;   in Loop: Header=BB2_5193 Depth=3
	v_or_b32_e32 v8, 0x7f, v10
                                        ; implicit-def: $vgpr9
; %bb.6230:                             ;   in Loop: Header=BB2_5193 Depth=3
	s_and_not1_saveexec_b32 s15, s15
; %bb.6231:                             ;   in Loop: Header=BB2_5193 Depth=3
	v_cmp_lt_i32_e32 vcc_lo, -1, v9
	v_cndmask_b32_e32 v8, 0xfc, v120, vcc_lo
; %bb.6232:                             ;   in Loop: Header=BB2_5193 Depth=3
	s_or_b32 exec_lo, exec_lo, s15
.LBB2_6233:                             ;   in Loop: Header=BB2_5193 Depth=3
	s_delay_alu instid0(SALU_CYCLE_1)
	s_or_b32 exec_lo, exec_lo, s14
	v_lshl_or_b32 v2, v61, 8, v60
	v_dual_lshlrev_b32 v9, 16, v91 :: v_dual_lshlrev_b32 v10, 24, v30
	v_lshl_or_b32 v11, v63, 8, v16
	v_dual_lshlrev_b32 v16, 16, v76 :: v_dual_lshlrev_b32 v18, 24, v79
	;; [unrolled: 2-line block ×3, first 2 shown]
	v_lshlrev_b32_e32 v59, 24, v8
	v_lshlrev_b32_e32 v56, 16, v56
	v_lshl_or_b32 v17, v58, 8, v17
	v_or3_b32 v9, v2, v9, v10
	v_or3_b32 v8, v11, v16, v18
	;; [unrolled: 1-line block ×3, first 2 shown]
	s_mov_b64 s[42:43], 0
	v_or3_b32 v11, v17, v56, v59
	s_mov_b32 s77, -1
.LBB2_6234:                             ;   Parent Loop BB2_47 Depth=1
                                        ;     Parent Loop BB2_5115 Depth=2
                                        ;       Parent Loop BB2_5193 Depth=3
                                        ; =>      This Inner Loop Header: Depth=4
	s_cmp_eq_u32 s42, 1
	s_cselect_b32 vcc_lo, -1, 0
	s_cmp_eq_u32 s42, 0
	s_wait_xcnt 0x0
	v_dual_cndmask_b32 v17, v43, v45 :: v_dual_cndmask_b32 v16, v42, v44
	s_cselect_b32 s14, -1, 0
	s_and_b32 s15, exec_lo, s77
	s_mov_b64 s[42:43], 1
	s_mov_b32 s77, 0
	v_add_nc_u64_e32 v[18:19], 0x200, v[16:17]
	global_store_b128 v[16:17], v[8:11], off th:TH_STORE_NT
	v_dual_cndmask_b32 v45, v45, v19 :: v_dual_cndmask_b32 v44, v44, v18
	v_dual_cndmask_b32 v43, v43, v19, s14 :: v_dual_cndmask_b32 v42, v42, v18, s14
	s_mov_b32 vcc_lo, s15
	s_cbranch_vccnz .LBB2_6234
; %bb.6235:                             ;   in Loop: Header=BB2_5193 Depth=3
	v_sub_nc_u32_e32 v103, v103, v52
	v_add_nc_u64_e32 v[40:41], v[40:41], v[82:83]
	v_add_nc_u64_e32 v[46:47], v[46:47], v[82:83]
	;; [unrolled: 1-line block ×4, first 2 shown]
	v_cmp_gt_i32_e32 vcc_lo, 16, v103
	v_sub_nc_u32_e32 v62, v62, v32
	s_or_b32 s74, vcc_lo, s74
	s_wait_xcnt 0x0
	s_and_not1_b32 exec_lo, exec_lo, s74
	s_cbranch_execnz .LBB2_5193
	s_branch .LBB2_6260
.LBB2_6236:                             ;   in Loop: Header=BB2_5193 Depth=3
	s_or_saveexec_b32 s14, s14
	v_bfrev_b32_e32 v16, 1
	s_xor_b32 exec_lo, exec_lo, s14
	s_cbranch_execz .LBB2_5695
.LBB2_6237:                             ;   in Loop: Header=BB2_5193 Depth=3
	v_cmp_ne_u16_e32 vcc_lo, 0, v57
	v_mov_b32_e32 v16, 0
	s_and_not1_b32 s15, s15, exec_lo
	s_and_b32 s42, vcc_lo, exec_lo
	s_delay_alu instid0(SALU_CYCLE_1)
	s_or_b32 s15, s15, s42
	s_or_b32 exec_lo, exec_lo, s14
	s_and_saveexec_b32 s14, s15
	s_cbranch_execnz .LBB2_5696
	s_branch .LBB2_5697
.LBB2_6238:                             ;   in Loop: Header=BB2_5193 Depth=3
	s_or_saveexec_b32 s14, s14
	v_bfrev_b32_e32 v30, 1
	s_xor_b32 exec_lo, exec_lo, s14
	s_cbranch_execz .LBB2_5731
.LBB2_6239:                             ;   in Loop: Header=BB2_5193 Depth=3
	v_cmp_ne_u16_e32 vcc_lo, 0, v56
	v_mov_b32_e32 v30, 0
	s_and_not1_b32 s15, s15, exec_lo
	s_and_b32 s42, vcc_lo, exec_lo
	s_delay_alu instid0(SALU_CYCLE_1)
	s_or_b32 s15, s15, s42
	s_or_b32 exec_lo, exec_lo, s14
	s_and_saveexec_b32 s14, s15
	s_cbranch_execnz .LBB2_5732
	s_branch .LBB2_5733
.LBB2_6240:                             ;   in Loop: Header=BB2_5193 Depth=3
	s_or_saveexec_b32 s14, s14
	v_bfrev_b32_e32 v57, 1
	s_xor_b32 exec_lo, exec_lo, s14
	s_cbranch_execz .LBB2_5767
.LBB2_6241:                             ;   in Loop: Header=BB2_5193 Depth=3
	v_cmp_ne_u16_e32 vcc_lo, 0, v58
	v_mov_b32_e32 v57, 0
	s_and_not1_b32 s15, s15, exec_lo
	s_and_b32 s42, vcc_lo, exec_lo
	s_delay_alu instid0(SALU_CYCLE_1)
	s_or_b32 s15, s15, s42
	s_or_b32 exec_lo, exec_lo, s14
	s_and_saveexec_b32 s14, s15
	s_cbranch_execnz .LBB2_5768
	s_branch .LBB2_5769
.LBB2_6242:                             ;   in Loop: Header=BB2_5193 Depth=3
	s_or_saveexec_b32 s14, s14
	v_bfrev_b32_e32 v59, 1
	s_xor_b32 exec_lo, exec_lo, s14
	s_cbranch_execz .LBB2_5833
.LBB2_6243:                             ;   in Loop: Header=BB2_5193 Depth=3
	v_cmp_ne_u16_e32 vcc_lo, 0, v57
	v_mov_b32_e32 v59, 0
	s_and_not1_b32 s15, s15, exec_lo
	s_and_b32 s42, vcc_lo, exec_lo
	s_delay_alu instid0(SALU_CYCLE_1)
	s_or_b32 s15, s15, s42
	s_or_b32 exec_lo, exec_lo, s14
	v_mov_b32_e32 v57, v3
	s_and_saveexec_b32 s14, s15
	s_cbranch_execnz .LBB2_5834
	s_branch .LBB2_5835
.LBB2_6244:                             ;   in Loop: Header=BB2_5193 Depth=3
	s_or_saveexec_b32 s14, s14
	v_bfrev_b32_e32 v30, 1
	s_xor_b32 exec_lo, exec_lo, s14
	s_cbranch_execz .LBB2_5869
.LBB2_6245:                             ;   in Loop: Header=BB2_5193 Depth=3
	v_cmp_ne_u16_e32 vcc_lo, 0, v58
	v_mov_b32_e32 v30, 0
	s_and_not1_b32 s15, s15, exec_lo
	s_and_b32 s42, vcc_lo, exec_lo
	s_delay_alu instid0(SALU_CYCLE_1)
	s_or_b32 s15, s15, s42
	s_or_b32 exec_lo, exec_lo, s14
	s_and_saveexec_b32 s14, s15
	s_cbranch_execnz .LBB2_5870
	s_branch .LBB2_5871
.LBB2_6246:                             ;   in Loop: Header=BB2_5193 Depth=3
	s_or_saveexec_b32 s14, s14
	v_bfrev_b32_e32 v57, 1
	s_xor_b32 exec_lo, exec_lo, s14
	s_cbranch_execz .LBB2_5905
.LBB2_6247:                             ;   in Loop: Header=BB2_5193 Depth=3
	v_cmp_ne_u16_e32 vcc_lo, 0, v58
	v_mov_b32_e32 v57, 0
	s_and_not1_b32 s15, s15, exec_lo
	s_and_b32 s42, vcc_lo, exec_lo
	s_delay_alu instid0(SALU_CYCLE_1)
	s_or_b32 s15, s15, s42
	s_or_b32 exec_lo, exec_lo, s14
	s_and_saveexec_b32 s14, s15
	s_cbranch_execnz .LBB2_5906
	s_branch .LBB2_5907
.LBB2_6248:                             ;   in Loop: Header=BB2_5193 Depth=3
	s_or_saveexec_b32 s14, s14
	v_bfrev_b32_e32 v9, 1
	s_xor_b32 exec_lo, exec_lo, s14
	s_cbranch_execz .LBB2_5971
.LBB2_6249:                             ;   in Loop: Header=BB2_5193 Depth=3
	v_cmp_ne_u16_e32 vcc_lo, 0, v56
	v_mov_b32_e32 v9, 0
	s_and_not1_b32 s15, s15, exec_lo
	s_and_b32 s42, vcc_lo, exec_lo
	s_delay_alu instid0(SALU_CYCLE_1)
	s_or_b32 s15, s15, s42
	s_or_b32 exec_lo, exec_lo, s14
	s_and_saveexec_b32 s14, s15
	s_cbranch_execnz .LBB2_5972
	s_branch .LBB2_5973
.LBB2_6250:                             ;   in Loop: Header=BB2_5193 Depth=3
	s_or_saveexec_b32 s14, s14
	v_bfrev_b32_e32 v9, 1
	s_xor_b32 exec_lo, exec_lo, s14
	s_cbranch_execz .LBB2_6007
.LBB2_6251:                             ;   in Loop: Header=BB2_5193 Depth=3
	v_cmp_ne_u16_e32 vcc_lo, 0, v8
	v_mov_b32_e32 v9, 0
	s_and_not1_b32 s15, s15, exec_lo
	s_and_b32 s42, vcc_lo, exec_lo
	s_delay_alu instid0(SALU_CYCLE_1)
	s_or_b32 s15, s15, s42
	s_or_b32 exec_lo, exec_lo, s14
	s_and_saveexec_b32 s14, s15
	s_cbranch_execnz .LBB2_6008
	s_branch .LBB2_6009
.LBB2_6252:                             ;   in Loop: Header=BB2_5193 Depth=3
	s_or_saveexec_b32 s14, s14
	v_bfrev_b32_e32 v56, 1
	s_xor_b32 exec_lo, exec_lo, s14
	s_cbranch_execz .LBB2_6043
.LBB2_6253:                             ;   in Loop: Header=BB2_5193 Depth=3
	v_cmp_ne_u16_e32 vcc_lo, 0, v57
	v_mov_b32_e32 v56, 0
	s_and_not1_b32 s15, s15, exec_lo
	s_and_b32 s42, vcc_lo, exec_lo
	s_delay_alu instid0(SALU_CYCLE_1)
	s_or_b32 s15, s15, s42
	s_or_b32 exec_lo, exec_lo, s14
	s_and_saveexec_b32 s14, s15
	s_cbranch_execnz .LBB2_6044
	s_branch .LBB2_6045
.LBB2_6254:                             ;   in Loop: Header=BB2_5193 Depth=3
	s_or_saveexec_b32 s14, s14
	v_bfrev_b32_e32 v17, 1
	s_xor_b32 exec_lo, exec_lo, s14
	s_cbranch_execz .LBB2_6109
.LBB2_6255:                             ;   in Loop: Header=BB2_5193 Depth=3
	v_cmp_ne_u16_e32 vcc_lo, 0, v9
	v_mov_b32_e32 v17, 0
	s_and_not1_b32 s15, s15, exec_lo
	s_and_b32 s42, vcc_lo, exec_lo
	s_delay_alu instid0(SALU_CYCLE_1)
	s_or_b32 s15, s15, s42
	s_or_b32 exec_lo, exec_lo, s14
	v_mov_b32_e32 v9, v3
	s_and_saveexec_b32 s14, s15
	s_cbranch_execnz .LBB2_6110
	s_branch .LBB2_6111
.LBB2_6256:                             ;   in Loop: Header=BB2_5193 Depth=3
	s_or_saveexec_b32 s14, s14
	v_bfrev_b32_e32 v57, 1
	s_xor_b32 exec_lo, exec_lo, s14
	s_cbranch_execz .LBB2_6145
.LBB2_6257:                             ;   in Loop: Header=BB2_5193 Depth=3
	v_cmp_ne_u16_e32 vcc_lo, 0, v56
	v_mov_b32_e32 v57, 0
	s_and_not1_b32 s15, s15, exec_lo
	s_and_b32 s42, vcc_lo, exec_lo
	s_delay_alu instid0(SALU_CYCLE_1)
	s_or_b32 s15, s15, s42
	s_or_b32 exec_lo, exec_lo, s14
	s_and_saveexec_b32 s14, s15
	s_cbranch_execnz .LBB2_6146
	s_branch .LBB2_6147
.LBB2_6258:                             ;   in Loop: Header=BB2_5193 Depth=3
	s_or_saveexec_b32 s14, s14
	v_bfrev_b32_e32 v56, 1
	s_xor_b32 exec_lo, exec_lo, s14
	s_cbranch_execz .LBB2_6181
.LBB2_6259:                             ;   in Loop: Header=BB2_5193 Depth=3
	v_cmp_ne_u16_e32 vcc_lo, 0, v57
	v_mov_b32_e32 v56, 0
	s_and_not1_b32 s15, s15, exec_lo
	s_and_b32 s42, vcc_lo, exec_lo
	s_delay_alu instid0(SALU_CYCLE_1)
	s_or_b32 s15, s15, s42
	s_or_b32 exec_lo, exec_lo, s14
	s_and_saveexec_b32 s14, s15
	s_cbranch_execnz .LBB2_6182
	s_branch .LBB2_6183
.LBB2_6260:                             ;   in Loop: Header=BB2_5115 Depth=2
	s_or_b32 exec_lo, exec_lo, s74
.LBB2_6261:                             ;   in Loop: Header=BB2_5115 Depth=2
	s_delay_alu instid0(SALU_CYCLE_1) | instskip(SKIP_3) | instid1(VALU_DEP_1)
	s_or_b32 exec_lo, exec_lo, s73
	v_dual_mov_b32 v30, 0 :: v_dual_bitop2_b32 v2, 15, v101 bitop3:0x40
	s_mov_b32 s14, 0
	s_mov_b32 s73, exec_lo
                                        ; implicit-def: $vgpr124
                                        ; implicit-def: $vgpr125
	v_cndmask_b32_e64 v103, v72, v2, s13
	s_delay_alu instid0(VALU_DEP_1)
	v_cmpx_ne_u32_e32 0, v103
	s_cbranch_execz .LBB2_7333
; %bb.6262:                             ;   in Loop: Header=BB2_5115 Depth=2
	v_cmp_lt_i32_e32 vcc_lo, 0, v62
	s_mov_b32 s74, exec_lo
	v_dual_ashrrev_i32 v10, 31, v103 :: v_dual_cndmask_b32 v8, 0, v32, vcc_lo
	s_delay_alu instid0(VALU_DEP_1) | instskip(NEXT) | instid1(VALU_DEP_2)
	v_lshrrev_b32_e32 v10, 23, v10
	v_sub_nc_u32_e32 v8, v8, v62
	s_delay_alu instid0(VALU_DEP_2) | instskip(NEXT) | instid1(VALU_DEP_2)
	v_add_nc_u32_e32 v10, v103, v10
	v_lshl_or_b32 v8, v8, 5, v108
	s_delay_alu instid0(VALU_DEP_2) | instskip(NEXT) | instid1(VALU_DEP_2)
	v_and_b32_e32 v63, 0xfffffe00, v10
	v_ashrrev_i32_e32 v9, 31, v8
	s_delay_alu instid0(VALU_DEP_1) | instskip(NEXT) | instid1(VALU_DEP_1)
	v_lshrrev_b32_e32 v9, 27, v9
	v_add_nc_u32_e32 v9, v8, v9
	s_delay_alu instid0(VALU_DEP_1) | instskip(NEXT) | instid1(VALU_DEP_1)
	v_and_b32_e32 v11, 0xffffffe0, v9
	v_dual_sub_nc_u32 v62, v8, v11 :: v_dual_ashrrev_i32 v8, 5, v9
	v_dual_sub_nc_u32 v11, v72, v2 :: v_dual_sub_nc_u32 v72, v103, v63
	s_delay_alu instid0(VALU_DEP_2) | instskip(NEXT) | instid1(VALU_DEP_1)
	v_lshlrev_b32_e32 v9, 4, v62
	v_lshl_add_u32 v2, v8, 9, v9
	s_delay_alu instid0(VALU_DEP_1) | instskip(NEXT) | instid1(VALU_DEP_4)
	v_sub_nc_u32_e32 v75, v103, v2
	v_dual_ashrrev_i32 v10, 9, v10 :: v_dual_cndmask_b32 v9, 0, v11, s13
	v_cmp_lt_i32_e64 s13, 15, v72
	s_delay_alu instid0(VALU_DEP_1) | instskip(NEXT) | instid1(VALU_DEP_1)
	v_add_co_ci_u32_e64 v10, null, 0, v10, s13
	v_dual_add_nc_u32 v73, v9, v73 :: v_dual_sub_nc_u32 v74, v10, v8
	v_cmpx_lt_i32_e32 15, v75
	s_cbranch_execz .LBB2_7332
; %bb.6263:                             ;   in Loop: Header=BB2_5115 Depth=2
	s_trap 2
	ds_load_b64 v[8:9], v0
	v_add_nc_u32_e32 v10, v2, v73
	s_delay_alu instid0(VALU_DEP_1) | instskip(NEXT) | instid1(VALU_DEP_1)
	v_ashrrev_i32_e32 v11, 31, v10
	v_add_nc_u64_e32 v[40:41], v[10:11], v[114:115]
	v_add_nc_u64_e32 v[42:43], v[10:11], v[116:117]
	;; [unrolled: 1-line block ×3, first 2 shown]
	s_wait_dscnt 0x0
	v_readfirstlane_b32 s14, v8
	v_readfirstlane_b32 s15, v9
	v_add_nc_u64_e32 v[46:47], v[8:9], v[10:11]
	s_and_b32 s43, s14, 3
	s_bfe_i32 s42, s14, 0x80000
	s_clz_i32_u32 s77, s43
	s_bfe_u32 s75, s14, 0x50002
	s_min_u32 s77, s77, 32
	s_and_b32 s76, s14, 0x7c
	s_sub_co_i32 s88, s77, 29
	s_lshl_b32 s78, s14, 24
	s_sext_i32_i8 s79, s14
	s_lshl_b64 s[14:15], s[14:15], s88
	s_and_b32 s78, s78, 0x80000000
	s_sub_co_i32 s15, 30, s77
	s_and_b32 s14, s14, 3
	s_cmp_gt_i32 s79, -1
	s_cselect_b32 s77, s47, 0xff800000
	s_cmp_eq_u32 s43, 0
	s_cselect_b32 s77, s77, 0x7f800001
	s_cmp_eq_u32 s75, 0
	s_cselect_b32 s15, s15, s75
	s_cselect_b32 s14, s14, s43
	s_lshl_b32 s15, s15, 23
	s_lshl_b32 s14, s14, 21
	s_add_co_i32 s15, s15, s78
	s_mov_b32 s75, 0
	s_or_b32 s14, s15, s14
	s_delay_alu instid0(SALU_CYCLE_1)
	s_add_co_i32 s14, s14, 0x38000000
	s_cmp_eq_u32 s76, 0x7c
	s_cselect_b32 s76, s77, s14
	s_and_b32 s77, s42, 0xff
.LBB2_6264:                             ;   Parent Loop BB2_47 Depth=1
                                        ;     Parent Loop BB2_5115 Depth=2
                                        ; =>    This Loop Header: Depth=3
                                        ;         Child Loop BB2_7305 Depth 4
	s_delay_alu instid0(SALU_CYCLE_1)
	s_cmp_lt_i32 s77, 0x80
	s_cbranch_scc1 .LBB2_6268
; %bb.6265:                             ;   in Loop: Header=BB2_6264 Depth=3
	s_and_b32 s14, 0xffff, s77
	s_delay_alu instid0(SALU_CYCLE_1)
	s_cmp_eq_u32 s14, 0x80
	s_mov_b32 s14, -1
	s_cbranch_scc0 .LBB2_6267
; %bb.6266:                             ;   in Loop: Header=BB2_6264 Depth=3
	s_mov_b32 s14, 0
.LBB2_6267:                             ;   in Loop: Header=BB2_6264 Depth=3
	s_brev_b32 s15, 1
	s_branch .LBB2_6270
.LBB2_6268:                             ;   in Loop: Header=BB2_6264 Depth=3
	s_mov_b32 s14, 0
	s_brev_b32 s15, 1
	s_cbranch_execz .LBB2_6270
; %bb.6269:                             ;   in Loop: Header=BB2_6264 Depth=3
	s_and_b32 s14, 0xffff, s77
	s_mov_b32 s15, 0
	s_cmp_lg_u32 s14, 0
	s_cselect_b32 s14, -1, 0
.LBB2_6270:                             ;   in Loop: Header=BB2_6264 Depth=3
	s_delay_alu instid0(SALU_CYCLE_1)
	s_and_not1_b32 vcc_lo, exec_lo, s14
	s_cbranch_vccnz .LBB2_6272
; %bb.6271:                             ;   in Loop: Header=BB2_6264 Depth=3
	s_mov_b32 s15, s76
.LBB2_6272:                             ;   in Loop: Header=BB2_6264 Depth=3
	global_load_b128 v[8:11], v[40:41], off th:TH_LOAD_NT
	s_wait_loadcnt 0x0
	v_and_b32_e32 v2, 0xff, v8
	s_delay_alu instid0(VALU_DEP_1)
	v_cmp_ne_u16_e32 vcc_lo, 0, v2
	v_mov_b32_e32 v2, 0
	s_wait_xcnt 0x0
	s_and_saveexec_b32 s14, vcc_lo
	s_cbranch_execz .LBB2_6282
; %bb.6273:                             ;   in Loop: Header=BB2_6264 Depth=3
	v_bfe_i32 v17, v8, 0, 8
	v_bfrev_b32_e32 v2, 1
	s_mov_b32 s42, exec_lo
	s_delay_alu instid0(VALU_DEP_2)
	v_cmpx_ne_u16_e32 0xff80, v17
	s_cbranch_execz .LBB2_6281
; %bb.6274:                             ;   in Loop: Header=BB2_6264 Depth=3
	v_and_b32_e32 v2, 0x7c, v8
	v_and_b32_e32 v16, 3, v8
	s_delay_alu instid0(VALU_DEP_2) | instskip(SKIP_1) | instid1(SALU_CYCLE_1)
	v_cmp_ne_u32_e32 vcc_lo, 0x7c, v2
                                        ; implicit-def: $vgpr2
	s_and_saveexec_b32 s43, vcc_lo
	s_xor_b32 s43, exec_lo, s43
	s_cbranch_execz .LBB2_6278
; %bb.6275:                             ;   in Loop: Header=BB2_6264 Depth=3
	v_bfe_u32 v2, v8, 2, 5
	s_mov_b32 s78, exec_lo
	s_delay_alu instid0(VALU_DEP_1)
	v_cmpx_eq_u32_e32 0, v2
; %bb.6276:                             ;   in Loop: Header=BB2_6264 Depth=3
	v_clz_i32_u32_e32 v2, v16
	s_delay_alu instid0(VALU_DEP_1) | instskip(NEXT) | instid1(VALU_DEP_1)
	v_min_u32_e32 v2, 32, v2
	v_subrev_nc_u32_e32 v16, 29, v2
	s_delay_alu instid0(VALU_DEP_1) | instskip(NEXT) | instid1(VALU_DEP_1)
	v_lshlrev_b64_e32 v[16:17], v16, v[8:9]
	v_dual_sub_nc_u32 v2, 30, v2 :: v_dual_bitop2_b32 v16, 3, v16 bitop3:0x40
; %bb.6277:                             ;   in Loop: Header=BB2_6264 Depth=3
	s_or_b32 exec_lo, exec_lo, s78
	v_lshlrev_b32_e32 v17, 24, v8
	s_delay_alu instid0(VALU_DEP_1) | instskip(NEXT) | instid1(VALU_DEP_1)
	v_and_b32_e32 v17, 0x80000000, v17
	v_lshl_add_u32 v2, v2, 23, v17
                                        ; implicit-def: $vgpr17
	s_delay_alu instid0(VALU_DEP_1) | instskip(NEXT) | instid1(VALU_DEP_1)
	v_lshl_or_b32 v2, v16, 21, v2
                                        ; implicit-def: $vgpr16
	v_add_nc_u32_e32 v2, 0x38000000, v2
.LBB2_6278:                             ;   in Loop: Header=BB2_6264 Depth=3
	s_and_not1_saveexec_b32 s43, s43
; %bb.6279:                             ;   in Loop: Header=BB2_6264 Depth=3
	v_cmp_lt_i16_e32 vcc_lo, -1, v17
	v_cndmask_b32_e32 v2, 0xff800000, v111, vcc_lo
	v_cmp_eq_u32_e32 vcc_lo, 0, v16
	s_delay_alu instid0(VALU_DEP_2)
	v_cndmask_b32_e32 v2, 0x7f800001, v2, vcc_lo
; %bb.6280:                             ;   in Loop: Header=BB2_6264 Depth=3
	s_or_b32 exec_lo, exec_lo, s43
.LBB2_6281:                             ;   in Loop: Header=BB2_6264 Depth=3
	s_delay_alu instid0(SALU_CYCLE_1)
	s_or_b32 exec_lo, exec_lo, s42
.LBB2_6282:                             ;   in Loop: Header=BB2_6264 Depth=3
	s_delay_alu instid0(SALU_CYCLE_1) | instskip(NEXT) | instid1(VALU_DEP_1)
	s_or_b32 exec_lo, exec_lo, s14
	v_dual_mul_f32 v30, s15, v2 :: v_dual_mov_b32 v17, v3
	s_delay_alu instid0(VALU_DEP_1) | instskip(SKIP_1) | instid1(VALU_DEP_2)
	v_and_b32_e32 v16, 0x7f800000, v30
	v_and_b32_e32 v2, 0x7fffff, v30
	v_cmp_ne_u64_e32 vcc_lo, 0x7f800000, v[16:17]
	v_lshrrev_b32_e32 v17, 24, v30
                                        ; implicit-def: $vgpr16
	s_and_saveexec_b32 s14, vcc_lo
	s_delay_alu instid0(SALU_CYCLE_1)
	s_xor_b32 s42, exec_lo, s14
	s_cbranch_execz .LBB2_6296
; %bb.6283:                             ;   in Loop: Header=BB2_6264 Depth=3
	v_and_b32_e32 v18, 0x7fffffff, v30
	v_mov_b32_e32 v19, v3
	v_and_b32_e32 v17, 0x80, v17
                                        ; implicit-def: $vgpr16
	s_mov_b32 s14, exec_lo
	s_delay_alu instid0(VALU_DEP_2)
	v_cmpx_gt_u64_e32 0x47600001, v[18:19]
	s_xor_b32 s43, exec_lo, s14
	s_cbranch_execz .LBB2_6293
; %bb.6284:                             ;   in Loop: Header=BB2_6264 Depth=3
	v_mov_b32_e32 v16, 0
	s_mov_b32 s78, exec_lo
	v_cmpx_ne_u32_e32 0, v30
	s_cbranch_execz .LBB2_6292
; %bb.6285:                             ;   in Loop: Header=BB2_6264 Depth=3
	v_bfe_u32 v16, v30, 23, 8
	v_or_b32_e32 v56, 0x800000, v2
	s_delay_alu instid0(VALU_DEP_2) | instskip(SKIP_1) | instid1(VALU_DEP_2)
	v_dual_mov_b32 v57, v3 :: v_dual_sub_nc_u32 v18, 0x71, v16
	v_cmp_gt_u32_e32 vcc_lo, 0x72, v16
	v_cndmask_b32_e32 v18, 0, v18, vcc_lo
	v_cmp_eq_u32_e32 vcc_lo, 0, v16
	s_delay_alu instid0(VALU_DEP_2) | instskip(SKIP_1) | instid1(VALU_DEP_2)
	v_cndmask_b32_e64 v30, v18, 0x70, vcc_lo
	v_cndmask_b32_e32 v56, v56, v2, vcc_lo
	v_dual_add_nc_u32 v18, 21, v30 :: v_dual_add_nc_u32 v58, 20, v30
	s_delay_alu instid0(VALU_DEP_1) | instskip(NEXT) | instid1(VALU_DEP_2)
	v_lshlrev_b64_e64 v[18:19], v18, -1
	v_lshlrev_b64_e64 v[58:59], v58, 1
	s_delay_alu instid0(VALU_DEP_2) | instskip(SKIP_1) | instid1(VALU_DEP_4)
	v_bfi_b32 v18, v18, 0, v56
	v_lshrrev_b64 v[56:57], v30, v[56:57]
	v_bfi_b32 v19, v19, 0, 0
	s_delay_alu instid0(VALU_DEP_1) | instskip(NEXT) | instid1(VALU_DEP_3)
	v_cmp_eq_u64_e64 s14, v[18:19], v[58:59]
	v_mov_b64_e32 v[58:59], v[56:57]
	s_and_saveexec_b32 s79, s14
; %bb.6286:                             ;   in Loop: Header=BB2_6264 Depth=3
	v_bfe_u32 v18, v56, 21, 1
	v_mov_b32_e32 v19, v3
	s_delay_alu instid0(VALU_DEP_1) | instskip(NEXT) | instid1(VALU_DEP_1)
	v_add_nc_u64_e32 v[18:19], v[56:57], v[18:19]
	v_add_nc_u64_e32 v[58:59], -1, v[18:19]
; %bb.6287:                             ;   in Loop: Header=BB2_6264 Depth=3
	s_or_b32 exec_lo, exec_lo, s79
	v_add_nc_u32_e32 v2, 0xffffff81, v16
	s_delay_alu instid0(VALU_DEP_2) | instskip(SKIP_2) | instid1(VALU_DEP_3)
	v_and_b32_e32 v18, 0x1fffff, v58
	v_lshrrev_b32_e32 v16, 23, v56
	s_mov_b32 s14, exec_lo
	v_cndmask_b32_e64 v2, v2, 0xffffff82, vcc_lo
	s_delay_alu instid0(VALU_DEP_1) | instskip(SKIP_1) | instid1(VALU_DEP_2)
	v_add3_u32 v30, v30, v2, v16
	v_add_nc_u32_e32 v2, v18, v56
                                        ; implicit-def: $vgpr56_vgpr57
                                        ; implicit-def: $vgpr16
	v_add_nc_u32_e32 v58, 14, v30
	s_delay_alu instid0(VALU_DEP_1)
	v_cmpx_ne_u32_e32 0, v58
	s_xor_b32 s14, exec_lo, s14
; %bb.6288:                             ;   in Loop: Header=BB2_6264 Depth=3
	s_delay_alu instid0(VALU_DEP_3) | instskip(SKIP_2) | instid1(VALU_DEP_2)
	v_cmp_lt_u64_e32 vcc_lo, 0xffffff, v[2:3]
	v_add_nc_u32_e32 v16, 15, v30
	v_cndmask_b32_e64 v18, 0, 1, vcc_lo
	v_cndmask_b32_e32 v16, v58, v16, vcc_lo
	s_delay_alu instid0(VALU_DEP_2)
	v_lshrrev_b64 v[56:57], v18, v[2:3]
; %bb.6289:                             ;   in Loop: Header=BB2_6264 Depth=3
	s_and_not1_saveexec_b32 s14, s14
; %bb.6290:                             ;   in Loop: Header=BB2_6264 Depth=3
	v_mov_b64_e32 v[56:57], v[2:3]
	v_bfe_u32 v16, v2, 23, 1
; %bb.6291:                             ;   in Loop: Header=BB2_6264 Depth=3
	s_or_b32 exec_lo, exec_lo, s14
	s_delay_alu instid0(VALU_DEP_2) | instskip(NEXT) | instid1(VALU_DEP_2)
	v_lshrrev_b64 v[18:19], 21, v[56:57]
	v_cmp_gt_i32_e32 vcc_lo, 32, v16
	v_min_i32_e32 v2, 31, v16
	v_cmp_eq_u32_e64 s14, 0, v16
	s_delay_alu instid0(VALU_DEP_2) | instskip(SKIP_1) | instid1(VALU_DEP_2)
	v_dual_cndmask_b32 v19, 0, v19 :: v_dual_lshlrev_b32 v2, 2, v2
	v_cndmask_b32_e32 v18, 3, v18, vcc_lo
	v_and_b32_e32 v2, 0xfc, v2
	s_delay_alu instid0(VALU_DEP_2) | instskip(NEXT) | instid1(VALU_DEP_2)
	v_cmp_eq_u64_e32 vcc_lo, 0, v[18:19]
	v_and_or_b32 v2, v18, 3, v2
	s_and_b32 s14, s14, vcc_lo
	s_delay_alu instid0(VALU_DEP_1) | instid1(SALU_CYCLE_1)
	v_cndmask_b32_e64 v2, v2, 0, s14
	s_delay_alu instid0(VALU_DEP_1)
	v_or_b32_e32 v16, v2, v17
.LBB2_6292:                             ;   in Loop: Header=BB2_6264 Depth=3
	s_or_b32 exec_lo, exec_lo, s78
                                        ; implicit-def: $vgpr17
.LBB2_6293:                             ;   in Loop: Header=BB2_6264 Depth=3
	s_and_not1_saveexec_b32 s14, s43
; %bb.6294:                             ;   in Loop: Header=BB2_6264 Depth=3
	v_or_b32_e32 v16, 0x7b, v17
; %bb.6295:                             ;   in Loop: Header=BB2_6264 Depth=3
	s_or_b32 exec_lo, exec_lo, s14
                                        ; implicit-def: $vgpr30
                                        ; implicit-def: $vgpr17
.LBB2_6296:                             ;   in Loop: Header=BB2_6264 Depth=3
	s_and_not1_saveexec_b32 s14, s42
	s_cbranch_execz .LBB2_6302
; %bb.6297:                             ;   in Loop: Header=BB2_6264 Depth=3
	s_mov_b32 s42, exec_lo
                                        ; implicit-def: $vgpr16
	v_cmpx_ne_u64_e32 0, v[2:3]
	s_xor_b32 s42, exec_lo, s42
; %bb.6298:                             ;   in Loop: Header=BB2_6264 Depth=3
	v_or_b32_e32 v16, 0x7f, v17
                                        ; implicit-def: $vgpr30
; %bb.6299:                             ;   in Loop: Header=BB2_6264 Depth=3
	s_and_not1_saveexec_b32 s42, s42
; %bb.6300:                             ;   in Loop: Header=BB2_6264 Depth=3
	v_cmp_lt_i32_e32 vcc_lo, -1, v30
	v_cndmask_b32_e32 v16, 0xfc, v120, vcc_lo
; %bb.6301:                             ;   in Loop: Header=BB2_6264 Depth=3
	s_or_b32 exec_lo, exec_lo, s42
.LBB2_6302:                             ;   in Loop: Header=BB2_6264 Depth=3
	s_delay_alu instid0(SALU_CYCLE_1) | instskip(SKIP_3) | instid1(VALU_DEP_2)
	s_or_b32 exec_lo, exec_lo, s14
	v_lshrrev_b16 v56, 8, v8
	v_mov_b32_e32 v17, 0
	s_mov_b32 s14, exec_lo
	v_cmpx_ne_u16_e32 0, v56
	s_cbranch_execz .LBB2_6312
; %bb.6303:                             ;   in Loop: Header=BB2_6264 Depth=3
	v_bfrev_b32_e32 v17, 1
	s_mov_b32 s42, exec_lo
	v_cmpx_ne_u16_e32 0x80, v56
	s_cbranch_execz .LBB2_6311
; %bb.6304:                             ;   in Loop: Header=BB2_6264 Depth=3
	v_and_b32_e32 v30, 0xffff, v56
	s_delay_alu instid0(VALU_DEP_1) | instskip(SKIP_1) | instid1(VALU_DEP_2)
	v_and_b32_e32 v17, 0x7c, v30
	v_and_b32_e32 v2, 3, v30
	v_cmp_ne_u32_e32 vcc_lo, 0x7c, v17
                                        ; implicit-def: $vgpr17
	s_and_saveexec_b32 s43, vcc_lo
	s_delay_alu instid0(SALU_CYCLE_1)
	s_xor_b32 s43, exec_lo, s43
	s_cbranch_execz .LBB2_6308
; %bb.6305:                             ;   in Loop: Header=BB2_6264 Depth=3
	v_bfe_u32 v17, v30, 2, 5
	s_mov_b32 s78, exec_lo
	s_delay_alu instid0(VALU_DEP_1)
	v_cmpx_eq_u32_e32 0, v17
	s_cbranch_execz .LBB2_6307
; %bb.6306:                             ;   in Loop: Header=BB2_6264 Depth=3
	v_clz_i32_u32_e32 v2, v2
	s_delay_alu instid0(VALU_DEP_1) | instskip(SKIP_1) | instid1(VALU_DEP_2)
	v_min_u32_e32 v2, 32, v2
	v_mov_b32_e32 v57, v3
	v_subrev_nc_u32_e32 v17, 29, v2
	s_delay_alu instid0(VALU_DEP_1) | instskip(SKIP_1) | instid1(VALU_DEP_2)
	v_lshlrev_b64_e32 v[18:19], v17, v[56:57]
	v_sub_nc_u32_e32 v17, 30, v2
	v_and_b32_e32 v2, 3, v18
.LBB2_6307:                             ;   in Loop: Header=BB2_6264 Depth=3
	s_or_b32 exec_lo, exec_lo, s78
	v_lshlrev_b32_e32 v18, 16, v8
	s_delay_alu instid0(VALU_DEP_1) | instskip(NEXT) | instid1(VALU_DEP_1)
	v_and_b32_e32 v18, 0x80000000, v18
	v_lshl_add_u32 v17, v17, 23, v18
	s_delay_alu instid0(VALU_DEP_1) | instskip(NEXT) | instid1(VALU_DEP_1)
	v_lshl_or_b32 v2, v2, 21, v17
	v_add_nc_u32_e32 v17, 0x38000000, v2
                                        ; implicit-def: $vgpr2
.LBB2_6308:                             ;   in Loop: Header=BB2_6264 Depth=3
	s_and_not1_saveexec_b32 s43, s43
; %bb.6309:                             ;   in Loop: Header=BB2_6264 Depth=3
	v_cmp_lt_i16_e32 vcc_lo, -1, v8
	v_cndmask_b32_e32 v17, 0xff800000, v111, vcc_lo
	v_cmp_eq_u32_e32 vcc_lo, 0, v2
	s_delay_alu instid0(VALU_DEP_2)
	v_cndmask_b32_e32 v17, 0x7f800001, v17, vcc_lo
; %bb.6310:                             ;   in Loop: Header=BB2_6264 Depth=3
	s_or_b32 exec_lo, exec_lo, s43
.LBB2_6311:                             ;   in Loop: Header=BB2_6264 Depth=3
	s_delay_alu instid0(SALU_CYCLE_1)
	s_or_b32 exec_lo, exec_lo, s42
.LBB2_6312:                             ;   in Loop: Header=BB2_6264 Depth=3
	s_delay_alu instid0(SALU_CYCLE_1) | instskip(NEXT) | instid1(VALU_DEP_1)
	s_or_b32 exec_lo, exec_lo, s14
	v_dual_mul_f32 v56, s15, v17 :: v_dual_mov_b32 v19, v3
                                        ; implicit-def: $vgpr30
	s_mov_b32 s14, exec_lo
	s_delay_alu instid0(VALU_DEP_1) | instskip(SKIP_2) | instid1(VALU_DEP_3)
	v_and_b32_e32 v18, 0x7f800000, v56
	v_and_b32_e32 v2, 0x7fffff, v56
	v_lshrrev_b32_e32 v17, 24, v56
	v_cmpx_ne_u64_e32 0x7f800000, v[18:19]
	s_xor_b32 s42, exec_lo, s14
	s_cbranch_execz .LBB2_6326
; %bb.6313:                             ;   in Loop: Header=BB2_6264 Depth=3
	v_and_b32_e32 v18, 0x7fffffff, v56
	v_mov_b32_e32 v19, v3
	v_and_b32_e32 v17, 0x80, v17
                                        ; implicit-def: $vgpr30
	s_mov_b32 s14, exec_lo
	s_delay_alu instid0(VALU_DEP_2)
	v_cmpx_gt_u64_e32 0x47600001, v[18:19]
	s_xor_b32 s43, exec_lo, s14
	s_cbranch_execz .LBB2_6323
; %bb.6314:                             ;   in Loop: Header=BB2_6264 Depth=3
	v_mov_b32_e32 v30, 0
	s_mov_b32 s78, exec_lo
	v_cmpx_ne_u32_e32 0, v56
	s_cbranch_execz .LBB2_6322
; %bb.6315:                             ;   in Loop: Header=BB2_6264 Depth=3
	v_bfe_u32 v30, v56, 23, 8
	v_or_b32_e32 v56, 0x800000, v2
	s_delay_alu instid0(VALU_DEP_2) | instskip(SKIP_1) | instid1(VALU_DEP_2)
	v_dual_mov_b32 v57, v3 :: v_dual_sub_nc_u32 v18, 0x71, v30
	v_cmp_gt_u32_e32 vcc_lo, 0x72, v30
	v_cndmask_b32_e32 v18, 0, v18, vcc_lo
	v_cmp_eq_u32_e32 vcc_lo, 0, v30
	s_delay_alu instid0(VALU_DEP_2) | instskip(NEXT) | instid1(VALU_DEP_1)
	v_cndmask_b32_e64 v60, v18, 0x70, vcc_lo
	v_dual_cndmask_b32 v56, v56, v2, vcc_lo :: v_dual_add_nc_u32 v18, 21, v60
	v_add_nc_u32_e32 v58, 20, v60
	s_delay_alu instid0(VALU_DEP_2) | instskip(NEXT) | instid1(VALU_DEP_2)
	v_lshlrev_b64_e64 v[18:19], v18, -1
	v_lshlrev_b64_e64 v[58:59], v58, 1
	s_delay_alu instid0(VALU_DEP_2) | instskip(SKIP_1) | instid1(VALU_DEP_4)
	v_bfi_b32 v18, v18, 0, v56
	v_lshrrev_b64 v[56:57], v60, v[56:57]
	v_bfi_b32 v19, v19, 0, 0
	s_delay_alu instid0(VALU_DEP_1) | instskip(NEXT) | instid1(VALU_DEP_3)
	v_cmp_eq_u64_e64 s14, v[18:19], v[58:59]
	v_mov_b64_e32 v[58:59], v[56:57]
	s_and_saveexec_b32 s79, s14
; %bb.6316:                             ;   in Loop: Header=BB2_6264 Depth=3
	v_bfe_u32 v18, v56, 21, 1
	v_mov_b32_e32 v19, v3
	s_delay_alu instid0(VALU_DEP_1) | instskip(NEXT) | instid1(VALU_DEP_1)
	v_add_nc_u64_e32 v[18:19], v[56:57], v[18:19]
	v_add_nc_u64_e32 v[58:59], -1, v[18:19]
; %bb.6317:                             ;   in Loop: Header=BB2_6264 Depth=3
	s_or_b32 exec_lo, exec_lo, s79
	v_add_nc_u32_e32 v2, 0xffffff81, v30
	s_delay_alu instid0(VALU_DEP_2) | instskip(SKIP_2) | instid1(VALU_DEP_3)
	v_and_b32_e32 v19, 0x1fffff, v58
	v_lshrrev_b32_e32 v18, 23, v56
	s_mov_b32 s14, exec_lo
                                        ; implicit-def: $vgpr30
	v_cndmask_b32_e64 v2, v2, 0xffffff82, vcc_lo
	s_delay_alu instid0(VALU_DEP_1) | instskip(SKIP_1) | instid1(VALU_DEP_2)
	v_add3_u32 v58, v60, v2, v18
	v_add_nc_u32_e32 v2, v19, v56
                                        ; implicit-def: $vgpr56_vgpr57
	v_add_nc_u32_e32 v59, 14, v58
	s_delay_alu instid0(VALU_DEP_1)
	v_cmpx_ne_u32_e32 0, v59
	s_xor_b32 s14, exec_lo, s14
; %bb.6318:                             ;   in Loop: Header=BB2_6264 Depth=3
	s_delay_alu instid0(VALU_DEP_3) | instskip(SKIP_1) | instid1(VALU_DEP_1)
	v_cmp_lt_u64_e32 vcc_lo, 0xffffff, v[2:3]
	v_add_nc_u32_e32 v18, 15, v58
	v_cndmask_b32_e32 v30, v59, v18, vcc_lo
	v_cndmask_b32_e64 v18, 0, 1, vcc_lo
	s_delay_alu instid0(VALU_DEP_1)
	v_lshrrev_b64 v[56:57], v18, v[2:3]
; %bb.6319:                             ;   in Loop: Header=BB2_6264 Depth=3
	s_and_not1_saveexec_b32 s14, s14
; %bb.6320:                             ;   in Loop: Header=BB2_6264 Depth=3
	v_mov_b64_e32 v[56:57], v[2:3]
	v_bfe_u32 v30, v2, 23, 1
; %bb.6321:                             ;   in Loop: Header=BB2_6264 Depth=3
	s_or_b32 exec_lo, exec_lo, s14
	s_delay_alu instid0(VALU_DEP_2) | instskip(NEXT) | instid1(VALU_DEP_2)
	v_lshrrev_b64 v[18:19], 21, v[56:57]
	v_cmp_gt_i32_e32 vcc_lo, 32, v30
	v_min_i32_e32 v2, 31, v30
	v_cmp_eq_u32_e64 s14, 0, v30
	s_delay_alu instid0(VALU_DEP_2) | instskip(SKIP_1) | instid1(VALU_DEP_2)
	v_dual_cndmask_b32 v19, 0, v19 :: v_dual_lshlrev_b32 v2, 2, v2
	v_cndmask_b32_e32 v18, 3, v18, vcc_lo
	v_and_b32_e32 v2, 0xfc, v2
	s_delay_alu instid0(VALU_DEP_2) | instskip(NEXT) | instid1(VALU_DEP_2)
	v_cmp_eq_u64_e32 vcc_lo, 0, v[18:19]
	v_and_or_b32 v2, v18, 3, v2
	s_and_b32 s14, s14, vcc_lo
	s_delay_alu instid0(VALU_DEP_1) | instid1(SALU_CYCLE_1)
	v_cndmask_b32_e64 v2, v2, 0, s14
	s_delay_alu instid0(VALU_DEP_1)
	v_or_b32_e32 v30, v2, v17
.LBB2_6322:                             ;   in Loop: Header=BB2_6264 Depth=3
	s_or_b32 exec_lo, exec_lo, s78
                                        ; implicit-def: $vgpr17
.LBB2_6323:                             ;   in Loop: Header=BB2_6264 Depth=3
	s_and_not1_saveexec_b32 s14, s43
; %bb.6324:                             ;   in Loop: Header=BB2_6264 Depth=3
	v_or_b32_e32 v30, 0x7b, v17
; %bb.6325:                             ;   in Loop: Header=BB2_6264 Depth=3
	s_or_b32 exec_lo, exec_lo, s14
                                        ; implicit-def: $vgpr56
                                        ; implicit-def: $vgpr17
.LBB2_6326:                             ;   in Loop: Header=BB2_6264 Depth=3
	s_and_not1_saveexec_b32 s14, s42
	s_cbranch_execz .LBB2_6332
; %bb.6327:                             ;   in Loop: Header=BB2_6264 Depth=3
	s_mov_b32 s42, exec_lo
                                        ; implicit-def: $vgpr30
	v_cmpx_ne_u64_e32 0, v[2:3]
	s_xor_b32 s42, exec_lo, s42
; %bb.6328:                             ;   in Loop: Header=BB2_6264 Depth=3
	v_or_b32_e32 v30, 0x7f, v17
                                        ; implicit-def: $vgpr56
; %bb.6329:                             ;   in Loop: Header=BB2_6264 Depth=3
	s_and_not1_saveexec_b32 s42, s42
; %bb.6330:                             ;   in Loop: Header=BB2_6264 Depth=3
	v_cmp_lt_i32_e32 vcc_lo, -1, v56
	v_cndmask_b32_e32 v30, 0xfc, v120, vcc_lo
; %bb.6331:                             ;   in Loop: Header=BB2_6264 Depth=3
	s_or_b32 exec_lo, exec_lo, s42
.LBB2_6332:                             ;   in Loop: Header=BB2_6264 Depth=3
	s_delay_alu instid0(SALU_CYCLE_1) | instskip(SKIP_2) | instid1(VALU_DEP_1)
	s_or_b32 exec_lo, exec_lo, s14
	v_dual_mov_b32 v17, 0 :: v_dual_lshrrev_b32 v2, 16, v8
	s_mov_b32 s14, exec_lo
	v_and_b32_e32 v56, 0xff, v2
	s_delay_alu instid0(VALU_DEP_1)
	v_cmpx_ne_u16_e32 0, v56
	s_cbranch_execz .LBB2_6342
; %bb.6333:                             ;   in Loop: Header=BB2_6264 Depth=3
	v_bfrev_b32_e32 v17, 1
	s_mov_b32 s42, exec_lo
	v_cmpx_ne_u16_e32 0x80, v56
	s_cbranch_execz .LBB2_6341
; %bb.6334:                             ;   in Loop: Header=BB2_6264 Depth=3
	v_and_b32_e32 v17, 0x7c0000, v8
	v_bfe_u32 v56, v8, 16, 2
	s_delay_alu instid0(VALU_DEP_2) | instskip(SKIP_1) | instid1(SALU_CYCLE_1)
	v_cmp_ne_u32_e32 vcc_lo, 0x7c0000, v17
                                        ; implicit-def: $vgpr17
	s_and_saveexec_b32 s43, vcc_lo
	s_xor_b32 s43, exec_lo, s43
	s_cbranch_execz .LBB2_6338
; %bb.6335:                             ;   in Loop: Header=BB2_6264 Depth=3
	v_bfe_u32 v17, v8, 18, 5
	s_mov_b32 s78, exec_lo
	s_delay_alu instid0(VALU_DEP_1)
	v_cmpx_eq_u32_e32 0, v17
; %bb.6336:                             ;   in Loop: Header=BB2_6264 Depth=3
	v_clz_i32_u32_e32 v17, v56
	s_delay_alu instid0(VALU_DEP_1) | instskip(NEXT) | instid1(VALU_DEP_1)
	v_min_u32_e32 v17, 32, v17
	v_subrev_nc_u32_e32 v18, 29, v17
	s_delay_alu instid0(VALU_DEP_1) | instskip(NEXT) | instid1(VALU_DEP_1)
	v_lshlrev_b64_e32 v[18:19], v18, v[2:3]
	v_dual_sub_nc_u32 v17, 30, v17 :: v_dual_bitop2_b32 v56, 3, v18 bitop3:0x40
; %bb.6337:                             ;   in Loop: Header=BB2_6264 Depth=3
	s_or_b32 exec_lo, exec_lo, s78
	v_lshlrev_b32_e32 v2, 24, v2
	s_delay_alu instid0(VALU_DEP_1) | instskip(NEXT) | instid1(VALU_DEP_1)
	v_and_b32_e32 v2, 0x80000000, v2
	v_lshl_add_u32 v2, v17, 23, v2
	s_delay_alu instid0(VALU_DEP_1) | instskip(NEXT) | instid1(VALU_DEP_1)
	v_lshl_or_b32 v2, v56, 21, v2
                                        ; implicit-def: $vgpr56
	v_add_nc_u32_e32 v17, 0x38000000, v2
                                        ; implicit-def: $vgpr2
.LBB2_6338:                             ;   in Loop: Header=BB2_6264 Depth=3
	s_and_not1_saveexec_b32 s43, s43
; %bb.6339:                             ;   in Loop: Header=BB2_6264 Depth=3
	v_bfe_i32 v2, v2, 0, 8
	s_delay_alu instid0(VALU_DEP_1) | instskip(SKIP_2) | instid1(VALU_DEP_2)
	v_cmp_lt_i16_e32 vcc_lo, -1, v2
	v_cndmask_b32_e32 v2, 0xff800000, v111, vcc_lo
	v_cmp_eq_u32_e32 vcc_lo, 0, v56
	v_cndmask_b32_e32 v17, 0x7f800001, v2, vcc_lo
; %bb.6340:                             ;   in Loop: Header=BB2_6264 Depth=3
	s_or_b32 exec_lo, exec_lo, s43
.LBB2_6341:                             ;   in Loop: Header=BB2_6264 Depth=3
	s_delay_alu instid0(SALU_CYCLE_1)
	s_or_b32 exec_lo, exec_lo, s42
.LBB2_6342:                             ;   in Loop: Header=BB2_6264 Depth=3
	s_delay_alu instid0(SALU_CYCLE_1) | instskip(NEXT) | instid1(VALU_DEP_1)
	s_or_b32 exec_lo, exec_lo, s14
	v_dual_mul_f32 v56, s15, v17 :: v_dual_mov_b32 v19, v3
                                        ; implicit-def: $vgpr76
	s_mov_b32 s14, exec_lo
	s_delay_alu instid0(VALU_DEP_1) | instskip(SKIP_2) | instid1(VALU_DEP_3)
	v_and_b32_e32 v18, 0x7f800000, v56
	v_and_b32_e32 v2, 0x7fffff, v56
	v_lshrrev_b32_e32 v17, 24, v56
	v_cmpx_ne_u64_e32 0x7f800000, v[18:19]
	s_xor_b32 s42, exec_lo, s14
	s_cbranch_execz .LBB2_6356
; %bb.6343:                             ;   in Loop: Header=BB2_6264 Depth=3
	v_and_b32_e32 v18, 0x7fffffff, v56
	v_mov_b32_e32 v19, v3
	v_and_b32_e32 v17, 0x80, v17
                                        ; implicit-def: $vgpr76
	s_mov_b32 s14, exec_lo
	s_delay_alu instid0(VALU_DEP_2)
	v_cmpx_gt_u64_e32 0x47600001, v[18:19]
	s_xor_b32 s43, exec_lo, s14
	s_cbranch_execz .LBB2_6353
; %bb.6344:                             ;   in Loop: Header=BB2_6264 Depth=3
	v_mov_b32_e32 v76, 0
	s_mov_b32 s78, exec_lo
	v_cmpx_ne_u32_e32 0, v56
	s_cbranch_execz .LBB2_6352
; %bb.6345:                             ;   in Loop: Header=BB2_6264 Depth=3
	v_bfe_u32 v60, v56, 23, 8
	v_or_b32_e32 v56, 0x800000, v2
	s_delay_alu instid0(VALU_DEP_2) | instskip(SKIP_1) | instid1(VALU_DEP_2)
	v_dual_mov_b32 v57, v3 :: v_dual_sub_nc_u32 v18, 0x71, v60
	v_cmp_gt_u32_e32 vcc_lo, 0x72, v60
	v_cndmask_b32_e32 v18, 0, v18, vcc_lo
	v_cmp_eq_u32_e32 vcc_lo, 0, v60
	s_delay_alu instid0(VALU_DEP_2) | instskip(NEXT) | instid1(VALU_DEP_1)
	v_cndmask_b32_e64 v61, v18, 0x70, vcc_lo
	v_dual_cndmask_b32 v56, v56, v2, vcc_lo :: v_dual_add_nc_u32 v18, 21, v61
	v_add_nc_u32_e32 v58, 20, v61
	s_delay_alu instid0(VALU_DEP_2) | instskip(NEXT) | instid1(VALU_DEP_2)
	v_lshlrev_b64_e64 v[18:19], v18, -1
	v_lshlrev_b64_e64 v[58:59], v58, 1
	s_delay_alu instid0(VALU_DEP_2) | instskip(SKIP_1) | instid1(VALU_DEP_4)
	v_bfi_b32 v18, v18, 0, v56
	v_lshrrev_b64 v[56:57], v61, v[56:57]
	v_bfi_b32 v19, v19, 0, 0
	s_delay_alu instid0(VALU_DEP_1) | instskip(NEXT) | instid1(VALU_DEP_3)
	v_cmp_eq_u64_e64 s14, v[18:19], v[58:59]
	v_mov_b64_e32 v[58:59], v[56:57]
	s_and_saveexec_b32 s79, s14
; %bb.6346:                             ;   in Loop: Header=BB2_6264 Depth=3
	v_bfe_u32 v18, v56, 21, 1
	v_mov_b32_e32 v19, v3
	s_delay_alu instid0(VALU_DEP_1) | instskip(NEXT) | instid1(VALU_DEP_1)
	v_add_nc_u64_e32 v[18:19], v[56:57], v[18:19]
	v_add_nc_u64_e32 v[58:59], -1, v[18:19]
; %bb.6347:                             ;   in Loop: Header=BB2_6264 Depth=3
	s_or_b32 exec_lo, exec_lo, s79
	v_add_nc_u32_e32 v2, 0xffffff81, v60
	s_delay_alu instid0(VALU_DEP_2) | instskip(SKIP_2) | instid1(VALU_DEP_3)
	v_and_b32_e32 v19, 0x1fffff, v58
	v_lshrrev_b32_e32 v18, 23, v56
	s_mov_b32 s14, exec_lo
                                        ; implicit-def: $vgpr58
	v_cndmask_b32_e64 v2, v2, 0xffffff82, vcc_lo
	s_delay_alu instid0(VALU_DEP_1) | instskip(SKIP_1) | instid1(VALU_DEP_2)
	v_add3_u32 v59, v61, v2, v18
	v_add_nc_u32_e32 v2, v19, v56
                                        ; implicit-def: $vgpr56_vgpr57
	v_add_nc_u32_e32 v60, 14, v59
	s_delay_alu instid0(VALU_DEP_1)
	v_cmpx_ne_u32_e32 0, v60
	s_xor_b32 s14, exec_lo, s14
; %bb.6348:                             ;   in Loop: Header=BB2_6264 Depth=3
	s_delay_alu instid0(VALU_DEP_3) | instskip(SKIP_1) | instid1(VALU_DEP_1)
	v_cmp_lt_u64_e32 vcc_lo, 0xffffff, v[2:3]
	v_add_nc_u32_e32 v18, 15, v59
	v_cndmask_b32_e32 v58, v60, v18, vcc_lo
	v_cndmask_b32_e64 v18, 0, 1, vcc_lo
	s_delay_alu instid0(VALU_DEP_1)
	v_lshrrev_b64 v[56:57], v18, v[2:3]
; %bb.6349:                             ;   in Loop: Header=BB2_6264 Depth=3
	s_and_not1_saveexec_b32 s14, s14
; %bb.6350:                             ;   in Loop: Header=BB2_6264 Depth=3
	v_mov_b64_e32 v[56:57], v[2:3]
	v_bfe_u32 v58, v2, 23, 1
; %bb.6351:                             ;   in Loop: Header=BB2_6264 Depth=3
	s_or_b32 exec_lo, exec_lo, s14
	s_delay_alu instid0(VALU_DEP_2) | instskip(NEXT) | instid1(VALU_DEP_2)
	v_lshrrev_b64 v[18:19], 21, v[56:57]
	v_cmp_gt_i32_e32 vcc_lo, 32, v58
	v_min_i32_e32 v2, 31, v58
	v_cmp_eq_u32_e64 s14, 0, v58
	s_delay_alu instid0(VALU_DEP_2) | instskip(SKIP_1) | instid1(VALU_DEP_2)
	v_dual_cndmask_b32 v19, 0, v19 :: v_dual_lshlrev_b32 v2, 2, v2
	v_cndmask_b32_e32 v18, 3, v18, vcc_lo
	v_and_b32_e32 v2, 0xfc, v2
	s_delay_alu instid0(VALU_DEP_2) | instskip(NEXT) | instid1(VALU_DEP_2)
	v_cmp_eq_u64_e32 vcc_lo, 0, v[18:19]
	v_and_or_b32 v2, v18, 3, v2
	s_and_b32 s14, s14, vcc_lo
	s_delay_alu instid0(VALU_DEP_1) | instid1(SALU_CYCLE_1)
	v_cndmask_b32_e64 v2, v2, 0, s14
	s_delay_alu instid0(VALU_DEP_1)
	v_or_b32_e32 v76, v2, v17
.LBB2_6352:                             ;   in Loop: Header=BB2_6264 Depth=3
	s_or_b32 exec_lo, exec_lo, s78
                                        ; implicit-def: $vgpr17
.LBB2_6353:                             ;   in Loop: Header=BB2_6264 Depth=3
	s_and_not1_saveexec_b32 s14, s43
; %bb.6354:                             ;   in Loop: Header=BB2_6264 Depth=3
	v_or_b32_e32 v76, 0x7b, v17
; %bb.6355:                             ;   in Loop: Header=BB2_6264 Depth=3
	s_or_b32 exec_lo, exec_lo, s14
                                        ; implicit-def: $vgpr56
                                        ; implicit-def: $vgpr17
.LBB2_6356:                             ;   in Loop: Header=BB2_6264 Depth=3
	s_and_not1_saveexec_b32 s14, s42
	s_cbranch_execz .LBB2_6362
; %bb.6357:                             ;   in Loop: Header=BB2_6264 Depth=3
	s_mov_b32 s42, exec_lo
                                        ; implicit-def: $vgpr76
	v_cmpx_ne_u64_e32 0, v[2:3]
	s_xor_b32 s42, exec_lo, s42
; %bb.6358:                             ;   in Loop: Header=BB2_6264 Depth=3
	v_or_b32_e32 v76, 0x7f, v17
                                        ; implicit-def: $vgpr56
; %bb.6359:                             ;   in Loop: Header=BB2_6264 Depth=3
	s_and_not1_saveexec_b32 s42, s42
; %bb.6360:                             ;   in Loop: Header=BB2_6264 Depth=3
	v_cmp_lt_i32_e32 vcc_lo, -1, v56
	v_cndmask_b32_e32 v76, 0xfc, v120, vcc_lo
; %bb.6361:                             ;   in Loop: Header=BB2_6264 Depth=3
	s_or_b32 exec_lo, exec_lo, s42
.LBB2_6362:                             ;   in Loop: Header=BB2_6264 Depth=3
	s_delay_alu instid0(SALU_CYCLE_1)
	s_or_b32 exec_lo, exec_lo, s14
	v_mov_b32_e32 v17, 0
	s_mov_b32 s14, exec_lo
	v_cmpx_lt_u32_e32 0xffffff, v8
	s_cbranch_execz .LBB2_6372
; %bb.6363:                             ;   in Loop: Header=BB2_6264 Depth=3
	v_lshrrev_b32_e32 v2, 24, v8
	v_bfrev_b32_e32 v17, 1
	s_mov_b32 s42, exec_lo
	s_delay_alu instid0(VALU_DEP_2)
	v_cmpx_ne_u32_e32 0x80, v2
	s_cbranch_execz .LBB2_6371
; %bb.6364:                             ;   in Loop: Header=BB2_6264 Depth=3
	v_and_b32_e32 v17, 0x7c000000, v8
	v_bfe_u32 v56, v8, 24, 2
	s_delay_alu instid0(VALU_DEP_2) | instskip(SKIP_1) | instid1(SALU_CYCLE_1)
	v_cmp_ne_u32_e32 vcc_lo, 0x7c000000, v17
                                        ; implicit-def: $vgpr17
	s_and_saveexec_b32 s43, vcc_lo
	s_xor_b32 s43, exec_lo, s43
	s_cbranch_execz .LBB2_6368
; %bb.6365:                             ;   in Loop: Header=BB2_6264 Depth=3
	v_bfe_u32 v17, v8, 26, 5
	s_mov_b32 s78, exec_lo
	s_delay_alu instid0(VALU_DEP_1)
	v_cmpx_eq_u32_e32 0, v17
; %bb.6366:                             ;   in Loop: Header=BB2_6264 Depth=3
	v_clz_i32_u32_e32 v17, v56
	s_delay_alu instid0(VALU_DEP_1) | instskip(NEXT) | instid1(VALU_DEP_1)
	v_min_u32_e32 v17, 32, v17
	v_subrev_nc_u32_e32 v18, 29, v17
	s_delay_alu instid0(VALU_DEP_1) | instskip(NEXT) | instid1(VALU_DEP_1)
	v_lshlrev_b64_e32 v[18:19], v18, v[2:3]
	v_dual_sub_nc_u32 v17, 30, v17 :: v_dual_bitop2_b32 v56, 3, v18 bitop3:0x40
; %bb.6367:                             ;   in Loop: Header=BB2_6264 Depth=3
	s_or_b32 exec_lo, exec_lo, s78
	v_and_b32_e32 v2, 0x80000000, v8
	s_delay_alu instid0(VALU_DEP_1) | instskip(NEXT) | instid1(VALU_DEP_1)
	v_lshl_add_u32 v2, v17, 23, v2
	v_lshl_or_b32 v2, v56, 21, v2
                                        ; implicit-def: $vgpr56
	s_delay_alu instid0(VALU_DEP_1)
	v_add_nc_u32_e32 v17, 0x38000000, v2
.LBB2_6368:                             ;   in Loop: Header=BB2_6264 Depth=3
	s_and_not1_saveexec_b32 s43, s43
; %bb.6369:                             ;   in Loop: Header=BB2_6264 Depth=3
	v_cmp_lt_i32_e32 vcc_lo, -1, v8
	v_cndmask_b32_e32 v2, 0xff800000, v111, vcc_lo
	v_cmp_eq_u32_e32 vcc_lo, 0, v56
	s_delay_alu instid0(VALU_DEP_2)
	v_cndmask_b32_e32 v17, 0x7f800001, v2, vcc_lo
; %bb.6370:                             ;   in Loop: Header=BB2_6264 Depth=3
	s_or_b32 exec_lo, exec_lo, s43
.LBB2_6371:                             ;   in Loop: Header=BB2_6264 Depth=3
	s_delay_alu instid0(SALU_CYCLE_1)
	s_or_b32 exec_lo, exec_lo, s42
.LBB2_6372:                             ;   in Loop: Header=BB2_6264 Depth=3
	s_delay_alu instid0(SALU_CYCLE_1) | instskip(NEXT) | instid1(VALU_DEP_1)
	s_or_b32 exec_lo, exec_lo, s14
	v_dual_mul_f32 v56, s15, v17 :: v_dual_mov_b32 v19, v3
                                        ; implicit-def: $vgpr79
	s_mov_b32 s14, exec_lo
	s_delay_alu instid0(VALU_DEP_1) | instskip(SKIP_2) | instid1(VALU_DEP_3)
	v_and_b32_e32 v18, 0x7f800000, v56
	v_and_b32_e32 v2, 0x7fffff, v56
	v_lshrrev_b32_e32 v17, 24, v56
	v_cmpx_ne_u64_e32 0x7f800000, v[18:19]
	s_xor_b32 s42, exec_lo, s14
	s_cbranch_execz .LBB2_6386
; %bb.6373:                             ;   in Loop: Header=BB2_6264 Depth=3
	v_and_b32_e32 v18, 0x7fffffff, v56
	v_mov_b32_e32 v19, v3
	v_and_b32_e32 v17, 0x80, v17
                                        ; implicit-def: $vgpr79
	s_mov_b32 s14, exec_lo
	s_delay_alu instid0(VALU_DEP_2)
	v_cmpx_gt_u64_e32 0x47600001, v[18:19]
	s_xor_b32 s43, exec_lo, s14
	s_cbranch_execz .LBB2_6383
; %bb.6374:                             ;   in Loop: Header=BB2_6264 Depth=3
	v_mov_b32_e32 v79, 0
	s_mov_b32 s78, exec_lo
	v_cmpx_ne_u32_e32 0, v56
	s_cbranch_execz .LBB2_6382
; %bb.6375:                             ;   in Loop: Header=BB2_6264 Depth=3
	v_bfe_u32 v60, v56, 23, 8
	v_or_b32_e32 v56, 0x800000, v2
	s_delay_alu instid0(VALU_DEP_2) | instskip(SKIP_1) | instid1(VALU_DEP_2)
	v_dual_mov_b32 v57, v3 :: v_dual_sub_nc_u32 v18, 0x71, v60
	v_cmp_gt_u32_e32 vcc_lo, 0x72, v60
	v_cndmask_b32_e32 v18, 0, v18, vcc_lo
	v_cmp_eq_u32_e32 vcc_lo, 0, v60
	s_delay_alu instid0(VALU_DEP_2) | instskip(NEXT) | instid1(VALU_DEP_1)
	v_cndmask_b32_e64 v61, v18, 0x70, vcc_lo
	v_dual_cndmask_b32 v56, v56, v2, vcc_lo :: v_dual_add_nc_u32 v18, 21, v61
	v_add_nc_u32_e32 v58, 20, v61
	s_delay_alu instid0(VALU_DEP_2) | instskip(NEXT) | instid1(VALU_DEP_2)
	v_lshlrev_b64_e64 v[18:19], v18, -1
	v_lshlrev_b64_e64 v[58:59], v58, 1
	s_delay_alu instid0(VALU_DEP_2) | instskip(SKIP_1) | instid1(VALU_DEP_4)
	v_bfi_b32 v18, v18, 0, v56
	v_lshrrev_b64 v[56:57], v61, v[56:57]
	v_bfi_b32 v19, v19, 0, 0
	s_delay_alu instid0(VALU_DEP_1) | instskip(NEXT) | instid1(VALU_DEP_3)
	v_cmp_eq_u64_e64 s14, v[18:19], v[58:59]
	v_mov_b64_e32 v[58:59], v[56:57]
	s_and_saveexec_b32 s79, s14
; %bb.6376:                             ;   in Loop: Header=BB2_6264 Depth=3
	v_bfe_u32 v18, v56, 21, 1
	v_mov_b32_e32 v19, v3
	s_delay_alu instid0(VALU_DEP_1) | instskip(NEXT) | instid1(VALU_DEP_1)
	v_add_nc_u64_e32 v[18:19], v[56:57], v[18:19]
	v_add_nc_u64_e32 v[58:59], -1, v[18:19]
; %bb.6377:                             ;   in Loop: Header=BB2_6264 Depth=3
	s_or_b32 exec_lo, exec_lo, s79
	v_add_nc_u32_e32 v2, 0xffffff81, v60
	s_delay_alu instid0(VALU_DEP_2) | instskip(SKIP_2) | instid1(VALU_DEP_3)
	v_and_b32_e32 v19, 0x1fffff, v58
	v_lshrrev_b32_e32 v18, 23, v56
	s_mov_b32 s14, exec_lo
                                        ; implicit-def: $vgpr58
	v_cndmask_b32_e64 v2, v2, 0xffffff82, vcc_lo
	s_delay_alu instid0(VALU_DEP_1) | instskip(SKIP_1) | instid1(VALU_DEP_2)
	v_add3_u32 v59, v61, v2, v18
	v_add_nc_u32_e32 v2, v19, v56
                                        ; implicit-def: $vgpr56_vgpr57
	v_add_nc_u32_e32 v60, 14, v59
	s_delay_alu instid0(VALU_DEP_1)
	v_cmpx_ne_u32_e32 0, v60
	s_xor_b32 s14, exec_lo, s14
; %bb.6378:                             ;   in Loop: Header=BB2_6264 Depth=3
	s_delay_alu instid0(VALU_DEP_3) | instskip(SKIP_1) | instid1(VALU_DEP_1)
	v_cmp_lt_u64_e32 vcc_lo, 0xffffff, v[2:3]
	v_add_nc_u32_e32 v18, 15, v59
	v_cndmask_b32_e32 v58, v60, v18, vcc_lo
	v_cndmask_b32_e64 v18, 0, 1, vcc_lo
	s_delay_alu instid0(VALU_DEP_1)
	v_lshrrev_b64 v[56:57], v18, v[2:3]
; %bb.6379:                             ;   in Loop: Header=BB2_6264 Depth=3
	s_and_not1_saveexec_b32 s14, s14
; %bb.6380:                             ;   in Loop: Header=BB2_6264 Depth=3
	v_mov_b64_e32 v[56:57], v[2:3]
	v_bfe_u32 v58, v2, 23, 1
; %bb.6381:                             ;   in Loop: Header=BB2_6264 Depth=3
	s_or_b32 exec_lo, exec_lo, s14
	s_delay_alu instid0(VALU_DEP_2) | instskip(NEXT) | instid1(VALU_DEP_2)
	v_lshrrev_b64 v[18:19], 21, v[56:57]
	v_cmp_gt_i32_e32 vcc_lo, 32, v58
	v_min_i32_e32 v2, 31, v58
	v_cmp_eq_u32_e64 s14, 0, v58
	s_delay_alu instid0(VALU_DEP_2) | instskip(SKIP_1) | instid1(VALU_DEP_2)
	v_dual_cndmask_b32 v19, 0, v19 :: v_dual_lshlrev_b32 v2, 2, v2
	v_cndmask_b32_e32 v18, 3, v18, vcc_lo
	v_and_b32_e32 v2, 0xfc, v2
	s_delay_alu instid0(VALU_DEP_2) | instskip(NEXT) | instid1(VALU_DEP_2)
	v_cmp_eq_u64_e32 vcc_lo, 0, v[18:19]
	v_and_or_b32 v2, v18, 3, v2
	s_and_b32 s14, s14, vcc_lo
	s_delay_alu instid0(VALU_DEP_1) | instid1(SALU_CYCLE_1)
	v_cndmask_b32_e64 v2, v2, 0, s14
	s_delay_alu instid0(VALU_DEP_1)
	v_or_b32_e32 v79, v2, v17
.LBB2_6382:                             ;   in Loop: Header=BB2_6264 Depth=3
	s_or_b32 exec_lo, exec_lo, s78
                                        ; implicit-def: $vgpr17
.LBB2_6383:                             ;   in Loop: Header=BB2_6264 Depth=3
	s_and_not1_saveexec_b32 s14, s43
; %bb.6384:                             ;   in Loop: Header=BB2_6264 Depth=3
	v_or_b32_e32 v79, 0x7b, v17
; %bb.6385:                             ;   in Loop: Header=BB2_6264 Depth=3
	s_or_b32 exec_lo, exec_lo, s14
                                        ; implicit-def: $vgpr56
                                        ; implicit-def: $vgpr17
.LBB2_6386:                             ;   in Loop: Header=BB2_6264 Depth=3
	s_and_not1_saveexec_b32 s14, s42
	s_cbranch_execz .LBB2_6392
; %bb.6387:                             ;   in Loop: Header=BB2_6264 Depth=3
	s_mov_b32 s42, exec_lo
                                        ; implicit-def: $vgpr79
	v_cmpx_ne_u64_e32 0, v[2:3]
	s_xor_b32 s42, exec_lo, s42
; %bb.6388:                             ;   in Loop: Header=BB2_6264 Depth=3
	v_or_b32_e32 v79, 0x7f, v17
                                        ; implicit-def: $vgpr56
; %bb.6389:                             ;   in Loop: Header=BB2_6264 Depth=3
	s_and_not1_saveexec_b32 s42, s42
; %bb.6390:                             ;   in Loop: Header=BB2_6264 Depth=3
	v_cmp_lt_i32_e32 vcc_lo, -1, v56
	v_cndmask_b32_e32 v79, 0xfc, v120, vcc_lo
; %bb.6391:                             ;   in Loop: Header=BB2_6264 Depth=3
	s_or_b32 exec_lo, exec_lo, s42
.LBB2_6392:                             ;   in Loop: Header=BB2_6264 Depth=3
	s_delay_alu instid0(SALU_CYCLE_1) | instskip(SKIP_3) | instid1(VALU_DEP_2)
	s_or_b32 exec_lo, exec_lo, s14
	v_and_b32_e32 v56, 0xff, v9
	v_dual_mov_b32 v2, v9 :: v_dual_mov_b32 v17, 0
	s_mov_b32 s14, exec_lo
	v_cmpx_ne_u16_e32 0, v56
	s_cbranch_execz .LBB2_6402
; %bb.6393:                             ;   in Loop: Header=BB2_6264 Depth=3
	v_bfrev_b32_e32 v17, 1
	s_mov_b32 s42, exec_lo
	v_cmpx_ne_u16_e32 0x80, v56
	s_cbranch_execz .LBB2_6401
; %bb.6394:                             ;   in Loop: Header=BB2_6264 Depth=3
	v_and_b32_e32 v17, 0x7c, v9
	v_and_b32_e32 v56, 3, v9
	s_delay_alu instid0(VALU_DEP_2) | instskip(SKIP_1) | instid1(SALU_CYCLE_1)
	v_cmp_ne_u32_e32 vcc_lo, 0x7c, v17
                                        ; implicit-def: $vgpr17
	s_and_saveexec_b32 s43, vcc_lo
	s_xor_b32 s43, exec_lo, s43
	s_cbranch_execz .LBB2_6398
; %bb.6395:                             ;   in Loop: Header=BB2_6264 Depth=3
	v_bfe_u32 v17, v9, 2, 5
	s_mov_b32 s78, exec_lo
	s_delay_alu instid0(VALU_DEP_1)
	v_cmpx_eq_u32_e32 0, v17
; %bb.6396:                             ;   in Loop: Header=BB2_6264 Depth=3
	v_clz_i32_u32_e32 v17, v56
	s_delay_alu instid0(VALU_DEP_1) | instskip(NEXT) | instid1(VALU_DEP_1)
	v_min_u32_e32 v17, 32, v17
	v_subrev_nc_u32_e32 v18, 29, v17
	s_delay_alu instid0(VALU_DEP_1) | instskip(NEXT) | instid1(VALU_DEP_1)
	v_lshlrev_b64_e32 v[18:19], v18, v[2:3]
	v_dual_sub_nc_u32 v17, 30, v17 :: v_dual_bitop2_b32 v56, 3, v18 bitop3:0x40
; %bb.6397:                             ;   in Loop: Header=BB2_6264 Depth=3
	s_or_b32 exec_lo, exec_lo, s78
	v_lshlrev_b32_e32 v18, 24, v9
	s_delay_alu instid0(VALU_DEP_1) | instskip(NEXT) | instid1(VALU_DEP_1)
	v_and_b32_e32 v18, 0x80000000, v18
	v_lshl_add_u32 v17, v17, 23, v18
	s_delay_alu instid0(VALU_DEP_1) | instskip(NEXT) | instid1(VALU_DEP_1)
	v_lshl_or_b32 v17, v56, 21, v17
                                        ; implicit-def: $vgpr56
	v_add_nc_u32_e32 v17, 0x38000000, v17
.LBB2_6398:                             ;   in Loop: Header=BB2_6264 Depth=3
	s_and_not1_saveexec_b32 s43, s43
; %bb.6399:                             ;   in Loop: Header=BB2_6264 Depth=3
	v_bfe_i32 v17, v9, 0, 8
	s_delay_alu instid0(VALU_DEP_1) | instskip(SKIP_2) | instid1(VALU_DEP_2)
	v_cmp_lt_i16_e32 vcc_lo, -1, v17
	v_cndmask_b32_e32 v17, 0xff800000, v111, vcc_lo
	v_cmp_eq_u32_e32 vcc_lo, 0, v56
	v_cndmask_b32_e32 v17, 0x7f800001, v17, vcc_lo
; %bb.6400:                             ;   in Loop: Header=BB2_6264 Depth=3
	s_or_b32 exec_lo, exec_lo, s43
.LBB2_6401:                             ;   in Loop: Header=BB2_6264 Depth=3
	s_delay_alu instid0(SALU_CYCLE_1)
	s_or_b32 exec_lo, exec_lo, s42
.LBB2_6402:                             ;   in Loop: Header=BB2_6264 Depth=3
	s_delay_alu instid0(SALU_CYCLE_1) | instskip(NEXT) | instid1(VALU_DEP_1)
	s_or_b32 exec_lo, exec_lo, s14
	v_dual_mul_f32 v58, s15, v17 :: v_dual_mov_b32 v19, v3
	v_mov_b32_e32 v57, v3
                                        ; implicit-def: $vgpr60
	s_mov_b32 s14, exec_lo
	s_delay_alu instid0(VALU_DEP_2) | instskip(SKIP_2) | instid1(VALU_DEP_3)
	v_and_b32_e32 v18, 0x7f800000, v58
	v_and_b32_e32 v56, 0x7fffff, v58
	v_lshrrev_b32_e32 v17, 24, v58
	v_cmpx_ne_u64_e32 0x7f800000, v[18:19]
	s_xor_b32 s42, exec_lo, s14
	s_cbranch_execz .LBB2_6416
; %bb.6403:                             ;   in Loop: Header=BB2_6264 Depth=3
	v_and_b32_e32 v18, 0x7fffffff, v58
	v_mov_b32_e32 v19, v3
	v_and_b32_e32 v17, 0x80, v17
                                        ; implicit-def: $vgpr60
	s_mov_b32 s14, exec_lo
	s_delay_alu instid0(VALU_DEP_2)
	v_cmpx_gt_u64_e32 0x47600001, v[18:19]
	s_xor_b32 s43, exec_lo, s14
	s_cbranch_execz .LBB2_6413
; %bb.6404:                             ;   in Loop: Header=BB2_6264 Depth=3
	v_mov_b32_e32 v60, 0
	s_mov_b32 s78, exec_lo
	v_cmpx_ne_u32_e32 0, v58
	s_cbranch_execz .LBB2_6412
; %bb.6405:                             ;   in Loop: Header=BB2_6264 Depth=3
	v_bfe_u32 v60, v58, 23, 8
	v_or_b32_e32 v58, 0x800000, v56
	s_delay_alu instid0(VALU_DEP_2) | instskip(SKIP_1) | instid1(VALU_DEP_2)
	v_sub_nc_u32_e32 v18, 0x71, v60
	v_cmp_gt_u32_e32 vcc_lo, 0x72, v60
	v_cndmask_b32_e32 v18, 0, v18, vcc_lo
	v_cmp_eq_u32_e32 vcc_lo, 0, v60
	s_delay_alu instid0(VALU_DEP_2) | instskip(NEXT) | instid1(VALU_DEP_1)
	v_cndmask_b32_e64 v61, v18, 0x70, vcc_lo
	v_dual_cndmask_b32 v56, v58, v56, vcc_lo :: v_dual_add_nc_u32 v18, 21, v61
	v_add_nc_u32_e32 v59, 20, v61
	s_delay_alu instid0(VALU_DEP_2) | instskip(NEXT) | instid1(VALU_DEP_2)
	v_lshlrev_b64_e64 v[18:19], v18, -1
	v_lshlrev_b64_e64 v[58:59], v59, 1
	s_delay_alu instid0(VALU_DEP_2) | instskip(SKIP_1) | instid1(VALU_DEP_4)
	v_bfi_b32 v18, v18, 0, v56
	v_lshrrev_b64 v[56:57], v61, v[56:57]
	v_bfi_b32 v19, v19, 0, 0
	s_delay_alu instid0(VALU_DEP_1) | instskip(NEXT) | instid1(VALU_DEP_3)
	v_cmp_eq_u64_e64 s14, v[18:19], v[58:59]
	v_mov_b64_e32 v[58:59], v[56:57]
	s_and_saveexec_b32 s79, s14
; %bb.6406:                             ;   in Loop: Header=BB2_6264 Depth=3
	v_bfe_u32 v18, v56, 21, 1
	v_mov_b32_e32 v19, v3
	s_delay_alu instid0(VALU_DEP_1) | instskip(NEXT) | instid1(VALU_DEP_1)
	v_add_nc_u64_e32 v[18:19], v[56:57], v[18:19]
	v_add_nc_u64_e32 v[58:59], -1, v[18:19]
; %bb.6407:                             ;   in Loop: Header=BB2_6264 Depth=3
	s_or_b32 exec_lo, exec_lo, s79
	v_dual_mov_b32 v57, v3 :: v_dual_add_nc_u32 v18, 0xffffff81, v60
	v_lshrrev_b32_e32 v19, 23, v56
	s_mov_b32 s14, exec_lo
	s_delay_alu instid0(VALU_DEP_2) | instskip(NEXT) | instid1(VALU_DEP_1)
	v_cndmask_b32_e64 v18, v18, 0xffffff82, vcc_lo
	v_add3_u32 v59, v61, v18, v19
	v_and_b32_e32 v18, 0x1fffff, v58
                                        ; implicit-def: $vgpr58
	s_delay_alu instid0(VALU_DEP_1) | instskip(NEXT) | instid1(VALU_DEP_1)
	v_dual_add_nc_u32 v60, 14, v59 :: v_dual_add_nc_u32 v56, v18, v56
	v_cmpx_ne_u32_e32 0, v60
	s_xor_b32 s14, exec_lo, s14
; %bb.6408:                             ;   in Loop: Header=BB2_6264 Depth=3
	s_delay_alu instid0(VALU_DEP_2) | instskip(SKIP_1) | instid1(VALU_DEP_1)
	v_cmp_lt_u64_e32 vcc_lo, 0xffffff, v[56:57]
	v_add_nc_u32_e32 v18, 15, v59
	v_cndmask_b32_e32 v58, v60, v18, vcc_lo
	v_cndmask_b32_e64 v18, 0, 1, vcc_lo
	s_delay_alu instid0(VALU_DEP_1)
	v_lshrrev_b64 v[56:57], v18, v[56:57]
; %bb.6409:                             ;   in Loop: Header=BB2_6264 Depth=3
	s_and_not1_saveexec_b32 s14, s14
; %bb.6410:                             ;   in Loop: Header=BB2_6264 Depth=3
	s_delay_alu instid0(VALU_DEP_1)
	v_bfe_u32 v58, v56, 23, 1
; %bb.6411:                             ;   in Loop: Header=BB2_6264 Depth=3
	s_or_b32 exec_lo, exec_lo, s14
	s_delay_alu instid0(VALU_DEP_2) | instskip(NEXT) | instid1(VALU_DEP_2)
	v_lshrrev_b64 v[18:19], 21, v[56:57]
	v_cmp_gt_i32_e32 vcc_lo, 32, v58
	v_min_i32_e32 v56, 31, v58
	v_cmp_eq_u32_e64 s14, 0, v58
	s_delay_alu instid0(VALU_DEP_2) | instskip(SKIP_1) | instid1(VALU_DEP_2)
	v_dual_cndmask_b32 v19, 0, v19 :: v_dual_lshlrev_b32 v56, 2, v56
	v_cndmask_b32_e32 v18, 3, v18, vcc_lo
	v_and_b32_e32 v56, 0xfc, v56
	s_delay_alu instid0(VALU_DEP_2) | instskip(NEXT) | instid1(VALU_DEP_2)
	v_cmp_eq_u64_e32 vcc_lo, 0, v[18:19]
	v_and_or_b32 v18, v18, 3, v56
	s_and_b32 s14, s14, vcc_lo
	s_delay_alu instid0(VALU_DEP_1) | instid1(SALU_CYCLE_1)
	v_cndmask_b32_e64 v18, v18, 0, s14
	s_delay_alu instid0(VALU_DEP_1)
	v_or_b32_e32 v60, v18, v17
.LBB2_6412:                             ;   in Loop: Header=BB2_6264 Depth=3
	s_or_b32 exec_lo, exec_lo, s78
                                        ; implicit-def: $vgpr17
.LBB2_6413:                             ;   in Loop: Header=BB2_6264 Depth=3
	s_and_not1_saveexec_b32 s14, s43
; %bb.6414:                             ;   in Loop: Header=BB2_6264 Depth=3
	v_or_b32_e32 v60, 0x7b, v17
; %bb.6415:                             ;   in Loop: Header=BB2_6264 Depth=3
	s_or_b32 exec_lo, exec_lo, s14
                                        ; implicit-def: $vgpr58
                                        ; implicit-def: $vgpr56_vgpr57
                                        ; implicit-def: $vgpr17
.LBB2_6416:                             ;   in Loop: Header=BB2_6264 Depth=3
	s_and_not1_saveexec_b32 s14, s42
	s_cbranch_execz .LBB2_6422
; %bb.6417:                             ;   in Loop: Header=BB2_6264 Depth=3
	s_mov_b32 s42, exec_lo
                                        ; implicit-def: $vgpr60
	v_cmpx_ne_u64_e32 0, v[56:57]
	s_xor_b32 s42, exec_lo, s42
; %bb.6418:                             ;   in Loop: Header=BB2_6264 Depth=3
	v_or_b32_e32 v60, 0x7f, v17
                                        ; implicit-def: $vgpr58
; %bb.6419:                             ;   in Loop: Header=BB2_6264 Depth=3
	s_and_not1_saveexec_b32 s42, s42
; %bb.6420:                             ;   in Loop: Header=BB2_6264 Depth=3
	v_cmp_lt_i32_e32 vcc_lo, -1, v58
	v_cndmask_b32_e32 v60, 0xfc, v120, vcc_lo
; %bb.6421:                             ;   in Loop: Header=BB2_6264 Depth=3
	s_or_b32 exec_lo, exec_lo, s42
.LBB2_6422:                             ;   in Loop: Header=BB2_6264 Depth=3
	s_delay_alu instid0(SALU_CYCLE_1) | instskip(SKIP_3) | instid1(VALU_DEP_2)
	s_or_b32 exec_lo, exec_lo, s14
	v_lshrrev_b16 v56, 8, v2
	v_mov_b32_e32 v57, 0
	s_mov_b32 s14, exec_lo
	v_cmpx_ne_u16_e32 0, v56
	s_cbranch_execz .LBB2_6432
; %bb.6423:                             ;   in Loop: Header=BB2_6264 Depth=3
	v_bfrev_b32_e32 v57, 1
	s_mov_b32 s42, exec_lo
	v_cmpx_ne_u16_e32 0x80, v56
	s_cbranch_execz .LBB2_6431
; %bb.6424:                             ;   in Loop: Header=BB2_6264 Depth=3
	v_and_b32_e32 v58, 0xffff, v56
	s_mov_b32 s43, exec_lo
                                        ; implicit-def: $vgpr57
	s_delay_alu instid0(VALU_DEP_1) | instskip(SKIP_1) | instid1(VALU_DEP_2)
	v_and_b32_e32 v18, 0x7c, v58
	v_and_b32_e32 v17, 3, v58
	v_cmpx_ne_u32_e32 0x7c, v18
	s_xor_b32 s43, exec_lo, s43
	s_cbranch_execz .LBB2_6428
; %bb.6425:                             ;   in Loop: Header=BB2_6264 Depth=3
	v_bfe_u32 v57, v58, 2, 5
	s_mov_b32 s78, exec_lo
	s_delay_alu instid0(VALU_DEP_1)
	v_cmpx_eq_u32_e32 0, v57
; %bb.6426:                             ;   in Loop: Header=BB2_6264 Depth=3
	v_clz_i32_u32_e32 v17, v17
	v_mov_b32_e32 v57, v3
	s_delay_alu instid0(VALU_DEP_2) | instskip(NEXT) | instid1(VALU_DEP_1)
	v_min_u32_e32 v17, 32, v17
	v_subrev_nc_u32_e32 v18, 29, v17
	s_delay_alu instid0(VALU_DEP_1) | instskip(NEXT) | instid1(VALU_DEP_1)
	v_lshlrev_b64_e32 v[18:19], v18, v[56:57]
	v_dual_sub_nc_u32 v57, 30, v17 :: v_dual_bitop2_b32 v17, 3, v18 bitop3:0x40
; %bb.6427:                             ;   in Loop: Header=BB2_6264 Depth=3
	s_or_b32 exec_lo, exec_lo, s78
	v_lshlrev_b32_e32 v2, 16, v2
	s_delay_alu instid0(VALU_DEP_1) | instskip(NEXT) | instid1(VALU_DEP_1)
	v_and_b32_e32 v2, 0x80000000, v2
	v_lshl_add_u32 v2, v57, 23, v2
	s_delay_alu instid0(VALU_DEP_1) | instskip(NEXT) | instid1(VALU_DEP_1)
	v_lshl_or_b32 v2, v17, 21, v2
                                        ; implicit-def: $vgpr17
	v_add_nc_u32_e32 v57, 0x38000000, v2
.LBB2_6428:                             ;   in Loop: Header=BB2_6264 Depth=3
	s_and_not1_saveexec_b32 s43, s43
; %bb.6429:                             ;   in Loop: Header=BB2_6264 Depth=3
	v_cmp_lt_i16_e32 vcc_lo, -1, v2
	v_cndmask_b32_e32 v2, 0xff800000, v111, vcc_lo
	v_cmp_eq_u32_e32 vcc_lo, 0, v17
	s_delay_alu instid0(VALU_DEP_2)
	v_cndmask_b32_e32 v57, 0x7f800001, v2, vcc_lo
; %bb.6430:                             ;   in Loop: Header=BB2_6264 Depth=3
	s_or_b32 exec_lo, exec_lo, s43
.LBB2_6431:                             ;   in Loop: Header=BB2_6264 Depth=3
	s_delay_alu instid0(SALU_CYCLE_1)
	s_or_b32 exec_lo, exec_lo, s42
.LBB2_6432:                             ;   in Loop: Header=BB2_6264 Depth=3
	s_delay_alu instid0(SALU_CYCLE_1) | instskip(NEXT) | instid1(VALU_DEP_1)
	s_or_b32 exec_lo, exec_lo, s14
	v_dual_mul_f32 v56, s15, v57 :: v_dual_mov_b32 v19, v3
                                        ; implicit-def: $vgpr61
	s_mov_b32 s14, exec_lo
	s_delay_alu instid0(VALU_DEP_1) | instskip(SKIP_2) | instid1(VALU_DEP_3)
	v_and_b32_e32 v18, 0x7f800000, v56
	v_and_b32_e32 v2, 0x7fffff, v56
	v_lshrrev_b32_e32 v17, 24, v56
	v_cmpx_ne_u64_e32 0x7f800000, v[18:19]
	s_xor_b32 s42, exec_lo, s14
	s_cbranch_execz .LBB2_6446
; %bb.6433:                             ;   in Loop: Header=BB2_6264 Depth=3
	v_and_b32_e32 v18, 0x7fffffff, v56
	v_mov_b32_e32 v19, v3
	v_and_b32_e32 v17, 0x80, v17
                                        ; implicit-def: $vgpr61
	s_mov_b32 s14, exec_lo
	s_delay_alu instid0(VALU_DEP_2)
	v_cmpx_gt_u64_e32 0x47600001, v[18:19]
	s_xor_b32 s43, exec_lo, s14
	s_cbranch_execz .LBB2_6443
; %bb.6434:                             ;   in Loop: Header=BB2_6264 Depth=3
	v_mov_b32_e32 v61, 0
	s_mov_b32 s78, exec_lo
	v_cmpx_ne_u32_e32 0, v56
	s_cbranch_execz .LBB2_6442
; %bb.6435:                             ;   in Loop: Header=BB2_6264 Depth=3
	v_bfe_u32 v61, v56, 23, 8
	v_or_b32_e32 v56, 0x800000, v2
	s_delay_alu instid0(VALU_DEP_2) | instskip(SKIP_1) | instid1(VALU_DEP_2)
	v_dual_mov_b32 v57, v3 :: v_dual_sub_nc_u32 v18, 0x71, v61
	v_cmp_gt_u32_e32 vcc_lo, 0x72, v61
	v_cndmask_b32_e32 v18, 0, v18, vcc_lo
	v_cmp_eq_u32_e32 vcc_lo, 0, v61
	s_delay_alu instid0(VALU_DEP_2) | instskip(NEXT) | instid1(VALU_DEP_1)
	v_cndmask_b32_e64 v77, v18, 0x70, vcc_lo
	v_dual_cndmask_b32 v56, v56, v2, vcc_lo :: v_dual_add_nc_u32 v18, 21, v77
	v_add_nc_u32_e32 v58, 20, v77
	s_delay_alu instid0(VALU_DEP_2) | instskip(NEXT) | instid1(VALU_DEP_2)
	v_lshlrev_b64_e64 v[18:19], v18, -1
	v_lshlrev_b64_e64 v[58:59], v58, 1
	s_delay_alu instid0(VALU_DEP_2) | instskip(SKIP_1) | instid1(VALU_DEP_4)
	v_bfi_b32 v18, v18, 0, v56
	v_lshrrev_b64 v[56:57], v77, v[56:57]
	v_bfi_b32 v19, v19, 0, 0
	s_delay_alu instid0(VALU_DEP_1) | instskip(NEXT) | instid1(VALU_DEP_3)
	v_cmp_eq_u64_e64 s14, v[18:19], v[58:59]
	v_mov_b64_e32 v[58:59], v[56:57]
	s_and_saveexec_b32 s79, s14
; %bb.6436:                             ;   in Loop: Header=BB2_6264 Depth=3
	v_bfe_u32 v18, v56, 21, 1
	v_mov_b32_e32 v19, v3
	s_delay_alu instid0(VALU_DEP_1) | instskip(NEXT) | instid1(VALU_DEP_1)
	v_add_nc_u64_e32 v[18:19], v[56:57], v[18:19]
	v_add_nc_u64_e32 v[58:59], -1, v[18:19]
; %bb.6437:                             ;   in Loop: Header=BB2_6264 Depth=3
	s_or_b32 exec_lo, exec_lo, s79
	v_add_nc_u32_e32 v2, 0xffffff81, v61
	s_delay_alu instid0(VALU_DEP_2) | instskip(SKIP_2) | instid1(VALU_DEP_3)
	v_and_b32_e32 v19, 0x1fffff, v58
	v_lshrrev_b32_e32 v18, 23, v56
	s_mov_b32 s14, exec_lo
                                        ; implicit-def: $vgpr58
	v_cndmask_b32_e64 v2, v2, 0xffffff82, vcc_lo
	s_delay_alu instid0(VALU_DEP_1) | instskip(SKIP_1) | instid1(VALU_DEP_2)
	v_add3_u32 v59, v77, v2, v18
	v_add_nc_u32_e32 v2, v19, v56
                                        ; implicit-def: $vgpr56_vgpr57
	v_add_nc_u32_e32 v61, 14, v59
	s_delay_alu instid0(VALU_DEP_1)
	v_cmpx_ne_u32_e32 0, v61
	s_xor_b32 s14, exec_lo, s14
; %bb.6438:                             ;   in Loop: Header=BB2_6264 Depth=3
	s_delay_alu instid0(VALU_DEP_3) | instskip(SKIP_1) | instid1(VALU_DEP_1)
	v_cmp_lt_u64_e32 vcc_lo, 0xffffff, v[2:3]
	v_add_nc_u32_e32 v18, 15, v59
	v_cndmask_b32_e32 v58, v61, v18, vcc_lo
	v_cndmask_b32_e64 v18, 0, 1, vcc_lo
	s_delay_alu instid0(VALU_DEP_1)
	v_lshrrev_b64 v[56:57], v18, v[2:3]
; %bb.6439:                             ;   in Loop: Header=BB2_6264 Depth=3
	s_and_not1_saveexec_b32 s14, s14
; %bb.6440:                             ;   in Loop: Header=BB2_6264 Depth=3
	v_mov_b64_e32 v[56:57], v[2:3]
	v_bfe_u32 v58, v2, 23, 1
; %bb.6441:                             ;   in Loop: Header=BB2_6264 Depth=3
	s_or_b32 exec_lo, exec_lo, s14
	s_delay_alu instid0(VALU_DEP_2) | instskip(NEXT) | instid1(VALU_DEP_2)
	v_lshrrev_b64 v[18:19], 21, v[56:57]
	v_cmp_gt_i32_e32 vcc_lo, 32, v58
	v_min_i32_e32 v2, 31, v58
	v_cmp_eq_u32_e64 s14, 0, v58
	s_delay_alu instid0(VALU_DEP_2) | instskip(SKIP_1) | instid1(VALU_DEP_2)
	v_dual_cndmask_b32 v19, 0, v19 :: v_dual_lshlrev_b32 v2, 2, v2
	v_cndmask_b32_e32 v18, 3, v18, vcc_lo
	v_and_b32_e32 v2, 0xfc, v2
	s_delay_alu instid0(VALU_DEP_2) | instskip(NEXT) | instid1(VALU_DEP_2)
	v_cmp_eq_u64_e32 vcc_lo, 0, v[18:19]
	v_and_or_b32 v2, v18, 3, v2
	s_and_b32 s14, s14, vcc_lo
	s_delay_alu instid0(VALU_DEP_1) | instid1(SALU_CYCLE_1)
	v_cndmask_b32_e64 v2, v2, 0, s14
	s_delay_alu instid0(VALU_DEP_1)
	v_or_b32_e32 v61, v2, v17
.LBB2_6442:                             ;   in Loop: Header=BB2_6264 Depth=3
	s_or_b32 exec_lo, exec_lo, s78
                                        ; implicit-def: $vgpr17
.LBB2_6443:                             ;   in Loop: Header=BB2_6264 Depth=3
	s_and_not1_saveexec_b32 s14, s43
; %bb.6444:                             ;   in Loop: Header=BB2_6264 Depth=3
	v_or_b32_e32 v61, 0x7b, v17
; %bb.6445:                             ;   in Loop: Header=BB2_6264 Depth=3
	s_or_b32 exec_lo, exec_lo, s14
                                        ; implicit-def: $vgpr56
                                        ; implicit-def: $vgpr17
.LBB2_6446:                             ;   in Loop: Header=BB2_6264 Depth=3
	s_and_not1_saveexec_b32 s14, s42
	s_cbranch_execz .LBB2_6452
; %bb.6447:                             ;   in Loop: Header=BB2_6264 Depth=3
	s_mov_b32 s42, exec_lo
                                        ; implicit-def: $vgpr61
	v_cmpx_ne_u64_e32 0, v[2:3]
	s_xor_b32 s42, exec_lo, s42
; %bb.6448:                             ;   in Loop: Header=BB2_6264 Depth=3
	v_or_b32_e32 v61, 0x7f, v17
                                        ; implicit-def: $vgpr56
; %bb.6449:                             ;   in Loop: Header=BB2_6264 Depth=3
	s_and_not1_saveexec_b32 s42, s42
; %bb.6450:                             ;   in Loop: Header=BB2_6264 Depth=3
	v_cmp_lt_i32_e32 vcc_lo, -1, v56
	v_cndmask_b32_e32 v61, 0xfc, v120, vcc_lo
; %bb.6451:                             ;   in Loop: Header=BB2_6264 Depth=3
	s_or_b32 exec_lo, exec_lo, s42
.LBB2_6452:                             ;   in Loop: Header=BB2_6264 Depth=3
	s_delay_alu instid0(SALU_CYCLE_1) | instskip(SKIP_2) | instid1(VALU_DEP_1)
	s_or_b32 exec_lo, exec_lo, s14
	v_dual_mov_b32 v17, 0 :: v_dual_lshrrev_b32 v2, 16, v9
	s_mov_b32 s14, exec_lo
	v_and_b32_e32 v56, 0xff, v2
	s_delay_alu instid0(VALU_DEP_1)
	v_cmpx_ne_u16_e32 0, v56
	s_cbranch_execz .LBB2_6462
; %bb.6453:                             ;   in Loop: Header=BB2_6264 Depth=3
	v_bfrev_b32_e32 v17, 1
	s_mov_b32 s42, exec_lo
	v_cmpx_ne_u16_e32 0x80, v56
	s_cbranch_execz .LBB2_6461
; %bb.6454:                             ;   in Loop: Header=BB2_6264 Depth=3
	v_and_b32_e32 v17, 0x7c0000, v9
	v_bfe_u32 v56, v9, 16, 2
	s_delay_alu instid0(VALU_DEP_2) | instskip(SKIP_1) | instid1(SALU_CYCLE_1)
	v_cmp_ne_u32_e32 vcc_lo, 0x7c0000, v17
                                        ; implicit-def: $vgpr17
	s_and_saveexec_b32 s43, vcc_lo
	s_xor_b32 s43, exec_lo, s43
	s_cbranch_execz .LBB2_6458
; %bb.6455:                             ;   in Loop: Header=BB2_6264 Depth=3
	v_bfe_u32 v17, v9, 18, 5
	s_mov_b32 s78, exec_lo
	s_delay_alu instid0(VALU_DEP_1)
	v_cmpx_eq_u32_e32 0, v17
; %bb.6456:                             ;   in Loop: Header=BB2_6264 Depth=3
	v_clz_i32_u32_e32 v17, v56
	s_delay_alu instid0(VALU_DEP_1) | instskip(NEXT) | instid1(VALU_DEP_1)
	v_min_u32_e32 v17, 32, v17
	v_subrev_nc_u32_e32 v18, 29, v17
	s_delay_alu instid0(VALU_DEP_1) | instskip(NEXT) | instid1(VALU_DEP_1)
	v_lshlrev_b64_e32 v[18:19], v18, v[2:3]
	v_dual_sub_nc_u32 v17, 30, v17 :: v_dual_bitop2_b32 v56, 3, v18 bitop3:0x40
; %bb.6457:                             ;   in Loop: Header=BB2_6264 Depth=3
	s_or_b32 exec_lo, exec_lo, s78
	v_lshlrev_b32_e32 v2, 24, v2
	s_delay_alu instid0(VALU_DEP_1) | instskip(NEXT) | instid1(VALU_DEP_1)
	v_and_b32_e32 v2, 0x80000000, v2
	v_lshl_add_u32 v2, v17, 23, v2
	s_delay_alu instid0(VALU_DEP_1) | instskip(NEXT) | instid1(VALU_DEP_1)
	v_lshl_or_b32 v2, v56, 21, v2
                                        ; implicit-def: $vgpr56
	v_add_nc_u32_e32 v17, 0x38000000, v2
                                        ; implicit-def: $vgpr2
.LBB2_6458:                             ;   in Loop: Header=BB2_6264 Depth=3
	s_and_not1_saveexec_b32 s43, s43
; %bb.6459:                             ;   in Loop: Header=BB2_6264 Depth=3
	v_bfe_i32 v2, v2, 0, 8
	s_delay_alu instid0(VALU_DEP_1) | instskip(SKIP_2) | instid1(VALU_DEP_2)
	v_cmp_lt_i16_e32 vcc_lo, -1, v2
	v_cndmask_b32_e32 v2, 0xff800000, v111, vcc_lo
	v_cmp_eq_u32_e32 vcc_lo, 0, v56
	v_cndmask_b32_e32 v17, 0x7f800001, v2, vcc_lo
; %bb.6460:                             ;   in Loop: Header=BB2_6264 Depth=3
	s_or_b32 exec_lo, exec_lo, s43
.LBB2_6461:                             ;   in Loop: Header=BB2_6264 Depth=3
	s_delay_alu instid0(SALU_CYCLE_1)
	s_or_b32 exec_lo, exec_lo, s42
.LBB2_6462:                             ;   in Loop: Header=BB2_6264 Depth=3
	s_delay_alu instid0(SALU_CYCLE_1) | instskip(NEXT) | instid1(VALU_DEP_1)
	s_or_b32 exec_lo, exec_lo, s14
	v_dual_mul_f32 v56, s15, v17 :: v_dual_mov_b32 v19, v3
                                        ; implicit-def: $vgpr94
	s_mov_b32 s14, exec_lo
	s_delay_alu instid0(VALU_DEP_1) | instskip(SKIP_2) | instid1(VALU_DEP_3)
	v_and_b32_e32 v18, 0x7f800000, v56
	v_and_b32_e32 v2, 0x7fffff, v56
	v_lshrrev_b32_e32 v17, 24, v56
	v_cmpx_ne_u64_e32 0x7f800000, v[18:19]
	s_xor_b32 s42, exec_lo, s14
	s_cbranch_execz .LBB2_6476
; %bb.6463:                             ;   in Loop: Header=BB2_6264 Depth=3
	v_and_b32_e32 v18, 0x7fffffff, v56
	v_mov_b32_e32 v19, v3
	v_and_b32_e32 v17, 0x80, v17
                                        ; implicit-def: $vgpr94
	s_mov_b32 s14, exec_lo
	s_delay_alu instid0(VALU_DEP_2)
	v_cmpx_gt_u64_e32 0x47600001, v[18:19]
	s_xor_b32 s43, exec_lo, s14
	s_cbranch_execz .LBB2_6473
; %bb.6464:                             ;   in Loop: Header=BB2_6264 Depth=3
	v_mov_b32_e32 v94, 0
	s_mov_b32 s78, exec_lo
	v_cmpx_ne_u32_e32 0, v56
	s_cbranch_execz .LBB2_6472
; %bb.6465:                             ;   in Loop: Header=BB2_6264 Depth=3
	v_bfe_u32 v77, v56, 23, 8
	v_or_b32_e32 v56, 0x800000, v2
	s_delay_alu instid0(VALU_DEP_2) | instskip(SKIP_1) | instid1(VALU_DEP_2)
	v_dual_mov_b32 v57, v3 :: v_dual_sub_nc_u32 v18, 0x71, v77
	v_cmp_gt_u32_e32 vcc_lo, 0x72, v77
	v_cndmask_b32_e32 v18, 0, v18, vcc_lo
	v_cmp_eq_u32_e32 vcc_lo, 0, v77
	s_delay_alu instid0(VALU_DEP_2) | instskip(SKIP_1) | instid1(VALU_DEP_2)
	v_cndmask_b32_e64 v78, v18, 0x70, vcc_lo
	v_cndmask_b32_e32 v56, v56, v2, vcc_lo
	v_dual_add_nc_u32 v18, 21, v78 :: v_dual_add_nc_u32 v58, 20, v78
	s_delay_alu instid0(VALU_DEP_1) | instskip(NEXT) | instid1(VALU_DEP_2)
	v_lshlrev_b64_e64 v[18:19], v18, -1
	v_lshlrev_b64_e64 v[58:59], v58, 1
	s_delay_alu instid0(VALU_DEP_2) | instskip(SKIP_1) | instid1(VALU_DEP_4)
	v_bfi_b32 v18, v18, 0, v56
	v_lshrrev_b64 v[56:57], v78, v[56:57]
	v_bfi_b32 v19, v19, 0, 0
	s_delay_alu instid0(VALU_DEP_1) | instskip(NEXT) | instid1(VALU_DEP_3)
	v_cmp_eq_u64_e64 s14, v[18:19], v[58:59]
	v_mov_b64_e32 v[58:59], v[56:57]
	s_and_saveexec_b32 s79, s14
; %bb.6466:                             ;   in Loop: Header=BB2_6264 Depth=3
	v_bfe_u32 v18, v56, 21, 1
	v_mov_b32_e32 v19, v3
	s_delay_alu instid0(VALU_DEP_1) | instskip(NEXT) | instid1(VALU_DEP_1)
	v_add_nc_u64_e32 v[18:19], v[56:57], v[18:19]
	v_add_nc_u64_e32 v[58:59], -1, v[18:19]
; %bb.6467:                             ;   in Loop: Header=BB2_6264 Depth=3
	s_or_b32 exec_lo, exec_lo, s79
	v_add_nc_u32_e32 v2, 0xffffff81, v77
	s_delay_alu instid0(VALU_DEP_2) | instskip(SKIP_2) | instid1(VALU_DEP_3)
	v_and_b32_e32 v19, 0x1fffff, v58
	v_lshrrev_b32_e32 v18, 23, v56
	s_mov_b32 s14, exec_lo
                                        ; implicit-def: $vgpr58
	v_cndmask_b32_e64 v2, v2, 0xffffff82, vcc_lo
	s_delay_alu instid0(VALU_DEP_1) | instskip(SKIP_1) | instid1(VALU_DEP_2)
	v_add3_u32 v59, v78, v2, v18
	v_add_nc_u32_e32 v2, v19, v56
                                        ; implicit-def: $vgpr56_vgpr57
	v_add_nc_u32_e32 v77, 14, v59
	s_delay_alu instid0(VALU_DEP_1)
	v_cmpx_ne_u32_e32 0, v77
	s_xor_b32 s14, exec_lo, s14
; %bb.6468:                             ;   in Loop: Header=BB2_6264 Depth=3
	s_delay_alu instid0(VALU_DEP_3) | instskip(SKIP_1) | instid1(VALU_DEP_1)
	v_cmp_lt_u64_e32 vcc_lo, 0xffffff, v[2:3]
	v_add_nc_u32_e32 v18, 15, v59
	v_cndmask_b32_e32 v58, v77, v18, vcc_lo
	v_cndmask_b32_e64 v18, 0, 1, vcc_lo
	s_delay_alu instid0(VALU_DEP_1)
	v_lshrrev_b64 v[56:57], v18, v[2:3]
; %bb.6469:                             ;   in Loop: Header=BB2_6264 Depth=3
	s_and_not1_saveexec_b32 s14, s14
; %bb.6470:                             ;   in Loop: Header=BB2_6264 Depth=3
	v_mov_b64_e32 v[56:57], v[2:3]
	v_bfe_u32 v58, v2, 23, 1
; %bb.6471:                             ;   in Loop: Header=BB2_6264 Depth=3
	s_or_b32 exec_lo, exec_lo, s14
	s_delay_alu instid0(VALU_DEP_2) | instskip(NEXT) | instid1(VALU_DEP_2)
	v_lshrrev_b64 v[18:19], 21, v[56:57]
	v_cmp_gt_i32_e32 vcc_lo, 32, v58
	v_min_i32_e32 v2, 31, v58
	v_cmp_eq_u32_e64 s14, 0, v58
	s_delay_alu instid0(VALU_DEP_2) | instskip(SKIP_1) | instid1(VALU_DEP_2)
	v_dual_cndmask_b32 v19, 0, v19 :: v_dual_lshlrev_b32 v2, 2, v2
	v_cndmask_b32_e32 v18, 3, v18, vcc_lo
	v_and_b32_e32 v2, 0xfc, v2
	s_delay_alu instid0(VALU_DEP_2) | instskip(NEXT) | instid1(VALU_DEP_2)
	v_cmp_eq_u64_e32 vcc_lo, 0, v[18:19]
	v_and_or_b32 v2, v18, 3, v2
	s_and_b32 s14, s14, vcc_lo
	s_delay_alu instid0(VALU_DEP_1) | instid1(SALU_CYCLE_1)
	v_cndmask_b32_e64 v2, v2, 0, s14
	s_delay_alu instid0(VALU_DEP_1)
	v_or_b32_e32 v94, v2, v17
.LBB2_6472:                             ;   in Loop: Header=BB2_6264 Depth=3
	s_or_b32 exec_lo, exec_lo, s78
                                        ; implicit-def: $vgpr17
.LBB2_6473:                             ;   in Loop: Header=BB2_6264 Depth=3
	s_and_not1_saveexec_b32 s14, s43
; %bb.6474:                             ;   in Loop: Header=BB2_6264 Depth=3
	v_or_b32_e32 v94, 0x7b, v17
; %bb.6475:                             ;   in Loop: Header=BB2_6264 Depth=3
	s_or_b32 exec_lo, exec_lo, s14
                                        ; implicit-def: $vgpr56
                                        ; implicit-def: $vgpr17
.LBB2_6476:                             ;   in Loop: Header=BB2_6264 Depth=3
	s_and_not1_saveexec_b32 s14, s42
	s_cbranch_execz .LBB2_6482
; %bb.6477:                             ;   in Loop: Header=BB2_6264 Depth=3
	s_mov_b32 s42, exec_lo
                                        ; implicit-def: $vgpr94
	v_cmpx_ne_u64_e32 0, v[2:3]
	s_xor_b32 s42, exec_lo, s42
; %bb.6478:                             ;   in Loop: Header=BB2_6264 Depth=3
	v_or_b32_e32 v94, 0x7f, v17
                                        ; implicit-def: $vgpr56
; %bb.6479:                             ;   in Loop: Header=BB2_6264 Depth=3
	s_and_not1_saveexec_b32 s42, s42
; %bb.6480:                             ;   in Loop: Header=BB2_6264 Depth=3
	v_cmp_lt_i32_e32 vcc_lo, -1, v56
	v_cndmask_b32_e32 v94, 0xfc, v120, vcc_lo
; %bb.6481:                             ;   in Loop: Header=BB2_6264 Depth=3
	s_or_b32 exec_lo, exec_lo, s42
.LBB2_6482:                             ;   in Loop: Header=BB2_6264 Depth=3
	s_delay_alu instid0(SALU_CYCLE_1)
	s_or_b32 exec_lo, exec_lo, s14
	v_mov_b32_e32 v17, 0
	s_mov_b32 s14, exec_lo
	v_cmpx_lt_u64_e64 s[22:23], v[8:9]
	s_cbranch_execz .LBB2_6492
; %bb.6483:                             ;   in Loop: Header=BB2_6264 Depth=3
	v_lshrrev_b32_e32 v2, 24, v9
	v_bfrev_b32_e32 v17, 1
	s_mov_b32 s42, exec_lo
	s_delay_alu instid0(VALU_DEP_2)
	v_cmpx_ne_u32_e32 0x80, v2
	s_cbranch_execz .LBB2_6491
; %bb.6484:                             ;   in Loop: Header=BB2_6264 Depth=3
	v_and_b32_e32 v17, 0x7c000000, v9
	v_bfe_u32 v56, v9, 24, 2
	s_delay_alu instid0(VALU_DEP_2) | instskip(SKIP_1) | instid1(SALU_CYCLE_1)
	v_cmp_ne_u32_e32 vcc_lo, 0x7c000000, v17
                                        ; implicit-def: $vgpr17
	s_and_saveexec_b32 s43, vcc_lo
	s_xor_b32 s43, exec_lo, s43
	s_cbranch_execz .LBB2_6488
; %bb.6485:                             ;   in Loop: Header=BB2_6264 Depth=3
	v_bfe_u32 v17, v9, 26, 5
	s_mov_b32 s78, exec_lo
	s_delay_alu instid0(VALU_DEP_1)
	v_cmpx_eq_u32_e32 0, v17
; %bb.6486:                             ;   in Loop: Header=BB2_6264 Depth=3
	v_clz_i32_u32_e32 v17, v56
	s_delay_alu instid0(VALU_DEP_1) | instskip(NEXT) | instid1(VALU_DEP_1)
	v_min_u32_e32 v17, 32, v17
	v_subrev_nc_u32_e32 v18, 29, v17
	s_delay_alu instid0(VALU_DEP_1) | instskip(NEXT) | instid1(VALU_DEP_1)
	v_lshlrev_b64_e32 v[18:19], v18, v[2:3]
	v_dual_sub_nc_u32 v17, 30, v17 :: v_dual_bitop2_b32 v56, 3, v18 bitop3:0x40
; %bb.6487:                             ;   in Loop: Header=BB2_6264 Depth=3
	s_or_b32 exec_lo, exec_lo, s78
	v_and_b32_e32 v2, 0x80000000, v9
	s_delay_alu instid0(VALU_DEP_1) | instskip(NEXT) | instid1(VALU_DEP_1)
	v_lshl_add_u32 v2, v17, 23, v2
	v_lshl_or_b32 v2, v56, 21, v2
                                        ; implicit-def: $vgpr56
	s_delay_alu instid0(VALU_DEP_1)
	v_add_nc_u32_e32 v17, 0x38000000, v2
.LBB2_6488:                             ;   in Loop: Header=BB2_6264 Depth=3
	s_and_not1_saveexec_b32 s43, s43
; %bb.6489:                             ;   in Loop: Header=BB2_6264 Depth=3
	v_cmp_lt_i64_e32 vcc_lo, -1, v[8:9]
	v_cndmask_b32_e32 v2, 0xff800000, v111, vcc_lo
	v_cmp_eq_u32_e32 vcc_lo, 0, v56
	s_delay_alu instid0(VALU_DEP_2)
	v_cndmask_b32_e32 v17, 0x7f800001, v2, vcc_lo
; %bb.6490:                             ;   in Loop: Header=BB2_6264 Depth=3
	s_or_b32 exec_lo, exec_lo, s43
.LBB2_6491:                             ;   in Loop: Header=BB2_6264 Depth=3
	s_delay_alu instid0(SALU_CYCLE_1)
	s_or_b32 exec_lo, exec_lo, s42
.LBB2_6492:                             ;   in Loop: Header=BB2_6264 Depth=3
	s_delay_alu instid0(SALU_CYCLE_1) | instskip(NEXT) | instid1(VALU_DEP_1)
	s_or_b32 exec_lo, exec_lo, s14
	v_dual_mul_f32 v8, s15, v17 :: v_dual_mov_b32 v19, v3
                                        ; implicit-def: $vgpr95
	s_mov_b32 s14, exec_lo
	s_delay_alu instid0(VALU_DEP_1) | instskip(SKIP_2) | instid1(VALU_DEP_3)
	v_and_b32_e32 v18, 0x7f800000, v8
	v_and_b32_e32 v2, 0x7fffff, v8
	v_lshrrev_b32_e32 v9, 24, v8
	v_cmpx_ne_u64_e32 0x7f800000, v[18:19]
	s_xor_b32 s42, exec_lo, s14
	s_cbranch_execz .LBB2_6506
; %bb.6493:                             ;   in Loop: Header=BB2_6264 Depth=3
	v_and_b32_e32 v18, 0x7fffffff, v8
	v_mov_b32_e32 v19, v3
	v_and_b32_e32 v17, 0x80, v9
                                        ; implicit-def: $vgpr95
	s_mov_b32 s14, exec_lo
	s_delay_alu instid0(VALU_DEP_2)
	v_cmpx_gt_u64_e32 0x47600001, v[18:19]
	s_xor_b32 s43, exec_lo, s14
	s_cbranch_execz .LBB2_6503
; %bb.6494:                             ;   in Loop: Header=BB2_6264 Depth=3
	v_mov_b32_e32 v95, 0
	s_mov_b32 s78, exec_lo
	v_cmpx_ne_u32_e32 0, v8
	s_cbranch_execz .LBB2_6502
; %bb.6495:                             ;   in Loop: Header=BB2_6264 Depth=3
	v_bfe_u32 v58, v8, 23, 8
	v_or_b32_e32 v18, 0x800000, v2
	s_delay_alu instid0(VALU_DEP_2) | instskip(SKIP_1) | instid1(VALU_DEP_2)
	v_dual_mov_b32 v19, v3 :: v_dual_sub_nc_u32 v8, 0x71, v58
	v_cmp_gt_u32_e32 vcc_lo, 0x72, v58
	v_cndmask_b32_e32 v8, 0, v8, vcc_lo
	v_cmp_eq_u32_e32 vcc_lo, 0, v58
	s_delay_alu instid0(VALU_DEP_2) | instskip(NEXT) | instid1(VALU_DEP_1)
	v_cndmask_b32_e64 v59, v8, 0x70, vcc_lo
	v_dual_cndmask_b32 v18, v18, v2, vcc_lo :: v_dual_add_nc_u32 v8, 21, v59
	v_add_nc_u32_e32 v56, 20, v59
	s_delay_alu instid0(VALU_DEP_2) | instskip(NEXT) | instid1(VALU_DEP_2)
	v_lshlrev_b64_e64 v[8:9], v8, -1
	v_lshlrev_b64_e64 v[56:57], v56, 1
	s_delay_alu instid0(VALU_DEP_2) | instskip(NEXT) | instid1(VALU_DEP_3)
	v_bfi_b32 v89, v9, 0, 0
	v_bfi_b32 v88, v8, 0, v18
	v_lshrrev_b64 v[8:9], v59, v[18:19]
	s_delay_alu instid0(VALU_DEP_2) | instskip(NEXT) | instid1(VALU_DEP_2)
	v_cmp_eq_u64_e64 s14, v[88:89], v[56:57]
	v_mov_b64_e32 v[56:57], v[8:9]
	s_and_saveexec_b32 s79, s14
; %bb.6496:                             ;   in Loop: Header=BB2_6264 Depth=3
	v_bfe_u32 v18, v8, 21, 1
	v_mov_b32_e32 v19, v3
	s_delay_alu instid0(VALU_DEP_1) | instskip(NEXT) | instid1(VALU_DEP_1)
	v_add_nc_u64_e32 v[18:19], v[8:9], v[18:19]
	v_add_nc_u64_e32 v[56:57], -1, v[18:19]
; %bb.6497:                             ;   in Loop: Header=BB2_6264 Depth=3
	s_or_b32 exec_lo, exec_lo, s79
	v_add_nc_u32_e32 v2, 0xffffff81, v58
	s_delay_alu instid0(VALU_DEP_2) | instskip(SKIP_2) | instid1(VALU_DEP_3)
	v_and_b32_e32 v18, 0x1fffff, v56
	v_lshrrev_b32_e32 v9, 23, v8
	s_mov_b32 s14, exec_lo
                                        ; implicit-def: $vgpr56
	v_cndmask_b32_e64 v2, v2, 0xffffff82, vcc_lo
	s_delay_alu instid0(VALU_DEP_1) | instskip(SKIP_1) | instid1(VALU_DEP_2)
	v_add3_u32 v57, v59, v2, v9
	v_add_nc_u32_e32 v2, v18, v8
                                        ; implicit-def: $vgpr8_vgpr9
	v_add_nc_u32_e32 v58, 14, v57
	s_delay_alu instid0(VALU_DEP_1)
	v_cmpx_ne_u32_e32 0, v58
	s_xor_b32 s14, exec_lo, s14
; %bb.6498:                             ;   in Loop: Header=BB2_6264 Depth=3
	s_delay_alu instid0(VALU_DEP_3) | instskip(SKIP_1) | instid1(VALU_DEP_1)
	v_cmp_lt_u64_e32 vcc_lo, 0xffffff, v[2:3]
	v_add_nc_u32_e32 v8, 15, v57
	v_cndmask_b32_e32 v56, v58, v8, vcc_lo
	v_cndmask_b32_e64 v8, 0, 1, vcc_lo
	s_delay_alu instid0(VALU_DEP_1)
	v_lshrrev_b64 v[8:9], v8, v[2:3]
; %bb.6499:                             ;   in Loop: Header=BB2_6264 Depth=3
	s_and_not1_saveexec_b32 s14, s14
; %bb.6500:                             ;   in Loop: Header=BB2_6264 Depth=3
	v_mov_b64_e32 v[8:9], v[2:3]
	v_bfe_u32 v56, v2, 23, 1
; %bb.6501:                             ;   in Loop: Header=BB2_6264 Depth=3
	s_or_b32 exec_lo, exec_lo, s14
	s_delay_alu instid0(VALU_DEP_2) | instskip(NEXT) | instid1(VALU_DEP_2)
	v_lshrrev_b64 v[8:9], 21, v[8:9]
	v_cmp_gt_i32_e32 vcc_lo, 32, v56
	v_min_i32_e32 v2, 31, v56
	v_cmp_eq_u32_e64 s14, 0, v56
	s_delay_alu instid0(VALU_DEP_2) | instskip(SKIP_1) | instid1(VALU_DEP_2)
	v_dual_cndmask_b32 v9, 0, v9 :: v_dual_lshlrev_b32 v2, 2, v2
	v_cndmask_b32_e32 v8, 3, v8, vcc_lo
	v_and_b32_e32 v2, 0xfc, v2
	s_delay_alu instid0(VALU_DEP_2) | instskip(NEXT) | instid1(VALU_DEP_2)
	v_cmp_eq_u64_e32 vcc_lo, 0, v[8:9]
	v_and_or_b32 v2, v8, 3, v2
	s_and_b32 s14, s14, vcc_lo
	s_delay_alu instid0(VALU_DEP_1) | instid1(SALU_CYCLE_1)
	v_cndmask_b32_e64 v2, v2, 0, s14
	s_delay_alu instid0(VALU_DEP_1)
	v_or_b32_e32 v95, v2, v17
.LBB2_6502:                             ;   in Loop: Header=BB2_6264 Depth=3
	s_or_b32 exec_lo, exec_lo, s78
                                        ; implicit-def: $vgpr17
.LBB2_6503:                             ;   in Loop: Header=BB2_6264 Depth=3
	s_and_not1_saveexec_b32 s14, s43
; %bb.6504:                             ;   in Loop: Header=BB2_6264 Depth=3
	v_or_b32_e32 v95, 0x7b, v17
; %bb.6505:                             ;   in Loop: Header=BB2_6264 Depth=3
	s_or_b32 exec_lo, exec_lo, s14
                                        ; implicit-def: $vgpr8
                                        ; implicit-def: $vgpr9
.LBB2_6506:                             ;   in Loop: Header=BB2_6264 Depth=3
	s_and_not1_saveexec_b32 s14, s42
	s_cbranch_execz .LBB2_6512
; %bb.6507:                             ;   in Loop: Header=BB2_6264 Depth=3
	s_mov_b32 s42, exec_lo
                                        ; implicit-def: $vgpr95
	v_cmpx_ne_u64_e32 0, v[2:3]
	s_xor_b32 s42, exec_lo, s42
; %bb.6508:                             ;   in Loop: Header=BB2_6264 Depth=3
	v_or_b32_e32 v95, 0x7f, v9
                                        ; implicit-def: $vgpr8
; %bb.6509:                             ;   in Loop: Header=BB2_6264 Depth=3
	s_and_not1_saveexec_b32 s42, s42
; %bb.6510:                             ;   in Loop: Header=BB2_6264 Depth=3
	v_cmp_lt_i32_e32 vcc_lo, -1, v8
	v_cndmask_b32_e32 v95, 0xfc, v120, vcc_lo
; %bb.6511:                             ;   in Loop: Header=BB2_6264 Depth=3
	s_or_b32 exec_lo, exec_lo, s42
.LBB2_6512:                             ;   in Loop: Header=BB2_6264 Depth=3
	s_delay_alu instid0(SALU_CYCLE_1) | instskip(SKIP_1) | instid1(VALU_DEP_1)
	s_or_b32 exec_lo, exec_lo, s14
	v_and_b32_e32 v2, 0xff, v10
	v_cmp_ne_u16_e32 vcc_lo, 0, v2
	v_mov_b32_e32 v2, 0
	s_and_saveexec_b32 s14, vcc_lo
	s_cbranch_execz .LBB2_6522
; %bb.6513:                             ;   in Loop: Header=BB2_6264 Depth=3
	v_bfe_i32 v9, v10, 0, 8
	v_bfrev_b32_e32 v2, 1
	s_mov_b32 s42, exec_lo
	s_delay_alu instid0(VALU_DEP_2)
	v_cmpx_ne_u16_e32 0xff80, v9
	s_cbranch_execz .LBB2_6521
; %bb.6514:                             ;   in Loop: Header=BB2_6264 Depth=3
	v_and_b32_e32 v2, 0x7c, v10
	v_and_b32_e32 v8, 3, v10
	s_delay_alu instid0(VALU_DEP_2) | instskip(SKIP_1) | instid1(SALU_CYCLE_1)
	v_cmp_ne_u32_e32 vcc_lo, 0x7c, v2
                                        ; implicit-def: $vgpr2
	s_and_saveexec_b32 s43, vcc_lo
	s_xor_b32 s43, exec_lo, s43
	s_cbranch_execz .LBB2_6518
; %bb.6515:                             ;   in Loop: Header=BB2_6264 Depth=3
	v_bfe_u32 v2, v10, 2, 5
	s_mov_b32 s78, exec_lo
	s_delay_alu instid0(VALU_DEP_1)
	v_cmpx_eq_u32_e32 0, v2
; %bb.6516:                             ;   in Loop: Header=BB2_6264 Depth=3
	v_clz_i32_u32_e32 v2, v8
	s_delay_alu instid0(VALU_DEP_1) | instskip(NEXT) | instid1(VALU_DEP_1)
	v_min_u32_e32 v2, 32, v2
	v_subrev_nc_u32_e32 v8, 29, v2
	s_delay_alu instid0(VALU_DEP_1) | instskip(NEXT) | instid1(VALU_DEP_1)
	v_lshlrev_b64_e32 v[8:9], v8, v[10:11]
	v_dual_sub_nc_u32 v2, 30, v2 :: v_dual_bitop2_b32 v8, 3, v8 bitop3:0x40
; %bb.6517:                             ;   in Loop: Header=BB2_6264 Depth=3
	s_or_b32 exec_lo, exec_lo, s78
	v_lshlrev_b32_e32 v9, 24, v10
	s_delay_alu instid0(VALU_DEP_1) | instskip(NEXT) | instid1(VALU_DEP_1)
	v_and_b32_e32 v9, 0x80000000, v9
	v_lshl_add_u32 v2, v2, 23, v9
                                        ; implicit-def: $vgpr9
	s_delay_alu instid0(VALU_DEP_1) | instskip(NEXT) | instid1(VALU_DEP_1)
	v_lshl_or_b32 v2, v8, 21, v2
                                        ; implicit-def: $vgpr8
	v_add_nc_u32_e32 v2, 0x38000000, v2
.LBB2_6518:                             ;   in Loop: Header=BB2_6264 Depth=3
	s_and_not1_saveexec_b32 s43, s43
; %bb.6519:                             ;   in Loop: Header=BB2_6264 Depth=3
	v_cmp_lt_i16_e32 vcc_lo, -1, v9
	v_cndmask_b32_e32 v2, 0xff800000, v111, vcc_lo
	v_cmp_eq_u32_e32 vcc_lo, 0, v8
	s_delay_alu instid0(VALU_DEP_2)
	v_cndmask_b32_e32 v2, 0x7f800001, v2, vcc_lo
; %bb.6520:                             ;   in Loop: Header=BB2_6264 Depth=3
	s_or_b32 exec_lo, exec_lo, s43
.LBB2_6521:                             ;   in Loop: Header=BB2_6264 Depth=3
	s_delay_alu instid0(SALU_CYCLE_1)
	s_or_b32 exec_lo, exec_lo, s42
.LBB2_6522:                             ;   in Loop: Header=BB2_6264 Depth=3
	s_delay_alu instid0(SALU_CYCLE_1) | instskip(NEXT) | instid1(VALU_DEP_1)
	s_or_b32 exec_lo, exec_lo, s14
	v_dual_mul_f32 v8, s15, v2 :: v_dual_mov_b32 v19, v3
                                        ; implicit-def: $vgpr77
	s_mov_b32 s14, exec_lo
	s_delay_alu instid0(VALU_DEP_1) | instskip(SKIP_2) | instid1(VALU_DEP_3)
	v_and_b32_e32 v18, 0x7f800000, v8
	v_and_b32_e32 v2, 0x7fffff, v8
	v_lshrrev_b32_e32 v9, 24, v8
	v_cmpx_ne_u64_e32 0x7f800000, v[18:19]
	s_xor_b32 s42, exec_lo, s14
	s_cbranch_execz .LBB2_6536
; %bb.6523:                             ;   in Loop: Header=BB2_6264 Depth=3
	v_and_b32_e32 v18, 0x7fffffff, v8
	v_mov_b32_e32 v19, v3
	v_and_b32_e32 v17, 0x80, v9
                                        ; implicit-def: $vgpr77
	s_mov_b32 s14, exec_lo
	s_delay_alu instid0(VALU_DEP_2)
	v_cmpx_gt_u64_e32 0x47600001, v[18:19]
	s_xor_b32 s43, exec_lo, s14
	s_cbranch_execz .LBB2_6533
; %bb.6524:                             ;   in Loop: Header=BB2_6264 Depth=3
	v_mov_b32_e32 v77, 0
	s_mov_b32 s78, exec_lo
	v_cmpx_ne_u32_e32 0, v8
	s_cbranch_execz .LBB2_6532
; %bb.6525:                             ;   in Loop: Header=BB2_6264 Depth=3
	v_bfe_u32 v58, v8, 23, 8
	v_or_b32_e32 v18, 0x800000, v2
	s_delay_alu instid0(VALU_DEP_2) | instskip(SKIP_1) | instid1(VALU_DEP_2)
	v_dual_mov_b32 v19, v3 :: v_dual_sub_nc_u32 v8, 0x71, v58
	v_cmp_gt_u32_e32 vcc_lo, 0x72, v58
	v_cndmask_b32_e32 v8, 0, v8, vcc_lo
	v_cmp_eq_u32_e32 vcc_lo, 0, v58
	s_delay_alu instid0(VALU_DEP_2) | instskip(NEXT) | instid1(VALU_DEP_1)
	v_cndmask_b32_e64 v59, v8, 0x70, vcc_lo
	v_dual_cndmask_b32 v18, v18, v2, vcc_lo :: v_dual_add_nc_u32 v8, 21, v59
	v_add_nc_u32_e32 v56, 20, v59
	s_delay_alu instid0(VALU_DEP_2) | instskip(NEXT) | instid1(VALU_DEP_2)
	v_lshlrev_b64_e64 v[8:9], v8, -1
	v_lshlrev_b64_e64 v[56:57], v56, 1
	s_delay_alu instid0(VALU_DEP_2) | instskip(NEXT) | instid1(VALU_DEP_3)
	v_bfi_b32 v89, v9, 0, 0
	v_bfi_b32 v88, v8, 0, v18
	v_lshrrev_b64 v[8:9], v59, v[18:19]
	s_delay_alu instid0(VALU_DEP_2) | instskip(NEXT) | instid1(VALU_DEP_2)
	v_cmp_eq_u64_e64 s14, v[88:89], v[56:57]
	v_mov_b64_e32 v[56:57], v[8:9]
	s_and_saveexec_b32 s79, s14
; %bb.6526:                             ;   in Loop: Header=BB2_6264 Depth=3
	v_bfe_u32 v18, v8, 21, 1
	v_mov_b32_e32 v19, v3
	s_delay_alu instid0(VALU_DEP_1) | instskip(NEXT) | instid1(VALU_DEP_1)
	v_add_nc_u64_e32 v[18:19], v[8:9], v[18:19]
	v_add_nc_u64_e32 v[56:57], -1, v[18:19]
; %bb.6527:                             ;   in Loop: Header=BB2_6264 Depth=3
	s_or_b32 exec_lo, exec_lo, s79
	v_add_nc_u32_e32 v2, 0xffffff81, v58
	s_delay_alu instid0(VALU_DEP_2) | instskip(SKIP_2) | instid1(VALU_DEP_3)
	v_and_b32_e32 v18, 0x1fffff, v56
	v_lshrrev_b32_e32 v9, 23, v8
	s_mov_b32 s14, exec_lo
                                        ; implicit-def: $vgpr56
	v_cndmask_b32_e64 v2, v2, 0xffffff82, vcc_lo
	s_delay_alu instid0(VALU_DEP_1) | instskip(SKIP_1) | instid1(VALU_DEP_2)
	v_add3_u32 v57, v59, v2, v9
	v_add_nc_u32_e32 v2, v18, v8
                                        ; implicit-def: $vgpr8_vgpr9
	v_add_nc_u32_e32 v58, 14, v57
	s_delay_alu instid0(VALU_DEP_1)
	v_cmpx_ne_u32_e32 0, v58
	s_xor_b32 s14, exec_lo, s14
; %bb.6528:                             ;   in Loop: Header=BB2_6264 Depth=3
	s_delay_alu instid0(VALU_DEP_3) | instskip(SKIP_1) | instid1(VALU_DEP_1)
	v_cmp_lt_u64_e32 vcc_lo, 0xffffff, v[2:3]
	v_add_nc_u32_e32 v8, 15, v57
	v_cndmask_b32_e32 v56, v58, v8, vcc_lo
	v_cndmask_b32_e64 v8, 0, 1, vcc_lo
	s_delay_alu instid0(VALU_DEP_1)
	v_lshrrev_b64 v[8:9], v8, v[2:3]
; %bb.6529:                             ;   in Loop: Header=BB2_6264 Depth=3
	s_and_not1_saveexec_b32 s14, s14
; %bb.6530:                             ;   in Loop: Header=BB2_6264 Depth=3
	v_mov_b64_e32 v[8:9], v[2:3]
	v_bfe_u32 v56, v2, 23, 1
; %bb.6531:                             ;   in Loop: Header=BB2_6264 Depth=3
	s_or_b32 exec_lo, exec_lo, s14
	s_delay_alu instid0(VALU_DEP_2) | instskip(NEXT) | instid1(VALU_DEP_2)
	v_lshrrev_b64 v[8:9], 21, v[8:9]
	v_cmp_gt_i32_e32 vcc_lo, 32, v56
	v_min_i32_e32 v2, 31, v56
	v_cmp_eq_u32_e64 s14, 0, v56
	s_delay_alu instid0(VALU_DEP_2) | instskip(SKIP_1) | instid1(VALU_DEP_2)
	v_dual_cndmask_b32 v9, 0, v9 :: v_dual_lshlrev_b32 v2, 2, v2
	v_cndmask_b32_e32 v8, 3, v8, vcc_lo
	v_and_b32_e32 v2, 0xfc, v2
	s_delay_alu instid0(VALU_DEP_2) | instskip(NEXT) | instid1(VALU_DEP_2)
	v_cmp_eq_u64_e32 vcc_lo, 0, v[8:9]
	v_and_or_b32 v2, v8, 3, v2
	s_and_b32 s14, s14, vcc_lo
	s_delay_alu instid0(VALU_DEP_1) | instid1(SALU_CYCLE_1)
	v_cndmask_b32_e64 v2, v2, 0, s14
	s_delay_alu instid0(VALU_DEP_1)
	v_or_b32_e32 v77, v2, v17
.LBB2_6532:                             ;   in Loop: Header=BB2_6264 Depth=3
	s_or_b32 exec_lo, exec_lo, s78
                                        ; implicit-def: $vgpr17
.LBB2_6533:                             ;   in Loop: Header=BB2_6264 Depth=3
	s_and_not1_saveexec_b32 s14, s43
; %bb.6534:                             ;   in Loop: Header=BB2_6264 Depth=3
	v_or_b32_e32 v77, 0x7b, v17
; %bb.6535:                             ;   in Loop: Header=BB2_6264 Depth=3
	s_or_b32 exec_lo, exec_lo, s14
                                        ; implicit-def: $vgpr8
                                        ; implicit-def: $vgpr9
.LBB2_6536:                             ;   in Loop: Header=BB2_6264 Depth=3
	s_and_not1_saveexec_b32 s14, s42
	s_cbranch_execz .LBB2_6542
; %bb.6537:                             ;   in Loop: Header=BB2_6264 Depth=3
	s_mov_b32 s42, exec_lo
                                        ; implicit-def: $vgpr77
	v_cmpx_ne_u64_e32 0, v[2:3]
	s_xor_b32 s42, exec_lo, s42
; %bb.6538:                             ;   in Loop: Header=BB2_6264 Depth=3
	v_or_b32_e32 v77, 0x7f, v9
                                        ; implicit-def: $vgpr8
; %bb.6539:                             ;   in Loop: Header=BB2_6264 Depth=3
	s_and_not1_saveexec_b32 s42, s42
; %bb.6540:                             ;   in Loop: Header=BB2_6264 Depth=3
	v_cmp_lt_i32_e32 vcc_lo, -1, v8
	v_cndmask_b32_e32 v77, 0xfc, v120, vcc_lo
; %bb.6541:                             ;   in Loop: Header=BB2_6264 Depth=3
	s_or_b32 exec_lo, exec_lo, s42
.LBB2_6542:                             ;   in Loop: Header=BB2_6264 Depth=3
	s_delay_alu instid0(SALU_CYCLE_1) | instskip(SKIP_3) | instid1(VALU_DEP_2)
	s_or_b32 exec_lo, exec_lo, s14
	v_lshrrev_b16 v8, 8, v10
	v_mov_b32_e32 v9, 0
	s_mov_b32 s14, exec_lo
	v_cmpx_ne_u16_e32 0, v8
	s_cbranch_execz .LBB2_6552
; %bb.6543:                             ;   in Loop: Header=BB2_6264 Depth=3
	v_bfrev_b32_e32 v9, 1
	s_mov_b32 s42, exec_lo
	v_cmpx_ne_u16_e32 0x80, v8
	s_cbranch_execz .LBB2_6551
; %bb.6544:                             ;   in Loop: Header=BB2_6264 Depth=3
	v_and_b32_e32 v17, 0xffff, v8
	s_delay_alu instid0(VALU_DEP_1) | instskip(SKIP_1) | instid1(VALU_DEP_2)
	v_and_b32_e32 v9, 0x7c, v17
	v_and_b32_e32 v2, 3, v17
	v_cmp_ne_u32_e32 vcc_lo, 0x7c, v9
                                        ; implicit-def: $vgpr9
	s_and_saveexec_b32 s43, vcc_lo
	s_delay_alu instid0(SALU_CYCLE_1)
	s_xor_b32 s43, exec_lo, s43
	s_cbranch_execz .LBB2_6548
; %bb.6545:                             ;   in Loop: Header=BB2_6264 Depth=3
	v_bfe_u32 v9, v17, 2, 5
	s_mov_b32 s78, exec_lo
	s_delay_alu instid0(VALU_DEP_1)
	v_cmpx_eq_u32_e32 0, v9
; %bb.6546:                             ;   in Loop: Header=BB2_6264 Depth=3
	v_clz_i32_u32_e32 v2, v2
	v_mov_b32_e32 v9, v3
	s_delay_alu instid0(VALU_DEP_2) | instskip(NEXT) | instid1(VALU_DEP_1)
	v_min_u32_e32 v2, 32, v2
	v_subrev_nc_u32_e32 v17, 29, v2
	s_delay_alu instid0(VALU_DEP_1) | instskip(NEXT) | instid1(VALU_DEP_1)
	v_lshlrev_b64_e32 v[8:9], v17, v[8:9]
	v_dual_sub_nc_u32 v9, 30, v2 :: v_dual_bitop2_b32 v2, 3, v8 bitop3:0x40
; %bb.6547:                             ;   in Loop: Header=BB2_6264 Depth=3
	s_or_b32 exec_lo, exec_lo, s78
	v_lshlrev_b32_e32 v8, 16, v10
	s_delay_alu instid0(VALU_DEP_1) | instskip(NEXT) | instid1(VALU_DEP_1)
	v_and_b32_e32 v8, 0x80000000, v8
	v_lshl_add_u32 v8, v9, 23, v8
	s_delay_alu instid0(VALU_DEP_1) | instskip(NEXT) | instid1(VALU_DEP_1)
	v_lshl_or_b32 v2, v2, 21, v8
	v_add_nc_u32_e32 v9, 0x38000000, v2
                                        ; implicit-def: $vgpr2
.LBB2_6548:                             ;   in Loop: Header=BB2_6264 Depth=3
	s_and_not1_saveexec_b32 s43, s43
; %bb.6549:                             ;   in Loop: Header=BB2_6264 Depth=3
	v_cmp_lt_i16_e32 vcc_lo, -1, v10
	v_cndmask_b32_e32 v8, 0xff800000, v111, vcc_lo
	v_cmp_eq_u32_e32 vcc_lo, 0, v2
	s_delay_alu instid0(VALU_DEP_2)
	v_cndmask_b32_e32 v9, 0x7f800001, v8, vcc_lo
; %bb.6550:                             ;   in Loop: Header=BB2_6264 Depth=3
	s_or_b32 exec_lo, exec_lo, s43
.LBB2_6551:                             ;   in Loop: Header=BB2_6264 Depth=3
	s_delay_alu instid0(SALU_CYCLE_1)
	s_or_b32 exec_lo, exec_lo, s42
.LBB2_6552:                             ;   in Loop: Header=BB2_6264 Depth=3
	s_delay_alu instid0(SALU_CYCLE_1) | instskip(NEXT) | instid1(VALU_DEP_1)
	s_or_b32 exec_lo, exec_lo, s14
	v_dual_mul_f32 v8, s15, v9 :: v_dual_mov_b32 v19, v3
                                        ; implicit-def: $vgpr89
	s_mov_b32 s14, exec_lo
	s_delay_alu instid0(VALU_DEP_1) | instskip(SKIP_2) | instid1(VALU_DEP_3)
	v_and_b32_e32 v18, 0x7f800000, v8
	v_and_b32_e32 v2, 0x7fffff, v8
	v_lshrrev_b32_e32 v9, 24, v8
	v_cmpx_ne_u64_e32 0x7f800000, v[18:19]
	s_xor_b32 s42, exec_lo, s14
	s_cbranch_execz .LBB2_6566
; %bb.6553:                             ;   in Loop: Header=BB2_6264 Depth=3
	v_and_b32_e32 v18, 0x7fffffff, v8
	v_mov_b32_e32 v19, v3
	v_and_b32_e32 v17, 0x80, v9
                                        ; implicit-def: $vgpr89
	s_mov_b32 s14, exec_lo
	s_delay_alu instid0(VALU_DEP_2)
	v_cmpx_gt_u64_e32 0x47600001, v[18:19]
	s_xor_b32 s43, exec_lo, s14
	s_cbranch_execz .LBB2_6563
; %bb.6554:                             ;   in Loop: Header=BB2_6264 Depth=3
	v_mov_b32_e32 v89, 0
	s_mov_b32 s78, exec_lo
	v_cmpx_ne_u32_e32 0, v8
	s_cbranch_execz .LBB2_6562
; %bb.6555:                             ;   in Loop: Header=BB2_6264 Depth=3
	v_bfe_u32 v58, v8, 23, 8
	v_or_b32_e32 v18, 0x800000, v2
	s_delay_alu instid0(VALU_DEP_2) | instskip(SKIP_1) | instid1(VALU_DEP_2)
	v_dual_mov_b32 v19, v3 :: v_dual_sub_nc_u32 v8, 0x71, v58
	v_cmp_gt_u32_e32 vcc_lo, 0x72, v58
	v_cndmask_b32_e32 v8, 0, v8, vcc_lo
	v_cmp_eq_u32_e32 vcc_lo, 0, v58
	s_delay_alu instid0(VALU_DEP_2) | instskip(NEXT) | instid1(VALU_DEP_1)
	v_cndmask_b32_e64 v59, v8, 0x70, vcc_lo
	v_dual_cndmask_b32 v18, v18, v2, vcc_lo :: v_dual_add_nc_u32 v8, 21, v59
	v_add_nc_u32_e32 v56, 20, v59
	s_delay_alu instid0(VALU_DEP_2) | instskip(NEXT) | instid1(VALU_DEP_2)
	v_lshlrev_b64_e64 v[8:9], v8, -1
	v_lshlrev_b64_e64 v[56:57], v56, 1
	s_delay_alu instid0(VALU_DEP_2) | instskip(NEXT) | instid1(VALU_DEP_3)
	v_bfi_b32 v89, v9, 0, 0
	v_bfi_b32 v88, v8, 0, v18
	v_lshrrev_b64 v[8:9], v59, v[18:19]
	s_delay_alu instid0(VALU_DEP_2) | instskip(NEXT) | instid1(VALU_DEP_2)
	v_cmp_eq_u64_e64 s14, v[88:89], v[56:57]
	v_mov_b64_e32 v[56:57], v[8:9]
	s_and_saveexec_b32 s79, s14
; %bb.6556:                             ;   in Loop: Header=BB2_6264 Depth=3
	v_bfe_u32 v18, v8, 21, 1
	v_mov_b32_e32 v19, v3
	s_delay_alu instid0(VALU_DEP_1) | instskip(NEXT) | instid1(VALU_DEP_1)
	v_add_nc_u64_e32 v[18:19], v[8:9], v[18:19]
	v_add_nc_u64_e32 v[56:57], -1, v[18:19]
; %bb.6557:                             ;   in Loop: Header=BB2_6264 Depth=3
	s_or_b32 exec_lo, exec_lo, s79
	v_add_nc_u32_e32 v2, 0xffffff81, v58
	s_delay_alu instid0(VALU_DEP_2) | instskip(SKIP_2) | instid1(VALU_DEP_3)
	v_and_b32_e32 v18, 0x1fffff, v56
	v_lshrrev_b32_e32 v9, 23, v8
	s_mov_b32 s14, exec_lo
                                        ; implicit-def: $vgpr56
	v_cndmask_b32_e64 v2, v2, 0xffffff82, vcc_lo
	s_delay_alu instid0(VALU_DEP_1) | instskip(SKIP_1) | instid1(VALU_DEP_2)
	v_add3_u32 v57, v59, v2, v9
	v_add_nc_u32_e32 v2, v18, v8
                                        ; implicit-def: $vgpr8_vgpr9
	v_add_nc_u32_e32 v58, 14, v57
	s_delay_alu instid0(VALU_DEP_1)
	v_cmpx_ne_u32_e32 0, v58
	s_xor_b32 s14, exec_lo, s14
; %bb.6558:                             ;   in Loop: Header=BB2_6264 Depth=3
	s_delay_alu instid0(VALU_DEP_3) | instskip(SKIP_1) | instid1(VALU_DEP_1)
	v_cmp_lt_u64_e32 vcc_lo, 0xffffff, v[2:3]
	v_add_nc_u32_e32 v8, 15, v57
	v_cndmask_b32_e32 v56, v58, v8, vcc_lo
	v_cndmask_b32_e64 v8, 0, 1, vcc_lo
	s_delay_alu instid0(VALU_DEP_1)
	v_lshrrev_b64 v[8:9], v8, v[2:3]
; %bb.6559:                             ;   in Loop: Header=BB2_6264 Depth=3
	s_and_not1_saveexec_b32 s14, s14
; %bb.6560:                             ;   in Loop: Header=BB2_6264 Depth=3
	v_mov_b64_e32 v[8:9], v[2:3]
	v_bfe_u32 v56, v2, 23, 1
; %bb.6561:                             ;   in Loop: Header=BB2_6264 Depth=3
	s_or_b32 exec_lo, exec_lo, s14
	s_delay_alu instid0(VALU_DEP_2) | instskip(NEXT) | instid1(VALU_DEP_2)
	v_lshrrev_b64 v[8:9], 21, v[8:9]
	v_cmp_gt_i32_e32 vcc_lo, 32, v56
	v_min_i32_e32 v2, 31, v56
	v_cmp_eq_u32_e64 s14, 0, v56
	s_delay_alu instid0(VALU_DEP_2) | instskip(SKIP_1) | instid1(VALU_DEP_2)
	v_dual_cndmask_b32 v9, 0, v9 :: v_dual_lshlrev_b32 v2, 2, v2
	v_cndmask_b32_e32 v8, 3, v8, vcc_lo
	v_and_b32_e32 v2, 0xfc, v2
	s_delay_alu instid0(VALU_DEP_2) | instskip(NEXT) | instid1(VALU_DEP_2)
	v_cmp_eq_u64_e32 vcc_lo, 0, v[8:9]
	v_and_or_b32 v2, v8, 3, v2
	s_and_b32 s14, s14, vcc_lo
	s_delay_alu instid0(VALU_DEP_1) | instid1(SALU_CYCLE_1)
	v_cndmask_b32_e64 v2, v2, 0, s14
	s_delay_alu instid0(VALU_DEP_1)
	v_or_b32_e32 v89, v2, v17
.LBB2_6562:                             ;   in Loop: Header=BB2_6264 Depth=3
	s_or_b32 exec_lo, exec_lo, s78
                                        ; implicit-def: $vgpr17
.LBB2_6563:                             ;   in Loop: Header=BB2_6264 Depth=3
	s_and_not1_saveexec_b32 s14, s43
; %bb.6564:                             ;   in Loop: Header=BB2_6264 Depth=3
	v_or_b32_e32 v89, 0x7b, v17
; %bb.6565:                             ;   in Loop: Header=BB2_6264 Depth=3
	s_or_b32 exec_lo, exec_lo, s14
                                        ; implicit-def: $vgpr8
                                        ; implicit-def: $vgpr9
.LBB2_6566:                             ;   in Loop: Header=BB2_6264 Depth=3
	s_and_not1_saveexec_b32 s14, s42
	s_cbranch_execz .LBB2_6572
; %bb.6567:                             ;   in Loop: Header=BB2_6264 Depth=3
	s_mov_b32 s42, exec_lo
                                        ; implicit-def: $vgpr89
	v_cmpx_ne_u64_e32 0, v[2:3]
	s_xor_b32 s42, exec_lo, s42
; %bb.6568:                             ;   in Loop: Header=BB2_6264 Depth=3
	v_or_b32_e32 v89, 0x7f, v9
                                        ; implicit-def: $vgpr8
; %bb.6569:                             ;   in Loop: Header=BB2_6264 Depth=3
	s_and_not1_saveexec_b32 s42, s42
; %bb.6570:                             ;   in Loop: Header=BB2_6264 Depth=3
	v_cmp_lt_i32_e32 vcc_lo, -1, v8
	v_cndmask_b32_e32 v89, 0xfc, v120, vcc_lo
; %bb.6571:                             ;   in Loop: Header=BB2_6264 Depth=3
	s_or_b32 exec_lo, exec_lo, s42
.LBB2_6572:                             ;   in Loop: Header=BB2_6264 Depth=3
	s_delay_alu instid0(SALU_CYCLE_1) | instskip(SKIP_2) | instid1(VALU_DEP_1)
	s_or_b32 exec_lo, exec_lo, s14
	v_dual_lshrrev_b32 v2, 16, v10 :: v_dual_mov_b32 v8, 0
	s_mov_b32 s14, exec_lo
	v_and_b32_e32 v9, 0xff, v2
	s_delay_alu instid0(VALU_DEP_1)
	v_cmpx_ne_u16_e32 0, v9
	s_cbranch_execz .LBB2_6582
; %bb.6573:                             ;   in Loop: Header=BB2_6264 Depth=3
	v_bfrev_b32_e32 v8, 1
	s_mov_b32 s42, exec_lo
	v_cmpx_ne_u16_e32 0x80, v9
	s_cbranch_execz .LBB2_6581
; %bb.6574:                             ;   in Loop: Header=BB2_6264 Depth=3
	v_and_b32_e32 v8, 0x7c0000, v10
	v_bfe_u32 v9, v10, 16, 2
	s_delay_alu instid0(VALU_DEP_2) | instskip(SKIP_1) | instid1(SALU_CYCLE_1)
	v_cmp_ne_u32_e32 vcc_lo, 0x7c0000, v8
                                        ; implicit-def: $vgpr8
	s_and_saveexec_b32 s43, vcc_lo
	s_xor_b32 s43, exec_lo, s43
	s_cbranch_execz .LBB2_6578
; %bb.6575:                             ;   in Loop: Header=BB2_6264 Depth=3
	v_bfe_u32 v8, v10, 18, 5
	s_mov_b32 s78, exec_lo
	s_delay_alu instid0(VALU_DEP_1)
	v_cmpx_eq_u32_e32 0, v8
; %bb.6576:                             ;   in Loop: Header=BB2_6264 Depth=3
	v_clz_i32_u32_e32 v8, v9
	s_delay_alu instid0(VALU_DEP_1) | instskip(NEXT) | instid1(VALU_DEP_1)
	v_min_u32_e32 v8, 32, v8
	v_subrev_nc_u32_e32 v9, 29, v8
	s_delay_alu instid0(VALU_DEP_1) | instskip(NEXT) | instid1(VALU_DEP_1)
	v_lshlrev_b64_e32 v[18:19], v9, v[2:3]
	v_dual_sub_nc_u32 v8, 30, v8 :: v_dual_bitop2_b32 v9, 3, v18 bitop3:0x40
; %bb.6577:                             ;   in Loop: Header=BB2_6264 Depth=3
	s_or_b32 exec_lo, exec_lo, s78
	v_lshlrev_b32_e32 v2, 24, v2
	s_delay_alu instid0(VALU_DEP_1) | instskip(NEXT) | instid1(VALU_DEP_1)
	v_and_b32_e32 v2, 0x80000000, v2
	v_lshl_add_u32 v2, v8, 23, v2
	s_delay_alu instid0(VALU_DEP_1) | instskip(NEXT) | instid1(VALU_DEP_1)
	v_lshl_or_b32 v2, v9, 21, v2
                                        ; implicit-def: $vgpr9
	v_add_nc_u32_e32 v8, 0x38000000, v2
                                        ; implicit-def: $vgpr2
.LBB2_6578:                             ;   in Loop: Header=BB2_6264 Depth=3
	s_and_not1_saveexec_b32 s43, s43
; %bb.6579:                             ;   in Loop: Header=BB2_6264 Depth=3
	v_bfe_i32 v2, v2, 0, 8
	s_delay_alu instid0(VALU_DEP_1) | instskip(SKIP_2) | instid1(VALU_DEP_2)
	v_cmp_lt_i16_e32 vcc_lo, -1, v2
	v_cndmask_b32_e32 v2, 0xff800000, v111, vcc_lo
	v_cmp_eq_u32_e32 vcc_lo, 0, v9
	v_cndmask_b32_e32 v8, 0x7f800001, v2, vcc_lo
; %bb.6580:                             ;   in Loop: Header=BB2_6264 Depth=3
	s_or_b32 exec_lo, exec_lo, s43
.LBB2_6581:                             ;   in Loop: Header=BB2_6264 Depth=3
	s_delay_alu instid0(SALU_CYCLE_1)
	s_or_b32 exec_lo, exec_lo, s42
.LBB2_6582:                             ;   in Loop: Header=BB2_6264 Depth=3
	s_delay_alu instid0(SALU_CYCLE_1) | instskip(NEXT) | instid1(VALU_DEP_1)
	s_or_b32 exec_lo, exec_lo, s14
	v_dual_mul_f32 v8, s15, v8 :: v_dual_mov_b32 v19, v3
                                        ; implicit-def: $vgpr91
	s_mov_b32 s14, exec_lo
	s_delay_alu instid0(VALU_DEP_1) | instskip(SKIP_2) | instid1(VALU_DEP_3)
	v_and_b32_e32 v18, 0x7f800000, v8
	v_and_b32_e32 v2, 0x7fffff, v8
	v_lshrrev_b32_e32 v9, 24, v8
	v_cmpx_ne_u64_e32 0x7f800000, v[18:19]
	s_xor_b32 s42, exec_lo, s14
	s_cbranch_execz .LBB2_6596
; %bb.6583:                             ;   in Loop: Header=BB2_6264 Depth=3
	v_and_b32_e32 v18, 0x7fffffff, v8
	v_mov_b32_e32 v19, v3
	v_and_b32_e32 v17, 0x80, v9
                                        ; implicit-def: $vgpr91
	s_mov_b32 s14, exec_lo
	s_delay_alu instid0(VALU_DEP_2)
	v_cmpx_gt_u64_e32 0x47600001, v[18:19]
	s_xor_b32 s43, exec_lo, s14
	s_cbranch_execz .LBB2_6593
; %bb.6584:                             ;   in Loop: Header=BB2_6264 Depth=3
	v_mov_b32_e32 v91, 0
	s_mov_b32 s78, exec_lo
	v_cmpx_ne_u32_e32 0, v8
	s_cbranch_execz .LBB2_6592
; %bb.6585:                             ;   in Loop: Header=BB2_6264 Depth=3
	v_bfe_u32 v58, v8, 23, 8
	v_or_b32_e32 v18, 0x800000, v2
	s_delay_alu instid0(VALU_DEP_2) | instskip(SKIP_1) | instid1(VALU_DEP_2)
	v_dual_mov_b32 v19, v3 :: v_dual_sub_nc_u32 v8, 0x71, v58
	v_cmp_gt_u32_e32 vcc_lo, 0x72, v58
	v_cndmask_b32_e32 v8, 0, v8, vcc_lo
	v_cmp_eq_u32_e32 vcc_lo, 0, v58
	s_delay_alu instid0(VALU_DEP_2) | instskip(NEXT) | instid1(VALU_DEP_1)
	v_cndmask_b32_e64 v59, v8, 0x70, vcc_lo
	v_dual_cndmask_b32 v18, v18, v2, vcc_lo :: v_dual_add_nc_u32 v8, 21, v59
	v_add_nc_u32_e32 v56, 20, v59
	s_delay_alu instid0(VALU_DEP_2) | instskip(NEXT) | instid1(VALU_DEP_2)
	v_lshlrev_b64_e64 v[8:9], v8, -1
	v_lshlrev_b64_e64 v[56:57], v56, 1
	s_delay_alu instid0(VALU_DEP_2) | instskip(NEXT) | instid1(VALU_DEP_3)
	v_bfi_b32 v91, v9, 0, 0
	v_bfi_b32 v90, v8, 0, v18
	v_lshrrev_b64 v[8:9], v59, v[18:19]
	s_delay_alu instid0(VALU_DEP_2) | instskip(NEXT) | instid1(VALU_DEP_2)
	v_cmp_eq_u64_e64 s14, v[90:91], v[56:57]
	v_mov_b64_e32 v[56:57], v[8:9]
	s_and_saveexec_b32 s79, s14
; %bb.6586:                             ;   in Loop: Header=BB2_6264 Depth=3
	v_bfe_u32 v18, v8, 21, 1
	v_mov_b32_e32 v19, v3
	s_delay_alu instid0(VALU_DEP_1) | instskip(NEXT) | instid1(VALU_DEP_1)
	v_add_nc_u64_e32 v[18:19], v[8:9], v[18:19]
	v_add_nc_u64_e32 v[56:57], -1, v[18:19]
; %bb.6587:                             ;   in Loop: Header=BB2_6264 Depth=3
	s_or_b32 exec_lo, exec_lo, s79
	v_add_nc_u32_e32 v2, 0xffffff81, v58
	s_delay_alu instid0(VALU_DEP_2) | instskip(SKIP_2) | instid1(VALU_DEP_3)
	v_and_b32_e32 v18, 0x1fffff, v56
	v_lshrrev_b32_e32 v9, 23, v8
	s_mov_b32 s14, exec_lo
                                        ; implicit-def: $vgpr56
	v_cndmask_b32_e64 v2, v2, 0xffffff82, vcc_lo
	s_delay_alu instid0(VALU_DEP_1) | instskip(SKIP_1) | instid1(VALU_DEP_2)
	v_add3_u32 v57, v59, v2, v9
	v_add_nc_u32_e32 v2, v18, v8
                                        ; implicit-def: $vgpr8_vgpr9
	v_add_nc_u32_e32 v58, 14, v57
	s_delay_alu instid0(VALU_DEP_1)
	v_cmpx_ne_u32_e32 0, v58
	s_xor_b32 s14, exec_lo, s14
; %bb.6588:                             ;   in Loop: Header=BB2_6264 Depth=3
	s_delay_alu instid0(VALU_DEP_3) | instskip(SKIP_1) | instid1(VALU_DEP_1)
	v_cmp_lt_u64_e32 vcc_lo, 0xffffff, v[2:3]
	v_add_nc_u32_e32 v8, 15, v57
	v_cndmask_b32_e32 v56, v58, v8, vcc_lo
	v_cndmask_b32_e64 v8, 0, 1, vcc_lo
	s_delay_alu instid0(VALU_DEP_1)
	v_lshrrev_b64 v[8:9], v8, v[2:3]
; %bb.6589:                             ;   in Loop: Header=BB2_6264 Depth=3
	s_and_not1_saveexec_b32 s14, s14
; %bb.6590:                             ;   in Loop: Header=BB2_6264 Depth=3
	v_mov_b64_e32 v[8:9], v[2:3]
	v_bfe_u32 v56, v2, 23, 1
; %bb.6591:                             ;   in Loop: Header=BB2_6264 Depth=3
	s_or_b32 exec_lo, exec_lo, s14
	s_delay_alu instid0(VALU_DEP_2) | instskip(NEXT) | instid1(VALU_DEP_2)
	v_lshrrev_b64 v[8:9], 21, v[8:9]
	v_cmp_gt_i32_e32 vcc_lo, 32, v56
	v_min_i32_e32 v2, 31, v56
	v_cmp_eq_u32_e64 s14, 0, v56
	s_delay_alu instid0(VALU_DEP_2) | instskip(SKIP_1) | instid1(VALU_DEP_2)
	v_dual_cndmask_b32 v9, 0, v9 :: v_dual_lshlrev_b32 v2, 2, v2
	v_cndmask_b32_e32 v8, 3, v8, vcc_lo
	v_and_b32_e32 v2, 0xfc, v2
	s_delay_alu instid0(VALU_DEP_2) | instskip(NEXT) | instid1(VALU_DEP_2)
	v_cmp_eq_u64_e32 vcc_lo, 0, v[8:9]
	v_and_or_b32 v2, v8, 3, v2
	s_and_b32 s14, s14, vcc_lo
	s_delay_alu instid0(VALU_DEP_1) | instid1(SALU_CYCLE_1)
	v_cndmask_b32_e64 v2, v2, 0, s14
	s_delay_alu instid0(VALU_DEP_1)
	v_or_b32_e32 v91, v2, v17
.LBB2_6592:                             ;   in Loop: Header=BB2_6264 Depth=3
	s_or_b32 exec_lo, exec_lo, s78
                                        ; implicit-def: $vgpr17
.LBB2_6593:                             ;   in Loop: Header=BB2_6264 Depth=3
	s_and_not1_saveexec_b32 s14, s43
; %bb.6594:                             ;   in Loop: Header=BB2_6264 Depth=3
	v_or_b32_e32 v91, 0x7b, v17
; %bb.6595:                             ;   in Loop: Header=BB2_6264 Depth=3
	s_or_b32 exec_lo, exec_lo, s14
                                        ; implicit-def: $vgpr8
                                        ; implicit-def: $vgpr9
.LBB2_6596:                             ;   in Loop: Header=BB2_6264 Depth=3
	s_and_not1_saveexec_b32 s14, s42
	s_cbranch_execz .LBB2_6602
; %bb.6597:                             ;   in Loop: Header=BB2_6264 Depth=3
	s_mov_b32 s42, exec_lo
                                        ; implicit-def: $vgpr91
	v_cmpx_ne_u64_e32 0, v[2:3]
	s_xor_b32 s42, exec_lo, s42
; %bb.6598:                             ;   in Loop: Header=BB2_6264 Depth=3
	v_or_b32_e32 v91, 0x7f, v9
                                        ; implicit-def: $vgpr8
; %bb.6599:                             ;   in Loop: Header=BB2_6264 Depth=3
	s_and_not1_saveexec_b32 s42, s42
; %bb.6600:                             ;   in Loop: Header=BB2_6264 Depth=3
	v_cmp_lt_i32_e32 vcc_lo, -1, v8
	v_cndmask_b32_e32 v91, 0xfc, v120, vcc_lo
; %bb.6601:                             ;   in Loop: Header=BB2_6264 Depth=3
	s_or_b32 exec_lo, exec_lo, s42
.LBB2_6602:                             ;   in Loop: Header=BB2_6264 Depth=3
	s_delay_alu instid0(SALU_CYCLE_1)
	s_or_b32 exec_lo, exec_lo, s14
	v_mov_b32_e32 v8, 0
	s_mov_b32 s14, exec_lo
	v_cmpx_lt_u32_e32 0xffffff, v10
	s_cbranch_execz .LBB2_6612
; %bb.6603:                             ;   in Loop: Header=BB2_6264 Depth=3
	v_lshrrev_b32_e32 v2, 24, v10
	v_bfrev_b32_e32 v8, 1
	s_mov_b32 s42, exec_lo
	s_delay_alu instid0(VALU_DEP_2)
	v_cmpx_ne_u32_e32 0x80, v2
	s_cbranch_execz .LBB2_6611
; %bb.6604:                             ;   in Loop: Header=BB2_6264 Depth=3
	v_and_b32_e32 v8, 0x7c000000, v10
	v_bfe_u32 v9, v10, 24, 2
	s_delay_alu instid0(VALU_DEP_2) | instskip(SKIP_1) | instid1(SALU_CYCLE_1)
	v_cmp_ne_u32_e32 vcc_lo, 0x7c000000, v8
                                        ; implicit-def: $vgpr8
	s_and_saveexec_b32 s43, vcc_lo
	s_xor_b32 s43, exec_lo, s43
	s_cbranch_execz .LBB2_6608
; %bb.6605:                             ;   in Loop: Header=BB2_6264 Depth=3
	v_bfe_u32 v8, v10, 26, 5
	s_mov_b32 s78, exec_lo
	s_delay_alu instid0(VALU_DEP_1)
	v_cmpx_eq_u32_e32 0, v8
; %bb.6606:                             ;   in Loop: Header=BB2_6264 Depth=3
	v_clz_i32_u32_e32 v8, v9
	s_delay_alu instid0(VALU_DEP_1) | instskip(NEXT) | instid1(VALU_DEP_1)
	v_min_u32_e32 v8, 32, v8
	v_subrev_nc_u32_e32 v9, 29, v8
	s_delay_alu instid0(VALU_DEP_1) | instskip(NEXT) | instid1(VALU_DEP_1)
	v_lshlrev_b64_e32 v[18:19], v9, v[2:3]
	v_dual_sub_nc_u32 v8, 30, v8 :: v_dual_bitop2_b32 v9, 3, v18 bitop3:0x40
; %bb.6607:                             ;   in Loop: Header=BB2_6264 Depth=3
	s_or_b32 exec_lo, exec_lo, s78
	v_and_b32_e32 v2, 0x80000000, v10
	s_delay_alu instid0(VALU_DEP_1) | instskip(NEXT) | instid1(VALU_DEP_1)
	v_lshl_add_u32 v2, v8, 23, v2
	v_lshl_or_b32 v2, v9, 21, v2
                                        ; implicit-def: $vgpr9
	s_delay_alu instid0(VALU_DEP_1)
	v_add_nc_u32_e32 v8, 0x38000000, v2
.LBB2_6608:                             ;   in Loop: Header=BB2_6264 Depth=3
	s_and_not1_saveexec_b32 s43, s43
; %bb.6609:                             ;   in Loop: Header=BB2_6264 Depth=3
	v_cmp_lt_i32_e32 vcc_lo, -1, v10
	v_cndmask_b32_e32 v2, 0xff800000, v111, vcc_lo
	v_cmp_eq_u32_e32 vcc_lo, 0, v9
	s_delay_alu instid0(VALU_DEP_2)
	v_cndmask_b32_e32 v8, 0x7f800001, v2, vcc_lo
; %bb.6610:                             ;   in Loop: Header=BB2_6264 Depth=3
	s_or_b32 exec_lo, exec_lo, s43
.LBB2_6611:                             ;   in Loop: Header=BB2_6264 Depth=3
	s_delay_alu instid0(SALU_CYCLE_1)
	s_or_b32 exec_lo, exec_lo, s42
.LBB2_6612:                             ;   in Loop: Header=BB2_6264 Depth=3
	s_delay_alu instid0(SALU_CYCLE_1) | instskip(NEXT) | instid1(VALU_DEP_1)
	s_or_b32 exec_lo, exec_lo, s14
	v_dual_mul_f32 v8, s15, v8 :: v_dual_mov_b32 v19, v3
                                        ; implicit-def: $vgpr93
	s_mov_b32 s14, exec_lo
	s_delay_alu instid0(VALU_DEP_1) | instskip(SKIP_2) | instid1(VALU_DEP_3)
	v_and_b32_e32 v18, 0x7f800000, v8
	v_and_b32_e32 v2, 0x7fffff, v8
	v_lshrrev_b32_e32 v9, 24, v8
	v_cmpx_ne_u64_e32 0x7f800000, v[18:19]
	s_xor_b32 s42, exec_lo, s14
	s_cbranch_execz .LBB2_6626
; %bb.6613:                             ;   in Loop: Header=BB2_6264 Depth=3
	v_and_b32_e32 v18, 0x7fffffff, v8
	v_mov_b32_e32 v19, v3
	v_and_b32_e32 v17, 0x80, v9
                                        ; implicit-def: $vgpr93
	s_mov_b32 s14, exec_lo
	s_delay_alu instid0(VALU_DEP_2)
	v_cmpx_gt_u64_e32 0x47600001, v[18:19]
	s_xor_b32 s43, exec_lo, s14
	s_cbranch_execz .LBB2_6623
; %bb.6614:                             ;   in Loop: Header=BB2_6264 Depth=3
	v_mov_b32_e32 v93, 0
	s_mov_b32 s78, exec_lo
	v_cmpx_ne_u32_e32 0, v8
	s_cbranch_execz .LBB2_6622
; %bb.6615:                             ;   in Loop: Header=BB2_6264 Depth=3
	v_bfe_u32 v58, v8, 23, 8
	v_or_b32_e32 v18, 0x800000, v2
	s_delay_alu instid0(VALU_DEP_2) | instskip(SKIP_1) | instid1(VALU_DEP_2)
	v_dual_mov_b32 v19, v3 :: v_dual_sub_nc_u32 v8, 0x71, v58
	v_cmp_gt_u32_e32 vcc_lo, 0x72, v58
	v_cndmask_b32_e32 v8, 0, v8, vcc_lo
	v_cmp_eq_u32_e32 vcc_lo, 0, v58
	s_delay_alu instid0(VALU_DEP_2) | instskip(NEXT) | instid1(VALU_DEP_1)
	v_cndmask_b32_e64 v59, v8, 0x70, vcc_lo
	v_dual_cndmask_b32 v18, v18, v2, vcc_lo :: v_dual_add_nc_u32 v8, 21, v59
	v_add_nc_u32_e32 v56, 20, v59
	s_delay_alu instid0(VALU_DEP_2) | instskip(NEXT) | instid1(VALU_DEP_2)
	v_lshlrev_b64_e64 v[8:9], v8, -1
	v_lshlrev_b64_e64 v[56:57], v56, 1
	s_delay_alu instid0(VALU_DEP_2) | instskip(NEXT) | instid1(VALU_DEP_3)
	v_bfi_b32 v93, v9, 0, 0
	v_bfi_b32 v92, v8, 0, v18
	v_lshrrev_b64 v[8:9], v59, v[18:19]
	s_delay_alu instid0(VALU_DEP_2) | instskip(NEXT) | instid1(VALU_DEP_2)
	v_cmp_eq_u64_e64 s14, v[92:93], v[56:57]
	v_mov_b64_e32 v[56:57], v[8:9]
	s_and_saveexec_b32 s79, s14
; %bb.6616:                             ;   in Loop: Header=BB2_6264 Depth=3
	v_bfe_u32 v18, v8, 21, 1
	v_mov_b32_e32 v19, v3
	s_delay_alu instid0(VALU_DEP_1) | instskip(NEXT) | instid1(VALU_DEP_1)
	v_add_nc_u64_e32 v[18:19], v[8:9], v[18:19]
	v_add_nc_u64_e32 v[56:57], -1, v[18:19]
; %bb.6617:                             ;   in Loop: Header=BB2_6264 Depth=3
	s_or_b32 exec_lo, exec_lo, s79
	v_add_nc_u32_e32 v2, 0xffffff81, v58
	s_delay_alu instid0(VALU_DEP_2) | instskip(SKIP_2) | instid1(VALU_DEP_3)
	v_and_b32_e32 v18, 0x1fffff, v56
	v_lshrrev_b32_e32 v9, 23, v8
	s_mov_b32 s14, exec_lo
                                        ; implicit-def: $vgpr56
	v_cndmask_b32_e64 v2, v2, 0xffffff82, vcc_lo
	s_delay_alu instid0(VALU_DEP_1) | instskip(SKIP_1) | instid1(VALU_DEP_2)
	v_add3_u32 v57, v59, v2, v9
	v_add_nc_u32_e32 v2, v18, v8
                                        ; implicit-def: $vgpr8_vgpr9
	v_add_nc_u32_e32 v58, 14, v57
	s_delay_alu instid0(VALU_DEP_1)
	v_cmpx_ne_u32_e32 0, v58
	s_xor_b32 s14, exec_lo, s14
; %bb.6618:                             ;   in Loop: Header=BB2_6264 Depth=3
	s_delay_alu instid0(VALU_DEP_3) | instskip(SKIP_1) | instid1(VALU_DEP_1)
	v_cmp_lt_u64_e32 vcc_lo, 0xffffff, v[2:3]
	v_add_nc_u32_e32 v8, 15, v57
	v_cndmask_b32_e32 v56, v58, v8, vcc_lo
	v_cndmask_b32_e64 v8, 0, 1, vcc_lo
	s_delay_alu instid0(VALU_DEP_1)
	v_lshrrev_b64 v[8:9], v8, v[2:3]
; %bb.6619:                             ;   in Loop: Header=BB2_6264 Depth=3
	s_and_not1_saveexec_b32 s14, s14
; %bb.6620:                             ;   in Loop: Header=BB2_6264 Depth=3
	v_mov_b64_e32 v[8:9], v[2:3]
	v_bfe_u32 v56, v2, 23, 1
; %bb.6621:                             ;   in Loop: Header=BB2_6264 Depth=3
	s_or_b32 exec_lo, exec_lo, s14
	s_delay_alu instid0(VALU_DEP_2) | instskip(NEXT) | instid1(VALU_DEP_2)
	v_lshrrev_b64 v[8:9], 21, v[8:9]
	v_cmp_gt_i32_e32 vcc_lo, 32, v56
	v_min_i32_e32 v2, 31, v56
	v_cmp_eq_u32_e64 s14, 0, v56
	s_delay_alu instid0(VALU_DEP_2) | instskip(SKIP_1) | instid1(VALU_DEP_2)
	v_dual_cndmask_b32 v9, 0, v9 :: v_dual_lshlrev_b32 v2, 2, v2
	v_cndmask_b32_e32 v8, 3, v8, vcc_lo
	v_and_b32_e32 v2, 0xfc, v2
	s_delay_alu instid0(VALU_DEP_2) | instskip(NEXT) | instid1(VALU_DEP_2)
	v_cmp_eq_u64_e32 vcc_lo, 0, v[8:9]
	v_and_or_b32 v2, v8, 3, v2
	s_and_b32 s14, s14, vcc_lo
	s_delay_alu instid0(VALU_DEP_1) | instid1(SALU_CYCLE_1)
	v_cndmask_b32_e64 v2, v2, 0, s14
	s_delay_alu instid0(VALU_DEP_1)
	v_or_b32_e32 v93, v2, v17
.LBB2_6622:                             ;   in Loop: Header=BB2_6264 Depth=3
	s_or_b32 exec_lo, exec_lo, s78
                                        ; implicit-def: $vgpr17
.LBB2_6623:                             ;   in Loop: Header=BB2_6264 Depth=3
	s_and_not1_saveexec_b32 s14, s43
; %bb.6624:                             ;   in Loop: Header=BB2_6264 Depth=3
	v_or_b32_e32 v93, 0x7b, v17
; %bb.6625:                             ;   in Loop: Header=BB2_6264 Depth=3
	s_or_b32 exec_lo, exec_lo, s14
                                        ; implicit-def: $vgpr8
                                        ; implicit-def: $vgpr9
.LBB2_6626:                             ;   in Loop: Header=BB2_6264 Depth=3
	s_and_not1_saveexec_b32 s14, s42
	s_cbranch_execz .LBB2_6632
; %bb.6627:                             ;   in Loop: Header=BB2_6264 Depth=3
	s_mov_b32 s42, exec_lo
                                        ; implicit-def: $vgpr93
	v_cmpx_ne_u64_e32 0, v[2:3]
	s_xor_b32 s42, exec_lo, s42
; %bb.6628:                             ;   in Loop: Header=BB2_6264 Depth=3
	v_or_b32_e32 v93, 0x7f, v9
                                        ; implicit-def: $vgpr8
; %bb.6629:                             ;   in Loop: Header=BB2_6264 Depth=3
	s_and_not1_saveexec_b32 s42, s42
; %bb.6630:                             ;   in Loop: Header=BB2_6264 Depth=3
	v_cmp_lt_i32_e32 vcc_lo, -1, v8
	v_cndmask_b32_e32 v93, 0xfc, v120, vcc_lo
; %bb.6631:                             ;   in Loop: Header=BB2_6264 Depth=3
	s_or_b32 exec_lo, exec_lo, s42
.LBB2_6632:                             ;   in Loop: Header=BB2_6264 Depth=3
	s_delay_alu instid0(SALU_CYCLE_1) | instskip(SKIP_3) | instid1(VALU_DEP_2)
	s_or_b32 exec_lo, exec_lo, s14
	v_and_b32_e32 v9, 0xff, v11
	v_dual_mov_b32 v2, v11 :: v_dual_mov_b32 v8, 0
	s_mov_b32 s14, exec_lo
	v_cmpx_ne_u16_e32 0, v9
	s_cbranch_execz .LBB2_6642
; %bb.6633:                             ;   in Loop: Header=BB2_6264 Depth=3
	v_bfrev_b32_e32 v8, 1
	s_mov_b32 s42, exec_lo
	v_cmpx_ne_u16_e32 0x80, v9
	s_cbranch_execz .LBB2_6641
; %bb.6634:                             ;   in Loop: Header=BB2_6264 Depth=3
	v_and_b32_e32 v8, 0x7c, v11
	v_and_b32_e32 v9, 3, v11
	s_delay_alu instid0(VALU_DEP_2) | instskip(SKIP_1) | instid1(SALU_CYCLE_1)
	v_cmp_ne_u32_e32 vcc_lo, 0x7c, v8
                                        ; implicit-def: $vgpr8
	s_and_saveexec_b32 s43, vcc_lo
	s_xor_b32 s43, exec_lo, s43
	s_cbranch_execz .LBB2_6638
; %bb.6635:                             ;   in Loop: Header=BB2_6264 Depth=3
	v_bfe_u32 v8, v11, 2, 5
	s_mov_b32 s78, exec_lo
	s_delay_alu instid0(VALU_DEP_1)
	v_cmpx_eq_u32_e32 0, v8
; %bb.6636:                             ;   in Loop: Header=BB2_6264 Depth=3
	v_clz_i32_u32_e32 v8, v9
	s_delay_alu instid0(VALU_DEP_1) | instskip(NEXT) | instid1(VALU_DEP_1)
	v_min_u32_e32 v8, 32, v8
	v_subrev_nc_u32_e32 v9, 29, v8
	s_delay_alu instid0(VALU_DEP_1) | instskip(NEXT) | instid1(VALU_DEP_1)
	v_lshlrev_b64_e32 v[18:19], v9, v[2:3]
	v_dual_sub_nc_u32 v8, 30, v8 :: v_dual_bitop2_b32 v9, 3, v18 bitop3:0x40
; %bb.6637:                             ;   in Loop: Header=BB2_6264 Depth=3
	s_or_b32 exec_lo, exec_lo, s78
	v_lshlrev_b32_e32 v17, 24, v11
	s_delay_alu instid0(VALU_DEP_1) | instskip(NEXT) | instid1(VALU_DEP_1)
	v_and_b32_e32 v17, 0x80000000, v17
	v_lshl_add_u32 v8, v8, 23, v17
	s_delay_alu instid0(VALU_DEP_1) | instskip(NEXT) | instid1(VALU_DEP_1)
	v_lshl_or_b32 v8, v9, 21, v8
                                        ; implicit-def: $vgpr9
	v_add_nc_u32_e32 v8, 0x38000000, v8
.LBB2_6638:                             ;   in Loop: Header=BB2_6264 Depth=3
	s_and_not1_saveexec_b32 s43, s43
; %bb.6639:                             ;   in Loop: Header=BB2_6264 Depth=3
	v_bfe_i32 v8, v11, 0, 8
	s_delay_alu instid0(VALU_DEP_1) | instskip(SKIP_2) | instid1(VALU_DEP_2)
	v_cmp_lt_i16_e32 vcc_lo, -1, v8
	v_cndmask_b32_e32 v8, 0xff800000, v111, vcc_lo
	v_cmp_eq_u32_e32 vcc_lo, 0, v9
	v_cndmask_b32_e32 v8, 0x7f800001, v8, vcc_lo
; %bb.6640:                             ;   in Loop: Header=BB2_6264 Depth=3
	s_or_b32 exec_lo, exec_lo, s43
.LBB2_6641:                             ;   in Loop: Header=BB2_6264 Depth=3
	s_delay_alu instid0(SALU_CYCLE_1)
	s_or_b32 exec_lo, exec_lo, s42
.LBB2_6642:                             ;   in Loop: Header=BB2_6264 Depth=3
	s_delay_alu instid0(SALU_CYCLE_1) | instskip(NEXT) | instid1(VALU_DEP_1)
	s_or_b32 exec_lo, exec_lo, s14
	v_dual_mul_f32 v56, s15, v8 :: v_dual_mov_b32 v19, v3
	v_mov_b32_e32 v9, v3
                                        ; implicit-def: $vgpr17
	s_mov_b32 s14, exec_lo
	s_delay_alu instid0(VALU_DEP_2) | instskip(SKIP_2) | instid1(VALU_DEP_3)
	v_and_b32_e32 v18, 0x7f800000, v56
	v_and_b32_e32 v8, 0x7fffff, v56
	v_lshrrev_b32_e32 v57, 24, v56
	v_cmpx_ne_u64_e32 0x7f800000, v[18:19]
	s_xor_b32 s42, exec_lo, s14
	s_cbranch_execz .LBB2_6656
; %bb.6643:                             ;   in Loop: Header=BB2_6264 Depth=3
	v_and_b32_e32 v18, 0x7fffffff, v56
	v_mov_b32_e32 v19, v3
	v_and_b32_e32 v58, 0x80, v57
                                        ; implicit-def: $vgpr17
	s_mov_b32 s14, exec_lo
	s_delay_alu instid0(VALU_DEP_2)
	v_cmpx_gt_u64_e32 0x47600001, v[18:19]
	s_xor_b32 s43, exec_lo, s14
	s_cbranch_execz .LBB2_6653
; %bb.6644:                             ;   in Loop: Header=BB2_6264 Depth=3
	v_mov_b32_e32 v17, 0
	s_mov_b32 s78, exec_lo
	v_cmpx_ne_u32_e32 0, v56
	s_cbranch_execz .LBB2_6652
; %bb.6645:                             ;   in Loop: Header=BB2_6264 Depth=3
	v_bfe_u32 v17, v56, 23, 8
	v_or_b32_e32 v56, 0x800000, v8
	s_delay_alu instid0(VALU_DEP_2) | instskip(SKIP_1) | instid1(VALU_DEP_2)
	v_sub_nc_u32_e32 v18, 0x71, v17
	v_cmp_gt_u32_e32 vcc_lo, 0x72, v17
	v_cndmask_b32_e32 v18, 0, v18, vcc_lo
	v_cmp_eq_u32_e32 vcc_lo, 0, v17
	s_delay_alu instid0(VALU_DEP_2) | instskip(NEXT) | instid1(VALU_DEP_1)
	v_cndmask_b32_e64 v59, v18, 0x70, vcc_lo
	v_dual_cndmask_b32 v8, v56, v8, vcc_lo :: v_dual_add_nc_u32 v18, 21, v59
	v_add_nc_u32_e32 v57, 20, v59
	s_delay_alu instid0(VALU_DEP_2) | instskip(NEXT) | instid1(VALU_DEP_2)
	v_lshlrev_b64_e64 v[18:19], v18, -1
	v_lshlrev_b64_e64 v[56:57], v57, 1
	s_delay_alu instid0(VALU_DEP_2) | instskip(SKIP_1) | instid1(VALU_DEP_4)
	v_bfi_b32 v18, v18, 0, v8
	v_lshrrev_b64 v[8:9], v59, v[8:9]
	v_bfi_b32 v19, v19, 0, 0
	s_delay_alu instid0(VALU_DEP_1) | instskip(NEXT) | instid1(VALU_DEP_3)
	v_cmp_eq_u64_e64 s14, v[18:19], v[56:57]
	v_mov_b64_e32 v[56:57], v[8:9]
	s_and_saveexec_b32 s79, s14
; %bb.6646:                             ;   in Loop: Header=BB2_6264 Depth=3
	v_bfe_u32 v18, v8, 21, 1
	v_mov_b32_e32 v19, v3
	s_delay_alu instid0(VALU_DEP_1) | instskip(NEXT) | instid1(VALU_DEP_1)
	v_add_nc_u64_e32 v[18:19], v[8:9], v[18:19]
	v_add_nc_u64_e32 v[56:57], -1, v[18:19]
; %bb.6647:                             ;   in Loop: Header=BB2_6264 Depth=3
	s_or_b32 exec_lo, exec_lo, s79
	v_add_nc_u32_e32 v9, 0xffffff81, v17
	v_lshrrev_b32_e32 v17, 23, v8
	s_mov_b32 s14, exec_lo
	s_delay_alu instid0(VALU_DEP_2) | instskip(NEXT) | instid1(VALU_DEP_1)
	v_cndmask_b32_e64 v9, v9, 0xffffff82, vcc_lo
	v_add3_u32 v57, v59, v9, v17
	v_and_b32_e32 v9, 0x1fffff, v56
                                        ; implicit-def: $vgpr17
	s_delay_alu instid0(VALU_DEP_1) | instskip(SKIP_1) | instid1(VALU_DEP_2)
	v_dual_add_nc_u32 v56, 14, v57 :: v_dual_add_nc_u32 v8, v9, v8
	v_mov_b32_e32 v9, v3
	v_cmpx_ne_u32_e32 0, v56
	s_xor_b32 s14, exec_lo, s14
; %bb.6648:                             ;   in Loop: Header=BB2_6264 Depth=3
	s_delay_alu instid0(VALU_DEP_2) | instskip(SKIP_2) | instid1(VALU_DEP_2)
	v_cmp_lt_u64_e32 vcc_lo, 0xffffff, v[8:9]
	v_add_nc_u32_e32 v17, 15, v57
	v_cndmask_b32_e64 v18, 0, 1, vcc_lo
	v_cndmask_b32_e32 v17, v56, v17, vcc_lo
	s_delay_alu instid0(VALU_DEP_2)
	v_lshrrev_b64 v[8:9], v18, v[8:9]
; %bb.6649:                             ;   in Loop: Header=BB2_6264 Depth=3
	s_and_not1_saveexec_b32 s14, s14
; %bb.6650:                             ;   in Loop: Header=BB2_6264 Depth=3
	s_delay_alu instid0(VALU_DEP_1)
	v_bfe_u32 v17, v8, 23, 1
; %bb.6651:                             ;   in Loop: Header=BB2_6264 Depth=3
	s_or_b32 exec_lo, exec_lo, s14
	s_delay_alu instid0(VALU_DEP_2) | instskip(NEXT) | instid1(VALU_DEP_2)
	v_lshrrev_b64 v[8:9], 21, v[8:9]
	v_cmp_gt_i32_e32 vcc_lo, 32, v17
	v_min_i32_e32 v18, 31, v17
	v_cmp_eq_u32_e64 s14, 0, v17
	s_delay_alu instid0(VALU_DEP_2) | instskip(SKIP_1) | instid1(VALU_DEP_2)
	v_dual_cndmask_b32 v8, 3, v8, vcc_lo :: v_dual_lshlrev_b32 v18, 2, v18
	v_cndmask_b32_e32 v9, 0, v9, vcc_lo
	v_and_b32_e32 v18, 0xfc, v18
	s_delay_alu instid0(VALU_DEP_2) | instskip(NEXT) | instid1(VALU_DEP_2)
	v_cmp_eq_u64_e32 vcc_lo, 0, v[8:9]
	v_and_or_b32 v8, v8, 3, v18
	s_and_b32 s14, s14, vcc_lo
	s_delay_alu instid0(VALU_DEP_1) | instid1(SALU_CYCLE_1)
	v_cndmask_b32_e64 v8, v8, 0, s14
	s_delay_alu instid0(VALU_DEP_1)
	v_or_b32_e32 v17, v8, v58
.LBB2_6652:                             ;   in Loop: Header=BB2_6264 Depth=3
	s_or_b32 exec_lo, exec_lo, s78
                                        ; implicit-def: $vgpr58
.LBB2_6653:                             ;   in Loop: Header=BB2_6264 Depth=3
	s_and_not1_saveexec_b32 s14, s43
; %bb.6654:                             ;   in Loop: Header=BB2_6264 Depth=3
	v_or_b32_e32 v17, 0x7b, v58
; %bb.6655:                             ;   in Loop: Header=BB2_6264 Depth=3
	s_or_b32 exec_lo, exec_lo, s14
                                        ; implicit-def: $vgpr56
                                        ; implicit-def: $vgpr8_vgpr9
                                        ; implicit-def: $vgpr57
.LBB2_6656:                             ;   in Loop: Header=BB2_6264 Depth=3
	s_and_not1_saveexec_b32 s14, s42
	s_cbranch_execz .LBB2_6662
; %bb.6657:                             ;   in Loop: Header=BB2_6264 Depth=3
	s_mov_b32 s42, exec_lo
                                        ; implicit-def: $vgpr17
	v_cmpx_ne_u64_e32 0, v[8:9]
	s_xor_b32 s42, exec_lo, s42
; %bb.6658:                             ;   in Loop: Header=BB2_6264 Depth=3
	v_or_b32_e32 v17, 0x7f, v57
                                        ; implicit-def: $vgpr56
; %bb.6659:                             ;   in Loop: Header=BB2_6264 Depth=3
	s_and_not1_saveexec_b32 s42, s42
; %bb.6660:                             ;   in Loop: Header=BB2_6264 Depth=3
	v_cmp_lt_i32_e32 vcc_lo, -1, v56
	v_cndmask_b32_e32 v17, 0xfc, v120, vcc_lo
; %bb.6661:                             ;   in Loop: Header=BB2_6264 Depth=3
	s_or_b32 exec_lo, exec_lo, s42
.LBB2_6662:                             ;   in Loop: Header=BB2_6264 Depth=3
	s_delay_alu instid0(SALU_CYCLE_1) | instskip(SKIP_3) | instid1(VALU_DEP_2)
	s_or_b32 exec_lo, exec_lo, s14
	v_lshrrev_b16 v8, 8, v2
	v_mov_b32_e32 v56, 0
	s_mov_b32 s14, exec_lo
	v_cmpx_ne_u16_e32 0, v8
	s_cbranch_execz .LBB2_6672
; %bb.6663:                             ;   in Loop: Header=BB2_6264 Depth=3
	v_bfrev_b32_e32 v56, 1
	s_mov_b32 s42, exec_lo
	v_cmpx_ne_u16_e32 0x80, v8
	s_cbranch_execz .LBB2_6671
; %bb.6664:                             ;   in Loop: Header=BB2_6264 Depth=3
	v_and_b32_e32 v57, 0xffff, v8
	s_mov_b32 s43, exec_lo
                                        ; implicit-def: $vgpr56
	s_delay_alu instid0(VALU_DEP_1) | instskip(SKIP_1) | instid1(VALU_DEP_2)
	v_and_b32_e32 v18, 0x7c, v57
	v_and_b32_e32 v9, 3, v57
	v_cmpx_ne_u32_e32 0x7c, v18
	s_xor_b32 s43, exec_lo, s43
	s_cbranch_execz .LBB2_6668
; %bb.6665:                             ;   in Loop: Header=BB2_6264 Depth=3
	v_bfe_u32 v56, v57, 2, 5
	s_mov_b32 s78, exec_lo
	s_delay_alu instid0(VALU_DEP_1)
	v_cmpx_eq_u32_e32 0, v56
; %bb.6666:                             ;   in Loop: Header=BB2_6264 Depth=3
	v_clz_i32_u32_e32 v9, v9
	s_delay_alu instid0(VALU_DEP_1) | instskip(NEXT) | instid1(VALU_DEP_1)
	v_min_u32_e32 v18, 32, v9
	v_dual_mov_b32 v9, v3 :: v_dual_sub_nc_u32 v56, 30, v18
	v_subrev_nc_u32_e32 v19, 29, v18
	s_delay_alu instid0(VALU_DEP_1) | instskip(NEXT) | instid1(VALU_DEP_1)
	v_lshlrev_b64_e32 v[8:9], v19, v[8:9]
	v_and_b32_e32 v9, 3, v8
; %bb.6667:                             ;   in Loop: Header=BB2_6264 Depth=3
	s_or_b32 exec_lo, exec_lo, s78
	v_lshlrev_b32_e32 v2, 16, v2
	s_delay_alu instid0(VALU_DEP_1) | instskip(NEXT) | instid1(VALU_DEP_1)
	v_and_b32_e32 v2, 0x80000000, v2
	v_lshl_add_u32 v2, v56, 23, v2
	s_delay_alu instid0(VALU_DEP_1) | instskip(NEXT) | instid1(VALU_DEP_1)
	v_lshl_or_b32 v2, v9, 21, v2
                                        ; implicit-def: $vgpr9
	v_add_nc_u32_e32 v56, 0x38000000, v2
.LBB2_6668:                             ;   in Loop: Header=BB2_6264 Depth=3
	s_and_not1_saveexec_b32 s43, s43
; %bb.6669:                             ;   in Loop: Header=BB2_6264 Depth=3
	v_cmp_lt_i16_e32 vcc_lo, -1, v2
	v_cndmask_b32_e32 v2, 0xff800000, v111, vcc_lo
	v_cmp_eq_u32_e32 vcc_lo, 0, v9
	s_delay_alu instid0(VALU_DEP_2)
	v_cndmask_b32_e32 v56, 0x7f800001, v2, vcc_lo
; %bb.6670:                             ;   in Loop: Header=BB2_6264 Depth=3
	s_or_b32 exec_lo, exec_lo, s43
.LBB2_6671:                             ;   in Loop: Header=BB2_6264 Depth=3
	s_delay_alu instid0(SALU_CYCLE_1)
	s_or_b32 exec_lo, exec_lo, s42
.LBB2_6672:                             ;   in Loop: Header=BB2_6264 Depth=3
	s_delay_alu instid0(SALU_CYCLE_1) | instskip(NEXT) | instid1(VALU_DEP_1)
	s_or_b32 exec_lo, exec_lo, s14
	v_dual_mul_f32 v8, s15, v56 :: v_dual_mov_b32 v19, v3
                                        ; implicit-def: $vgpr78
	s_mov_b32 s14, exec_lo
	s_delay_alu instid0(VALU_DEP_1) | instskip(SKIP_2) | instid1(VALU_DEP_3)
	v_and_b32_e32 v18, 0x7f800000, v8
	v_and_b32_e32 v2, 0x7fffff, v8
	v_lshrrev_b32_e32 v9, 24, v8
	v_cmpx_ne_u64_e32 0x7f800000, v[18:19]
	s_xor_b32 s42, exec_lo, s14
	s_cbranch_execz .LBB2_6686
; %bb.6673:                             ;   in Loop: Header=BB2_6264 Depth=3
	v_and_b32_e32 v18, 0x7fffffff, v8
	v_mov_b32_e32 v19, v3
	v_and_b32_e32 v58, 0x80, v9
                                        ; implicit-def: $vgpr78
	s_mov_b32 s14, exec_lo
	s_delay_alu instid0(VALU_DEP_2)
	v_cmpx_gt_u64_e32 0x47600001, v[18:19]
	s_xor_b32 s43, exec_lo, s14
	s_cbranch_execz .LBB2_6683
; %bb.6674:                             ;   in Loop: Header=BB2_6264 Depth=3
	v_mov_b32_e32 v78, 0
	s_mov_b32 s78, exec_lo
	v_cmpx_ne_u32_e32 0, v8
	s_cbranch_execz .LBB2_6682
; %bb.6675:                             ;   in Loop: Header=BB2_6264 Depth=3
	v_bfe_u32 v59, v8, 23, 8
	v_or_b32_e32 v18, 0x800000, v2
	s_delay_alu instid0(VALU_DEP_2) | instskip(SKIP_1) | instid1(VALU_DEP_2)
	v_dual_mov_b32 v19, v3 :: v_dual_sub_nc_u32 v8, 0x71, v59
	v_cmp_gt_u32_e32 vcc_lo, 0x72, v59
	v_cndmask_b32_e32 v8, 0, v8, vcc_lo
	v_cmp_eq_u32_e32 vcc_lo, 0, v59
	s_delay_alu instid0(VALU_DEP_2) | instskip(SKIP_1) | instid1(VALU_DEP_2)
	v_cndmask_b32_e64 v78, v8, 0x70, vcc_lo
	v_cndmask_b32_e32 v18, v18, v2, vcc_lo
	v_dual_add_nc_u32 v8, 21, v78 :: v_dual_add_nc_u32 v56, 20, v78
	s_delay_alu instid0(VALU_DEP_1) | instskip(NEXT) | instid1(VALU_DEP_2)
	v_lshlrev_b64_e64 v[8:9], v8, -1
	v_lshlrev_b64_e64 v[56:57], v56, 1
	s_delay_alu instid0(VALU_DEP_2) | instskip(NEXT) | instid1(VALU_DEP_3)
	v_bfi_b32 v105, v9, 0, 0
	v_bfi_b32 v104, v8, 0, v18
	v_lshrrev_b64 v[8:9], v78, v[18:19]
	s_delay_alu instid0(VALU_DEP_2) | instskip(NEXT) | instid1(VALU_DEP_2)
	v_cmp_eq_u64_e64 s14, v[104:105], v[56:57]
	v_mov_b64_e32 v[56:57], v[8:9]
	s_and_saveexec_b32 s79, s14
; %bb.6676:                             ;   in Loop: Header=BB2_6264 Depth=3
	v_bfe_u32 v18, v8, 21, 1
	v_mov_b32_e32 v19, v3
	s_delay_alu instid0(VALU_DEP_1) | instskip(NEXT) | instid1(VALU_DEP_1)
	v_add_nc_u64_e32 v[18:19], v[8:9], v[18:19]
	v_add_nc_u64_e32 v[56:57], -1, v[18:19]
; %bb.6677:                             ;   in Loop: Header=BB2_6264 Depth=3
	s_or_b32 exec_lo, exec_lo, s79
	v_add_nc_u32_e32 v2, 0xffffff81, v59
	s_delay_alu instid0(VALU_DEP_2) | instskip(SKIP_2) | instid1(VALU_DEP_3)
	v_and_b32_e32 v18, 0x1fffff, v56
	v_lshrrev_b32_e32 v9, 23, v8
	s_mov_b32 s14, exec_lo
                                        ; implicit-def: $vgpr56
	v_cndmask_b32_e64 v2, v2, 0xffffff82, vcc_lo
	s_delay_alu instid0(VALU_DEP_1) | instskip(SKIP_1) | instid1(VALU_DEP_2)
	v_add3_u32 v57, v78, v2, v9
	v_add_nc_u32_e32 v2, v18, v8
                                        ; implicit-def: $vgpr8_vgpr9
	v_add_nc_u32_e32 v59, 14, v57
	s_delay_alu instid0(VALU_DEP_1)
	v_cmpx_ne_u32_e32 0, v59
	s_xor_b32 s14, exec_lo, s14
; %bb.6678:                             ;   in Loop: Header=BB2_6264 Depth=3
	s_delay_alu instid0(VALU_DEP_3) | instskip(SKIP_1) | instid1(VALU_DEP_1)
	v_cmp_lt_u64_e32 vcc_lo, 0xffffff, v[2:3]
	v_add_nc_u32_e32 v8, 15, v57
	v_cndmask_b32_e32 v56, v59, v8, vcc_lo
	v_cndmask_b32_e64 v8, 0, 1, vcc_lo
	s_delay_alu instid0(VALU_DEP_1)
	v_lshrrev_b64 v[8:9], v8, v[2:3]
; %bb.6679:                             ;   in Loop: Header=BB2_6264 Depth=3
	s_and_not1_saveexec_b32 s14, s14
; %bb.6680:                             ;   in Loop: Header=BB2_6264 Depth=3
	v_mov_b64_e32 v[8:9], v[2:3]
	v_bfe_u32 v56, v2, 23, 1
; %bb.6681:                             ;   in Loop: Header=BB2_6264 Depth=3
	s_or_b32 exec_lo, exec_lo, s14
	s_delay_alu instid0(VALU_DEP_2) | instskip(NEXT) | instid1(VALU_DEP_2)
	v_lshrrev_b64 v[8:9], 21, v[8:9]
	v_cmp_gt_i32_e32 vcc_lo, 32, v56
	v_min_i32_e32 v2, 31, v56
	v_cmp_eq_u32_e64 s14, 0, v56
	s_delay_alu instid0(VALU_DEP_2) | instskip(SKIP_1) | instid1(VALU_DEP_2)
	v_dual_cndmask_b32 v9, 0, v9 :: v_dual_lshlrev_b32 v2, 2, v2
	v_cndmask_b32_e32 v8, 3, v8, vcc_lo
	v_and_b32_e32 v2, 0xfc, v2
	s_delay_alu instid0(VALU_DEP_2) | instskip(NEXT) | instid1(VALU_DEP_2)
	v_cmp_eq_u64_e32 vcc_lo, 0, v[8:9]
	v_and_or_b32 v2, v8, 3, v2
	s_and_b32 s14, s14, vcc_lo
	s_delay_alu instid0(VALU_DEP_1) | instid1(SALU_CYCLE_1)
	v_cndmask_b32_e64 v2, v2, 0, s14
	s_delay_alu instid0(VALU_DEP_1)
	v_or_b32_e32 v78, v2, v58
.LBB2_6682:                             ;   in Loop: Header=BB2_6264 Depth=3
	s_or_b32 exec_lo, exec_lo, s78
                                        ; implicit-def: $vgpr58
.LBB2_6683:                             ;   in Loop: Header=BB2_6264 Depth=3
	s_and_not1_saveexec_b32 s14, s43
; %bb.6684:                             ;   in Loop: Header=BB2_6264 Depth=3
	v_or_b32_e32 v78, 0x7b, v58
; %bb.6685:                             ;   in Loop: Header=BB2_6264 Depth=3
	s_or_b32 exec_lo, exec_lo, s14
                                        ; implicit-def: $vgpr8
                                        ; implicit-def: $vgpr9
.LBB2_6686:                             ;   in Loop: Header=BB2_6264 Depth=3
	s_and_not1_saveexec_b32 s14, s42
	s_cbranch_execz .LBB2_6692
; %bb.6687:                             ;   in Loop: Header=BB2_6264 Depth=3
	s_mov_b32 s42, exec_lo
                                        ; implicit-def: $vgpr78
	v_cmpx_ne_u64_e32 0, v[2:3]
	s_xor_b32 s42, exec_lo, s42
; %bb.6688:                             ;   in Loop: Header=BB2_6264 Depth=3
	v_or_b32_e32 v78, 0x7f, v9
                                        ; implicit-def: $vgpr8
; %bb.6689:                             ;   in Loop: Header=BB2_6264 Depth=3
	s_and_not1_saveexec_b32 s42, s42
; %bb.6690:                             ;   in Loop: Header=BB2_6264 Depth=3
	v_cmp_lt_i32_e32 vcc_lo, -1, v8
	v_cndmask_b32_e32 v78, 0xfc, v120, vcc_lo
; %bb.6691:                             ;   in Loop: Header=BB2_6264 Depth=3
	s_or_b32 exec_lo, exec_lo, s42
.LBB2_6692:                             ;   in Loop: Header=BB2_6264 Depth=3
	s_delay_alu instid0(SALU_CYCLE_1) | instskip(SKIP_2) | instid1(VALU_DEP_1)
	s_or_b32 exec_lo, exec_lo, s14
	v_dual_lshrrev_b32 v2, 16, v11 :: v_dual_mov_b32 v8, 0
	s_mov_b32 s14, exec_lo
	v_and_b32_e32 v9, 0xff, v2
	s_delay_alu instid0(VALU_DEP_1)
	v_cmpx_ne_u16_e32 0, v9
	s_cbranch_execz .LBB2_6702
; %bb.6693:                             ;   in Loop: Header=BB2_6264 Depth=3
	v_bfrev_b32_e32 v8, 1
	s_mov_b32 s42, exec_lo
	v_cmpx_ne_u16_e32 0x80, v9
	s_cbranch_execz .LBB2_6701
; %bb.6694:                             ;   in Loop: Header=BB2_6264 Depth=3
	v_and_b32_e32 v8, 0x7c0000, v11
	v_bfe_u32 v9, v11, 16, 2
	s_delay_alu instid0(VALU_DEP_2) | instskip(SKIP_1) | instid1(SALU_CYCLE_1)
	v_cmp_ne_u32_e32 vcc_lo, 0x7c0000, v8
                                        ; implicit-def: $vgpr8
	s_and_saveexec_b32 s43, vcc_lo
	s_xor_b32 s43, exec_lo, s43
	s_cbranch_execz .LBB2_6698
; %bb.6695:                             ;   in Loop: Header=BB2_6264 Depth=3
	v_bfe_u32 v8, v11, 18, 5
	s_mov_b32 s78, exec_lo
	s_delay_alu instid0(VALU_DEP_1)
	v_cmpx_eq_u32_e32 0, v8
; %bb.6696:                             ;   in Loop: Header=BB2_6264 Depth=3
	v_clz_i32_u32_e32 v8, v9
	s_delay_alu instid0(VALU_DEP_1) | instskip(NEXT) | instid1(VALU_DEP_1)
	v_min_u32_e32 v8, 32, v8
	v_subrev_nc_u32_e32 v9, 29, v8
	s_delay_alu instid0(VALU_DEP_1) | instskip(NEXT) | instid1(VALU_DEP_1)
	v_lshlrev_b64_e32 v[18:19], v9, v[2:3]
	v_dual_sub_nc_u32 v8, 30, v8 :: v_dual_bitop2_b32 v9, 3, v18 bitop3:0x40
; %bb.6697:                             ;   in Loop: Header=BB2_6264 Depth=3
	s_or_b32 exec_lo, exec_lo, s78
	v_lshlrev_b32_e32 v2, 24, v2
	s_delay_alu instid0(VALU_DEP_1) | instskip(NEXT) | instid1(VALU_DEP_1)
	v_and_b32_e32 v2, 0x80000000, v2
	v_lshl_add_u32 v2, v8, 23, v2
	s_delay_alu instid0(VALU_DEP_1) | instskip(NEXT) | instid1(VALU_DEP_1)
	v_lshl_or_b32 v2, v9, 21, v2
                                        ; implicit-def: $vgpr9
	v_add_nc_u32_e32 v8, 0x38000000, v2
                                        ; implicit-def: $vgpr2
.LBB2_6698:                             ;   in Loop: Header=BB2_6264 Depth=3
	s_and_not1_saveexec_b32 s43, s43
; %bb.6699:                             ;   in Loop: Header=BB2_6264 Depth=3
	v_bfe_i32 v2, v2, 0, 8
	s_delay_alu instid0(VALU_DEP_1) | instskip(SKIP_2) | instid1(VALU_DEP_2)
	v_cmp_lt_i16_e32 vcc_lo, -1, v2
	v_cndmask_b32_e32 v2, 0xff800000, v111, vcc_lo
	v_cmp_eq_u32_e32 vcc_lo, 0, v9
	v_cndmask_b32_e32 v8, 0x7f800001, v2, vcc_lo
; %bb.6700:                             ;   in Loop: Header=BB2_6264 Depth=3
	s_or_b32 exec_lo, exec_lo, s43
.LBB2_6701:                             ;   in Loop: Header=BB2_6264 Depth=3
	s_delay_alu instid0(SALU_CYCLE_1)
	s_or_b32 exec_lo, exec_lo, s42
.LBB2_6702:                             ;   in Loop: Header=BB2_6264 Depth=3
	s_delay_alu instid0(SALU_CYCLE_1) | instskip(NEXT) | instid1(VALU_DEP_1)
	s_or_b32 exec_lo, exec_lo, s14
	v_dual_mul_f32 v8, s15, v8 :: v_dual_mov_b32 v19, v3
                                        ; implicit-def: $vgpr88
	s_mov_b32 s14, exec_lo
	s_delay_alu instid0(VALU_DEP_1) | instskip(SKIP_2) | instid1(VALU_DEP_3)
	v_and_b32_e32 v18, 0x7f800000, v8
	v_and_b32_e32 v2, 0x7fffff, v8
	v_lshrrev_b32_e32 v9, 24, v8
	v_cmpx_ne_u64_e32 0x7f800000, v[18:19]
	s_xor_b32 s42, exec_lo, s14
	s_cbranch_execz .LBB2_6716
; %bb.6703:                             ;   in Loop: Header=BB2_6264 Depth=3
	v_and_b32_e32 v18, 0x7fffffff, v8
	v_mov_b32_e32 v19, v3
	v_and_b32_e32 v58, 0x80, v9
                                        ; implicit-def: $vgpr88
	s_mov_b32 s14, exec_lo
	s_delay_alu instid0(VALU_DEP_2)
	v_cmpx_gt_u64_e32 0x47600001, v[18:19]
	s_xor_b32 s43, exec_lo, s14
	s_cbranch_execz .LBB2_6713
; %bb.6704:                             ;   in Loop: Header=BB2_6264 Depth=3
	v_mov_b32_e32 v88, 0
	s_mov_b32 s78, exec_lo
	v_cmpx_ne_u32_e32 0, v8
	s_cbranch_execz .LBB2_6712
; %bb.6705:                             ;   in Loop: Header=BB2_6264 Depth=3
	v_bfe_u32 v59, v8, 23, 8
	v_or_b32_e32 v18, 0x800000, v2
	s_delay_alu instid0(VALU_DEP_2) | instskip(SKIP_1) | instid1(VALU_DEP_2)
	v_dual_mov_b32 v19, v3 :: v_dual_sub_nc_u32 v8, 0x71, v59
	v_cmp_gt_u32_e32 vcc_lo, 0x72, v59
	v_cndmask_b32_e32 v8, 0, v8, vcc_lo
	v_cmp_eq_u32_e32 vcc_lo, 0, v59
	v_cndmask_b32_e32 v18, v18, v2, vcc_lo
	s_delay_alu instid0(VALU_DEP_3) | instskip(NEXT) | instid1(VALU_DEP_1)
	v_cndmask_b32_e64 v88, v8, 0x70, vcc_lo
	v_dual_add_nc_u32 v8, 21, v88 :: v_dual_add_nc_u32 v56, 20, v88
	s_delay_alu instid0(VALU_DEP_1) | instskip(NEXT) | instid1(VALU_DEP_2)
	v_lshlrev_b64_e64 v[8:9], v8, -1
	v_lshlrev_b64_e64 v[56:57], v56, 1
	s_delay_alu instid0(VALU_DEP_2) | instskip(NEXT) | instid1(VALU_DEP_3)
	v_bfi_b32 v105, v9, 0, 0
	v_bfi_b32 v104, v8, 0, v18
	v_lshrrev_b64 v[8:9], v88, v[18:19]
	s_delay_alu instid0(VALU_DEP_2) | instskip(NEXT) | instid1(VALU_DEP_2)
	v_cmp_eq_u64_e64 s14, v[104:105], v[56:57]
	v_mov_b64_e32 v[56:57], v[8:9]
	s_and_saveexec_b32 s79, s14
; %bb.6706:                             ;   in Loop: Header=BB2_6264 Depth=3
	v_bfe_u32 v18, v8, 21, 1
	v_mov_b32_e32 v19, v3
	s_delay_alu instid0(VALU_DEP_1) | instskip(NEXT) | instid1(VALU_DEP_1)
	v_add_nc_u64_e32 v[18:19], v[8:9], v[18:19]
	v_add_nc_u64_e32 v[56:57], -1, v[18:19]
; %bb.6707:                             ;   in Loop: Header=BB2_6264 Depth=3
	s_or_b32 exec_lo, exec_lo, s79
	v_add_nc_u32_e32 v2, 0xffffff81, v59
	s_delay_alu instid0(VALU_DEP_2) | instskip(SKIP_2) | instid1(VALU_DEP_3)
	v_and_b32_e32 v18, 0x1fffff, v56
	v_lshrrev_b32_e32 v9, 23, v8
	s_mov_b32 s14, exec_lo
                                        ; implicit-def: $vgpr56
	v_cndmask_b32_e64 v2, v2, 0xffffff82, vcc_lo
	s_delay_alu instid0(VALU_DEP_1) | instskip(SKIP_1) | instid1(VALU_DEP_2)
	v_add3_u32 v57, v88, v2, v9
	v_add_nc_u32_e32 v2, v18, v8
                                        ; implicit-def: $vgpr8_vgpr9
	v_add_nc_u32_e32 v59, 14, v57
	s_delay_alu instid0(VALU_DEP_1)
	v_cmpx_ne_u32_e32 0, v59
	s_xor_b32 s14, exec_lo, s14
; %bb.6708:                             ;   in Loop: Header=BB2_6264 Depth=3
	s_delay_alu instid0(VALU_DEP_3) | instskip(SKIP_1) | instid1(VALU_DEP_1)
	v_cmp_lt_u64_e32 vcc_lo, 0xffffff, v[2:3]
	v_add_nc_u32_e32 v8, 15, v57
	v_cndmask_b32_e32 v56, v59, v8, vcc_lo
	v_cndmask_b32_e64 v8, 0, 1, vcc_lo
	s_delay_alu instid0(VALU_DEP_1)
	v_lshrrev_b64 v[8:9], v8, v[2:3]
; %bb.6709:                             ;   in Loop: Header=BB2_6264 Depth=3
	s_and_not1_saveexec_b32 s14, s14
; %bb.6710:                             ;   in Loop: Header=BB2_6264 Depth=3
	v_mov_b64_e32 v[8:9], v[2:3]
	v_bfe_u32 v56, v2, 23, 1
; %bb.6711:                             ;   in Loop: Header=BB2_6264 Depth=3
	s_or_b32 exec_lo, exec_lo, s14
	s_delay_alu instid0(VALU_DEP_2) | instskip(NEXT) | instid1(VALU_DEP_2)
	v_lshrrev_b64 v[8:9], 21, v[8:9]
	v_cmp_gt_i32_e32 vcc_lo, 32, v56
	v_min_i32_e32 v2, 31, v56
	v_cmp_eq_u32_e64 s14, 0, v56
	s_delay_alu instid0(VALU_DEP_2) | instskip(SKIP_1) | instid1(VALU_DEP_2)
	v_dual_cndmask_b32 v9, 0, v9 :: v_dual_lshlrev_b32 v2, 2, v2
	v_cndmask_b32_e32 v8, 3, v8, vcc_lo
	v_and_b32_e32 v2, 0xfc, v2
	s_delay_alu instid0(VALU_DEP_2) | instskip(NEXT) | instid1(VALU_DEP_2)
	v_cmp_eq_u64_e32 vcc_lo, 0, v[8:9]
	v_and_or_b32 v2, v8, 3, v2
	s_and_b32 s14, s14, vcc_lo
	s_delay_alu instid0(VALU_DEP_1) | instid1(SALU_CYCLE_1)
	v_cndmask_b32_e64 v2, v2, 0, s14
	s_delay_alu instid0(VALU_DEP_1)
	v_or_b32_e32 v88, v2, v58
.LBB2_6712:                             ;   in Loop: Header=BB2_6264 Depth=3
	s_or_b32 exec_lo, exec_lo, s78
                                        ; implicit-def: $vgpr58
.LBB2_6713:                             ;   in Loop: Header=BB2_6264 Depth=3
	s_and_not1_saveexec_b32 s14, s43
; %bb.6714:                             ;   in Loop: Header=BB2_6264 Depth=3
	v_or_b32_e32 v88, 0x7b, v58
; %bb.6715:                             ;   in Loop: Header=BB2_6264 Depth=3
	s_or_b32 exec_lo, exec_lo, s14
                                        ; implicit-def: $vgpr8
                                        ; implicit-def: $vgpr9
.LBB2_6716:                             ;   in Loop: Header=BB2_6264 Depth=3
	s_and_not1_saveexec_b32 s14, s42
	s_cbranch_execz .LBB2_6722
; %bb.6717:                             ;   in Loop: Header=BB2_6264 Depth=3
	s_mov_b32 s42, exec_lo
                                        ; implicit-def: $vgpr88
	v_cmpx_ne_u64_e32 0, v[2:3]
	s_xor_b32 s42, exec_lo, s42
; %bb.6718:                             ;   in Loop: Header=BB2_6264 Depth=3
	v_or_b32_e32 v88, 0x7f, v9
                                        ; implicit-def: $vgpr8
; %bb.6719:                             ;   in Loop: Header=BB2_6264 Depth=3
	s_and_not1_saveexec_b32 s42, s42
; %bb.6720:                             ;   in Loop: Header=BB2_6264 Depth=3
	v_cmp_lt_i32_e32 vcc_lo, -1, v8
	v_cndmask_b32_e32 v88, 0xfc, v120, vcc_lo
; %bb.6721:                             ;   in Loop: Header=BB2_6264 Depth=3
	s_or_b32 exec_lo, exec_lo, s42
.LBB2_6722:                             ;   in Loop: Header=BB2_6264 Depth=3
	s_delay_alu instid0(SALU_CYCLE_1)
	s_or_b32 exec_lo, exec_lo, s14
	v_mov_b32_e32 v8, 0
	s_mov_b32 s14, exec_lo
	v_cmpx_lt_u64_e64 s[22:23], v[10:11]
	s_cbranch_execz .LBB2_6732
; %bb.6723:                             ;   in Loop: Header=BB2_6264 Depth=3
	v_lshrrev_b32_e32 v2, 24, v11
	v_bfrev_b32_e32 v8, 1
	s_mov_b32 s42, exec_lo
	s_delay_alu instid0(VALU_DEP_2)
	v_cmpx_ne_u32_e32 0x80, v2
	s_cbranch_execz .LBB2_6731
; %bb.6724:                             ;   in Loop: Header=BB2_6264 Depth=3
	v_and_b32_e32 v8, 0x7c000000, v11
	v_bfe_u32 v9, v11, 24, 2
	s_delay_alu instid0(VALU_DEP_2) | instskip(SKIP_1) | instid1(SALU_CYCLE_1)
	v_cmp_ne_u32_e32 vcc_lo, 0x7c000000, v8
                                        ; implicit-def: $vgpr8
	s_and_saveexec_b32 s43, vcc_lo
	s_xor_b32 s43, exec_lo, s43
	s_cbranch_execz .LBB2_6728
; %bb.6725:                             ;   in Loop: Header=BB2_6264 Depth=3
	v_bfe_u32 v8, v11, 26, 5
	s_mov_b32 s78, exec_lo
	s_delay_alu instid0(VALU_DEP_1)
	v_cmpx_eq_u32_e32 0, v8
; %bb.6726:                             ;   in Loop: Header=BB2_6264 Depth=3
	v_clz_i32_u32_e32 v8, v9
	s_delay_alu instid0(VALU_DEP_1) | instskip(NEXT) | instid1(VALU_DEP_1)
	v_min_u32_e32 v8, 32, v8
	v_subrev_nc_u32_e32 v9, 29, v8
	s_delay_alu instid0(VALU_DEP_1) | instskip(NEXT) | instid1(VALU_DEP_1)
	v_lshlrev_b64_e32 v[18:19], v9, v[2:3]
	v_dual_sub_nc_u32 v8, 30, v8 :: v_dual_bitop2_b32 v9, 3, v18 bitop3:0x40
; %bb.6727:                             ;   in Loop: Header=BB2_6264 Depth=3
	s_or_b32 exec_lo, exec_lo, s78
	v_and_b32_e32 v2, 0x80000000, v11
                                        ; implicit-def: $vgpr10_vgpr11
	s_delay_alu instid0(VALU_DEP_1) | instskip(NEXT) | instid1(VALU_DEP_1)
	v_lshl_add_u32 v2, v8, 23, v2
	v_lshl_or_b32 v2, v9, 21, v2
                                        ; implicit-def: $vgpr9
	s_delay_alu instid0(VALU_DEP_1)
	v_add_nc_u32_e32 v8, 0x38000000, v2
.LBB2_6728:                             ;   in Loop: Header=BB2_6264 Depth=3
	s_and_not1_saveexec_b32 s43, s43
; %bb.6729:                             ;   in Loop: Header=BB2_6264 Depth=3
	v_cmp_lt_i64_e32 vcc_lo, -1, v[10:11]
	v_cndmask_b32_e32 v2, 0xff800000, v111, vcc_lo
	v_cmp_eq_u32_e32 vcc_lo, 0, v9
	s_delay_alu instid0(VALU_DEP_2)
	v_cndmask_b32_e32 v8, 0x7f800001, v2, vcc_lo
; %bb.6730:                             ;   in Loop: Header=BB2_6264 Depth=3
	s_or_b32 exec_lo, exec_lo, s43
.LBB2_6731:                             ;   in Loop: Header=BB2_6264 Depth=3
	s_delay_alu instid0(SALU_CYCLE_1)
	s_or_b32 exec_lo, exec_lo, s42
.LBB2_6732:                             ;   in Loop: Header=BB2_6264 Depth=3
	s_delay_alu instid0(SALU_CYCLE_1) | instskip(NEXT) | instid1(VALU_DEP_1)
	s_or_b32 exec_lo, exec_lo, s14
	v_dual_mul_f32 v8, s15, v8 :: v_dual_mov_b32 v11, v3
                                        ; implicit-def: $vgpr90
	s_mov_b32 s14, exec_lo
	s_delay_alu instid0(VALU_DEP_1) | instskip(SKIP_2) | instid1(VALU_DEP_3)
	v_and_b32_e32 v10, 0x7f800000, v8
	v_and_b32_e32 v2, 0x7fffff, v8
	v_lshrrev_b32_e32 v9, 24, v8
	v_cmpx_ne_u64_e32 0x7f800000, v[10:11]
	s_xor_b32 s15, exec_lo, s14
	s_cbranch_execz .LBB2_6746
; %bb.6733:                             ;   in Loop: Header=BB2_6264 Depth=3
	v_and_b32_e32 v10, 0x7fffffff, v8
	v_mov_b32_e32 v11, v3
	v_and_b32_e32 v56, 0x80, v9
                                        ; implicit-def: $vgpr90
	s_mov_b32 s14, exec_lo
	s_delay_alu instid0(VALU_DEP_2)
	v_cmpx_gt_u64_e32 0x47600001, v[10:11]
	s_xor_b32 s42, exec_lo, s14
	s_cbranch_execz .LBB2_6743
; %bb.6734:                             ;   in Loop: Header=BB2_6264 Depth=3
	v_mov_b32_e32 v90, 0
	s_mov_b32 s43, exec_lo
	v_cmpx_ne_u32_e32 0, v8
	s_cbranch_execz .LBB2_6742
; %bb.6735:                             ;   in Loop: Header=BB2_6264 Depth=3
	v_bfe_u32 v57, v8, 23, 8
	v_or_b32_e32 v10, 0x800000, v2
	s_mov_b32 s78, exec_lo
	s_delay_alu instid0(VALU_DEP_2) | instskip(SKIP_1) | instid1(VALU_DEP_2)
	v_dual_mov_b32 v11, v3 :: v_dual_sub_nc_u32 v8, 0x71, v57
	v_cmp_gt_u32_e32 vcc_lo, 0x72, v57
	v_cndmask_b32_e32 v8, 0, v8, vcc_lo
	v_cmp_eq_u32_e32 vcc_lo, 0, v57
	s_delay_alu instid0(VALU_DEP_2) | instskip(SKIP_1) | instid1(VALU_DEP_2)
	v_cndmask_b32_e64 v58, v8, 0x70, vcc_lo
	v_cndmask_b32_e32 v10, v10, v2, vcc_lo
	v_dual_add_nc_u32 v8, 21, v58 :: v_dual_add_nc_u32 v18, 20, v58
	s_delay_alu instid0(VALU_DEP_1) | instskip(NEXT) | instid1(VALU_DEP_2)
	v_lshlrev_b64_e64 v[8:9], v8, -1
	v_lshlrev_b64_e64 v[18:19], v18, 1
	s_delay_alu instid0(VALU_DEP_2) | instskip(NEXT) | instid1(VALU_DEP_3)
	v_bfi_b32 v105, v9, 0, 0
	v_bfi_b32 v104, v8, 0, v10
	v_lshrrev_b64 v[8:9], v58, v[10:11]
	s_delay_alu instid0(VALU_DEP_1) | instskip(NEXT) | instid1(VALU_DEP_3)
	v_mov_b64_e32 v[10:11], v[8:9]
	v_cmpx_eq_u64_e64 v[104:105], v[18:19]
; %bb.6736:                             ;   in Loop: Header=BB2_6264 Depth=3
	v_bfe_u32 v10, v8, 21, 1
	v_mov_b32_e32 v11, v3
	s_delay_alu instid0(VALU_DEP_1) | instskip(NEXT) | instid1(VALU_DEP_1)
	v_add_nc_u64_e32 v[10:11], v[8:9], v[10:11]
	v_add_nc_u64_e32 v[10:11], -1, v[10:11]
; %bb.6737:                             ;   in Loop: Header=BB2_6264 Depth=3
	s_or_b32 exec_lo, exec_lo, s78
	v_add_nc_u32_e32 v2, 0xffffff81, v57
	s_delay_alu instid0(VALU_DEP_2) | instskip(SKIP_2) | instid1(VALU_DEP_3)
	v_and_b32_e32 v10, 0x1fffff, v10
	v_lshrrev_b32_e32 v9, 23, v8
	s_mov_b32 s14, exec_lo
	v_cndmask_b32_e64 v2, v2, 0xffffff82, vcc_lo
	s_delay_alu instid0(VALU_DEP_1) | instskip(SKIP_1) | instid1(VALU_DEP_2)
	v_add3_u32 v11, v58, v2, v9
	v_add_nc_u32_e32 v2, v10, v8
                                        ; implicit-def: $vgpr8_vgpr9
                                        ; implicit-def: $vgpr10
	v_add_nc_u32_e32 v57, 14, v11
	s_delay_alu instid0(VALU_DEP_1)
	v_cmpx_ne_u32_e32 0, v57
	s_xor_b32 s14, exec_lo, s14
; %bb.6738:                             ;   in Loop: Header=BB2_6264 Depth=3
	s_delay_alu instid0(VALU_DEP_3) | instskip(SKIP_1) | instid1(VALU_DEP_1)
	v_cmp_lt_u64_e32 vcc_lo, 0xffffff, v[2:3]
	v_add_nc_u32_e32 v8, 15, v11
	v_cndmask_b32_e32 v10, v57, v8, vcc_lo
	v_cndmask_b32_e64 v8, 0, 1, vcc_lo
	s_delay_alu instid0(VALU_DEP_1)
	v_lshrrev_b64 v[8:9], v8, v[2:3]
; %bb.6739:                             ;   in Loop: Header=BB2_6264 Depth=3
	s_and_not1_saveexec_b32 s14, s14
; %bb.6740:                             ;   in Loop: Header=BB2_6264 Depth=3
	v_mov_b64_e32 v[8:9], v[2:3]
	v_bfe_u32 v10, v2, 23, 1
; %bb.6741:                             ;   in Loop: Header=BB2_6264 Depth=3
	s_or_b32 exec_lo, exec_lo, s14
	s_delay_alu instid0(VALU_DEP_2) | instskip(NEXT) | instid1(VALU_DEP_2)
	v_lshrrev_b64 v[8:9], 21, v[8:9]
	v_cmp_gt_i32_e32 vcc_lo, 32, v10
	v_min_i32_e32 v2, 31, v10
	v_cmp_eq_u32_e64 s14, 0, v10
	s_delay_alu instid0(VALU_DEP_2) | instskip(SKIP_1) | instid1(VALU_DEP_2)
	v_dual_cndmask_b32 v9, 0, v9 :: v_dual_lshlrev_b32 v2, 2, v2
	v_cndmask_b32_e32 v8, 3, v8, vcc_lo
	v_and_b32_e32 v2, 0xfc, v2
	s_delay_alu instid0(VALU_DEP_2) | instskip(NEXT) | instid1(VALU_DEP_2)
	v_cmp_eq_u64_e32 vcc_lo, 0, v[8:9]
	v_and_or_b32 v2, v8, 3, v2
	s_and_b32 s14, s14, vcc_lo
	s_delay_alu instid0(VALU_DEP_1) | instid1(SALU_CYCLE_1)
	v_cndmask_b32_e64 v2, v2, 0, s14
	s_delay_alu instid0(VALU_DEP_1)
	v_or_b32_e32 v90, v2, v56
.LBB2_6742:                             ;   in Loop: Header=BB2_6264 Depth=3
	s_or_b32 exec_lo, exec_lo, s43
                                        ; implicit-def: $vgpr56
.LBB2_6743:                             ;   in Loop: Header=BB2_6264 Depth=3
	s_and_not1_saveexec_b32 s14, s42
; %bb.6744:                             ;   in Loop: Header=BB2_6264 Depth=3
	v_or_b32_e32 v90, 0x7b, v56
; %bb.6745:                             ;   in Loop: Header=BB2_6264 Depth=3
	s_or_b32 exec_lo, exec_lo, s14
                                        ; implicit-def: $vgpr8
                                        ; implicit-def: $vgpr9
.LBB2_6746:                             ;   in Loop: Header=BB2_6264 Depth=3
	s_and_not1_saveexec_b32 s14, s15
	s_cbranch_execz .LBB2_6752
; %bb.6747:                             ;   in Loop: Header=BB2_6264 Depth=3
	s_mov_b32 s15, exec_lo
                                        ; implicit-def: $vgpr90
	v_cmpx_ne_u64_e32 0, v[2:3]
	s_xor_b32 s15, exec_lo, s15
; %bb.6748:                             ;   in Loop: Header=BB2_6264 Depth=3
	v_or_b32_e32 v90, 0x7f, v9
                                        ; implicit-def: $vgpr8
; %bb.6749:                             ;   in Loop: Header=BB2_6264 Depth=3
	s_and_not1_saveexec_b32 s15, s15
; %bb.6750:                             ;   in Loop: Header=BB2_6264 Depth=3
	v_cmp_lt_i32_e32 vcc_lo, -1, v8
	v_cndmask_b32_e32 v90, 0xfc, v120, vcc_lo
; %bb.6751:                             ;   in Loop: Header=BB2_6264 Depth=3
	s_or_b32 exec_lo, exec_lo, s15
.LBB2_6752:                             ;   in Loop: Header=BB2_6264 Depth=3
	s_delay_alu instid0(SALU_CYCLE_1)
	s_or_b32 exec_lo, exec_lo, s14
	global_load_b128 v[8:11], v[46:47], off th:TH_LOAD_NT
	v_lshl_or_b32 v30, v30, 8, v16
	v_dual_lshlrev_b32 v2, 16, v76 :: v_dual_lshlrev_b32 v18, 24, v79
	v_mov_b32_e32 v56, 0
	s_mov_b32 s14, exec_lo
	s_delay_alu instid0(VALU_DEP_2)
	v_or3_b32 v2, v2, v18, v30
	s_wait_xcnt 0x0
	v_cmpx_ne_u32_e32 0, v16
	s_cbranch_execz .LBB2_6762
; %bb.6753:                             ;   in Loop: Header=BB2_6264 Depth=3
	v_bfrev_b32_e32 v56, 1
	s_mov_b32 s15, exec_lo
	v_cmpx_ne_u32_e32 0x80, v16
	s_cbranch_execz .LBB2_6761
; %bb.6754:                             ;   in Loop: Header=BB2_6264 Depth=3
	v_and_b32_e32 v18, 0x7c, v16
	v_and_b32_e32 v57, 3, v16
	s_mov_b32 s42, exec_lo
                                        ; implicit-def: $vgpr56
	s_delay_alu instid0(VALU_DEP_2)
	v_cmpx_ne_u32_e32 0x7c, v18
	s_xor_b32 s42, exec_lo, s42
	s_cbranch_execz .LBB2_6758
; %bb.6755:                             ;   in Loop: Header=BB2_6264 Depth=3
	v_bfe_u32 v56, v16, 2, 5
	s_mov_b32 s43, exec_lo
	s_delay_alu instid0(VALU_DEP_1)
	v_cmpx_eq_u32_e32 0, v56
; %bb.6756:                             ;   in Loop: Header=BB2_6264 Depth=3
	v_clz_i32_u32_e32 v18, v57
	s_delay_alu instid0(VALU_DEP_1) | instskip(NEXT) | instid1(VALU_DEP_1)
	v_min_u32_e32 v56, 32, v18
	v_subrev_nc_u32_e32 v18, 29, v56
	s_delay_alu instid0(VALU_DEP_1) | instskip(NEXT) | instid1(VALU_DEP_1)
	v_lshlrev_b64_e32 v[18:19], v18, v[2:3]
	v_dual_sub_nc_u32 v56, 30, v56 :: v_dual_bitop2_b32 v57, 3, v18 bitop3:0x40
; %bb.6757:                             ;   in Loop: Header=BB2_6264 Depth=3
	s_or_b32 exec_lo, exec_lo, s43
	v_lshlrev_b32_e32 v16, 24, v16
	s_delay_alu instid0(VALU_DEP_1) | instskip(NEXT) | instid1(VALU_DEP_1)
	v_and_b32_e32 v16, 0x80000000, v16
	v_lshl_add_u32 v16, v56, 23, v16
	s_delay_alu instid0(VALU_DEP_1) | instskip(NEXT) | instid1(VALU_DEP_1)
	v_lshl_or_b32 v16, v57, 21, v16
                                        ; implicit-def: $vgpr57
	v_add_nc_u32_e32 v56, 0x38000000, v16
                                        ; implicit-def: $vgpr16
.LBB2_6758:                             ;   in Loop: Header=BB2_6264 Depth=3
	s_and_not1_saveexec_b32 s42, s42
; %bb.6759:                             ;   in Loop: Header=BB2_6264 Depth=3
	v_and_b32_e32 v16, 0x80, v16
	s_delay_alu instid0(VALU_DEP_1) | instskip(SKIP_2) | instid1(VALU_DEP_2)
	v_cmp_eq_u32_e32 vcc_lo, 0, v16
	v_cndmask_b32_e32 v16, 0xff800000, v111, vcc_lo
	v_cmp_eq_u32_e32 vcc_lo, 0, v57
	v_cndmask_b32_e32 v56, 0x7f800001, v16, vcc_lo
; %bb.6760:                             ;   in Loop: Header=BB2_6264 Depth=3
	s_or_b32 exec_lo, exec_lo, s42
.LBB2_6761:                             ;   in Loop: Header=BB2_6264 Depth=3
	s_delay_alu instid0(SALU_CYCLE_1)
	s_or_b32 exec_lo, exec_lo, s15
.LBB2_6762:                             ;   in Loop: Header=BB2_6264 Depth=3
	s_delay_alu instid0(SALU_CYCLE_1) | instskip(SKIP_4) | instid1(VALU_DEP_1)
	s_or_b32 exec_lo, exec_lo, s14
	s_wait_loadcnt 0x0
	v_and_b32_e32 v57, 0xff, v8
	s_mov_b32 s15, 0
	s_mov_b32 s14, exec_lo
	v_cmpx_lt_i16_e32 0x7f, v57
	s_xor_b32 s14, exec_lo, s14
	s_cbranch_execz .LBB2_7307
; %bb.6763:                             ;   in Loop: Header=BB2_6264 Depth=3
	s_mov_b32 s15, -1
	s_mov_b32 s42, exec_lo
	v_cmpx_eq_u16_e32 0x80, v57
; %bb.6764:                             ;   in Loop: Header=BB2_6264 Depth=3
	s_xor_b32 s15, exec_lo, -1
; %bb.6765:                             ;   in Loop: Header=BB2_6264 Depth=3
	s_or_b32 exec_lo, exec_lo, s42
	s_delay_alu instid0(SALU_CYCLE_1)
	s_and_b32 s15, s15, exec_lo
                                        ; implicit-def: $vgpr57
	s_or_saveexec_b32 s14, s14
	v_bfrev_b32_e32 v16, 1
	s_xor_b32 exec_lo, exec_lo, s14
	s_cbranch_execnz .LBB2_7308
.LBB2_6766:                             ;   in Loop: Header=BB2_6264 Depth=3
	s_or_b32 exec_lo, exec_lo, s14
	s_and_saveexec_b32 s14, s15
	s_cbranch_execz .LBB2_6768
.LBB2_6767:                             ;   in Loop: Header=BB2_6264 Depth=3
	v_and_b32_e32 v16, 3, v8
	v_bfe_u32 v58, v8, 2, 5
	s_delay_alu instid0(VALU_DEP_2) | instskip(NEXT) | instid1(VALU_DEP_2)
	v_clz_i32_u32_e32 v18, v16
	v_cmp_eq_u32_e32 vcc_lo, 0, v58
	s_delay_alu instid0(VALU_DEP_2) | instskip(NEXT) | instid1(VALU_DEP_1)
	v_min_u32_e32 v57, 32, v18
	v_subrev_nc_u32_e32 v18, 29, v57
	s_delay_alu instid0(VALU_DEP_1) | instskip(SKIP_1) | instid1(VALU_DEP_1)
	v_lshlrev_b64_e32 v[18:19], v18, v[8:9]
	v_dual_lshlrev_b32 v19, 24, v8 :: v_dual_sub_nc_u32 v57, 30, v57
	v_and_b32_e32 v19, 0x80000000, v19
	s_delay_alu instid0(VALU_DEP_2) | instskip(SKIP_1) | instid1(VALU_DEP_2)
	v_dual_cndmask_b32 v57, v58, v57, vcc_lo :: v_dual_bitop2_b32 v18, 3, v18 bitop3:0x40
	v_bfe_i32 v58, v8, 0, 8
	v_cndmask_b32_e32 v18, v16, v18, vcc_lo
	s_delay_alu instid0(VALU_DEP_3) | instskip(NEXT) | instid1(VALU_DEP_3)
	v_lshl_add_u32 v19, v57, 23, v19
	v_cmp_lt_i16_e32 vcc_lo, -1, v58
	s_delay_alu instid0(VALU_DEP_2) | instskip(SKIP_3) | instid1(VALU_DEP_4)
	v_lshl_or_b32 v18, v18, 21, v19
	v_cndmask_b32_e32 v57, 0xff800000, v111, vcc_lo
	v_and_b32_e32 v19, 0x7c, v8
	v_cmp_eq_u32_e32 vcc_lo, 0, v16
	v_add_nc_u32_e32 v18, 0x38000000, v18
	s_delay_alu instid0(VALU_DEP_4) | instskip(NEXT) | instid1(VALU_DEP_4)
	v_cndmask_b32_e32 v16, 0x7f800001, v57, vcc_lo
	v_cmp_eq_u32_e32 vcc_lo, 0x7c, v19
	s_delay_alu instid0(VALU_DEP_2)
	v_cndmask_b32_e32 v16, v18, v16, vcc_lo
.LBB2_6768:                             ;   in Loop: Header=BB2_6264 Depth=3
	s_or_b32 exec_lo, exec_lo, s14
	s_delay_alu instid0(VALU_DEP_1) | instskip(SKIP_2) | instid1(VALU_DEP_2)
	v_dual_add_f32 v58, v56, v16 :: v_dual_mov_b32 v19, v3
	v_mov_b32_e32 v57, v3
                                        ; implicit-def: $vgpr16
	s_mov_b32 s14, exec_lo
	v_and_b32_e32 v18, 0x7f800000, v58
	v_and_b32_e32 v56, 0x7fffff, v58
	v_lshrrev_b32_e32 v59, 24, v58
	s_delay_alu instid0(VALU_DEP_3)
	v_cmpx_ne_u64_e32 0x7f800000, v[18:19]
	s_xor_b32 s15, exec_lo, s14
	s_cbranch_execz .LBB2_6782
; %bb.6769:                             ;   in Loop: Header=BB2_6264 Depth=3
	v_and_b32_e32 v18, 0x7fffffff, v58
	v_mov_b32_e32 v19, v3
	v_and_b32_e32 v76, 0x80, v59
                                        ; implicit-def: $vgpr16
	s_mov_b32 s14, exec_lo
	s_delay_alu instid0(VALU_DEP_2)
	v_cmpx_gt_u64_e32 0x47600001, v[18:19]
	s_xor_b32 s42, exec_lo, s14
	s_cbranch_execz .LBB2_6779
; %bb.6770:                             ;   in Loop: Header=BB2_6264 Depth=3
	v_mov_b32_e32 v16, 0
	s_mov_b32 s43, exec_lo
	v_cmpx_ne_u32_e32 0, v58
	s_cbranch_execz .LBB2_6778
; %bb.6771:                             ;   in Loop: Header=BB2_6264 Depth=3
	v_bfe_u32 v16, v58, 23, 8
	v_or_b32_e32 v58, 0x800000, v56
	s_delay_alu instid0(VALU_DEP_2) | instskip(SKIP_1) | instid1(VALU_DEP_2)
	v_sub_nc_u32_e32 v18, 0x71, v16
	v_cmp_gt_u32_e32 vcc_lo, 0x72, v16
	v_cndmask_b32_e32 v18, 0, v18, vcc_lo
	v_cmp_eq_u32_e32 vcc_lo, 0, v16
	s_delay_alu instid0(VALU_DEP_2) | instskip(NEXT) | instid1(VALU_DEP_1)
	v_cndmask_b32_e64 v79, v18, 0x70, vcc_lo
	v_dual_cndmask_b32 v56, v58, v56, vcc_lo :: v_dual_add_nc_u32 v18, 21, v79
	v_add_nc_u32_e32 v59, 20, v79
	s_delay_alu instid0(VALU_DEP_2) | instskip(NEXT) | instid1(VALU_DEP_2)
	v_lshlrev_b64_e64 v[18:19], v18, -1
	v_lshlrev_b64_e64 v[58:59], v59, 1
	s_delay_alu instid0(VALU_DEP_2) | instskip(SKIP_1) | instid1(VALU_DEP_4)
	v_bfi_b32 v18, v18, 0, v56
	v_lshrrev_b64 v[56:57], v79, v[56:57]
	v_bfi_b32 v19, v19, 0, 0
	s_delay_alu instid0(VALU_DEP_1) | instskip(NEXT) | instid1(VALU_DEP_3)
	v_cmp_eq_u64_e64 s14, v[18:19], v[58:59]
	v_mov_b64_e32 v[58:59], v[56:57]
	s_and_saveexec_b32 s78, s14
; %bb.6772:                             ;   in Loop: Header=BB2_6264 Depth=3
	v_bfe_u32 v18, v56, 21, 1
	v_mov_b32_e32 v19, v3
	s_delay_alu instid0(VALU_DEP_1) | instskip(NEXT) | instid1(VALU_DEP_1)
	v_add_nc_u64_e32 v[18:19], v[56:57], v[18:19]
	v_add_nc_u64_e32 v[58:59], -1, v[18:19]
; %bb.6773:                             ;   in Loop: Header=BB2_6264 Depth=3
	s_or_b32 exec_lo, exec_lo, s78
	v_dual_mov_b32 v57, v3 :: v_dual_add_nc_u32 v16, 0xffffff81, v16
	v_lshrrev_b32_e32 v18, 23, v56
	s_mov_b32 s14, exec_lo
	s_delay_alu instid0(VALU_DEP_2) | instskip(NEXT) | instid1(VALU_DEP_1)
	v_cndmask_b32_e64 v16, v16, 0xffffff82, vcc_lo
	v_add3_u32 v59, v79, v16, v18
	v_and_b32_e32 v16, 0x1fffff, v58
	s_delay_alu instid0(VALU_DEP_1) | instskip(NEXT) | instid1(VALU_DEP_1)
	v_dual_add_nc_u32 v58, 14, v59 :: v_dual_add_nc_u32 v56, v16, v56
                                        ; implicit-def: $vgpr16
	v_cmpx_ne_u32_e32 0, v58
	s_xor_b32 s14, exec_lo, s14
; %bb.6774:                             ;   in Loop: Header=BB2_6264 Depth=3
	s_delay_alu instid0(VALU_DEP_2) | instskip(SKIP_2) | instid1(VALU_DEP_2)
	v_cmp_lt_u64_e32 vcc_lo, 0xffffff, v[56:57]
	v_add_nc_u32_e32 v16, 15, v59
	v_cndmask_b32_e64 v18, 0, 1, vcc_lo
	v_cndmask_b32_e32 v16, v58, v16, vcc_lo
	s_delay_alu instid0(VALU_DEP_2)
	v_lshrrev_b64 v[56:57], v18, v[56:57]
; %bb.6775:                             ;   in Loop: Header=BB2_6264 Depth=3
	s_and_not1_saveexec_b32 s14, s14
; %bb.6776:                             ;   in Loop: Header=BB2_6264 Depth=3
	s_delay_alu instid0(VALU_DEP_1)
	v_bfe_u32 v16, v56, 23, 1
; %bb.6777:                             ;   in Loop: Header=BB2_6264 Depth=3
	s_or_b32 exec_lo, exec_lo, s14
	s_delay_alu instid0(VALU_DEP_2) | instskip(NEXT) | instid1(VALU_DEP_2)
	v_lshrrev_b64 v[18:19], 21, v[56:57]
	v_cmp_gt_i32_e32 vcc_lo, 32, v16
	v_min_i32_e32 v56, 31, v16
	v_cmp_eq_u32_e64 s14, 0, v16
	s_delay_alu instid0(VALU_DEP_2) | instskip(SKIP_1) | instid1(VALU_DEP_2)
	v_dual_cndmask_b32 v19, 0, v19 :: v_dual_lshlrev_b32 v56, 2, v56
	v_cndmask_b32_e32 v18, 3, v18, vcc_lo
	v_and_b32_e32 v56, 0xfc, v56
	s_delay_alu instid0(VALU_DEP_2) | instskip(NEXT) | instid1(VALU_DEP_2)
	v_cmp_eq_u64_e32 vcc_lo, 0, v[18:19]
	v_and_or_b32 v16, v18, 3, v56
	s_and_b32 s14, s14, vcc_lo
	s_delay_alu instid0(VALU_DEP_1) | instid1(SALU_CYCLE_1)
	v_cndmask_b32_e64 v16, v16, 0, s14
	s_delay_alu instid0(VALU_DEP_1)
	v_or_b32_e32 v16, v16, v76
.LBB2_6778:                             ;   in Loop: Header=BB2_6264 Depth=3
	s_or_b32 exec_lo, exec_lo, s43
                                        ; implicit-def: $vgpr76
.LBB2_6779:                             ;   in Loop: Header=BB2_6264 Depth=3
	s_and_not1_saveexec_b32 s14, s42
; %bb.6780:                             ;   in Loop: Header=BB2_6264 Depth=3
	v_or_b32_e32 v16, 0x7b, v76
; %bb.6781:                             ;   in Loop: Header=BB2_6264 Depth=3
	s_or_b32 exec_lo, exec_lo, s14
                                        ; implicit-def: $vgpr58
                                        ; implicit-def: $vgpr56_vgpr57
                                        ; implicit-def: $vgpr59
.LBB2_6782:                             ;   in Loop: Header=BB2_6264 Depth=3
	s_and_not1_saveexec_b32 s14, s15
	s_cbranch_execz .LBB2_6788
; %bb.6783:                             ;   in Loop: Header=BB2_6264 Depth=3
	s_mov_b32 s15, exec_lo
                                        ; implicit-def: $vgpr16
	v_cmpx_ne_u64_e32 0, v[56:57]
	s_xor_b32 s15, exec_lo, s15
; %bb.6784:                             ;   in Loop: Header=BB2_6264 Depth=3
	v_or_b32_e32 v16, 0x7f, v59
                                        ; implicit-def: $vgpr58
; %bb.6785:                             ;   in Loop: Header=BB2_6264 Depth=3
	s_and_not1_saveexec_b32 s15, s15
; %bb.6786:                             ;   in Loop: Header=BB2_6264 Depth=3
	v_cmp_lt_i32_e32 vcc_lo, -1, v58
	v_cndmask_b32_e32 v16, 0xfc, v120, vcc_lo
; %bb.6787:                             ;   in Loop: Header=BB2_6264 Depth=3
	s_or_b32 exec_lo, exec_lo, s15
.LBB2_6788:                             ;   in Loop: Header=BB2_6264 Depth=3
	s_delay_alu instid0(SALU_CYCLE_1) | instskip(SKIP_3) | instid1(VALU_DEP_2)
	s_or_b32 exec_lo, exec_lo, s14
	v_lshrrev_b16 v56, 8, v30
	v_mov_b32_e32 v58, 0
	s_mov_b32 s14, exec_lo
	v_cmpx_ne_u16_e32 0, v56
	s_cbranch_execz .LBB2_6798
; %bb.6789:                             ;   in Loop: Header=BB2_6264 Depth=3
	v_bfrev_b32_e32 v58, 1
	s_mov_b32 s15, exec_lo
	v_cmpx_ne_u16_e32 0x80, v56
	s_cbranch_execz .LBB2_6797
; %bb.6790:                             ;   in Loop: Header=BB2_6264 Depth=3
	v_and_b32_e32 v59, 0xffff, v56
	s_mov_b32 s42, exec_lo
                                        ; implicit-def: $vgpr58
	s_delay_alu instid0(VALU_DEP_1) | instskip(SKIP_1) | instid1(VALU_DEP_2)
	v_and_b32_e32 v18, 0x7c, v59
	v_and_b32_e32 v57, 3, v59
	v_cmpx_ne_u32_e32 0x7c, v18
	s_xor_b32 s42, exec_lo, s42
	s_cbranch_execz .LBB2_6794
; %bb.6791:                             ;   in Loop: Header=BB2_6264 Depth=3
	v_bfe_u32 v58, v59, 2, 5
	s_mov_b32 s43, exec_lo
	s_delay_alu instid0(VALU_DEP_1)
	v_cmpx_eq_u32_e32 0, v58
	s_cbranch_execz .LBB2_6793
; %bb.6792:                             ;   in Loop: Header=BB2_6264 Depth=3
	v_clz_i32_u32_e32 v18, v57
	s_delay_alu instid0(VALU_DEP_1) | instskip(SKIP_1) | instid1(VALU_DEP_2)
	v_min_u32_e32 v58, 32, v18
	v_mov_b32_e32 v57, v3
	v_subrev_nc_u32_e32 v18, 29, v58
	v_sub_nc_u32_e32 v58, 30, v58
	s_delay_alu instid0(VALU_DEP_2) | instskip(NEXT) | instid1(VALU_DEP_1)
	v_lshlrev_b64_e32 v[18:19], v18, v[56:57]
	v_and_b32_e32 v57, 3, v18
.LBB2_6793:                             ;   in Loop: Header=BB2_6264 Depth=3
	s_or_b32 exec_lo, exec_lo, s43
	v_lshlrev_b32_e32 v18, 16, v30
                                        ; implicit-def: $vgpr30
	s_delay_alu instid0(VALU_DEP_1) | instskip(NEXT) | instid1(VALU_DEP_1)
	v_and_b32_e32 v18, 0x80000000, v18
	v_lshl_add_u32 v18, v58, 23, v18
	s_delay_alu instid0(VALU_DEP_1) | instskip(NEXT) | instid1(VALU_DEP_1)
	v_lshl_or_b32 v18, v57, 21, v18
                                        ; implicit-def: $vgpr57
	v_add_nc_u32_e32 v58, 0x38000000, v18
.LBB2_6794:                             ;   in Loop: Header=BB2_6264 Depth=3
	s_and_not1_saveexec_b32 s42, s42
; %bb.6795:                             ;   in Loop: Header=BB2_6264 Depth=3
	v_cmp_lt_i16_e32 vcc_lo, -1, v30
	v_cndmask_b32_e32 v18, 0xff800000, v111, vcc_lo
	v_cmp_eq_u32_e32 vcc_lo, 0, v57
	s_delay_alu instid0(VALU_DEP_2)
	v_cndmask_b32_e32 v58, 0x7f800001, v18, vcc_lo
; %bb.6796:                             ;   in Loop: Header=BB2_6264 Depth=3
	s_or_b32 exec_lo, exec_lo, s42
.LBB2_6797:                             ;   in Loop: Header=BB2_6264 Depth=3
	s_delay_alu instid0(SALU_CYCLE_1)
	s_or_b32 exec_lo, exec_lo, s15
.LBB2_6798:                             ;   in Loop: Header=BB2_6264 Depth=3
	s_delay_alu instid0(SALU_CYCLE_1) | instskip(SKIP_3) | instid1(VALU_DEP_1)
	s_or_b32 exec_lo, exec_lo, s14
	v_lshrrev_b16 v56, 8, v8
	s_mov_b32 s15, 0
	s_mov_b32 s14, exec_lo
	v_cmpx_lt_i16_e32 0x7f, v56
	s_xor_b32 s14, exec_lo, s14
	s_cbranch_execz .LBB2_7309
; %bb.6799:                             ;   in Loop: Header=BB2_6264 Depth=3
	s_mov_b32 s15, -1
	s_mov_b32 s42, exec_lo
	v_cmpx_eq_u16_e32 0x80, v56
; %bb.6800:                             ;   in Loop: Header=BB2_6264 Depth=3
	s_xor_b32 s15, exec_lo, -1
; %bb.6801:                             ;   in Loop: Header=BB2_6264 Depth=3
	s_or_b32 exec_lo, exec_lo, s42
	s_delay_alu instid0(SALU_CYCLE_1)
	s_and_b32 s15, s15, exec_lo
	s_or_saveexec_b32 s14, s14
	v_bfrev_b32_e32 v30, 1
	s_xor_b32 exec_lo, exec_lo, s14
	s_cbranch_execnz .LBB2_7310
.LBB2_6802:                             ;   in Loop: Header=BB2_6264 Depth=3
	s_or_b32 exec_lo, exec_lo, s14
	s_and_saveexec_b32 s14, s15
	s_cbranch_execz .LBB2_6804
.LBB2_6803:                             ;   in Loop: Header=BB2_6264 Depth=3
	v_and_b32_e32 v30, 0xffff, v56
	s_delay_alu instid0(VALU_DEP_1) | instskip(NEXT) | instid1(VALU_DEP_1)
	v_dual_mov_b32 v57, v3 :: v_dual_bitop2_b32 v59, 3, v30 bitop3:0x40
	v_clz_i32_u32_e32 v18, v59
	s_delay_alu instid0(VALU_DEP_1) | instskip(NEXT) | instid1(VALU_DEP_1)
	v_min_u32_e32 v76, 32, v18
	v_subrev_nc_u32_e32 v18, 29, v76
	s_delay_alu instid0(VALU_DEP_1) | instskip(SKIP_2) | instid1(VALU_DEP_1)
	v_lshlrev_b64_e32 v[18:19], v18, v[56:57]
	v_lshlrev_b32_e32 v19, 24, v56
	v_bfe_u32 v56, v30, 2, 5
	v_cmp_eq_u32_e32 vcc_lo, 0, v56
	s_delay_alu instid0(VALU_DEP_4) | instskip(NEXT) | instid1(VALU_DEP_4)
	v_dual_sub_nc_u32 v57, 30, v76 :: v_dual_bitop2_b32 v18, 3, v18 bitop3:0x40
	v_and_b32_e32 v19, 0x80000000, v19
	s_delay_alu instid0(VALU_DEP_2) | instskip(SKIP_1) | instid1(VALU_DEP_2)
	v_dual_cndmask_b32 v18, v59, v18, vcc_lo :: v_dual_cndmask_b32 v56, v56, v57, vcc_lo
	v_cmp_lt_i16_e32 vcc_lo, -1, v8
	v_lshl_add_u32 v19, v56, 23, v19
	v_cndmask_b32_e32 v56, 0xff800000, v111, vcc_lo
	v_cmp_eq_u32_e32 vcc_lo, 0, v59
	s_delay_alu instid0(VALU_DEP_3) | instskip(SKIP_1) | instid1(VALU_DEP_4)
	v_lshl_or_b32 v18, v18, 21, v19
	v_and_b32_e32 v19, 0x7c, v30
	v_cndmask_b32_e32 v30, 0x7f800001, v56, vcc_lo
	s_delay_alu instid0(VALU_DEP_3) | instskip(NEXT) | instid1(VALU_DEP_3)
	v_add_nc_u32_e32 v18, 0x38000000, v18
	v_cmp_eq_u32_e32 vcc_lo, 0x7c, v19
	s_delay_alu instid0(VALU_DEP_2)
	v_cndmask_b32_e32 v30, v18, v30, vcc_lo
.LBB2_6804:                             ;   in Loop: Header=BB2_6264 Depth=3
	s_or_b32 exec_lo, exec_lo, s14
	s_delay_alu instid0(VALU_DEP_1) | instskip(SKIP_2) | instid1(VALU_DEP_2)
	v_dual_add_f32 v58, v58, v30 :: v_dual_mov_b32 v19, v3
	v_mov_b32_e32 v57, v3
                                        ; implicit-def: $vgpr76
	s_mov_b32 s14, exec_lo
	v_and_b32_e32 v18, 0x7f800000, v58
	v_and_b32_e32 v56, 0x7fffff, v58
	v_lshrrev_b32_e32 v30, 24, v58
	s_delay_alu instid0(VALU_DEP_3)
	v_cmpx_ne_u64_e32 0x7f800000, v[18:19]
	s_xor_b32 s15, exec_lo, s14
	s_cbranch_execz .LBB2_6818
; %bb.6805:                             ;   in Loop: Header=BB2_6264 Depth=3
	v_and_b32_e32 v18, 0x7fffffff, v58
	v_mov_b32_e32 v19, v3
	v_and_b32_e32 v30, 0x80, v30
                                        ; implicit-def: $vgpr76
	s_mov_b32 s14, exec_lo
	s_delay_alu instid0(VALU_DEP_2)
	v_cmpx_gt_u64_e32 0x47600001, v[18:19]
	s_xor_b32 s42, exec_lo, s14
	s_cbranch_execz .LBB2_6815
; %bb.6806:                             ;   in Loop: Header=BB2_6264 Depth=3
	v_mov_b32_e32 v76, 0
	s_mov_b32 s43, exec_lo
	v_cmpx_ne_u32_e32 0, v58
	s_cbranch_execz .LBB2_6814
; %bb.6807:                             ;   in Loop: Header=BB2_6264 Depth=3
	v_bfe_u32 v76, v58, 23, 8
	v_or_b32_e32 v58, 0x800000, v56
	s_delay_alu instid0(VALU_DEP_2) | instskip(SKIP_1) | instid1(VALU_DEP_2)
	v_sub_nc_u32_e32 v18, 0x71, v76
	v_cmp_gt_u32_e32 vcc_lo, 0x72, v76
	v_cndmask_b32_e32 v18, 0, v18, vcc_lo
	v_cmp_eq_u32_e32 vcc_lo, 0, v76
	s_delay_alu instid0(VALU_DEP_2) | instskip(NEXT) | instid1(VALU_DEP_1)
	v_cndmask_b32_e64 v79, v18, 0x70, vcc_lo
	v_dual_cndmask_b32 v56, v58, v56, vcc_lo :: v_dual_add_nc_u32 v18, 21, v79
	v_add_nc_u32_e32 v59, 20, v79
	s_delay_alu instid0(VALU_DEP_2) | instskip(NEXT) | instid1(VALU_DEP_2)
	v_lshlrev_b64_e64 v[18:19], v18, -1
	v_lshlrev_b64_e64 v[58:59], v59, 1
	s_delay_alu instid0(VALU_DEP_2) | instskip(SKIP_1) | instid1(VALU_DEP_4)
	v_bfi_b32 v18, v18, 0, v56
	v_lshrrev_b64 v[56:57], v79, v[56:57]
	v_bfi_b32 v19, v19, 0, 0
	s_delay_alu instid0(VALU_DEP_1) | instskip(NEXT) | instid1(VALU_DEP_3)
	v_cmp_eq_u64_e64 s14, v[18:19], v[58:59]
	v_mov_b64_e32 v[58:59], v[56:57]
	s_and_saveexec_b32 s78, s14
; %bb.6808:                             ;   in Loop: Header=BB2_6264 Depth=3
	v_bfe_u32 v18, v56, 21, 1
	v_mov_b32_e32 v19, v3
	s_delay_alu instid0(VALU_DEP_1) | instskip(NEXT) | instid1(VALU_DEP_1)
	v_add_nc_u64_e32 v[18:19], v[56:57], v[18:19]
	v_add_nc_u64_e32 v[58:59], -1, v[18:19]
; %bb.6809:                             ;   in Loop: Header=BB2_6264 Depth=3
	s_or_b32 exec_lo, exec_lo, s78
	v_dual_mov_b32 v57, v3 :: v_dual_add_nc_u32 v18, 0xffffff81, v76
	v_lshrrev_b32_e32 v19, 23, v56
	s_mov_b32 s14, exec_lo
	s_delay_alu instid0(VALU_DEP_2) | instskip(NEXT) | instid1(VALU_DEP_1)
	v_cndmask_b32_e64 v18, v18, 0xffffff82, vcc_lo
	v_add3_u32 v59, v79, v18, v19
	v_and_b32_e32 v18, 0x1fffff, v58
                                        ; implicit-def: $vgpr58
	s_delay_alu instid0(VALU_DEP_1) | instskip(NEXT) | instid1(VALU_DEP_1)
	v_dual_add_nc_u32 v76, 14, v59 :: v_dual_add_nc_u32 v56, v18, v56
	v_cmpx_ne_u32_e32 0, v76
	s_xor_b32 s14, exec_lo, s14
; %bb.6810:                             ;   in Loop: Header=BB2_6264 Depth=3
	s_delay_alu instid0(VALU_DEP_2) | instskip(SKIP_1) | instid1(VALU_DEP_1)
	v_cmp_lt_u64_e32 vcc_lo, 0xffffff, v[56:57]
	v_add_nc_u32_e32 v18, 15, v59
	v_cndmask_b32_e32 v58, v76, v18, vcc_lo
	v_cndmask_b32_e64 v18, 0, 1, vcc_lo
	s_delay_alu instid0(VALU_DEP_1)
	v_lshrrev_b64 v[56:57], v18, v[56:57]
; %bb.6811:                             ;   in Loop: Header=BB2_6264 Depth=3
	s_and_not1_saveexec_b32 s14, s14
; %bb.6812:                             ;   in Loop: Header=BB2_6264 Depth=3
	s_delay_alu instid0(VALU_DEP_1)
	v_bfe_u32 v58, v56, 23, 1
; %bb.6813:                             ;   in Loop: Header=BB2_6264 Depth=3
	s_or_b32 exec_lo, exec_lo, s14
	s_delay_alu instid0(VALU_DEP_2) | instskip(NEXT) | instid1(VALU_DEP_2)
	v_lshrrev_b64 v[18:19], 21, v[56:57]
	v_cmp_gt_i32_e32 vcc_lo, 32, v58
	v_min_i32_e32 v56, 31, v58
	v_cmp_eq_u32_e64 s14, 0, v58
	s_delay_alu instid0(VALU_DEP_2) | instskip(SKIP_1) | instid1(VALU_DEP_2)
	v_dual_cndmask_b32 v19, 0, v19 :: v_dual_lshlrev_b32 v56, 2, v56
	v_cndmask_b32_e32 v18, 3, v18, vcc_lo
	v_and_b32_e32 v56, 0xfc, v56
	s_delay_alu instid0(VALU_DEP_2) | instskip(NEXT) | instid1(VALU_DEP_2)
	v_cmp_eq_u64_e32 vcc_lo, 0, v[18:19]
	v_and_or_b32 v18, v18, 3, v56
	s_and_b32 s14, s14, vcc_lo
	s_delay_alu instid0(VALU_DEP_1) | instid1(SALU_CYCLE_1)
	v_cndmask_b32_e64 v18, v18, 0, s14
	s_delay_alu instid0(VALU_DEP_1)
	v_or_b32_e32 v76, v18, v30
.LBB2_6814:                             ;   in Loop: Header=BB2_6264 Depth=3
	s_or_b32 exec_lo, exec_lo, s43
                                        ; implicit-def: $vgpr30
.LBB2_6815:                             ;   in Loop: Header=BB2_6264 Depth=3
	s_and_not1_saveexec_b32 s14, s42
; %bb.6816:                             ;   in Loop: Header=BB2_6264 Depth=3
	v_or_b32_e32 v76, 0x7b, v30
; %bb.6817:                             ;   in Loop: Header=BB2_6264 Depth=3
	s_or_b32 exec_lo, exec_lo, s14
                                        ; implicit-def: $vgpr58
                                        ; implicit-def: $vgpr56_vgpr57
                                        ; implicit-def: $vgpr30
.LBB2_6818:                             ;   in Loop: Header=BB2_6264 Depth=3
	s_and_not1_saveexec_b32 s14, s15
	s_cbranch_execz .LBB2_6824
; %bb.6819:                             ;   in Loop: Header=BB2_6264 Depth=3
	s_mov_b32 s15, exec_lo
                                        ; implicit-def: $vgpr76
	v_cmpx_ne_u64_e32 0, v[56:57]
	s_xor_b32 s15, exec_lo, s15
; %bb.6820:                             ;   in Loop: Header=BB2_6264 Depth=3
	v_or_b32_e32 v76, 0x7f, v30
                                        ; implicit-def: $vgpr58
; %bb.6821:                             ;   in Loop: Header=BB2_6264 Depth=3
	s_and_not1_saveexec_b32 s15, s15
; %bb.6822:                             ;   in Loop: Header=BB2_6264 Depth=3
	v_cmp_lt_i32_e32 vcc_lo, -1, v58
	v_cndmask_b32_e32 v76, 0xfc, v120, vcc_lo
; %bb.6823:                             ;   in Loop: Header=BB2_6264 Depth=3
	s_or_b32 exec_lo, exec_lo, s15
.LBB2_6824:                             ;   in Loop: Header=BB2_6264 Depth=3
	s_delay_alu instid0(SALU_CYCLE_1) | instskip(SKIP_2) | instid1(VALU_DEP_1)
	s_or_b32 exec_lo, exec_lo, s14
	v_dual_lshrrev_b32 v30, 16, v2 :: v_dual_mov_b32 v56, 0
	s_mov_b32 s14, exec_lo
	v_and_b32_e32 v57, 0xff, v30
	s_delay_alu instid0(VALU_DEP_1)
	v_cmpx_ne_u16_e32 0, v57
	s_cbranch_execz .LBB2_6834
; %bb.6825:                             ;   in Loop: Header=BB2_6264 Depth=3
	v_bfrev_b32_e32 v56, 1
	s_mov_b32 s15, exec_lo
	v_cmpx_ne_u16_e32 0x80, v57
	s_cbranch_execz .LBB2_6833
; %bb.6826:                             ;   in Loop: Header=BB2_6264 Depth=3
	v_and_b32_e32 v18, 0x7c0000, v2
	v_bfe_u32 v57, v2, 16, 2
	s_mov_b32 s42, exec_lo
                                        ; implicit-def: $vgpr56
	s_delay_alu instid0(VALU_DEP_2)
	v_cmpx_ne_u32_e32 0x7c0000, v18
	s_xor_b32 s42, exec_lo, s42
	s_cbranch_execz .LBB2_6830
; %bb.6827:                             ;   in Loop: Header=BB2_6264 Depth=3
	v_bfe_u32 v56, v2, 18, 5
	v_lshrrev_b32_e32 v30, 16, v2
	s_mov_b32 s43, exec_lo
	s_delay_alu instid0(VALU_DEP_2)
	v_cmpx_eq_u32_e32 0, v56
; %bb.6828:                             ;   in Loop: Header=BB2_6264 Depth=3
	v_clz_i32_u32_e32 v18, v57
	s_delay_alu instid0(VALU_DEP_1) | instskip(NEXT) | instid1(VALU_DEP_1)
	v_min_u32_e32 v56, 32, v18
	v_subrev_nc_u32_e32 v18, 29, v56
	s_delay_alu instid0(VALU_DEP_1) | instskip(NEXT) | instid1(VALU_DEP_1)
	v_lshlrev_b64_e32 v[18:19], v18, v[30:31]
	v_dual_sub_nc_u32 v56, 30, v56 :: v_dual_bitop2_b32 v57, 3, v18 bitop3:0x40
; %bb.6829:                             ;   in Loop: Header=BB2_6264 Depth=3
	s_or_b32 exec_lo, exec_lo, s43
	v_lshlrev_b32_e32 v18, 24, v30
                                        ; implicit-def: $vgpr30
	s_delay_alu instid0(VALU_DEP_1) | instskip(NEXT) | instid1(VALU_DEP_1)
	v_and_b32_e32 v18, 0x80000000, v18
	v_lshl_add_u32 v18, v56, 23, v18
	s_delay_alu instid0(VALU_DEP_1) | instskip(NEXT) | instid1(VALU_DEP_1)
	v_lshl_or_b32 v18, v57, 21, v18
                                        ; implicit-def: $vgpr57
	v_add_nc_u32_e32 v56, 0x38000000, v18
.LBB2_6830:                             ;   in Loop: Header=BB2_6264 Depth=3
	s_and_not1_saveexec_b32 s42, s42
; %bb.6831:                             ;   in Loop: Header=BB2_6264 Depth=3
	v_bfe_i32 v18, v30, 0, 8
	s_delay_alu instid0(VALU_DEP_1) | instskip(SKIP_2) | instid1(VALU_DEP_2)
	v_cmp_lt_i16_e32 vcc_lo, -1, v18
	v_cndmask_b32_e32 v18, 0xff800000, v111, vcc_lo
	v_cmp_eq_u32_e32 vcc_lo, 0, v57
	v_cndmask_b32_e32 v56, 0x7f800001, v18, vcc_lo
; %bb.6832:                             ;   in Loop: Header=BB2_6264 Depth=3
	s_or_b32 exec_lo, exec_lo, s42
.LBB2_6833:                             ;   in Loop: Header=BB2_6264 Depth=3
	s_delay_alu instid0(SALU_CYCLE_1)
	s_or_b32 exec_lo, exec_lo, s15
.LBB2_6834:                             ;   in Loop: Header=BB2_6264 Depth=3
	s_delay_alu instid0(SALU_CYCLE_1) | instskip(SKIP_3) | instid1(VALU_DEP_1)
	s_or_b32 exec_lo, exec_lo, s14
	v_lshrrev_b32_e32 v30, 16, v8
	s_mov_b32 s15, 0
	s_mov_b32 s14, exec_lo
	v_and_b32_e32 v58, 0xff, v30
	s_delay_alu instid0(VALU_DEP_1)
	v_cmpx_lt_i16_e32 0x7f, v58
	s_xor_b32 s14, exec_lo, s14
	s_cbranch_execz .LBB2_7311
; %bb.6835:                             ;   in Loop: Header=BB2_6264 Depth=3
	s_mov_b32 s15, -1
	s_mov_b32 s42, exec_lo
	v_cmpx_eq_u16_e32 0x80, v58
; %bb.6836:                             ;   in Loop: Header=BB2_6264 Depth=3
	s_xor_b32 s15, exec_lo, -1
; %bb.6837:                             ;   in Loop: Header=BB2_6264 Depth=3
	s_or_b32 exec_lo, exec_lo, s42
	s_delay_alu instid0(SALU_CYCLE_1)
	s_and_b32 s15, s15, exec_lo
                                        ; implicit-def: $vgpr58
	s_or_saveexec_b32 s14, s14
	v_bfrev_b32_e32 v57, 1
	s_xor_b32 exec_lo, exec_lo, s14
	s_cbranch_execnz .LBB2_7312
.LBB2_6838:                             ;   in Loop: Header=BB2_6264 Depth=3
	s_or_b32 exec_lo, exec_lo, s14
	s_and_saveexec_b32 s14, s15
	s_cbranch_execz .LBB2_6840
.LBB2_6839:                             ;   in Loop: Header=BB2_6264 Depth=3
	v_and_b32_e32 v57, 3, v30
	v_bfe_u32 v59, v8, 18, 5
	s_delay_alu instid0(VALU_DEP_2) | instskip(NEXT) | instid1(VALU_DEP_2)
	v_clz_i32_u32_e32 v18, v57
	v_cmp_eq_u32_e32 vcc_lo, 0, v59
	s_delay_alu instid0(VALU_DEP_2) | instskip(NEXT) | instid1(VALU_DEP_1)
	v_min_u32_e32 v58, 32, v18
	v_subrev_nc_u32_e32 v18, 29, v58
	v_sub_nc_u32_e32 v58, 30, v58
	s_delay_alu instid0(VALU_DEP_2) | instskip(SKIP_1) | instid1(VALU_DEP_3)
	v_lshlrev_b64_e32 v[18:19], v18, v[30:31]
	v_lshlrev_b32_e32 v19, 24, v30
	v_cndmask_b32_e32 v58, v59, v58, vcc_lo
	v_bfe_i32 v30, v30, 0, 8
	s_delay_alu instid0(VALU_DEP_3) | instskip(SKIP_1) | instid1(VALU_DEP_2)
	v_and_b32_e32 v19, 0x80000000, v19
	v_and_b32_e32 v18, 3, v18
	v_lshl_add_u32 v19, v58, 23, v19
	s_delay_alu instid0(VALU_DEP_2) | instskip(SKIP_1) | instid1(VALU_DEP_2)
	v_cndmask_b32_e32 v18, v57, v18, vcc_lo
	v_cmp_lt_i16_e32 vcc_lo, -1, v30
	v_lshl_or_b32 v18, v18, 21, v19
	v_cndmask_b32_e32 v30, 0xff800000, v111, vcc_lo
	v_and_b32_e32 v19, 0x7c0000, v8
	v_cmp_eq_u32_e32 vcc_lo, 0, v57
	s_delay_alu instid0(VALU_DEP_4) | instskip(NEXT) | instid1(VALU_DEP_4)
	v_add_nc_u32_e32 v18, 0x38000000, v18
	v_cndmask_b32_e32 v30, 0x7f800001, v30, vcc_lo
	s_delay_alu instid0(VALU_DEP_4) | instskip(NEXT) | instid1(VALU_DEP_2)
	v_cmp_eq_u32_e32 vcc_lo, 0x7c0000, v19
	v_cndmask_b32_e32 v57, v18, v30, vcc_lo
.LBB2_6840:                             ;   in Loop: Header=BB2_6264 Depth=3
	s_or_b32 exec_lo, exec_lo, s14
	s_delay_alu instid0(VALU_DEP_1) | instskip(SKIP_2) | instid1(VALU_DEP_2)
	v_dual_add_f32 v58, v56, v57 :: v_dual_mov_b32 v19, v3
	v_mov_b32_e32 v57, v3
                                        ; implicit-def: $vgpr79
	s_mov_b32 s14, exec_lo
	v_and_b32_e32 v18, 0x7f800000, v58
	v_and_b32_e32 v56, 0x7fffff, v58
	v_lshrrev_b32_e32 v30, 24, v58
	s_delay_alu instid0(VALU_DEP_3)
	v_cmpx_ne_u64_e32 0x7f800000, v[18:19]
	s_xor_b32 s15, exec_lo, s14
	s_cbranch_execz .LBB2_6854
; %bb.6841:                             ;   in Loop: Header=BB2_6264 Depth=3
	v_and_b32_e32 v18, 0x7fffffff, v58
	v_mov_b32_e32 v19, v3
	v_and_b32_e32 v30, 0x80, v30
                                        ; implicit-def: $vgpr79
	s_mov_b32 s14, exec_lo
	s_delay_alu instid0(VALU_DEP_2)
	v_cmpx_gt_u64_e32 0x47600001, v[18:19]
	s_xor_b32 s42, exec_lo, s14
	s_cbranch_execz .LBB2_6851
; %bb.6842:                             ;   in Loop: Header=BB2_6264 Depth=3
	v_mov_b32_e32 v79, 0
	s_mov_b32 s43, exec_lo
	v_cmpx_ne_u32_e32 0, v58
	s_cbranch_execz .LBB2_6850
; %bb.6843:                             ;   in Loop: Header=BB2_6264 Depth=3
	v_bfe_u32 v79, v58, 23, 8
	v_or_b32_e32 v19, 0x800000, v56
	s_delay_alu instid0(VALU_DEP_2) | instskip(SKIP_2) | instid1(VALU_DEP_2)
	v_cmp_gt_u32_e64 s14, 0x72, v79
	v_sub_nc_u32_e32 v18, 0x71, v79
	v_cmp_eq_u32_e32 vcc_lo, 0, v79
	v_dual_cndmask_b32 v18, 0, v18, s14 :: v_dual_cndmask_b32 v56, v19, v56, vcc_lo
	s_delay_alu instid0(VALU_DEP_1) | instskip(NEXT) | instid1(VALU_DEP_1)
	v_cndmask_b32_e64 v92, v18, 0x70, vcc_lo
	v_dual_add_nc_u32 v18, 21, v92 :: v_dual_add_nc_u32 v58, 20, v92
	s_delay_alu instid0(VALU_DEP_1) | instskip(NEXT) | instid1(VALU_DEP_2)
	v_lshlrev_b64_e64 v[18:19], v18, -1
	v_lshlrev_b64_e64 v[58:59], v58, 1
	s_delay_alu instid0(VALU_DEP_2) | instskip(SKIP_1) | instid1(VALU_DEP_4)
	v_bfi_b32 v18, v18, 0, v56
	v_lshrrev_b64 v[56:57], v92, v[56:57]
	v_bfi_b32 v19, v19, 0, 0
	s_delay_alu instid0(VALU_DEP_1) | instskip(NEXT) | instid1(VALU_DEP_3)
	v_cmp_eq_u64_e64 s14, v[18:19], v[58:59]
	v_mov_b64_e32 v[58:59], v[56:57]
	s_and_saveexec_b32 s78, s14
; %bb.6844:                             ;   in Loop: Header=BB2_6264 Depth=3
	v_bfe_u32 v18, v56, 21, 1
	v_mov_b32_e32 v19, v3
	s_delay_alu instid0(VALU_DEP_1) | instskip(NEXT) | instid1(VALU_DEP_1)
	v_add_nc_u64_e32 v[18:19], v[56:57], v[18:19]
	v_add_nc_u64_e32 v[58:59], -1, v[18:19]
; %bb.6845:                             ;   in Loop: Header=BB2_6264 Depth=3
	s_or_b32 exec_lo, exec_lo, s78
	v_dual_mov_b32 v57, v3 :: v_dual_add_nc_u32 v18, 0xffffff81, v79
	v_lshrrev_b32_e32 v19, 23, v56
	s_mov_b32 s14, exec_lo
	s_delay_alu instid0(VALU_DEP_2) | instskip(NEXT) | instid1(VALU_DEP_1)
	v_cndmask_b32_e64 v18, v18, 0xffffff82, vcc_lo
	v_add3_u32 v59, v92, v18, v19
	v_and_b32_e32 v18, 0x1fffff, v58
                                        ; implicit-def: $vgpr58
	s_delay_alu instid0(VALU_DEP_1) | instskip(NEXT) | instid1(VALU_DEP_1)
	v_dual_add_nc_u32 v79, 14, v59 :: v_dual_add_nc_u32 v56, v18, v56
	v_cmpx_ne_u32_e32 0, v79
	s_xor_b32 s14, exec_lo, s14
; %bb.6846:                             ;   in Loop: Header=BB2_6264 Depth=3
	s_delay_alu instid0(VALU_DEP_2) | instskip(SKIP_1) | instid1(VALU_DEP_1)
	v_cmp_lt_u64_e32 vcc_lo, 0xffffff, v[56:57]
	v_add_nc_u32_e32 v18, 15, v59
	v_cndmask_b32_e32 v58, v79, v18, vcc_lo
	v_cndmask_b32_e64 v18, 0, 1, vcc_lo
	s_delay_alu instid0(VALU_DEP_1)
	v_lshrrev_b64 v[56:57], v18, v[56:57]
; %bb.6847:                             ;   in Loop: Header=BB2_6264 Depth=3
	s_and_not1_saveexec_b32 s14, s14
; %bb.6848:                             ;   in Loop: Header=BB2_6264 Depth=3
	s_delay_alu instid0(VALU_DEP_1)
	v_bfe_u32 v58, v56, 23, 1
; %bb.6849:                             ;   in Loop: Header=BB2_6264 Depth=3
	s_or_b32 exec_lo, exec_lo, s14
	s_delay_alu instid0(VALU_DEP_2) | instskip(NEXT) | instid1(VALU_DEP_2)
	v_lshrrev_b64 v[18:19], 21, v[56:57]
	v_cmp_gt_i32_e32 vcc_lo, 32, v58
	v_min_i32_e32 v56, 31, v58
	v_cmp_eq_u32_e64 s14, 0, v58
	s_delay_alu instid0(VALU_DEP_2) | instskip(SKIP_1) | instid1(VALU_DEP_2)
	v_dual_cndmask_b32 v19, 0, v19 :: v_dual_lshlrev_b32 v56, 2, v56
	v_cndmask_b32_e32 v18, 3, v18, vcc_lo
	v_and_b32_e32 v56, 0xfc, v56
	s_delay_alu instid0(VALU_DEP_2) | instskip(NEXT) | instid1(VALU_DEP_2)
	v_cmp_eq_u64_e32 vcc_lo, 0, v[18:19]
	v_and_or_b32 v18, v18, 3, v56
	s_and_b32 s14, s14, vcc_lo
	s_delay_alu instid0(VALU_DEP_1) | instid1(SALU_CYCLE_1)
	v_cndmask_b32_e64 v18, v18, 0, s14
	s_delay_alu instid0(VALU_DEP_1)
	v_or_b32_e32 v79, v18, v30
.LBB2_6850:                             ;   in Loop: Header=BB2_6264 Depth=3
	s_or_b32 exec_lo, exec_lo, s43
                                        ; implicit-def: $vgpr30
.LBB2_6851:                             ;   in Loop: Header=BB2_6264 Depth=3
	s_and_not1_saveexec_b32 s14, s42
; %bb.6852:                             ;   in Loop: Header=BB2_6264 Depth=3
	v_or_b32_e32 v79, 0x7b, v30
; %bb.6853:                             ;   in Loop: Header=BB2_6264 Depth=3
	s_or_b32 exec_lo, exec_lo, s14
                                        ; implicit-def: $vgpr58
                                        ; implicit-def: $vgpr56_vgpr57
                                        ; implicit-def: $vgpr30
.LBB2_6854:                             ;   in Loop: Header=BB2_6264 Depth=3
	s_and_not1_saveexec_b32 s14, s15
	s_cbranch_execz .LBB2_6860
; %bb.6855:                             ;   in Loop: Header=BB2_6264 Depth=3
	s_mov_b32 s15, exec_lo
                                        ; implicit-def: $vgpr79
	v_cmpx_ne_u64_e32 0, v[56:57]
	s_xor_b32 s15, exec_lo, s15
; %bb.6856:                             ;   in Loop: Header=BB2_6264 Depth=3
	v_or_b32_e32 v79, 0x7f, v30
                                        ; implicit-def: $vgpr58
; %bb.6857:                             ;   in Loop: Header=BB2_6264 Depth=3
	s_and_not1_saveexec_b32 s15, s15
; %bb.6858:                             ;   in Loop: Header=BB2_6264 Depth=3
	v_cmp_lt_i32_e32 vcc_lo, -1, v58
	v_cndmask_b32_e32 v79, 0xfc, v120, vcc_lo
; %bb.6859:                             ;   in Loop: Header=BB2_6264 Depth=3
	s_or_b32 exec_lo, exec_lo, s15
.LBB2_6860:                             ;   in Loop: Header=BB2_6264 Depth=3
	s_delay_alu instid0(SALU_CYCLE_1)
	s_or_b32 exec_lo, exec_lo, s14
	v_mov_b32_e32 v56, 0
	s_mov_b32 s14, exec_lo
	v_cmpx_lt_u32_e32 0xffffff, v2
	s_cbranch_execz .LBB2_6870
; %bb.6861:                             ;   in Loop: Header=BB2_6264 Depth=3
	v_lshrrev_b32_e32 v30, 24, v2
	v_bfrev_b32_e32 v56, 1
	s_mov_b32 s15, exec_lo
	s_delay_alu instid0(VALU_DEP_2)
	v_cmpx_ne_u32_e32 0x80, v30
	s_cbranch_execz .LBB2_6869
; %bb.6862:                             ;   in Loop: Header=BB2_6264 Depth=3
	v_and_b32_e32 v18, 0x7c000000, v2
	v_bfe_u32 v57, v2, 24, 2
	s_mov_b32 s42, exec_lo
                                        ; implicit-def: $vgpr56
	s_delay_alu instid0(VALU_DEP_2)
	v_cmpx_ne_u32_e32 0x7c000000, v18
	s_xor_b32 s42, exec_lo, s42
	s_cbranch_execz .LBB2_6866
; %bb.6863:                             ;   in Loop: Header=BB2_6264 Depth=3
	v_bfe_u32 v56, v2, 26, 5
	s_mov_b32 s43, exec_lo
	s_delay_alu instid0(VALU_DEP_1)
	v_cmpx_eq_u32_e32 0, v56
; %bb.6864:                             ;   in Loop: Header=BB2_6264 Depth=3
	v_clz_i32_u32_e32 v18, v57
	s_delay_alu instid0(VALU_DEP_1) | instskip(NEXT) | instid1(VALU_DEP_1)
	v_min_u32_e32 v56, 32, v18
	v_subrev_nc_u32_e32 v18, 29, v56
	s_delay_alu instid0(VALU_DEP_1) | instskip(NEXT) | instid1(VALU_DEP_1)
	v_lshlrev_b64_e32 v[18:19], v18, v[30:31]
	v_dual_sub_nc_u32 v56, 30, v56 :: v_dual_bitop2_b32 v57, 3, v18 bitop3:0x40
; %bb.6865:                             ;   in Loop: Header=BB2_6264 Depth=3
	s_or_b32 exec_lo, exec_lo, s43
	v_and_b32_e32 v2, 0x80000000, v2
	s_delay_alu instid0(VALU_DEP_1) | instskip(NEXT) | instid1(VALU_DEP_1)
	v_lshl_add_u32 v2, v56, 23, v2
	v_lshl_or_b32 v2, v57, 21, v2
                                        ; implicit-def: $vgpr57
	s_delay_alu instid0(VALU_DEP_1)
	v_add_nc_u32_e32 v56, 0x38000000, v2
.LBB2_6866:                             ;   in Loop: Header=BB2_6264 Depth=3
	s_and_not1_saveexec_b32 s42, s42
; %bb.6867:                             ;   in Loop: Header=BB2_6264 Depth=3
	v_cmp_lt_i32_e32 vcc_lo, -1, v2
	v_cndmask_b32_e32 v2, 0xff800000, v111, vcc_lo
	v_cmp_eq_u32_e32 vcc_lo, 0, v57
	s_delay_alu instid0(VALU_DEP_2)
	v_cndmask_b32_e32 v56, 0x7f800001, v2, vcc_lo
; %bb.6868:                             ;   in Loop: Header=BB2_6264 Depth=3
	s_or_b32 exec_lo, exec_lo, s42
.LBB2_6869:                             ;   in Loop: Header=BB2_6264 Depth=3
	s_delay_alu instid0(SALU_CYCLE_1)
	s_or_b32 exec_lo, exec_lo, s15
.LBB2_6870:                             ;   in Loop: Header=BB2_6264 Depth=3
	s_delay_alu instid0(SALU_CYCLE_1) | instskip(SKIP_3) | instid1(VALU_DEP_2)
	s_or_b32 exec_lo, exec_lo, s14
	v_bfe_u32 v30, v8, 24, 2
	v_bfe_u32 v58, v8, 26, 5
                                        ; implicit-def: $vgpr92
	s_mov_b32 s14, exec_lo
	v_clz_i32_u32_e32 v2, v30
	s_delay_alu instid0(VALU_DEP_2) | instskip(NEXT) | instid1(VALU_DEP_2)
	v_cmp_eq_u32_e32 vcc_lo, 0, v58
	v_min_u32_e32 v57, 32, v2
	v_lshrrev_b32_e32 v2, 24, v8
	s_delay_alu instid0(VALU_DEP_2) | instskip(NEXT) | instid1(VALU_DEP_1)
	v_subrev_nc_u32_e32 v18, 29, v57
	v_lshlrev_b64_e32 v[18:19], v18, v[2:3]
	v_sub_nc_u32_e32 v19, 30, v57
	v_and_b32_e32 v57, 0x80000000, v8
	s_delay_alu instid0(VALU_DEP_2) | instskip(NEXT) | instid1(VALU_DEP_1)
	v_dual_cndmask_b32 v19, v58, v19, vcc_lo :: v_dual_bitop2_b32 v18, 3, v18 bitop3:0x40
	v_lshl_add_u32 v19, v19, 23, v57
	s_delay_alu instid0(VALU_DEP_2) | instskip(SKIP_1) | instid1(VALU_DEP_2)
	v_cndmask_b32_e32 v18, v30, v18, vcc_lo
	v_cmp_lt_i32_e32 vcc_lo, -1, v8
	v_lshl_or_b32 v18, v18, 21, v19
	v_cndmask_b32_e32 v57, 0xff800000, v111, vcc_lo
	v_and_b32_e32 v19, 0x7c000000, v8
	v_cmp_eq_u32_e32 vcc_lo, 0, v30
	s_delay_alu instid0(VALU_DEP_4) | instskip(NEXT) | instid1(VALU_DEP_4)
	v_add_nc_u32_e32 v18, 0x38000000, v18
	v_cndmask_b32_e32 v30, 0x7f800001, v57, vcc_lo
	s_delay_alu instid0(VALU_DEP_4) | instskip(NEXT) | instid1(VALU_DEP_2)
	v_cmp_eq_u32_e32 vcc_lo, 0x7c000000, v19
	v_dual_mov_b32 v19, v3 :: v_dual_cndmask_b32 v18, v18, v30
	v_cmp_ne_u32_e32 vcc_lo, 0x80, v2
	s_delay_alu instid0(VALU_DEP_2) | instskip(SKIP_1) | instid1(VALU_DEP_2)
	v_cndmask_b32_e32 v2, 0x80000000, v18, vcc_lo
	v_cmp_lt_u32_e32 vcc_lo, 0xffffff, v8
	v_cndmask_b32_e32 v2, 0, v2, vcc_lo
	s_delay_alu instid0(VALU_DEP_1) | instskip(NEXT) | instid1(VALU_DEP_1)
	v_add_f32_e32 v56, v2, v56
	v_and_b32_e32 v18, 0x7f800000, v56
	v_and_b32_e32 v2, 0x7fffff, v56
	v_lshrrev_b32_e32 v30, 24, v56
	s_delay_alu instid0(VALU_DEP_3)
	v_cmpx_ne_u64_e32 0x7f800000, v[18:19]
	s_xor_b32 s15, exec_lo, s14
	s_cbranch_execz .LBB2_6884
; %bb.6871:                             ;   in Loop: Header=BB2_6264 Depth=3
	v_and_b32_e32 v18, 0x7fffffff, v56
	v_mov_b32_e32 v19, v3
	v_and_b32_e32 v30, 0x80, v30
                                        ; implicit-def: $vgpr92
	s_mov_b32 s14, exec_lo
	s_delay_alu instid0(VALU_DEP_2)
	v_cmpx_gt_u64_e32 0x47600001, v[18:19]
	s_xor_b32 s42, exec_lo, s14
	s_cbranch_execz .LBB2_6881
; %bb.6872:                             ;   in Loop: Header=BB2_6264 Depth=3
	v_mov_b32_e32 v92, 0
	s_mov_b32 s43, exec_lo
	v_cmpx_ne_u32_e32 0, v56
	s_cbranch_execz .LBB2_6880
; %bb.6873:                             ;   in Loop: Header=BB2_6264 Depth=3
	v_bfe_u32 v92, v56, 23, 8
	v_or_b32_e32 v19, 0x800000, v2
	s_delay_alu instid0(VALU_DEP_2) | instskip(SKIP_2) | instid1(VALU_DEP_2)
	v_cmp_gt_u32_e64 s14, 0x72, v92
	v_sub_nc_u32_e32 v18, 0x71, v92
	v_cmp_eq_u32_e32 vcc_lo, 0, v92
	v_cndmask_b32_e64 v18, 0, v18, s14
	s_delay_alu instid0(VALU_DEP_1) | instskip(SKIP_1) | instid1(VALU_DEP_2)
	v_cndmask_b32_e64 v104, v18, 0x70, vcc_lo
	v_cndmask_b32_e32 v18, v19, v2, vcc_lo
	v_dual_mov_b32 v19, v3 :: v_dual_add_nc_u32 v2, 21, v104
	s_delay_alu instid0(VALU_DEP_1) | instskip(SKIP_1) | instid1(VALU_DEP_1)
	v_lshlrev_b64_e64 v[56:57], v2, -1
	v_add_nc_u32_e32 v2, 20, v104
	v_lshlrev_b64_e64 v[58:59], v2, 1
	s_delay_alu instid0(VALU_DEP_3) | instskip(NEXT) | instid1(VALU_DEP_4)
	v_bfi_b32 v57, v57, 0, 0
	v_bfi_b32 v56, v56, 0, v18
	s_delay_alu instid0(VALU_DEP_1) | instskip(SKIP_1) | instid1(VALU_DEP_1)
	v_cmp_eq_u64_e64 s14, v[56:57], v[58:59]
	v_lshrrev_b64 v[56:57], v104, v[18:19]
	v_mov_b64_e32 v[58:59], v[56:57]
	s_and_saveexec_b32 s78, s14
; %bb.6874:                             ;   in Loop: Header=BB2_6264 Depth=3
	v_bfe_u32 v18, v56, 21, 1
	v_mov_b32_e32 v19, v3
	s_delay_alu instid0(VALU_DEP_1) | instskip(NEXT) | instid1(VALU_DEP_1)
	v_add_nc_u64_e32 v[18:19], v[56:57], v[18:19]
	v_add_nc_u64_e32 v[58:59], -1, v[18:19]
; %bb.6875:                             ;   in Loop: Header=BB2_6264 Depth=3
	s_or_b32 exec_lo, exec_lo, s78
	v_add_nc_u32_e32 v2, 0xffffff81, v92
	s_delay_alu instid0(VALU_DEP_2) | instskip(SKIP_2) | instid1(VALU_DEP_3)
	v_and_b32_e32 v19, 0x1fffff, v58
	v_lshrrev_b32_e32 v18, 23, v56
	s_mov_b32 s14, exec_lo
                                        ; implicit-def: $vgpr58
	v_cndmask_b32_e64 v2, v2, 0xffffff82, vcc_lo
	s_delay_alu instid0(VALU_DEP_1) | instskip(SKIP_1) | instid1(VALU_DEP_2)
	v_add3_u32 v59, v104, v2, v18
	v_add_nc_u32_e32 v2, v19, v56
                                        ; implicit-def: $vgpr56_vgpr57
	v_add_nc_u32_e32 v92, 14, v59
	s_delay_alu instid0(VALU_DEP_1)
	v_cmpx_ne_u32_e32 0, v92
	s_xor_b32 s14, exec_lo, s14
; %bb.6876:                             ;   in Loop: Header=BB2_6264 Depth=3
	s_delay_alu instid0(VALU_DEP_3) | instskip(SKIP_1) | instid1(VALU_DEP_1)
	v_cmp_lt_u64_e32 vcc_lo, 0xffffff, v[2:3]
	v_add_nc_u32_e32 v18, 15, v59
	v_cndmask_b32_e32 v58, v92, v18, vcc_lo
	v_cndmask_b32_e64 v18, 0, 1, vcc_lo
	s_delay_alu instid0(VALU_DEP_1)
	v_lshrrev_b64 v[56:57], v18, v[2:3]
; %bb.6877:                             ;   in Loop: Header=BB2_6264 Depth=3
	s_and_not1_saveexec_b32 s14, s14
; %bb.6878:                             ;   in Loop: Header=BB2_6264 Depth=3
	v_mov_b64_e32 v[56:57], v[2:3]
	v_bfe_u32 v58, v2, 23, 1
; %bb.6879:                             ;   in Loop: Header=BB2_6264 Depth=3
	s_or_b32 exec_lo, exec_lo, s14
	s_delay_alu instid0(VALU_DEP_2) | instskip(NEXT) | instid1(VALU_DEP_2)
	v_lshrrev_b64 v[18:19], 21, v[56:57]
	v_cmp_gt_i32_e32 vcc_lo, 32, v58
	v_min_i32_e32 v2, 31, v58
	v_cmp_eq_u32_e64 s14, 0, v58
	s_delay_alu instid0(VALU_DEP_2) | instskip(SKIP_1) | instid1(VALU_DEP_2)
	v_dual_cndmask_b32 v19, 0, v19 :: v_dual_lshlrev_b32 v2, 2, v2
	v_cndmask_b32_e32 v18, 3, v18, vcc_lo
	v_and_b32_e32 v2, 0xfc, v2
	s_delay_alu instid0(VALU_DEP_2) | instskip(NEXT) | instid1(VALU_DEP_2)
	v_cmp_eq_u64_e32 vcc_lo, 0, v[18:19]
	v_and_or_b32 v2, v18, 3, v2
	s_and_b32 s14, s14, vcc_lo
	s_delay_alu instid0(VALU_DEP_1) | instid1(SALU_CYCLE_1)
	v_cndmask_b32_e64 v2, v2, 0, s14
	s_delay_alu instid0(VALU_DEP_1)
	v_or_b32_e32 v92, v2, v30
.LBB2_6880:                             ;   in Loop: Header=BB2_6264 Depth=3
	s_or_b32 exec_lo, exec_lo, s43
                                        ; implicit-def: $vgpr30
.LBB2_6881:                             ;   in Loop: Header=BB2_6264 Depth=3
	s_and_not1_saveexec_b32 s14, s42
; %bb.6882:                             ;   in Loop: Header=BB2_6264 Depth=3
	v_or_b32_e32 v92, 0x7b, v30
; %bb.6883:                             ;   in Loop: Header=BB2_6264 Depth=3
	s_or_b32 exec_lo, exec_lo, s14
                                        ; implicit-def: $vgpr56
                                        ; implicit-def: $vgpr30
.LBB2_6884:                             ;   in Loop: Header=BB2_6264 Depth=3
	s_and_not1_saveexec_b32 s14, s15
	s_cbranch_execz .LBB2_6890
; %bb.6885:                             ;   in Loop: Header=BB2_6264 Depth=3
	s_mov_b32 s15, exec_lo
                                        ; implicit-def: $vgpr92
	v_cmpx_ne_u64_e32 0, v[2:3]
	s_xor_b32 s15, exec_lo, s15
; %bb.6886:                             ;   in Loop: Header=BB2_6264 Depth=3
	v_or_b32_e32 v92, 0x7f, v30
                                        ; implicit-def: $vgpr56
; %bb.6887:                             ;   in Loop: Header=BB2_6264 Depth=3
	s_and_not1_saveexec_b32 s15, s15
; %bb.6888:                             ;   in Loop: Header=BB2_6264 Depth=3
	v_cmp_lt_i32_e32 vcc_lo, -1, v56
	v_cndmask_b32_e32 v92, 0xfc, v120, vcc_lo
; %bb.6889:                             ;   in Loop: Header=BB2_6264 Depth=3
	s_or_b32 exec_lo, exec_lo, s15
.LBB2_6890:                             ;   in Loop: Header=BB2_6264 Depth=3
	s_delay_alu instid0(SALU_CYCLE_1) | instskip(SKIP_4) | instid1(VALU_DEP_2)
	s_or_b32 exec_lo, exec_lo, s14
	v_lshl_or_b32 v30, v61, 8, v60
	v_dual_lshlrev_b32 v2, 16, v94 :: v_dual_lshlrev_b32 v18, 24, v95
	v_mov_b32_e32 v58, 0
	s_mov_b32 s14, exec_lo
	v_or3_b32 v2, v2, v18, v30
	v_cmpx_ne_u32_e32 0, v60
	s_cbranch_execz .LBB2_6900
; %bb.6891:                             ;   in Loop: Header=BB2_6264 Depth=3
	v_bfrev_b32_e32 v58, 1
	s_mov_b32 s15, exec_lo
	v_cmpx_ne_u32_e32 0x80, v60
	s_cbranch_execz .LBB2_6899
; %bb.6892:                             ;   in Loop: Header=BB2_6264 Depth=3
	v_and_b32_e32 v18, 0x7c, v60
	v_and_b32_e32 v56, 3, v60
	s_mov_b32 s42, exec_lo
                                        ; implicit-def: $vgpr58
	s_delay_alu instid0(VALU_DEP_2)
	v_cmpx_ne_u32_e32 0x7c, v18
	s_xor_b32 s42, exec_lo, s42
	s_cbranch_execz .LBB2_6896
; %bb.6893:                             ;   in Loop: Header=BB2_6264 Depth=3
	v_bfe_u32 v57, v60, 2, 5
	s_mov_b32 s43, exec_lo
	s_delay_alu instid0(VALU_DEP_1)
	v_cmpx_eq_u32_e32 0, v57
; %bb.6894:                             ;   in Loop: Header=BB2_6264 Depth=3
	v_clz_i32_u32_e32 v18, v56
	s_delay_alu instid0(VALU_DEP_1) | instskip(NEXT) | instid1(VALU_DEP_1)
	v_min_u32_e32 v56, 32, v18
	v_subrev_nc_u32_e32 v18, 29, v56
	s_delay_alu instid0(VALU_DEP_1) | instskip(NEXT) | instid1(VALU_DEP_1)
	v_lshlrev_b64_e32 v[18:19], v18, v[2:3]
	v_dual_sub_nc_u32 v57, 30, v56 :: v_dual_bitop2_b32 v56, 3, v18 bitop3:0x40
; %bb.6895:                             ;   in Loop: Header=BB2_6264 Depth=3
	s_or_b32 exec_lo, exec_lo, s43
	v_lshlrev_b32_e32 v18, 24, v60
                                        ; implicit-def: $vgpr60
	s_delay_alu instid0(VALU_DEP_1) | instskip(NEXT) | instid1(VALU_DEP_1)
	v_and_b32_e32 v18, 0x80000000, v18
	v_lshl_add_u32 v18, v57, 23, v18
	s_delay_alu instid0(VALU_DEP_1) | instskip(NEXT) | instid1(VALU_DEP_1)
	v_lshl_or_b32 v18, v56, 21, v18
                                        ; implicit-def: $vgpr56
	v_add_nc_u32_e32 v58, 0x38000000, v18
.LBB2_6896:                             ;   in Loop: Header=BB2_6264 Depth=3
	s_and_not1_saveexec_b32 s42, s42
; %bb.6897:                             ;   in Loop: Header=BB2_6264 Depth=3
	v_and_b32_e32 v18, 0x80, v60
	s_delay_alu instid0(VALU_DEP_1) | instskip(SKIP_2) | instid1(VALU_DEP_2)
	v_cmp_eq_u32_e32 vcc_lo, 0, v18
	v_cndmask_b32_e32 v18, 0xff800000, v111, vcc_lo
	v_cmp_eq_u32_e32 vcc_lo, 0, v56
	v_cndmask_b32_e32 v58, 0x7f800001, v18, vcc_lo
; %bb.6898:                             ;   in Loop: Header=BB2_6264 Depth=3
	s_or_b32 exec_lo, exec_lo, s42
.LBB2_6899:                             ;   in Loop: Header=BB2_6264 Depth=3
	s_delay_alu instid0(SALU_CYCLE_1)
	s_or_b32 exec_lo, exec_lo, s15
.LBB2_6900:                             ;   in Loop: Header=BB2_6264 Depth=3
	s_delay_alu instid0(SALU_CYCLE_1) | instskip(SKIP_4) | instid1(VALU_DEP_2)
	s_or_b32 exec_lo, exec_lo, s14
	v_and_b32_e32 v57, 0xff, v9
	v_mov_b32_e32 v56, v9
	s_mov_b32 s15, 0
	s_mov_b32 s14, exec_lo
	v_cmpx_lt_i16_e32 0x7f, v57
	s_xor_b32 s14, exec_lo, s14
	s_cbranch_execz .LBB2_7313
; %bb.6901:                             ;   in Loop: Header=BB2_6264 Depth=3
	s_mov_b32 s15, -1
	s_mov_b32 s42, exec_lo
	v_cmpx_eq_u16_e32 0x80, v57
; %bb.6902:                             ;   in Loop: Header=BB2_6264 Depth=3
	s_xor_b32 s15, exec_lo, -1
; %bb.6903:                             ;   in Loop: Header=BB2_6264 Depth=3
	s_or_b32 exec_lo, exec_lo, s42
	s_delay_alu instid0(SALU_CYCLE_1)
	s_and_b32 s15, s15, exec_lo
                                        ; implicit-def: $vgpr57
	s_or_saveexec_b32 s14, s14
	v_bfrev_b32_e32 v59, 1
	s_xor_b32 exec_lo, exec_lo, s14
	s_cbranch_execnz .LBB2_7314
.LBB2_6904:                             ;   in Loop: Header=BB2_6264 Depth=3
	s_or_b32 exec_lo, exec_lo, s14
	v_mov_b32_e32 v57, v3
	s_and_saveexec_b32 s14, s15
	s_cbranch_execz .LBB2_6906
.LBB2_6905:                             ;   in Loop: Header=BB2_6264 Depth=3
	v_and_b32_e32 v59, 3, v9
	s_delay_alu instid0(VALU_DEP_1) | instskip(NEXT) | instid1(VALU_DEP_1)
	v_clz_i32_u32_e32 v18, v59
	v_min_u32_e32 v60, 32, v18
	s_delay_alu instid0(VALU_DEP_1) | instskip(NEXT) | instid1(VALU_DEP_1)
	v_subrev_nc_u32_e32 v18, 29, v60
	v_lshlrev_b64_e32 v[18:19], v18, v[56:57]
	v_bfe_u32 v57, v9, 2, 5
	v_dual_lshlrev_b32 v19, 24, v9 :: v_dual_sub_nc_u32 v60, 30, v60
	s_delay_alu instid0(VALU_DEP_2) | instskip(NEXT) | instid1(VALU_DEP_2)
	v_cmp_eq_u32_e32 vcc_lo, 0, v57
	v_and_b32_e32 v19, 0x80000000, v19
	s_delay_alu instid0(VALU_DEP_3) | instskip(SKIP_1) | instid1(VALU_DEP_2)
	v_dual_cndmask_b32 v57, v57, v60, vcc_lo :: v_dual_bitop2_b32 v18, 3, v18 bitop3:0x40
	v_bfe_i32 v60, v9, 0, 8
	v_cndmask_b32_e32 v18, v59, v18, vcc_lo
	s_delay_alu instid0(VALU_DEP_3) | instskip(NEXT) | instid1(VALU_DEP_3)
	v_lshl_add_u32 v19, v57, 23, v19
	v_cmp_lt_i16_e32 vcc_lo, -1, v60
	s_delay_alu instid0(VALU_DEP_2) | instskip(SKIP_3) | instid1(VALU_DEP_4)
	v_lshl_or_b32 v18, v18, 21, v19
	v_cndmask_b32_e32 v57, 0xff800000, v111, vcc_lo
	v_and_b32_e32 v19, 0x7c, v9
	v_cmp_eq_u32_e32 vcc_lo, 0, v59
	v_add_nc_u32_e32 v18, 0x38000000, v18
	s_delay_alu instid0(VALU_DEP_4) | instskip(NEXT) | instid1(VALU_DEP_4)
	v_cndmask_b32_e32 v57, 0x7f800001, v57, vcc_lo
	v_cmp_eq_u32_e32 vcc_lo, 0x7c, v19
	s_delay_alu instid0(VALU_DEP_2)
	v_cndmask_b32_e32 v59, v18, v57, vcc_lo
.LBB2_6906:                             ;   in Loop: Header=BB2_6264 Depth=3
	s_or_b32 exec_lo, exec_lo, s14
	s_delay_alu instid0(VALU_DEP_1) | instskip(SKIP_2) | instid1(VALU_DEP_2)
	v_dual_add_f32 v61, v58, v59 :: v_dual_mov_b32 v19, v3
	v_mov_b32_e32 v59, v3
                                        ; implicit-def: $vgpr60
	s_mov_b32 s14, exec_lo
	v_and_b32_e32 v18, 0x7f800000, v61
	v_and_b32_e32 v58, 0x7fffff, v61
	v_lshrrev_b32_e32 v57, 24, v61
	s_delay_alu instid0(VALU_DEP_3)
	v_cmpx_ne_u64_e32 0x7f800000, v[18:19]
	s_xor_b32 s15, exec_lo, s14
	s_cbranch_execz .LBB2_6920
; %bb.6907:                             ;   in Loop: Header=BB2_6264 Depth=3
	v_and_b32_e32 v18, 0x7fffffff, v61
	v_mov_b32_e32 v19, v3
	v_and_b32_e32 v57, 0x80, v57
                                        ; implicit-def: $vgpr60
	s_mov_b32 s14, exec_lo
	s_delay_alu instid0(VALU_DEP_2)
	v_cmpx_gt_u64_e32 0x47600001, v[18:19]
	s_xor_b32 s42, exec_lo, s14
	s_cbranch_execz .LBB2_6917
; %bb.6908:                             ;   in Loop: Header=BB2_6264 Depth=3
	v_mov_b32_e32 v60, 0
	s_mov_b32 s43, exec_lo
	v_cmpx_ne_u32_e32 0, v61
	s_cbranch_execz .LBB2_6916
; %bb.6909:                             ;   in Loop: Header=BB2_6264 Depth=3
	v_bfe_u32 v94, v61, 23, 8
	v_or_b32_e32 v19, 0x800000, v58
	s_delay_alu instid0(VALU_DEP_2) | instskip(SKIP_2) | instid1(VALU_DEP_2)
	v_cmp_gt_u32_e64 s14, 0x72, v94
	v_sub_nc_u32_e32 v18, 0x71, v94
	v_cmp_eq_u32_e32 vcc_lo, 0, v94
	v_cndmask_b32_e64 v18, 0, v18, s14
	s_delay_alu instid0(VALU_DEP_1) | instskip(NEXT) | instid1(VALU_DEP_1)
	v_cndmask_b32_e64 v95, v18, 0x70, vcc_lo
	v_dual_cndmask_b32 v58, v19, v58, vcc_lo :: v_dual_add_nc_u32 v18, 21, v95
	v_add_nc_u32_e32 v60, 20, v95
	s_delay_alu instid0(VALU_DEP_2) | instskip(NEXT) | instid1(VALU_DEP_2)
	v_lshlrev_b64_e64 v[18:19], v18, -1
	v_lshlrev_b64_e64 v[60:61], v60, 1
	s_delay_alu instid0(VALU_DEP_2) | instskip(SKIP_1) | instid1(VALU_DEP_4)
	v_bfi_b32 v18, v18, 0, v58
	v_lshrrev_b64 v[58:59], v95, v[58:59]
	v_bfi_b32 v19, v19, 0, 0
	s_delay_alu instid0(VALU_DEP_1) | instskip(NEXT) | instid1(VALU_DEP_3)
	v_cmp_eq_u64_e64 s14, v[18:19], v[60:61]
	v_mov_b64_e32 v[60:61], v[58:59]
	s_and_saveexec_b32 s78, s14
; %bb.6910:                             ;   in Loop: Header=BB2_6264 Depth=3
	v_bfe_u32 v18, v58, 21, 1
	v_mov_b32_e32 v19, v3
	s_delay_alu instid0(VALU_DEP_1) | instskip(NEXT) | instid1(VALU_DEP_1)
	v_add_nc_u64_e32 v[18:19], v[58:59], v[18:19]
	v_add_nc_u64_e32 v[60:61], -1, v[18:19]
; %bb.6911:                             ;   in Loop: Header=BB2_6264 Depth=3
	s_or_b32 exec_lo, exec_lo, s78
	v_dual_mov_b32 v59, v3 :: v_dual_add_nc_u32 v18, 0xffffff81, v94
	v_lshrrev_b32_e32 v19, 23, v58
	s_mov_b32 s14, exec_lo
	s_delay_alu instid0(VALU_DEP_2) | instskip(NEXT) | instid1(VALU_DEP_1)
	v_cndmask_b32_e64 v18, v18, 0xffffff82, vcc_lo
	v_add3_u32 v61, v95, v18, v19
	v_and_b32_e32 v18, 0x1fffff, v60
                                        ; implicit-def: $vgpr60
	s_delay_alu instid0(VALU_DEP_1) | instskip(NEXT) | instid1(VALU_DEP_1)
	v_dual_add_nc_u32 v94, 14, v61 :: v_dual_add_nc_u32 v58, v18, v58
	v_cmpx_ne_u32_e32 0, v94
	s_xor_b32 s14, exec_lo, s14
; %bb.6912:                             ;   in Loop: Header=BB2_6264 Depth=3
	s_delay_alu instid0(VALU_DEP_2) | instskip(SKIP_1) | instid1(VALU_DEP_1)
	v_cmp_lt_u64_e32 vcc_lo, 0xffffff, v[58:59]
	v_add_nc_u32_e32 v18, 15, v61
	v_cndmask_b32_e32 v60, v94, v18, vcc_lo
	v_cndmask_b32_e64 v18, 0, 1, vcc_lo
	s_delay_alu instid0(VALU_DEP_1)
	v_lshrrev_b64 v[58:59], v18, v[58:59]
; %bb.6913:                             ;   in Loop: Header=BB2_6264 Depth=3
	s_and_not1_saveexec_b32 s14, s14
; %bb.6914:                             ;   in Loop: Header=BB2_6264 Depth=3
	s_delay_alu instid0(VALU_DEP_1)
	v_bfe_u32 v60, v58, 23, 1
; %bb.6915:                             ;   in Loop: Header=BB2_6264 Depth=3
	s_or_b32 exec_lo, exec_lo, s14
	s_delay_alu instid0(VALU_DEP_2) | instskip(NEXT) | instid1(VALU_DEP_2)
	v_lshrrev_b64 v[18:19], 21, v[58:59]
	v_cmp_gt_i32_e32 vcc_lo, 32, v60
	v_min_i32_e32 v58, 31, v60
	v_cmp_eq_u32_e64 s14, 0, v60
	s_delay_alu instid0(VALU_DEP_2) | instskip(SKIP_1) | instid1(VALU_DEP_2)
	v_dual_cndmask_b32 v19, 0, v19 :: v_dual_lshlrev_b32 v58, 2, v58
	v_cndmask_b32_e32 v18, 3, v18, vcc_lo
	v_and_b32_e32 v58, 0xfc, v58
	s_delay_alu instid0(VALU_DEP_2) | instskip(NEXT) | instid1(VALU_DEP_2)
	v_cmp_eq_u64_e32 vcc_lo, 0, v[18:19]
	v_and_or_b32 v18, v18, 3, v58
	s_and_b32 s14, s14, vcc_lo
	s_delay_alu instid0(VALU_DEP_1) | instid1(SALU_CYCLE_1)
	v_cndmask_b32_e64 v18, v18, 0, s14
	s_delay_alu instid0(VALU_DEP_1)
	v_or_b32_e32 v60, v18, v57
.LBB2_6916:                             ;   in Loop: Header=BB2_6264 Depth=3
	s_or_b32 exec_lo, exec_lo, s43
                                        ; implicit-def: $vgpr57
.LBB2_6917:                             ;   in Loop: Header=BB2_6264 Depth=3
	s_and_not1_saveexec_b32 s14, s42
; %bb.6918:                             ;   in Loop: Header=BB2_6264 Depth=3
	v_or_b32_e32 v60, 0x7b, v57
; %bb.6919:                             ;   in Loop: Header=BB2_6264 Depth=3
	s_or_b32 exec_lo, exec_lo, s14
                                        ; implicit-def: $vgpr61
                                        ; implicit-def: $vgpr58_vgpr59
                                        ; implicit-def: $vgpr57
.LBB2_6920:                             ;   in Loop: Header=BB2_6264 Depth=3
	s_and_not1_saveexec_b32 s14, s15
	s_cbranch_execz .LBB2_6926
; %bb.6921:                             ;   in Loop: Header=BB2_6264 Depth=3
	s_mov_b32 s15, exec_lo
                                        ; implicit-def: $vgpr60
	v_cmpx_ne_u64_e32 0, v[58:59]
	s_xor_b32 s15, exec_lo, s15
; %bb.6922:                             ;   in Loop: Header=BB2_6264 Depth=3
	v_or_b32_e32 v60, 0x7f, v57
                                        ; implicit-def: $vgpr61
; %bb.6923:                             ;   in Loop: Header=BB2_6264 Depth=3
	s_and_not1_saveexec_b32 s15, s15
; %bb.6924:                             ;   in Loop: Header=BB2_6264 Depth=3
	v_cmp_lt_i32_e32 vcc_lo, -1, v61
	v_cndmask_b32_e32 v60, 0xfc, v120, vcc_lo
; %bb.6925:                             ;   in Loop: Header=BB2_6264 Depth=3
	s_or_b32 exec_lo, exec_lo, s15
.LBB2_6926:                             ;   in Loop: Header=BB2_6264 Depth=3
	s_delay_alu instid0(SALU_CYCLE_1) | instskip(SKIP_3) | instid1(VALU_DEP_2)
	s_or_b32 exec_lo, exec_lo, s14
	v_lshrrev_b16 v58, 8, v30
	v_mov_b32_e32 v57, 0
	s_mov_b32 s14, exec_lo
	v_cmpx_ne_u16_e32 0, v58
	s_cbranch_execz .LBB2_6936
; %bb.6927:                             ;   in Loop: Header=BB2_6264 Depth=3
	v_bfrev_b32_e32 v57, 1
	s_mov_b32 s15, exec_lo
	v_cmpx_ne_u16_e32 0x80, v58
	s_cbranch_execz .LBB2_6935
; %bb.6928:                             ;   in Loop: Header=BB2_6264 Depth=3
	v_and_b32_e32 v61, 0xffff, v58
	s_mov_b32 s42, exec_lo
                                        ; implicit-def: $vgpr57
	s_delay_alu instid0(VALU_DEP_1) | instskip(SKIP_1) | instid1(VALU_DEP_2)
	v_and_b32_e32 v18, 0x7c, v61
	v_and_b32_e32 v59, 3, v61
	v_cmpx_ne_u32_e32 0x7c, v18
	s_xor_b32 s42, exec_lo, s42
	s_cbranch_execz .LBB2_6932
; %bb.6929:                             ;   in Loop: Header=BB2_6264 Depth=3
	v_bfe_u32 v57, v61, 2, 5
	s_mov_b32 s43, exec_lo
	s_delay_alu instid0(VALU_DEP_1)
	v_cmpx_eq_u32_e32 0, v57
	s_cbranch_execz .LBB2_6931
; %bb.6930:                             ;   in Loop: Header=BB2_6264 Depth=3
	v_clz_i32_u32_e32 v18, v59
	s_delay_alu instid0(VALU_DEP_1) | instskip(SKIP_1) | instid1(VALU_DEP_2)
	v_min_u32_e32 v57, 32, v18
	v_mov_b32_e32 v59, v3
	v_subrev_nc_u32_e32 v18, 29, v57
	v_sub_nc_u32_e32 v57, 30, v57
	s_delay_alu instid0(VALU_DEP_2) | instskip(NEXT) | instid1(VALU_DEP_1)
	v_lshlrev_b64_e32 v[18:19], v18, v[58:59]
	v_and_b32_e32 v59, 3, v18
.LBB2_6931:                             ;   in Loop: Header=BB2_6264 Depth=3
	s_or_b32 exec_lo, exec_lo, s43
	v_lshlrev_b32_e32 v18, 16, v30
                                        ; implicit-def: $vgpr30
	s_delay_alu instid0(VALU_DEP_1) | instskip(NEXT) | instid1(VALU_DEP_1)
	v_and_b32_e32 v18, 0x80000000, v18
	v_lshl_add_u32 v18, v57, 23, v18
	s_delay_alu instid0(VALU_DEP_1) | instskip(NEXT) | instid1(VALU_DEP_1)
	v_lshl_or_b32 v18, v59, 21, v18
                                        ; implicit-def: $vgpr59
	v_add_nc_u32_e32 v57, 0x38000000, v18
.LBB2_6932:                             ;   in Loop: Header=BB2_6264 Depth=3
	s_and_not1_saveexec_b32 s42, s42
; %bb.6933:                             ;   in Loop: Header=BB2_6264 Depth=3
	v_cmp_lt_i16_e32 vcc_lo, -1, v30
	v_cndmask_b32_e32 v18, 0xff800000, v111, vcc_lo
	v_cmp_eq_u32_e32 vcc_lo, 0, v59
	s_delay_alu instid0(VALU_DEP_2)
	v_cndmask_b32_e32 v57, 0x7f800001, v18, vcc_lo
; %bb.6934:                             ;   in Loop: Header=BB2_6264 Depth=3
	s_or_b32 exec_lo, exec_lo, s42
.LBB2_6935:                             ;   in Loop: Header=BB2_6264 Depth=3
	s_delay_alu instid0(SALU_CYCLE_1)
	s_or_b32 exec_lo, exec_lo, s15
.LBB2_6936:                             ;   in Loop: Header=BB2_6264 Depth=3
	s_delay_alu instid0(SALU_CYCLE_1) | instskip(SKIP_3) | instid1(VALU_DEP_1)
	s_or_b32 exec_lo, exec_lo, s14
	v_lshrrev_b16 v58, 8, v56
	s_mov_b32 s15, 0
	s_mov_b32 s14, exec_lo
	v_cmpx_lt_i16_e32 0x7f, v58
	s_xor_b32 s14, exec_lo, s14
	s_cbranch_execz .LBB2_7315
; %bb.6937:                             ;   in Loop: Header=BB2_6264 Depth=3
	s_mov_b32 s15, -1
	s_mov_b32 s42, exec_lo
	v_cmpx_eq_u16_e32 0x80, v58
; %bb.6938:                             ;   in Loop: Header=BB2_6264 Depth=3
	s_xor_b32 s15, exec_lo, -1
; %bb.6939:                             ;   in Loop: Header=BB2_6264 Depth=3
	s_or_b32 exec_lo, exec_lo, s42
	s_delay_alu instid0(SALU_CYCLE_1)
	s_and_b32 s15, s15, exec_lo
	s_or_saveexec_b32 s14, s14
	v_bfrev_b32_e32 v30, 1
	s_xor_b32 exec_lo, exec_lo, s14
	s_cbranch_execnz .LBB2_7316
.LBB2_6940:                             ;   in Loop: Header=BB2_6264 Depth=3
	s_or_b32 exec_lo, exec_lo, s14
	s_and_saveexec_b32 s14, s15
	s_cbranch_execz .LBB2_6942
.LBB2_6941:                             ;   in Loop: Header=BB2_6264 Depth=3
	v_and_b32_e32 v30, 0xffff, v58
	s_delay_alu instid0(VALU_DEP_1) | instskip(NEXT) | instid1(VALU_DEP_1)
	v_dual_mov_b32 v59, v3 :: v_dual_bitop2_b32 v61, 3, v30 bitop3:0x40
	v_clz_i32_u32_e32 v18, v61
	s_delay_alu instid0(VALU_DEP_1) | instskip(NEXT) | instid1(VALU_DEP_1)
	v_min_u32_e32 v94, 32, v18
	v_subrev_nc_u32_e32 v18, 29, v94
	s_delay_alu instid0(VALU_DEP_1) | instskip(SKIP_3) | instid1(VALU_DEP_4)
	v_lshlrev_b64_e32 v[18:19], v18, v[58:59]
	v_sub_nc_u32_e32 v59, 30, v94
	v_lshlrev_b32_e32 v19, 24, v58
	v_bfe_u32 v58, v30, 2, 5
	v_and_b32_e32 v18, 3, v18
	s_delay_alu instid0(VALU_DEP_2) | instskip(SKIP_2) | instid1(VALU_DEP_4)
	v_cmp_eq_u32_e32 vcc_lo, 0, v58
	v_cndmask_b32_e32 v58, v58, v59, vcc_lo
	v_and_b32_e32 v19, 0x80000000, v19
	v_cndmask_b32_e32 v18, v61, v18, vcc_lo
	v_cmp_lt_i16_e32 vcc_lo, -1, v56
	s_delay_alu instid0(VALU_DEP_3) | instskip(SKIP_2) | instid1(VALU_DEP_3)
	v_lshl_add_u32 v19, v58, 23, v19
	v_cndmask_b32_e32 v56, 0xff800000, v111, vcc_lo
	v_cmp_eq_u32_e32 vcc_lo, 0, v61
	v_lshl_or_b32 v18, v18, 21, v19
	v_and_b32_e32 v19, 0x7c, v30
	s_delay_alu instid0(VALU_DEP_4) | instskip(NEXT) | instid1(VALU_DEP_3)
	v_cndmask_b32_e32 v30, 0x7f800001, v56, vcc_lo
	v_add_nc_u32_e32 v18, 0x38000000, v18
	s_delay_alu instid0(VALU_DEP_3) | instskip(NEXT) | instid1(VALU_DEP_2)
	v_cmp_eq_u32_e32 vcc_lo, 0x7c, v19
	v_cndmask_b32_e32 v30, v18, v30, vcc_lo
.LBB2_6942:                             ;   in Loop: Header=BB2_6264 Depth=3
	s_or_b32 exec_lo, exec_lo, s14
	s_delay_alu instid0(VALU_DEP_1) | instskip(SKIP_2) | instid1(VALU_DEP_2)
	v_dual_add_f32 v58, v57, v30 :: v_dual_mov_b32 v19, v3
	v_mov_b32_e32 v57, v3
                                        ; implicit-def: $vgpr61
	s_mov_b32 s14, exec_lo
	v_and_b32_e32 v18, 0x7f800000, v58
	v_and_b32_e32 v56, 0x7fffff, v58
	v_lshrrev_b32_e32 v30, 24, v58
	s_delay_alu instid0(VALU_DEP_3)
	v_cmpx_ne_u64_e32 0x7f800000, v[18:19]
	s_xor_b32 s15, exec_lo, s14
	s_cbranch_execz .LBB2_6956
; %bb.6943:                             ;   in Loop: Header=BB2_6264 Depth=3
	v_and_b32_e32 v18, 0x7fffffff, v58
	v_mov_b32_e32 v19, v3
	v_and_b32_e32 v30, 0x80, v30
                                        ; implicit-def: $vgpr61
	s_mov_b32 s14, exec_lo
	s_delay_alu instid0(VALU_DEP_2)
	v_cmpx_gt_u64_e32 0x47600001, v[18:19]
	s_xor_b32 s42, exec_lo, s14
	s_cbranch_execz .LBB2_6953
; %bb.6944:                             ;   in Loop: Header=BB2_6264 Depth=3
	v_mov_b32_e32 v61, 0
	s_mov_b32 s43, exec_lo
	v_cmpx_ne_u32_e32 0, v58
	s_cbranch_execz .LBB2_6952
; %bb.6945:                             ;   in Loop: Header=BB2_6264 Depth=3
	v_bfe_u32 v61, v58, 23, 8
	v_or_b32_e32 v58, 0x800000, v56
	s_delay_alu instid0(VALU_DEP_2) | instskip(SKIP_1) | instid1(VALU_DEP_2)
	v_sub_nc_u32_e32 v18, 0x71, v61
	v_cmp_gt_u32_e32 vcc_lo, 0x72, v61
	v_cndmask_b32_e32 v18, 0, v18, vcc_lo
	v_cmp_eq_u32_e32 vcc_lo, 0, v61
	v_cndmask_b32_e32 v56, v58, v56, vcc_lo
	s_delay_alu instid0(VALU_DEP_3) | instskip(NEXT) | instid1(VALU_DEP_1)
	v_cndmask_b32_e64 v94, v18, 0x70, vcc_lo
	v_dual_add_nc_u32 v18, 21, v94 :: v_dual_add_nc_u32 v59, 20, v94
	s_delay_alu instid0(VALU_DEP_1) | instskip(NEXT) | instid1(VALU_DEP_2)
	v_lshlrev_b64_e64 v[18:19], v18, -1
	v_lshlrev_b64_e64 v[58:59], v59, 1
	s_delay_alu instid0(VALU_DEP_2) | instskip(SKIP_1) | instid1(VALU_DEP_4)
	v_bfi_b32 v18, v18, 0, v56
	v_lshrrev_b64 v[56:57], v94, v[56:57]
	v_bfi_b32 v19, v19, 0, 0
	s_delay_alu instid0(VALU_DEP_1) | instskip(NEXT) | instid1(VALU_DEP_3)
	v_cmp_eq_u64_e64 s14, v[18:19], v[58:59]
	v_mov_b64_e32 v[58:59], v[56:57]
	s_and_saveexec_b32 s78, s14
; %bb.6946:                             ;   in Loop: Header=BB2_6264 Depth=3
	v_bfe_u32 v18, v56, 21, 1
	v_mov_b32_e32 v19, v3
	s_delay_alu instid0(VALU_DEP_1) | instskip(NEXT) | instid1(VALU_DEP_1)
	v_add_nc_u64_e32 v[18:19], v[56:57], v[18:19]
	v_add_nc_u64_e32 v[58:59], -1, v[18:19]
; %bb.6947:                             ;   in Loop: Header=BB2_6264 Depth=3
	s_or_b32 exec_lo, exec_lo, s78
	v_dual_mov_b32 v57, v3 :: v_dual_add_nc_u32 v18, 0xffffff81, v61
	v_lshrrev_b32_e32 v19, 23, v56
	s_mov_b32 s14, exec_lo
	s_delay_alu instid0(VALU_DEP_2) | instskip(NEXT) | instid1(VALU_DEP_1)
	v_cndmask_b32_e64 v18, v18, 0xffffff82, vcc_lo
	v_add3_u32 v59, v94, v18, v19
	v_and_b32_e32 v18, 0x1fffff, v58
                                        ; implicit-def: $vgpr58
	s_delay_alu instid0(VALU_DEP_1) | instskip(NEXT) | instid1(VALU_DEP_1)
	v_dual_add_nc_u32 v61, 14, v59 :: v_dual_add_nc_u32 v56, v18, v56
	v_cmpx_ne_u32_e32 0, v61
	s_xor_b32 s14, exec_lo, s14
; %bb.6948:                             ;   in Loop: Header=BB2_6264 Depth=3
	s_delay_alu instid0(VALU_DEP_2) | instskip(SKIP_1) | instid1(VALU_DEP_1)
	v_cmp_lt_u64_e32 vcc_lo, 0xffffff, v[56:57]
	v_add_nc_u32_e32 v18, 15, v59
	v_cndmask_b32_e32 v58, v61, v18, vcc_lo
	v_cndmask_b32_e64 v18, 0, 1, vcc_lo
	s_delay_alu instid0(VALU_DEP_1)
	v_lshrrev_b64 v[56:57], v18, v[56:57]
; %bb.6949:                             ;   in Loop: Header=BB2_6264 Depth=3
	s_and_not1_saveexec_b32 s14, s14
; %bb.6950:                             ;   in Loop: Header=BB2_6264 Depth=3
	s_delay_alu instid0(VALU_DEP_1)
	v_bfe_u32 v58, v56, 23, 1
; %bb.6951:                             ;   in Loop: Header=BB2_6264 Depth=3
	s_or_b32 exec_lo, exec_lo, s14
	s_delay_alu instid0(VALU_DEP_2) | instskip(NEXT) | instid1(VALU_DEP_2)
	v_lshrrev_b64 v[18:19], 21, v[56:57]
	v_cmp_gt_i32_e32 vcc_lo, 32, v58
	v_min_i32_e32 v56, 31, v58
	v_cmp_eq_u32_e64 s14, 0, v58
	s_delay_alu instid0(VALU_DEP_2) | instskip(SKIP_1) | instid1(VALU_DEP_2)
	v_dual_cndmask_b32 v19, 0, v19 :: v_dual_lshlrev_b32 v56, 2, v56
	v_cndmask_b32_e32 v18, 3, v18, vcc_lo
	v_and_b32_e32 v56, 0xfc, v56
	s_delay_alu instid0(VALU_DEP_2) | instskip(NEXT) | instid1(VALU_DEP_2)
	v_cmp_eq_u64_e32 vcc_lo, 0, v[18:19]
	v_and_or_b32 v18, v18, 3, v56
	s_and_b32 s14, s14, vcc_lo
	s_delay_alu instid0(VALU_DEP_1) | instid1(SALU_CYCLE_1)
	v_cndmask_b32_e64 v18, v18, 0, s14
	s_delay_alu instid0(VALU_DEP_1)
	v_or_b32_e32 v61, v18, v30
.LBB2_6952:                             ;   in Loop: Header=BB2_6264 Depth=3
	s_or_b32 exec_lo, exec_lo, s43
                                        ; implicit-def: $vgpr30
.LBB2_6953:                             ;   in Loop: Header=BB2_6264 Depth=3
	s_and_not1_saveexec_b32 s14, s42
; %bb.6954:                             ;   in Loop: Header=BB2_6264 Depth=3
	v_or_b32_e32 v61, 0x7b, v30
; %bb.6955:                             ;   in Loop: Header=BB2_6264 Depth=3
	s_or_b32 exec_lo, exec_lo, s14
                                        ; implicit-def: $vgpr58
                                        ; implicit-def: $vgpr56_vgpr57
                                        ; implicit-def: $vgpr30
.LBB2_6956:                             ;   in Loop: Header=BB2_6264 Depth=3
	s_and_not1_saveexec_b32 s14, s15
	s_cbranch_execz .LBB2_6962
; %bb.6957:                             ;   in Loop: Header=BB2_6264 Depth=3
	s_mov_b32 s15, exec_lo
                                        ; implicit-def: $vgpr61
	v_cmpx_ne_u64_e32 0, v[56:57]
	s_xor_b32 s15, exec_lo, s15
; %bb.6958:                             ;   in Loop: Header=BB2_6264 Depth=3
	v_or_b32_e32 v61, 0x7f, v30
                                        ; implicit-def: $vgpr58
; %bb.6959:                             ;   in Loop: Header=BB2_6264 Depth=3
	s_and_not1_saveexec_b32 s15, s15
; %bb.6960:                             ;   in Loop: Header=BB2_6264 Depth=3
	v_cmp_lt_i32_e32 vcc_lo, -1, v58
	v_cndmask_b32_e32 v61, 0xfc, v120, vcc_lo
; %bb.6961:                             ;   in Loop: Header=BB2_6264 Depth=3
	s_or_b32 exec_lo, exec_lo, s15
.LBB2_6962:                             ;   in Loop: Header=BB2_6264 Depth=3
	s_delay_alu instid0(SALU_CYCLE_1) | instskip(SKIP_2) | instid1(VALU_DEP_1)
	s_or_b32 exec_lo, exec_lo, s14
	v_dual_lshrrev_b32 v30, 16, v2 :: v_dual_mov_b32 v56, 0
	s_mov_b32 s14, exec_lo
	v_and_b32_e32 v57, 0xff, v30
	s_delay_alu instid0(VALU_DEP_1)
	v_cmpx_ne_u16_e32 0, v57
	s_cbranch_execz .LBB2_6972
; %bb.6963:                             ;   in Loop: Header=BB2_6264 Depth=3
	v_bfrev_b32_e32 v56, 1
	s_mov_b32 s15, exec_lo
	v_cmpx_ne_u16_e32 0x80, v57
	s_cbranch_execz .LBB2_6971
; %bb.6964:                             ;   in Loop: Header=BB2_6264 Depth=3
	v_and_b32_e32 v18, 0x7c0000, v2
	v_bfe_u32 v57, v2, 16, 2
	s_mov_b32 s42, exec_lo
                                        ; implicit-def: $vgpr56
	s_delay_alu instid0(VALU_DEP_2)
	v_cmpx_ne_u32_e32 0x7c0000, v18
	s_xor_b32 s42, exec_lo, s42
	s_cbranch_execz .LBB2_6968
; %bb.6965:                             ;   in Loop: Header=BB2_6264 Depth=3
	v_bfe_u32 v56, v2, 18, 5
	s_mov_b32 s43, exec_lo
	s_delay_alu instid0(VALU_DEP_1)
	v_cmpx_eq_u32_e32 0, v56
; %bb.6966:                             ;   in Loop: Header=BB2_6264 Depth=3
	v_clz_i32_u32_e32 v18, v57
	s_delay_alu instid0(VALU_DEP_1) | instskip(NEXT) | instid1(VALU_DEP_1)
	v_min_u32_e32 v56, 32, v18
	v_subrev_nc_u32_e32 v18, 29, v56
	s_delay_alu instid0(VALU_DEP_1) | instskip(NEXT) | instid1(VALU_DEP_1)
	v_lshlrev_b64_e32 v[18:19], v18, v[30:31]
	v_dual_sub_nc_u32 v56, 30, v56 :: v_dual_bitop2_b32 v57, 3, v18 bitop3:0x40
; %bb.6967:                             ;   in Loop: Header=BB2_6264 Depth=3
	s_or_b32 exec_lo, exec_lo, s43
	v_lshlrev_b32_e32 v18, 24, v30
                                        ; implicit-def: $vgpr30
	s_delay_alu instid0(VALU_DEP_1) | instskip(NEXT) | instid1(VALU_DEP_1)
	v_and_b32_e32 v18, 0x80000000, v18
	v_lshl_add_u32 v18, v56, 23, v18
	s_delay_alu instid0(VALU_DEP_1) | instskip(NEXT) | instid1(VALU_DEP_1)
	v_lshl_or_b32 v18, v57, 21, v18
                                        ; implicit-def: $vgpr57
	v_add_nc_u32_e32 v56, 0x38000000, v18
.LBB2_6968:                             ;   in Loop: Header=BB2_6264 Depth=3
	s_and_not1_saveexec_b32 s42, s42
; %bb.6969:                             ;   in Loop: Header=BB2_6264 Depth=3
	v_bfe_i32 v18, v30, 0, 8
	s_delay_alu instid0(VALU_DEP_1) | instskip(SKIP_2) | instid1(VALU_DEP_2)
	v_cmp_lt_i16_e32 vcc_lo, -1, v18
	v_cndmask_b32_e32 v18, 0xff800000, v111, vcc_lo
	v_cmp_eq_u32_e32 vcc_lo, 0, v57
	v_cndmask_b32_e32 v56, 0x7f800001, v18, vcc_lo
; %bb.6970:                             ;   in Loop: Header=BB2_6264 Depth=3
	s_or_b32 exec_lo, exec_lo, s42
.LBB2_6971:                             ;   in Loop: Header=BB2_6264 Depth=3
	s_delay_alu instid0(SALU_CYCLE_1)
	s_or_b32 exec_lo, exec_lo, s15
.LBB2_6972:                             ;   in Loop: Header=BB2_6264 Depth=3
	s_delay_alu instid0(SALU_CYCLE_1) | instskip(SKIP_3) | instid1(VALU_DEP_1)
	s_or_b32 exec_lo, exec_lo, s14
	v_lshrrev_b32_e32 v30, 16, v9
	s_mov_b32 s15, 0
	s_mov_b32 s14, exec_lo
	v_and_b32_e32 v58, 0xff, v30
	s_delay_alu instid0(VALU_DEP_1)
	v_cmpx_lt_i16_e32 0x7f, v58
	s_xor_b32 s14, exec_lo, s14
	s_cbranch_execz .LBB2_7317
; %bb.6973:                             ;   in Loop: Header=BB2_6264 Depth=3
	s_mov_b32 s15, -1
	s_mov_b32 s42, exec_lo
	v_cmpx_eq_u16_e32 0x80, v58
; %bb.6974:                             ;   in Loop: Header=BB2_6264 Depth=3
	s_xor_b32 s15, exec_lo, -1
; %bb.6975:                             ;   in Loop: Header=BB2_6264 Depth=3
	s_or_b32 exec_lo, exec_lo, s42
	s_delay_alu instid0(SALU_CYCLE_1)
	s_and_b32 s15, s15, exec_lo
                                        ; implicit-def: $vgpr58
	s_or_saveexec_b32 s14, s14
	v_bfrev_b32_e32 v57, 1
	s_xor_b32 exec_lo, exec_lo, s14
	s_cbranch_execnz .LBB2_7318
.LBB2_6976:                             ;   in Loop: Header=BB2_6264 Depth=3
	s_or_b32 exec_lo, exec_lo, s14
	s_and_saveexec_b32 s14, s15
	s_cbranch_execz .LBB2_6978
.LBB2_6977:                             ;   in Loop: Header=BB2_6264 Depth=3
	v_and_b32_e32 v57, 3, v30
	v_bfe_u32 v59, v9, 18, 5
	s_delay_alu instid0(VALU_DEP_2) | instskip(NEXT) | instid1(VALU_DEP_2)
	v_clz_i32_u32_e32 v18, v57
	v_cmp_eq_u32_e32 vcc_lo, 0, v59
	s_delay_alu instid0(VALU_DEP_2) | instskip(NEXT) | instid1(VALU_DEP_1)
	v_min_u32_e32 v58, 32, v18
	v_subrev_nc_u32_e32 v18, 29, v58
	v_sub_nc_u32_e32 v58, 30, v58
	s_delay_alu instid0(VALU_DEP_2) | instskip(SKIP_1) | instid1(VALU_DEP_3)
	v_lshlrev_b64_e32 v[18:19], v18, v[30:31]
	v_lshlrev_b32_e32 v19, 24, v30
	v_cndmask_b32_e32 v58, v59, v58, vcc_lo
	v_bfe_i32 v30, v30, 0, 8
	s_delay_alu instid0(VALU_DEP_3) | instskip(SKIP_1) | instid1(VALU_DEP_2)
	v_and_b32_e32 v19, 0x80000000, v19
	v_and_b32_e32 v18, 3, v18
	v_lshl_add_u32 v19, v58, 23, v19
	s_delay_alu instid0(VALU_DEP_2) | instskip(SKIP_1) | instid1(VALU_DEP_2)
	v_cndmask_b32_e32 v18, v57, v18, vcc_lo
	v_cmp_lt_i16_e32 vcc_lo, -1, v30
	v_lshl_or_b32 v18, v18, 21, v19
	v_cndmask_b32_e32 v30, 0xff800000, v111, vcc_lo
	v_and_b32_e32 v19, 0x7c0000, v9
	v_cmp_eq_u32_e32 vcc_lo, 0, v57
	s_delay_alu instid0(VALU_DEP_4) | instskip(NEXT) | instid1(VALU_DEP_4)
	v_add_nc_u32_e32 v18, 0x38000000, v18
	v_cndmask_b32_e32 v30, 0x7f800001, v30, vcc_lo
	s_delay_alu instid0(VALU_DEP_4) | instskip(NEXT) | instid1(VALU_DEP_2)
	v_cmp_eq_u32_e32 vcc_lo, 0x7c0000, v19
	v_cndmask_b32_e32 v57, v18, v30, vcc_lo
.LBB2_6978:                             ;   in Loop: Header=BB2_6264 Depth=3
	s_or_b32 exec_lo, exec_lo, s14
	s_delay_alu instid0(VALU_DEP_1) | instskip(SKIP_2) | instid1(VALU_DEP_2)
	v_dual_add_f32 v58, v56, v57 :: v_dual_mov_b32 v19, v3
	v_mov_b32_e32 v57, v3
                                        ; implicit-def: $vgpr94
	s_mov_b32 s14, exec_lo
	v_and_b32_e32 v18, 0x7f800000, v58
	v_and_b32_e32 v56, 0x7fffff, v58
	v_lshrrev_b32_e32 v30, 24, v58
	s_delay_alu instid0(VALU_DEP_3)
	v_cmpx_ne_u64_e32 0x7f800000, v[18:19]
	s_xor_b32 s15, exec_lo, s14
	s_cbranch_execz .LBB2_6992
; %bb.6979:                             ;   in Loop: Header=BB2_6264 Depth=3
	v_and_b32_e32 v18, 0x7fffffff, v58
	v_mov_b32_e32 v19, v3
	v_and_b32_e32 v30, 0x80, v30
                                        ; implicit-def: $vgpr94
	s_mov_b32 s14, exec_lo
	s_delay_alu instid0(VALU_DEP_2)
	v_cmpx_gt_u64_e32 0x47600001, v[18:19]
	s_xor_b32 s42, exec_lo, s14
	s_cbranch_execz .LBB2_6989
; %bb.6980:                             ;   in Loop: Header=BB2_6264 Depth=3
	v_mov_b32_e32 v94, 0
	s_mov_b32 s43, exec_lo
	v_cmpx_ne_u32_e32 0, v58
	s_cbranch_execz .LBB2_6988
; %bb.6981:                             ;   in Loop: Header=BB2_6264 Depth=3
	v_bfe_u32 v94, v58, 23, 8
	v_or_b32_e32 v19, 0x800000, v56
	s_delay_alu instid0(VALU_DEP_2) | instskip(SKIP_2) | instid1(VALU_DEP_2)
	v_cmp_gt_u32_e64 s14, 0x72, v94
	v_sub_nc_u32_e32 v18, 0x71, v94
	v_cmp_eq_u32_e32 vcc_lo, 0, v94
	v_dual_cndmask_b32 v18, 0, v18, s14 :: v_dual_cndmask_b32 v56, v19, v56, vcc_lo
	s_delay_alu instid0(VALU_DEP_1) | instskip(NEXT) | instid1(VALU_DEP_1)
	v_cndmask_b32_e64 v95, v18, 0x70, vcc_lo
	v_dual_add_nc_u32 v18, 21, v95 :: v_dual_add_nc_u32 v58, 20, v95
	s_delay_alu instid0(VALU_DEP_1) | instskip(NEXT) | instid1(VALU_DEP_2)
	v_lshlrev_b64_e64 v[18:19], v18, -1
	v_lshlrev_b64_e64 v[58:59], v58, 1
	s_delay_alu instid0(VALU_DEP_2) | instskip(SKIP_1) | instid1(VALU_DEP_4)
	v_bfi_b32 v18, v18, 0, v56
	v_lshrrev_b64 v[56:57], v95, v[56:57]
	v_bfi_b32 v19, v19, 0, 0
	s_delay_alu instid0(VALU_DEP_1) | instskip(NEXT) | instid1(VALU_DEP_3)
	v_cmp_eq_u64_e64 s14, v[18:19], v[58:59]
	v_mov_b64_e32 v[58:59], v[56:57]
	s_and_saveexec_b32 s78, s14
; %bb.6982:                             ;   in Loop: Header=BB2_6264 Depth=3
	v_bfe_u32 v18, v56, 21, 1
	v_mov_b32_e32 v19, v3
	s_delay_alu instid0(VALU_DEP_1) | instskip(NEXT) | instid1(VALU_DEP_1)
	v_add_nc_u64_e32 v[18:19], v[56:57], v[18:19]
	v_add_nc_u64_e32 v[58:59], -1, v[18:19]
; %bb.6983:                             ;   in Loop: Header=BB2_6264 Depth=3
	s_or_b32 exec_lo, exec_lo, s78
	v_dual_mov_b32 v57, v3 :: v_dual_add_nc_u32 v18, 0xffffff81, v94
	v_lshrrev_b32_e32 v19, 23, v56
	s_mov_b32 s14, exec_lo
	s_delay_alu instid0(VALU_DEP_2) | instskip(NEXT) | instid1(VALU_DEP_1)
	v_cndmask_b32_e64 v18, v18, 0xffffff82, vcc_lo
	v_add3_u32 v59, v95, v18, v19
	v_and_b32_e32 v18, 0x1fffff, v58
                                        ; implicit-def: $vgpr58
	s_delay_alu instid0(VALU_DEP_1) | instskip(NEXT) | instid1(VALU_DEP_1)
	v_dual_add_nc_u32 v94, 14, v59 :: v_dual_add_nc_u32 v56, v18, v56
	v_cmpx_ne_u32_e32 0, v94
	s_xor_b32 s14, exec_lo, s14
; %bb.6984:                             ;   in Loop: Header=BB2_6264 Depth=3
	s_delay_alu instid0(VALU_DEP_2) | instskip(SKIP_1) | instid1(VALU_DEP_1)
	v_cmp_lt_u64_e32 vcc_lo, 0xffffff, v[56:57]
	v_add_nc_u32_e32 v18, 15, v59
	v_cndmask_b32_e32 v58, v94, v18, vcc_lo
	v_cndmask_b32_e64 v18, 0, 1, vcc_lo
	s_delay_alu instid0(VALU_DEP_1)
	v_lshrrev_b64 v[56:57], v18, v[56:57]
; %bb.6985:                             ;   in Loop: Header=BB2_6264 Depth=3
	s_and_not1_saveexec_b32 s14, s14
; %bb.6986:                             ;   in Loop: Header=BB2_6264 Depth=3
	s_delay_alu instid0(VALU_DEP_1)
	v_bfe_u32 v58, v56, 23, 1
; %bb.6987:                             ;   in Loop: Header=BB2_6264 Depth=3
	s_or_b32 exec_lo, exec_lo, s14
	s_delay_alu instid0(VALU_DEP_2) | instskip(NEXT) | instid1(VALU_DEP_2)
	v_lshrrev_b64 v[18:19], 21, v[56:57]
	v_cmp_gt_i32_e32 vcc_lo, 32, v58
	v_min_i32_e32 v56, 31, v58
	v_cmp_eq_u32_e64 s14, 0, v58
	s_delay_alu instid0(VALU_DEP_2) | instskip(SKIP_1) | instid1(VALU_DEP_2)
	v_dual_cndmask_b32 v19, 0, v19 :: v_dual_lshlrev_b32 v56, 2, v56
	v_cndmask_b32_e32 v18, 3, v18, vcc_lo
	v_and_b32_e32 v56, 0xfc, v56
	s_delay_alu instid0(VALU_DEP_2) | instskip(NEXT) | instid1(VALU_DEP_2)
	v_cmp_eq_u64_e32 vcc_lo, 0, v[18:19]
	v_and_or_b32 v18, v18, 3, v56
	s_and_b32 s14, s14, vcc_lo
	s_delay_alu instid0(VALU_DEP_1) | instid1(SALU_CYCLE_1)
	v_cndmask_b32_e64 v18, v18, 0, s14
	s_delay_alu instid0(VALU_DEP_1)
	v_or_b32_e32 v94, v18, v30
.LBB2_6988:                             ;   in Loop: Header=BB2_6264 Depth=3
	s_or_b32 exec_lo, exec_lo, s43
                                        ; implicit-def: $vgpr30
.LBB2_6989:                             ;   in Loop: Header=BB2_6264 Depth=3
	s_and_not1_saveexec_b32 s14, s42
; %bb.6990:                             ;   in Loop: Header=BB2_6264 Depth=3
	v_or_b32_e32 v94, 0x7b, v30
; %bb.6991:                             ;   in Loop: Header=BB2_6264 Depth=3
	s_or_b32 exec_lo, exec_lo, s14
                                        ; implicit-def: $vgpr58
                                        ; implicit-def: $vgpr56_vgpr57
                                        ; implicit-def: $vgpr30
.LBB2_6992:                             ;   in Loop: Header=BB2_6264 Depth=3
	s_and_not1_saveexec_b32 s14, s15
	s_cbranch_execz .LBB2_6998
; %bb.6993:                             ;   in Loop: Header=BB2_6264 Depth=3
	s_mov_b32 s15, exec_lo
                                        ; implicit-def: $vgpr94
	v_cmpx_ne_u64_e32 0, v[56:57]
	s_xor_b32 s15, exec_lo, s15
; %bb.6994:                             ;   in Loop: Header=BB2_6264 Depth=3
	v_or_b32_e32 v94, 0x7f, v30
                                        ; implicit-def: $vgpr58
; %bb.6995:                             ;   in Loop: Header=BB2_6264 Depth=3
	s_and_not1_saveexec_b32 s15, s15
; %bb.6996:                             ;   in Loop: Header=BB2_6264 Depth=3
	v_cmp_lt_i32_e32 vcc_lo, -1, v58
	v_cndmask_b32_e32 v94, 0xfc, v120, vcc_lo
; %bb.6997:                             ;   in Loop: Header=BB2_6264 Depth=3
	s_or_b32 exec_lo, exec_lo, s15
.LBB2_6998:                             ;   in Loop: Header=BB2_6264 Depth=3
	s_delay_alu instid0(SALU_CYCLE_1)
	s_or_b32 exec_lo, exec_lo, s14
	v_mov_b32_e32 v56, 0
	s_mov_b32 s14, exec_lo
	v_cmpx_lt_u32_e32 0xffffff, v2
	s_cbranch_execz .LBB2_7008
; %bb.6999:                             ;   in Loop: Header=BB2_6264 Depth=3
	v_lshrrev_b32_e32 v30, 24, v2
	v_bfrev_b32_e32 v56, 1
	s_mov_b32 s15, exec_lo
	s_delay_alu instid0(VALU_DEP_2)
	v_cmpx_ne_u32_e32 0x80, v30
	s_cbranch_execz .LBB2_7007
; %bb.7000:                             ;   in Loop: Header=BB2_6264 Depth=3
	v_and_b32_e32 v18, 0x7c000000, v2
	v_bfe_u32 v57, v2, 24, 2
	s_mov_b32 s42, exec_lo
                                        ; implicit-def: $vgpr56
	s_delay_alu instid0(VALU_DEP_2)
	v_cmpx_ne_u32_e32 0x7c000000, v18
	s_xor_b32 s42, exec_lo, s42
	s_cbranch_execz .LBB2_7004
; %bb.7001:                             ;   in Loop: Header=BB2_6264 Depth=3
	v_bfe_u32 v56, v2, 26, 5
	s_mov_b32 s43, exec_lo
	s_delay_alu instid0(VALU_DEP_1)
	v_cmpx_eq_u32_e32 0, v56
; %bb.7002:                             ;   in Loop: Header=BB2_6264 Depth=3
	v_clz_i32_u32_e32 v18, v57
	s_delay_alu instid0(VALU_DEP_1) | instskip(NEXT) | instid1(VALU_DEP_1)
	v_min_u32_e32 v56, 32, v18
	v_subrev_nc_u32_e32 v18, 29, v56
	s_delay_alu instid0(VALU_DEP_1) | instskip(NEXT) | instid1(VALU_DEP_1)
	v_lshlrev_b64_e32 v[18:19], v18, v[30:31]
	v_dual_sub_nc_u32 v56, 30, v56 :: v_dual_bitop2_b32 v57, 3, v18 bitop3:0x40
; %bb.7003:                             ;   in Loop: Header=BB2_6264 Depth=3
	s_or_b32 exec_lo, exec_lo, s43
	v_and_b32_e32 v2, 0x80000000, v2
	s_delay_alu instid0(VALU_DEP_1) | instskip(NEXT) | instid1(VALU_DEP_1)
	v_lshl_add_u32 v2, v56, 23, v2
	v_lshl_or_b32 v2, v57, 21, v2
                                        ; implicit-def: $vgpr57
	s_delay_alu instid0(VALU_DEP_1)
	v_add_nc_u32_e32 v56, 0x38000000, v2
.LBB2_7004:                             ;   in Loop: Header=BB2_6264 Depth=3
	s_and_not1_saveexec_b32 s42, s42
; %bb.7005:                             ;   in Loop: Header=BB2_6264 Depth=3
	v_cmp_lt_i32_e32 vcc_lo, -1, v2
	v_cndmask_b32_e32 v2, 0xff800000, v111, vcc_lo
	v_cmp_eq_u32_e32 vcc_lo, 0, v57
	s_delay_alu instid0(VALU_DEP_2)
	v_cndmask_b32_e32 v56, 0x7f800001, v2, vcc_lo
; %bb.7006:                             ;   in Loop: Header=BB2_6264 Depth=3
	s_or_b32 exec_lo, exec_lo, s42
.LBB2_7007:                             ;   in Loop: Header=BB2_6264 Depth=3
	s_delay_alu instid0(SALU_CYCLE_1)
	s_or_b32 exec_lo, exec_lo, s15
.LBB2_7008:                             ;   in Loop: Header=BB2_6264 Depth=3
	s_delay_alu instid0(SALU_CYCLE_1) | instskip(SKIP_3) | instid1(VALU_DEP_2)
	s_or_b32 exec_lo, exec_lo, s14
	v_bfe_u32 v30, v9, 24, 2
	v_bfe_u32 v58, v9, 26, 5
	s_mov_b32 s14, exec_lo
	v_clz_i32_u32_e32 v2, v30
	s_delay_alu instid0(VALU_DEP_2) | instskip(NEXT) | instid1(VALU_DEP_2)
	v_cmp_eq_u32_e32 vcc_lo, 0, v58
	v_min_u32_e32 v57, 32, v2
	v_lshrrev_b32_e32 v2, 24, v9
	s_delay_alu instid0(VALU_DEP_2) | instskip(NEXT) | instid1(VALU_DEP_1)
	v_subrev_nc_u32_e32 v18, 29, v57
	v_lshlrev_b64_e32 v[18:19], v18, v[2:3]
	v_sub_nc_u32_e32 v19, 30, v57
	v_and_b32_e32 v57, 0x80000000, v9
	s_delay_alu instid0(VALU_DEP_2) | instskip(NEXT) | instid1(VALU_DEP_1)
	v_dual_cndmask_b32 v19, v58, v19, vcc_lo :: v_dual_bitop2_b32 v18, 3, v18 bitop3:0x40
	v_cndmask_b32_e32 v18, v30, v18, vcc_lo
	v_cmp_lt_i64_e32 vcc_lo, -1, v[8:9]
	s_delay_alu instid0(VALU_DEP_3) | instskip(NEXT) | instid1(VALU_DEP_1)
	v_lshl_add_u32 v19, v19, 23, v57
	v_lshl_or_b32 v18, v18, 21, v19
	v_cndmask_b32_e32 v57, 0xff800000, v111, vcc_lo
	v_and_b32_e32 v19, 0x7c000000, v9
	v_cmp_eq_u32_e32 vcc_lo, 0, v30
	s_delay_alu instid0(VALU_DEP_4) | instskip(NEXT) | instid1(VALU_DEP_4)
	v_add_nc_u32_e32 v18, 0x38000000, v18
	v_cndmask_b32_e32 v30, 0x7f800001, v57, vcc_lo
	s_delay_alu instid0(VALU_DEP_4) | instskip(NEXT) | instid1(VALU_DEP_2)
	v_cmp_eq_u32_e32 vcc_lo, 0x7c000000, v19
	v_dual_mov_b32 v19, v3 :: v_dual_cndmask_b32 v18, v18, v30
	v_cmp_ne_u32_e32 vcc_lo, 0x80, v2
                                        ; implicit-def: $vgpr30
	s_delay_alu instid0(VALU_DEP_2) | instskip(SKIP_1) | instid1(VALU_DEP_2)
	v_cndmask_b32_e32 v2, 0x80000000, v18, vcc_lo
	v_cmp_lt_u64_e32 vcc_lo, s[22:23], v[8:9]
	v_cndmask_b32_e32 v2, 0, v2, vcc_lo
	s_delay_alu instid0(VALU_DEP_1) | instskip(NEXT) | instid1(VALU_DEP_1)
	v_add_f32_e32 v8, v2, v56
	v_and_b32_e32 v18, 0x7f800000, v8
	v_and_b32_e32 v2, 0x7fffff, v8
	v_lshrrev_b32_e32 v9, 24, v8
	s_delay_alu instid0(VALU_DEP_3)
	v_cmpx_ne_u64_e32 0x7f800000, v[18:19]
	s_xor_b32 s15, exec_lo, s14
	s_cbranch_execz .LBB2_7022
; %bb.7009:                             ;   in Loop: Header=BB2_6264 Depth=3
	v_and_b32_e32 v18, 0x7fffffff, v8
	v_mov_b32_e32 v19, v3
	v_and_b32_e32 v58, 0x80, v9
                                        ; implicit-def: $vgpr30
	s_mov_b32 s14, exec_lo
	s_delay_alu instid0(VALU_DEP_2)
	v_cmpx_gt_u64_e32 0x47600001, v[18:19]
	s_xor_b32 s42, exec_lo, s14
	s_cbranch_execz .LBB2_7019
; %bb.7010:                             ;   in Loop: Header=BB2_6264 Depth=3
	v_mov_b32_e32 v30, 0
	s_mov_b32 s43, exec_lo
	v_cmpx_ne_u32_e32 0, v8
	s_cbranch_execz .LBB2_7018
; %bb.7011:                             ;   in Loop: Header=BB2_6264 Depth=3
	v_bfe_u32 v30, v8, 23, 8
	v_or_b32_e32 v18, 0x800000, v2
	s_delay_alu instid0(VALU_DEP_2) | instskip(SKIP_1) | instid1(VALU_DEP_2)
	v_dual_mov_b32 v19, v3 :: v_dual_sub_nc_u32 v8, 0x71, v30
	v_cmp_gt_u32_e32 vcc_lo, 0x72, v30
	v_cndmask_b32_e32 v8, 0, v8, vcc_lo
	v_cmp_eq_u32_e32 vcc_lo, 0, v30
	s_delay_alu instid0(VALU_DEP_2) | instskip(NEXT) | instid1(VALU_DEP_1)
	v_cndmask_b32_e64 v59, v8, 0x70, vcc_lo
	v_dual_cndmask_b32 v18, v18, v2, vcc_lo :: v_dual_add_nc_u32 v8, 21, v59
	v_add_nc_u32_e32 v56, 20, v59
	s_delay_alu instid0(VALU_DEP_2) | instskip(NEXT) | instid1(VALU_DEP_2)
	v_lshlrev_b64_e64 v[8:9], v8, -1
	v_lshlrev_b64_e64 v[56:57], v56, 1
	s_delay_alu instid0(VALU_DEP_2) | instskip(NEXT) | instid1(VALU_DEP_3)
	v_bfi_b32 v105, v9, 0, 0
	v_bfi_b32 v104, v8, 0, v18
	v_lshrrev_b64 v[8:9], v59, v[18:19]
	s_delay_alu instid0(VALU_DEP_2) | instskip(NEXT) | instid1(VALU_DEP_2)
	v_cmp_eq_u64_e64 s14, v[104:105], v[56:57]
	v_mov_b64_e32 v[56:57], v[8:9]
	s_and_saveexec_b32 s78, s14
; %bb.7012:                             ;   in Loop: Header=BB2_6264 Depth=3
	v_bfe_u32 v18, v8, 21, 1
	v_mov_b32_e32 v19, v3
	s_delay_alu instid0(VALU_DEP_1) | instskip(NEXT) | instid1(VALU_DEP_1)
	v_add_nc_u64_e32 v[18:19], v[8:9], v[18:19]
	v_add_nc_u64_e32 v[56:57], -1, v[18:19]
; %bb.7013:                             ;   in Loop: Header=BB2_6264 Depth=3
	s_or_b32 exec_lo, exec_lo, s78
	v_add_nc_u32_e32 v2, 0xffffff81, v30
	s_delay_alu instid0(VALU_DEP_2) | instskip(SKIP_2) | instid1(VALU_DEP_3)
	v_and_b32_e32 v18, 0x1fffff, v56
	v_lshrrev_b32_e32 v9, 23, v8
	s_mov_b32 s14, exec_lo
                                        ; implicit-def: $vgpr30
	v_cndmask_b32_e64 v2, v2, 0xffffff82, vcc_lo
	s_delay_alu instid0(VALU_DEP_1) | instskip(SKIP_1) | instid1(VALU_DEP_2)
	v_add3_u32 v56, v59, v2, v9
	v_add_nc_u32_e32 v2, v18, v8
                                        ; implicit-def: $vgpr8_vgpr9
	v_add_nc_u32_e32 v57, 14, v56
	s_delay_alu instid0(VALU_DEP_1)
	v_cmpx_ne_u32_e32 0, v57
	s_xor_b32 s14, exec_lo, s14
; %bb.7014:                             ;   in Loop: Header=BB2_6264 Depth=3
	s_delay_alu instid0(VALU_DEP_3) | instskip(SKIP_1) | instid1(VALU_DEP_1)
	v_cmp_lt_u64_e32 vcc_lo, 0xffffff, v[2:3]
	v_add_nc_u32_e32 v8, 15, v56
	v_cndmask_b32_e32 v30, v57, v8, vcc_lo
	v_cndmask_b32_e64 v8, 0, 1, vcc_lo
	s_delay_alu instid0(VALU_DEP_1)
	v_lshrrev_b64 v[8:9], v8, v[2:3]
; %bb.7015:                             ;   in Loop: Header=BB2_6264 Depth=3
	s_and_not1_saveexec_b32 s14, s14
; %bb.7016:                             ;   in Loop: Header=BB2_6264 Depth=3
	v_mov_b64_e32 v[8:9], v[2:3]
	v_bfe_u32 v30, v2, 23, 1
; %bb.7017:                             ;   in Loop: Header=BB2_6264 Depth=3
	s_or_b32 exec_lo, exec_lo, s14
	s_delay_alu instid0(VALU_DEP_2) | instskip(NEXT) | instid1(VALU_DEP_2)
	v_lshrrev_b64 v[8:9], 21, v[8:9]
	v_cmp_gt_i32_e32 vcc_lo, 32, v30
	v_min_i32_e32 v2, 31, v30
	v_cmp_eq_u32_e64 s14, 0, v30
	s_delay_alu instid0(VALU_DEP_2) | instskip(SKIP_1) | instid1(VALU_DEP_2)
	v_dual_cndmask_b32 v9, 0, v9 :: v_dual_lshlrev_b32 v2, 2, v2
	v_cndmask_b32_e32 v8, 3, v8, vcc_lo
	v_and_b32_e32 v2, 0xfc, v2
	s_delay_alu instid0(VALU_DEP_2) | instskip(NEXT) | instid1(VALU_DEP_2)
	v_cmp_eq_u64_e32 vcc_lo, 0, v[8:9]
	v_and_or_b32 v2, v8, 3, v2
	s_and_b32 s14, s14, vcc_lo
	s_delay_alu instid0(VALU_DEP_1) | instid1(SALU_CYCLE_1)
	v_cndmask_b32_e64 v2, v2, 0, s14
	s_delay_alu instid0(VALU_DEP_1)
	v_or_b32_e32 v30, v2, v58
.LBB2_7018:                             ;   in Loop: Header=BB2_6264 Depth=3
	s_or_b32 exec_lo, exec_lo, s43
                                        ; implicit-def: $vgpr58
.LBB2_7019:                             ;   in Loop: Header=BB2_6264 Depth=3
	s_and_not1_saveexec_b32 s14, s42
; %bb.7020:                             ;   in Loop: Header=BB2_6264 Depth=3
	v_or_b32_e32 v30, 0x7b, v58
; %bb.7021:                             ;   in Loop: Header=BB2_6264 Depth=3
	s_or_b32 exec_lo, exec_lo, s14
                                        ; implicit-def: $vgpr8
                                        ; implicit-def: $vgpr9
.LBB2_7022:                             ;   in Loop: Header=BB2_6264 Depth=3
	s_and_not1_saveexec_b32 s14, s15
	s_cbranch_execz .LBB2_7028
; %bb.7023:                             ;   in Loop: Header=BB2_6264 Depth=3
	s_mov_b32 s15, exec_lo
                                        ; implicit-def: $vgpr30
	v_cmpx_ne_u64_e32 0, v[2:3]
	s_xor_b32 s15, exec_lo, s15
; %bb.7024:                             ;   in Loop: Header=BB2_6264 Depth=3
	v_or_b32_e32 v30, 0x7f, v9
                                        ; implicit-def: $vgpr8
; %bb.7025:                             ;   in Loop: Header=BB2_6264 Depth=3
	s_and_not1_saveexec_b32 s15, s15
; %bb.7026:                             ;   in Loop: Header=BB2_6264 Depth=3
	v_cmp_lt_i32_e32 vcc_lo, -1, v8
	v_cndmask_b32_e32 v30, 0xfc, v120, vcc_lo
; %bb.7027:                             ;   in Loop: Header=BB2_6264 Depth=3
	s_or_b32 exec_lo, exec_lo, s15
.LBB2_7028:                             ;   in Loop: Header=BB2_6264 Depth=3
	s_delay_alu instid0(SALU_CYCLE_1) | instskip(SKIP_3) | instid1(VALU_DEP_1)
	s_or_b32 exec_lo, exec_lo, s14
	v_lshl_or_b32 v58, v89, 8, v77
	v_dual_lshlrev_b32 v2, 16, v91 :: v_dual_lshlrev_b32 v8, 24, v93
	s_mov_b32 s14, exec_lo
	v_or3_b32 v2, v2, v8, v58
	v_mov_b32_e32 v8, 0
	v_cmpx_ne_u32_e32 0, v77
	s_cbranch_execz .LBB2_7038
; %bb.7029:                             ;   in Loop: Header=BB2_6264 Depth=3
	v_bfrev_b32_e32 v8, 1
	s_mov_b32 s15, exec_lo
	v_cmpx_ne_u32_e32 0x80, v77
	s_cbranch_execz .LBB2_7037
; %bb.7030:                             ;   in Loop: Header=BB2_6264 Depth=3
	v_and_b32_e32 v8, 0x7c, v77
	v_and_b32_e32 v9, 3, v77
	s_delay_alu instid0(VALU_DEP_2) | instskip(SKIP_1) | instid1(SALU_CYCLE_1)
	v_cmp_ne_u32_e32 vcc_lo, 0x7c, v8
                                        ; implicit-def: $vgpr8
	s_and_saveexec_b32 s42, vcc_lo
	s_xor_b32 s42, exec_lo, s42
	s_cbranch_execz .LBB2_7034
; %bb.7031:                             ;   in Loop: Header=BB2_6264 Depth=3
	v_bfe_u32 v8, v77, 2, 5
	s_mov_b32 s43, exec_lo
	s_delay_alu instid0(VALU_DEP_1)
	v_cmpx_eq_u32_e32 0, v8
; %bb.7032:                             ;   in Loop: Header=BB2_6264 Depth=3
	v_clz_i32_u32_e32 v8, v9
	s_delay_alu instid0(VALU_DEP_1) | instskip(NEXT) | instid1(VALU_DEP_1)
	v_min_u32_e32 v8, 32, v8
	v_subrev_nc_u32_e32 v9, 29, v8
	s_delay_alu instid0(VALU_DEP_1) | instskip(NEXT) | instid1(VALU_DEP_1)
	v_lshlrev_b64_e32 v[18:19], v9, v[2:3]
	v_dual_sub_nc_u32 v8, 30, v8 :: v_dual_bitop2_b32 v9, 3, v18 bitop3:0x40
; %bb.7033:                             ;   in Loop: Header=BB2_6264 Depth=3
	s_or_b32 exec_lo, exec_lo, s43
	v_lshlrev_b32_e32 v18, 24, v77
                                        ; implicit-def: $vgpr77
	s_delay_alu instid0(VALU_DEP_1) | instskip(NEXT) | instid1(VALU_DEP_1)
	v_and_b32_e32 v18, 0x80000000, v18
	v_lshl_add_u32 v8, v8, 23, v18
	s_delay_alu instid0(VALU_DEP_1) | instskip(NEXT) | instid1(VALU_DEP_1)
	v_lshl_or_b32 v8, v9, 21, v8
                                        ; implicit-def: $vgpr9
	v_add_nc_u32_e32 v8, 0x38000000, v8
.LBB2_7034:                             ;   in Loop: Header=BB2_6264 Depth=3
	s_and_not1_saveexec_b32 s42, s42
; %bb.7035:                             ;   in Loop: Header=BB2_6264 Depth=3
	v_and_b32_e32 v8, 0x80, v77
	s_delay_alu instid0(VALU_DEP_1) | instskip(SKIP_2) | instid1(VALU_DEP_2)
	v_cmp_eq_u32_e32 vcc_lo, 0, v8
	v_cndmask_b32_e32 v8, 0xff800000, v111, vcc_lo
	v_cmp_eq_u32_e32 vcc_lo, 0, v9
	v_cndmask_b32_e32 v8, 0x7f800001, v8, vcc_lo
; %bb.7036:                             ;   in Loop: Header=BB2_6264 Depth=3
	s_or_b32 exec_lo, exec_lo, s42
.LBB2_7037:                             ;   in Loop: Header=BB2_6264 Depth=3
	s_delay_alu instid0(SALU_CYCLE_1)
	s_or_b32 exec_lo, exec_lo, s15
.LBB2_7038:                             ;   in Loop: Header=BB2_6264 Depth=3
	s_delay_alu instid0(SALU_CYCLE_1) | instskip(SKIP_3) | instid1(VALU_DEP_1)
	s_or_b32 exec_lo, exec_lo, s14
	v_and_b32_e32 v56, 0xff, v10
	s_mov_b32 s15, 0
	s_mov_b32 s14, exec_lo
	v_cmpx_lt_i16_e32 0x7f, v56
	s_xor_b32 s14, exec_lo, s14
	s_cbranch_execz .LBB2_7319
; %bb.7039:                             ;   in Loop: Header=BB2_6264 Depth=3
	s_mov_b32 s15, -1
	s_mov_b32 s42, exec_lo
	v_cmpx_eq_u16_e32 0x80, v56
; %bb.7040:                             ;   in Loop: Header=BB2_6264 Depth=3
	s_xor_b32 s15, exec_lo, -1
; %bb.7041:                             ;   in Loop: Header=BB2_6264 Depth=3
	s_or_b32 exec_lo, exec_lo, s42
	s_delay_alu instid0(SALU_CYCLE_1)
	s_and_b32 s15, s15, exec_lo
                                        ; implicit-def: $vgpr56
	s_or_saveexec_b32 s14, s14
	v_bfrev_b32_e32 v9, 1
	s_xor_b32 exec_lo, exec_lo, s14
	s_cbranch_execnz .LBB2_7320
.LBB2_7042:                             ;   in Loop: Header=BB2_6264 Depth=3
	s_or_b32 exec_lo, exec_lo, s14
	s_and_saveexec_b32 s14, s15
	s_cbranch_execz .LBB2_7044
.LBB2_7043:                             ;   in Loop: Header=BB2_6264 Depth=3
	v_and_b32_e32 v9, 3, v10
	v_bfe_u32 v57, v10, 2, 5
	s_delay_alu instid0(VALU_DEP_2) | instskip(NEXT) | instid1(VALU_DEP_2)
	v_clz_i32_u32_e32 v18, v9
	v_cmp_eq_u32_e32 vcc_lo, 0, v57
	s_delay_alu instid0(VALU_DEP_2) | instskip(NEXT) | instid1(VALU_DEP_1)
	v_min_u32_e32 v56, 32, v18
	v_subrev_nc_u32_e32 v18, 29, v56
	s_delay_alu instid0(VALU_DEP_1) | instskip(SKIP_1) | instid1(VALU_DEP_1)
	v_lshlrev_b64_e32 v[18:19], v18, v[10:11]
	v_dual_lshlrev_b32 v19, 24, v10 :: v_dual_sub_nc_u32 v56, 30, v56
	v_and_b32_e32 v19, 0x80000000, v19
	s_delay_alu instid0(VALU_DEP_2) | instskip(SKIP_1) | instid1(VALU_DEP_2)
	v_dual_cndmask_b32 v56, v57, v56, vcc_lo :: v_dual_bitop2_b32 v18, 3, v18 bitop3:0x40
	v_bfe_i32 v57, v10, 0, 8
	v_cndmask_b32_e32 v18, v9, v18, vcc_lo
	s_delay_alu instid0(VALU_DEP_3) | instskip(NEXT) | instid1(VALU_DEP_3)
	v_lshl_add_u32 v19, v56, 23, v19
	v_cmp_lt_i16_e32 vcc_lo, -1, v57
	s_delay_alu instid0(VALU_DEP_2) | instskip(SKIP_3) | instid1(VALU_DEP_4)
	v_lshl_or_b32 v18, v18, 21, v19
	v_cndmask_b32_e32 v56, 0xff800000, v111, vcc_lo
	v_and_b32_e32 v19, 0x7c, v10
	v_cmp_eq_u32_e32 vcc_lo, 0, v9
	v_add_nc_u32_e32 v18, 0x38000000, v18
	s_delay_alu instid0(VALU_DEP_4) | instskip(NEXT) | instid1(VALU_DEP_4)
	v_cndmask_b32_e32 v9, 0x7f800001, v56, vcc_lo
	v_cmp_eq_u32_e32 vcc_lo, 0x7c, v19
	s_delay_alu instid0(VALU_DEP_2)
	v_cndmask_b32_e32 v9, v18, v9, vcc_lo
.LBB2_7044:                             ;   in Loop: Header=BB2_6264 Depth=3
	s_or_b32 exec_lo, exec_lo, s14
	s_delay_alu instid0(VALU_DEP_1) | instskip(SKIP_2) | instid1(VALU_DEP_2)
	v_dual_add_f32 v56, v8, v9 :: v_dual_mov_b32 v19, v3
	v_mov_b32_e32 v9, v3
                                        ; implicit-def: $vgpr77
	s_mov_b32 s14, exec_lo
	v_and_b32_e32 v18, 0x7f800000, v56
	v_and_b32_e32 v8, 0x7fffff, v56
	v_lshrrev_b32_e32 v57, 24, v56
	s_delay_alu instid0(VALU_DEP_3)
	v_cmpx_ne_u64_e32 0x7f800000, v[18:19]
	s_xor_b32 s15, exec_lo, s14
	s_cbranch_execz .LBB2_7058
; %bb.7045:                             ;   in Loop: Header=BB2_6264 Depth=3
	v_and_b32_e32 v18, 0x7fffffff, v56
	v_mov_b32_e32 v19, v3
	v_and_b32_e32 v59, 0x80, v57
                                        ; implicit-def: $vgpr77
	s_mov_b32 s14, exec_lo
	s_delay_alu instid0(VALU_DEP_2)
	v_cmpx_gt_u64_e32 0x47600001, v[18:19]
	s_xor_b32 s42, exec_lo, s14
	s_cbranch_execz .LBB2_7055
; %bb.7046:                             ;   in Loop: Header=BB2_6264 Depth=3
	v_mov_b32_e32 v77, 0
	s_mov_b32 s43, exec_lo
	v_cmpx_ne_u32_e32 0, v56
	s_cbranch_execz .LBB2_7054
; %bb.7047:                             ;   in Loop: Header=BB2_6264 Depth=3
	v_bfe_u32 v77, v56, 23, 8
	v_or_b32_e32 v56, 0x800000, v8
	s_delay_alu instid0(VALU_DEP_2) | instskip(SKIP_1) | instid1(VALU_DEP_2)
	v_sub_nc_u32_e32 v18, 0x71, v77
	v_cmp_gt_u32_e32 vcc_lo, 0x72, v77
	v_cndmask_b32_e32 v18, 0, v18, vcc_lo
	v_cmp_eq_u32_e32 vcc_lo, 0, v77
	s_delay_alu instid0(VALU_DEP_2) | instskip(NEXT) | instid1(VALU_DEP_1)
	v_cndmask_b32_e64 v89, v18, 0x70, vcc_lo
	v_dual_cndmask_b32 v8, v56, v8, vcc_lo :: v_dual_add_nc_u32 v18, 21, v89
	v_add_nc_u32_e32 v57, 20, v89
	s_delay_alu instid0(VALU_DEP_2) | instskip(NEXT) | instid1(VALU_DEP_2)
	v_lshlrev_b64_e64 v[18:19], v18, -1
	v_lshlrev_b64_e64 v[56:57], v57, 1
	s_delay_alu instid0(VALU_DEP_2) | instskip(SKIP_1) | instid1(VALU_DEP_4)
	v_bfi_b32 v18, v18, 0, v8
	v_lshrrev_b64 v[8:9], v89, v[8:9]
	v_bfi_b32 v19, v19, 0, 0
	s_delay_alu instid0(VALU_DEP_1) | instskip(NEXT) | instid1(VALU_DEP_3)
	v_cmp_eq_u64_e64 s14, v[18:19], v[56:57]
	v_mov_b64_e32 v[56:57], v[8:9]
	s_and_saveexec_b32 s78, s14
; %bb.7048:                             ;   in Loop: Header=BB2_6264 Depth=3
	v_bfe_u32 v18, v8, 21, 1
	v_mov_b32_e32 v19, v3
	s_delay_alu instid0(VALU_DEP_1) | instskip(NEXT) | instid1(VALU_DEP_1)
	v_add_nc_u64_e32 v[18:19], v[8:9], v[18:19]
	v_add_nc_u64_e32 v[56:57], -1, v[18:19]
; %bb.7049:                             ;   in Loop: Header=BB2_6264 Depth=3
	s_or_b32 exec_lo, exec_lo, s78
	v_add_nc_u32_e32 v9, 0xffffff81, v77
	v_lshrrev_b32_e32 v18, 23, v8
	s_mov_b32 s14, exec_lo
	s_delay_alu instid0(VALU_DEP_2) | instskip(NEXT) | instid1(VALU_DEP_1)
	v_cndmask_b32_e64 v9, v9, 0xffffff82, vcc_lo
	v_add3_u32 v57, v89, v9, v18
	v_and_b32_e32 v9, 0x1fffff, v56
                                        ; implicit-def: $vgpr56
	s_delay_alu instid0(VALU_DEP_1) | instskip(SKIP_1) | instid1(VALU_DEP_2)
	v_dual_add_nc_u32 v77, 14, v57 :: v_dual_add_nc_u32 v8, v9, v8
	v_mov_b32_e32 v9, v3
	v_cmpx_ne_u32_e32 0, v77
	s_xor_b32 s14, exec_lo, s14
; %bb.7050:                             ;   in Loop: Header=BB2_6264 Depth=3
	s_delay_alu instid0(VALU_DEP_2) | instskip(SKIP_1) | instid1(VALU_DEP_1)
	v_cmp_lt_u64_e32 vcc_lo, 0xffffff, v[8:9]
	v_add_nc_u32_e32 v18, 15, v57
	v_cndmask_b32_e32 v56, v77, v18, vcc_lo
	v_cndmask_b32_e64 v18, 0, 1, vcc_lo
	s_delay_alu instid0(VALU_DEP_1)
	v_lshrrev_b64 v[8:9], v18, v[8:9]
; %bb.7051:                             ;   in Loop: Header=BB2_6264 Depth=3
	s_and_not1_saveexec_b32 s14, s14
; %bb.7052:                             ;   in Loop: Header=BB2_6264 Depth=3
	s_delay_alu instid0(VALU_DEP_1)
	v_bfe_u32 v56, v8, 23, 1
; %bb.7053:                             ;   in Loop: Header=BB2_6264 Depth=3
	s_or_b32 exec_lo, exec_lo, s14
	s_delay_alu instid0(VALU_DEP_2) | instskip(NEXT) | instid1(VALU_DEP_2)
	v_lshrrev_b64 v[8:9], 21, v[8:9]
	v_cmp_gt_i32_e32 vcc_lo, 32, v56
	v_min_i32_e32 v18, 31, v56
	v_cmp_eq_u32_e64 s14, 0, v56
	s_delay_alu instid0(VALU_DEP_2) | instskip(SKIP_1) | instid1(VALU_DEP_2)
	v_dual_cndmask_b32 v9, 0, v9 :: v_dual_lshlrev_b32 v18, 2, v18
	v_cndmask_b32_e32 v8, 3, v8, vcc_lo
	v_and_b32_e32 v18, 0xfc, v18
	s_delay_alu instid0(VALU_DEP_2) | instskip(NEXT) | instid1(VALU_DEP_2)
	v_cmp_eq_u64_e32 vcc_lo, 0, v[8:9]
	v_and_or_b32 v8, v8, 3, v18
	s_and_b32 s14, s14, vcc_lo
	s_delay_alu instid0(VALU_DEP_1) | instid1(SALU_CYCLE_1)
	v_cndmask_b32_e64 v8, v8, 0, s14
	s_delay_alu instid0(VALU_DEP_1)
	v_or_b32_e32 v77, v8, v59
.LBB2_7054:                             ;   in Loop: Header=BB2_6264 Depth=3
	s_or_b32 exec_lo, exec_lo, s43
                                        ; implicit-def: $vgpr59
.LBB2_7055:                             ;   in Loop: Header=BB2_6264 Depth=3
	s_and_not1_saveexec_b32 s14, s42
; %bb.7056:                             ;   in Loop: Header=BB2_6264 Depth=3
	v_or_b32_e32 v77, 0x7b, v59
; %bb.7057:                             ;   in Loop: Header=BB2_6264 Depth=3
	s_or_b32 exec_lo, exec_lo, s14
                                        ; implicit-def: $vgpr56
                                        ; implicit-def: $vgpr8_vgpr9
                                        ; implicit-def: $vgpr57
.LBB2_7058:                             ;   in Loop: Header=BB2_6264 Depth=3
	s_and_not1_saveexec_b32 s14, s15
	s_cbranch_execz .LBB2_7064
; %bb.7059:                             ;   in Loop: Header=BB2_6264 Depth=3
	s_mov_b32 s15, exec_lo
                                        ; implicit-def: $vgpr77
	v_cmpx_ne_u64_e32 0, v[8:9]
	s_xor_b32 s15, exec_lo, s15
; %bb.7060:                             ;   in Loop: Header=BB2_6264 Depth=3
	v_or_b32_e32 v77, 0x7f, v57
                                        ; implicit-def: $vgpr56
; %bb.7061:                             ;   in Loop: Header=BB2_6264 Depth=3
	s_and_not1_saveexec_b32 s15, s15
; %bb.7062:                             ;   in Loop: Header=BB2_6264 Depth=3
	v_cmp_lt_i32_e32 vcc_lo, -1, v56
	v_cndmask_b32_e32 v77, 0xfc, v120, vcc_lo
; %bb.7063:                             ;   in Loop: Header=BB2_6264 Depth=3
	s_or_b32 exec_lo, exec_lo, s15
.LBB2_7064:                             ;   in Loop: Header=BB2_6264 Depth=3
	s_delay_alu instid0(SALU_CYCLE_1) | instskip(SKIP_3) | instid1(VALU_DEP_2)
	s_or_b32 exec_lo, exec_lo, s14
	v_lshrrev_b16 v8, 8, v58
	v_mov_b32_e32 v56, 0
	s_mov_b32 s14, exec_lo
	v_cmpx_ne_u16_e32 0, v8
	s_cbranch_execz .LBB2_7074
; %bb.7065:                             ;   in Loop: Header=BB2_6264 Depth=3
	v_bfrev_b32_e32 v56, 1
	s_mov_b32 s15, exec_lo
	v_cmpx_ne_u16_e32 0x80, v8
	s_cbranch_execz .LBB2_7073
; %bb.7066:                             ;   in Loop: Header=BB2_6264 Depth=3
	v_and_b32_e32 v57, 0xffff, v8
	s_mov_b32 s42, exec_lo
                                        ; implicit-def: $vgpr56
	s_delay_alu instid0(VALU_DEP_1) | instskip(SKIP_1) | instid1(VALU_DEP_2)
	v_and_b32_e32 v18, 0x7c, v57
	v_and_b32_e32 v9, 3, v57
	v_cmpx_ne_u32_e32 0x7c, v18
	s_xor_b32 s42, exec_lo, s42
	s_cbranch_execz .LBB2_7070
; %bb.7067:                             ;   in Loop: Header=BB2_6264 Depth=3
	v_bfe_u32 v56, v57, 2, 5
	s_mov_b32 s43, exec_lo
	s_delay_alu instid0(VALU_DEP_1)
	v_cmpx_eq_u32_e32 0, v56
; %bb.7068:                             ;   in Loop: Header=BB2_6264 Depth=3
	v_clz_i32_u32_e32 v9, v9
	s_delay_alu instid0(VALU_DEP_1) | instskip(NEXT) | instid1(VALU_DEP_1)
	v_min_u32_e32 v18, 32, v9
	v_dual_mov_b32 v9, v3 :: v_dual_sub_nc_u32 v56, 30, v18
	v_subrev_nc_u32_e32 v19, 29, v18
	s_delay_alu instid0(VALU_DEP_1) | instskip(NEXT) | instid1(VALU_DEP_1)
	v_lshlrev_b64_e32 v[8:9], v19, v[8:9]
	v_and_b32_e32 v9, 3, v8
; %bb.7069:                             ;   in Loop: Header=BB2_6264 Depth=3
	s_or_b32 exec_lo, exec_lo, s43
	v_lshlrev_b32_e32 v8, 16, v58
                                        ; implicit-def: $vgpr58
	s_delay_alu instid0(VALU_DEP_1) | instskip(NEXT) | instid1(VALU_DEP_1)
	v_and_b32_e32 v8, 0x80000000, v8
	v_lshl_add_u32 v8, v56, 23, v8
	s_delay_alu instid0(VALU_DEP_1) | instskip(NEXT) | instid1(VALU_DEP_1)
	v_lshl_or_b32 v8, v9, 21, v8
                                        ; implicit-def: $vgpr9
	v_add_nc_u32_e32 v56, 0x38000000, v8
.LBB2_7070:                             ;   in Loop: Header=BB2_6264 Depth=3
	s_and_not1_saveexec_b32 s42, s42
; %bb.7071:                             ;   in Loop: Header=BB2_6264 Depth=3
	v_cmp_lt_i16_e32 vcc_lo, -1, v58
	v_cndmask_b32_e32 v8, 0xff800000, v111, vcc_lo
	v_cmp_eq_u32_e32 vcc_lo, 0, v9
	s_delay_alu instid0(VALU_DEP_2)
	v_cndmask_b32_e32 v56, 0x7f800001, v8, vcc_lo
; %bb.7072:                             ;   in Loop: Header=BB2_6264 Depth=3
	s_or_b32 exec_lo, exec_lo, s42
.LBB2_7073:                             ;   in Loop: Header=BB2_6264 Depth=3
	s_delay_alu instid0(SALU_CYCLE_1)
	s_or_b32 exec_lo, exec_lo, s15
.LBB2_7074:                             ;   in Loop: Header=BB2_6264 Depth=3
	s_delay_alu instid0(SALU_CYCLE_1) | instskip(SKIP_3) | instid1(VALU_DEP_1)
	s_or_b32 exec_lo, exec_lo, s14
	v_lshrrev_b16 v8, 8, v10
	s_mov_b32 s15, 0
	s_mov_b32 s14, exec_lo
	v_cmpx_lt_i16_e32 0x7f, v8
	s_xor_b32 s14, exec_lo, s14
	s_cbranch_execz .LBB2_7321
; %bb.7075:                             ;   in Loop: Header=BB2_6264 Depth=3
	s_mov_b32 s15, -1
	s_mov_b32 s42, exec_lo
	v_cmpx_eq_u16_e32 0x80, v8
; %bb.7076:                             ;   in Loop: Header=BB2_6264 Depth=3
	s_xor_b32 s15, exec_lo, -1
; %bb.7077:                             ;   in Loop: Header=BB2_6264 Depth=3
	s_or_b32 exec_lo, exec_lo, s42
	s_delay_alu instid0(SALU_CYCLE_1)
	s_and_b32 s15, s15, exec_lo
	s_or_saveexec_b32 s14, s14
	v_bfrev_b32_e32 v9, 1
	s_xor_b32 exec_lo, exec_lo, s14
	s_cbranch_execnz .LBB2_7322
.LBB2_7078:                             ;   in Loop: Header=BB2_6264 Depth=3
	s_or_b32 exec_lo, exec_lo, s14
	s_and_saveexec_b32 s14, s15
	s_cbranch_execz .LBB2_7080
.LBB2_7079:                             ;   in Loop: Header=BB2_6264 Depth=3
	v_and_b32_e32 v57, 0xffff, v8
	s_delay_alu instid0(VALU_DEP_1) | instskip(NEXT) | instid1(VALU_DEP_1)
	v_and_b32_e32 v58, 3, v57
	v_clz_i32_u32_e32 v9, v58
	s_delay_alu instid0(VALU_DEP_1) | instskip(SKIP_1) | instid1(VALU_DEP_2)
	v_min_u32_e32 v59, 32, v9
	v_mov_b32_e32 v9, v3
	v_subrev_nc_u32_e32 v18, 29, v59
	s_delay_alu instid0(VALU_DEP_1) | instskip(SKIP_2) | instid1(VALU_DEP_2)
	v_lshlrev_b64_e32 v[18:19], v18, v[8:9]
	v_bfe_u32 v9, v57, 2, 5
	v_dual_lshlrev_b32 v8, 24, v8 :: v_dual_sub_nc_u32 v19, 30, v59
	v_cmp_eq_u32_e32 vcc_lo, 0, v9
	s_delay_alu instid0(VALU_DEP_2) | instskip(NEXT) | instid1(VALU_DEP_3)
	v_and_b32_e32 v8, 0x80000000, v8
	v_dual_cndmask_b32 v9, v9, v19, vcc_lo :: v_dual_bitop2_b32 v18, 3, v18 bitop3:0x40
	s_delay_alu instid0(VALU_DEP_1) | instskip(SKIP_1) | instid1(VALU_DEP_3)
	v_cndmask_b32_e32 v18, v58, v18, vcc_lo
	v_cmp_lt_i16_e32 vcc_lo, -1, v10
	v_lshl_add_u32 v8, v9, 23, v8
	v_cndmask_b32_e32 v9, 0xff800000, v111, vcc_lo
	v_cmp_eq_u32_e32 vcc_lo, 0, v58
	s_delay_alu instid0(VALU_DEP_3) | instskip(SKIP_1) | instid1(VALU_DEP_4)
	v_lshl_or_b32 v8, v18, 21, v8
	v_and_b32_e32 v18, 0x7c, v57
	v_cndmask_b32_e32 v9, 0x7f800001, v9, vcc_lo
	s_delay_alu instid0(VALU_DEP_3) | instskip(NEXT) | instid1(VALU_DEP_3)
	v_add_nc_u32_e32 v8, 0x38000000, v8
	v_cmp_eq_u32_e32 vcc_lo, 0x7c, v18
	s_delay_alu instid0(VALU_DEP_2)
	v_cndmask_b32_e32 v9, v8, v9, vcc_lo
.LBB2_7080:                             ;   in Loop: Header=BB2_6264 Depth=3
	s_or_b32 exec_lo, exec_lo, s14
	s_delay_alu instid0(VALU_DEP_1) | instskip(SKIP_2) | instid1(VALU_DEP_2)
	v_dual_add_f32 v56, v56, v9 :: v_dual_mov_b32 v19, v3
	v_mov_b32_e32 v9, v3
                                        ; implicit-def: $vgpr89
	s_mov_b32 s14, exec_lo
	v_and_b32_e32 v18, 0x7f800000, v56
	v_and_b32_e32 v8, 0x7fffff, v56
	v_lshrrev_b32_e32 v57, 24, v56
	s_delay_alu instid0(VALU_DEP_3)
	v_cmpx_ne_u64_e32 0x7f800000, v[18:19]
	s_xor_b32 s15, exec_lo, s14
	s_cbranch_execz .LBB2_7094
; %bb.7081:                             ;   in Loop: Header=BB2_6264 Depth=3
	v_and_b32_e32 v18, 0x7fffffff, v56
	v_mov_b32_e32 v19, v3
	v_and_b32_e32 v58, 0x80, v57
                                        ; implicit-def: $vgpr89
	s_mov_b32 s14, exec_lo
	s_delay_alu instid0(VALU_DEP_2)
	v_cmpx_gt_u64_e32 0x47600001, v[18:19]
	s_xor_b32 s42, exec_lo, s14
	s_cbranch_execz .LBB2_7091
; %bb.7082:                             ;   in Loop: Header=BB2_6264 Depth=3
	v_mov_b32_e32 v89, 0
	s_mov_b32 s43, exec_lo
	v_cmpx_ne_u32_e32 0, v56
	s_cbranch_execz .LBB2_7090
; %bb.7083:                             ;   in Loop: Header=BB2_6264 Depth=3
	v_bfe_u32 v59, v56, 23, 8
	v_or_b32_e32 v56, 0x800000, v8
	s_delay_alu instid0(VALU_DEP_2) | instskip(SKIP_1) | instid1(VALU_DEP_2)
	v_sub_nc_u32_e32 v18, 0x71, v59
	v_cmp_gt_u32_e32 vcc_lo, 0x72, v59
	v_cndmask_b32_e32 v18, 0, v18, vcc_lo
	v_cmp_eq_u32_e32 vcc_lo, 0, v59
	s_delay_alu instid0(VALU_DEP_2) | instskip(NEXT) | instid1(VALU_DEP_1)
	v_cndmask_b32_e64 v89, v18, 0x70, vcc_lo
	v_dual_cndmask_b32 v8, v56, v8, vcc_lo :: v_dual_add_nc_u32 v18, 21, v89
	v_add_nc_u32_e32 v57, 20, v89
	s_delay_alu instid0(VALU_DEP_2) | instskip(NEXT) | instid1(VALU_DEP_2)
	v_lshlrev_b64_e64 v[18:19], v18, -1
	v_lshlrev_b64_e64 v[56:57], v57, 1
	s_delay_alu instid0(VALU_DEP_2) | instskip(SKIP_1) | instid1(VALU_DEP_4)
	v_bfi_b32 v18, v18, 0, v8
	v_lshrrev_b64 v[8:9], v89, v[8:9]
	v_bfi_b32 v19, v19, 0, 0
	s_delay_alu instid0(VALU_DEP_1) | instskip(NEXT) | instid1(VALU_DEP_3)
	v_cmp_eq_u64_e64 s14, v[18:19], v[56:57]
	v_mov_b64_e32 v[56:57], v[8:9]
	s_and_saveexec_b32 s78, s14
; %bb.7084:                             ;   in Loop: Header=BB2_6264 Depth=3
	v_bfe_u32 v18, v8, 21, 1
	v_mov_b32_e32 v19, v3
	s_delay_alu instid0(VALU_DEP_1) | instskip(NEXT) | instid1(VALU_DEP_1)
	v_add_nc_u64_e32 v[18:19], v[8:9], v[18:19]
	v_add_nc_u64_e32 v[56:57], -1, v[18:19]
; %bb.7085:                             ;   in Loop: Header=BB2_6264 Depth=3
	s_or_b32 exec_lo, exec_lo, s78
	v_add_nc_u32_e32 v9, 0xffffff81, v59
	v_lshrrev_b32_e32 v18, 23, v8
	s_mov_b32 s14, exec_lo
	s_delay_alu instid0(VALU_DEP_2) | instskip(NEXT) | instid1(VALU_DEP_1)
	v_cndmask_b32_e64 v9, v9, 0xffffff82, vcc_lo
	v_add3_u32 v57, v89, v9, v18
	v_and_b32_e32 v9, 0x1fffff, v56
                                        ; implicit-def: $vgpr56
	s_delay_alu instid0(VALU_DEP_1) | instskip(SKIP_1) | instid1(VALU_DEP_2)
	v_dual_add_nc_u32 v59, 14, v57 :: v_dual_add_nc_u32 v8, v9, v8
	v_mov_b32_e32 v9, v3
	v_cmpx_ne_u32_e32 0, v59
	s_xor_b32 s14, exec_lo, s14
; %bb.7086:                             ;   in Loop: Header=BB2_6264 Depth=3
	s_delay_alu instid0(VALU_DEP_2) | instskip(SKIP_1) | instid1(VALU_DEP_1)
	v_cmp_lt_u64_e32 vcc_lo, 0xffffff, v[8:9]
	v_add_nc_u32_e32 v18, 15, v57
	v_cndmask_b32_e32 v56, v59, v18, vcc_lo
	v_cndmask_b32_e64 v18, 0, 1, vcc_lo
	s_delay_alu instid0(VALU_DEP_1)
	v_lshrrev_b64 v[8:9], v18, v[8:9]
; %bb.7087:                             ;   in Loop: Header=BB2_6264 Depth=3
	s_and_not1_saveexec_b32 s14, s14
; %bb.7088:                             ;   in Loop: Header=BB2_6264 Depth=3
	s_delay_alu instid0(VALU_DEP_1)
	v_bfe_u32 v56, v8, 23, 1
; %bb.7089:                             ;   in Loop: Header=BB2_6264 Depth=3
	s_or_b32 exec_lo, exec_lo, s14
	s_delay_alu instid0(VALU_DEP_2) | instskip(NEXT) | instid1(VALU_DEP_2)
	v_lshrrev_b64 v[8:9], 21, v[8:9]
	v_cmp_gt_i32_e32 vcc_lo, 32, v56
	v_min_i32_e32 v18, 31, v56
	v_cmp_eq_u32_e64 s14, 0, v56
	s_delay_alu instid0(VALU_DEP_2) | instskip(SKIP_1) | instid1(VALU_DEP_2)
	v_dual_cndmask_b32 v9, 0, v9 :: v_dual_lshlrev_b32 v18, 2, v18
	v_cndmask_b32_e32 v8, 3, v8, vcc_lo
	v_and_b32_e32 v18, 0xfc, v18
	s_delay_alu instid0(VALU_DEP_2) | instskip(NEXT) | instid1(VALU_DEP_2)
	v_cmp_eq_u64_e32 vcc_lo, 0, v[8:9]
	v_and_or_b32 v8, v8, 3, v18
	s_and_b32 s14, s14, vcc_lo
	s_delay_alu instid0(VALU_DEP_1) | instid1(SALU_CYCLE_1)
	v_cndmask_b32_e64 v8, v8, 0, s14
	s_delay_alu instid0(VALU_DEP_1)
	v_or_b32_e32 v89, v8, v58
.LBB2_7090:                             ;   in Loop: Header=BB2_6264 Depth=3
	s_or_b32 exec_lo, exec_lo, s43
                                        ; implicit-def: $vgpr58
.LBB2_7091:                             ;   in Loop: Header=BB2_6264 Depth=3
	s_and_not1_saveexec_b32 s14, s42
; %bb.7092:                             ;   in Loop: Header=BB2_6264 Depth=3
	v_or_b32_e32 v89, 0x7b, v58
; %bb.7093:                             ;   in Loop: Header=BB2_6264 Depth=3
	s_or_b32 exec_lo, exec_lo, s14
                                        ; implicit-def: $vgpr56
                                        ; implicit-def: $vgpr8_vgpr9
                                        ; implicit-def: $vgpr57
.LBB2_7094:                             ;   in Loop: Header=BB2_6264 Depth=3
	s_and_not1_saveexec_b32 s14, s15
	s_cbranch_execz .LBB2_7100
; %bb.7095:                             ;   in Loop: Header=BB2_6264 Depth=3
	s_mov_b32 s15, exec_lo
                                        ; implicit-def: $vgpr89
	v_cmpx_ne_u64_e32 0, v[8:9]
	s_xor_b32 s15, exec_lo, s15
; %bb.7096:                             ;   in Loop: Header=BB2_6264 Depth=3
	v_or_b32_e32 v89, 0x7f, v57
                                        ; implicit-def: $vgpr56
; %bb.7097:                             ;   in Loop: Header=BB2_6264 Depth=3
	s_and_not1_saveexec_b32 s15, s15
; %bb.7098:                             ;   in Loop: Header=BB2_6264 Depth=3
	v_cmp_lt_i32_e32 vcc_lo, -1, v56
	v_cndmask_b32_e32 v89, 0xfc, v120, vcc_lo
; %bb.7099:                             ;   in Loop: Header=BB2_6264 Depth=3
	s_or_b32 exec_lo, exec_lo, s15
.LBB2_7100:                             ;   in Loop: Header=BB2_6264 Depth=3
	s_delay_alu instid0(SALU_CYCLE_1) | instskip(SKIP_2) | instid1(VALU_DEP_1)
	s_or_b32 exec_lo, exec_lo, s14
	v_dual_mov_b32 v9, 0 :: v_dual_lshrrev_b32 v8, 16, v2
	s_mov_b32 s14, exec_lo
	v_and_b32_e32 v56, 0xff, v8
	s_delay_alu instid0(VALU_DEP_1)
	v_cmpx_ne_u16_e32 0, v56
	s_cbranch_execz .LBB2_7110
; %bb.7101:                             ;   in Loop: Header=BB2_6264 Depth=3
	v_bfrev_b32_e32 v9, 1
	s_mov_b32 s15, exec_lo
	v_cmpx_ne_u16_e32 0x80, v56
	s_cbranch_execz .LBB2_7109
; %bb.7102:                             ;   in Loop: Header=BB2_6264 Depth=3
	v_and_b32_e32 v9, 0x7c0000, v2
	v_bfe_u32 v56, v2, 16, 2
	s_delay_alu instid0(VALU_DEP_2) | instskip(SKIP_1) | instid1(SALU_CYCLE_1)
	v_cmp_ne_u32_e32 vcc_lo, 0x7c0000, v9
                                        ; implicit-def: $vgpr9
	s_and_saveexec_b32 s42, vcc_lo
	s_xor_b32 s42, exec_lo, s42
	s_cbranch_execz .LBB2_7106
; %bb.7103:                             ;   in Loop: Header=BB2_6264 Depth=3
	v_bfe_u32 v9, v2, 18, 5
	s_mov_b32 s43, exec_lo
	s_delay_alu instid0(VALU_DEP_1)
	v_cmpx_eq_u32_e32 0, v9
; %bb.7104:                             ;   in Loop: Header=BB2_6264 Depth=3
	v_clz_i32_u32_e32 v9, v56
	s_delay_alu instid0(VALU_DEP_1) | instskip(NEXT) | instid1(VALU_DEP_1)
	v_min_u32_e32 v9, 32, v9
	v_subrev_nc_u32_e32 v18, 29, v9
	s_delay_alu instid0(VALU_DEP_1) | instskip(NEXT) | instid1(VALU_DEP_1)
	v_lshlrev_b64_e32 v[18:19], v18, v[8:9]
	v_dual_sub_nc_u32 v9, 30, v9 :: v_dual_bitop2_b32 v56, 3, v18 bitop3:0x40
; %bb.7105:                             ;   in Loop: Header=BB2_6264 Depth=3
	s_or_b32 exec_lo, exec_lo, s43
	v_lshlrev_b32_e32 v8, 24, v8
	s_delay_alu instid0(VALU_DEP_1) | instskip(NEXT) | instid1(VALU_DEP_1)
	v_and_b32_e32 v8, 0x80000000, v8
	v_lshl_add_u32 v8, v9, 23, v8
	s_delay_alu instid0(VALU_DEP_1) | instskip(NEXT) | instid1(VALU_DEP_1)
	v_lshl_or_b32 v8, v56, 21, v8
                                        ; implicit-def: $vgpr56
	v_add_nc_u32_e32 v9, 0x38000000, v8
                                        ; implicit-def: $vgpr8
.LBB2_7106:                             ;   in Loop: Header=BB2_6264 Depth=3
	s_and_not1_saveexec_b32 s42, s42
; %bb.7107:                             ;   in Loop: Header=BB2_6264 Depth=3
	v_bfe_i32 v8, v8, 0, 8
	s_delay_alu instid0(VALU_DEP_1) | instskip(SKIP_2) | instid1(VALU_DEP_2)
	v_cmp_lt_i16_e32 vcc_lo, -1, v8
	v_cndmask_b32_e32 v8, 0xff800000, v111, vcc_lo
	v_cmp_eq_u32_e32 vcc_lo, 0, v56
	v_cndmask_b32_e32 v9, 0x7f800001, v8, vcc_lo
; %bb.7108:                             ;   in Loop: Header=BB2_6264 Depth=3
	s_or_b32 exec_lo, exec_lo, s42
.LBB2_7109:                             ;   in Loop: Header=BB2_6264 Depth=3
	s_delay_alu instid0(SALU_CYCLE_1)
	s_or_b32 exec_lo, exec_lo, s15
.LBB2_7110:                             ;   in Loop: Header=BB2_6264 Depth=3
	s_delay_alu instid0(SALU_CYCLE_1) | instskip(SKIP_3) | instid1(VALU_DEP_1)
	s_or_b32 exec_lo, exec_lo, s14
	v_lshrrev_b32_e32 v8, 16, v10
	s_mov_b32 s15, 0
	s_mov_b32 s14, exec_lo
	v_and_b32_e32 v57, 0xff, v8
	s_delay_alu instid0(VALU_DEP_1)
	v_cmpx_lt_i16_e32 0x7f, v57
	s_xor_b32 s14, exec_lo, s14
	s_cbranch_execz .LBB2_7323
; %bb.7111:                             ;   in Loop: Header=BB2_6264 Depth=3
	s_mov_b32 s15, -1
	s_mov_b32 s42, exec_lo
	v_cmpx_eq_u16_e32 0x80, v57
; %bb.7112:                             ;   in Loop: Header=BB2_6264 Depth=3
	s_xor_b32 s15, exec_lo, -1
; %bb.7113:                             ;   in Loop: Header=BB2_6264 Depth=3
	s_or_b32 exec_lo, exec_lo, s42
	s_delay_alu instid0(SALU_CYCLE_1)
	s_and_b32 s15, s15, exec_lo
                                        ; implicit-def: $vgpr57
	s_or_saveexec_b32 s14, s14
	v_bfrev_b32_e32 v56, 1
	s_xor_b32 exec_lo, exec_lo, s14
	s_cbranch_execnz .LBB2_7324
.LBB2_7114:                             ;   in Loop: Header=BB2_6264 Depth=3
	s_or_b32 exec_lo, exec_lo, s14
	s_and_saveexec_b32 s14, s15
	s_cbranch_execz .LBB2_7116
.LBB2_7115:                             ;   in Loop: Header=BB2_6264 Depth=3
	v_and_b32_e32 v56, 3, v8
	v_bfe_u32 v58, v10, 18, 5
	s_delay_alu instid0(VALU_DEP_2) | instskip(NEXT) | instid1(VALU_DEP_2)
	v_clz_i32_u32_e32 v18, v56
	v_cmp_eq_u32_e32 vcc_lo, 0, v58
	s_delay_alu instid0(VALU_DEP_2) | instskip(NEXT) | instid1(VALU_DEP_1)
	v_min_u32_e32 v57, 32, v18
	v_subrev_nc_u32_e32 v18, 29, v57
	s_delay_alu instid0(VALU_DEP_1) | instskip(SKIP_2) | instid1(VALU_DEP_2)
	v_lshlrev_b64_e32 v[18:19], v18, v[8:9]
	v_dual_lshlrev_b32 v19, 24, v8 :: v_dual_sub_nc_u32 v57, 30, v57
	v_bfe_i32 v8, v8, 0, 8
	v_and_b32_e32 v19, 0x80000000, v19
	s_delay_alu instid0(VALU_DEP_3) | instskip(NEXT) | instid1(VALU_DEP_1)
	v_dual_cndmask_b32 v57, v58, v57, vcc_lo :: v_dual_bitop2_b32 v18, 3, v18 bitop3:0x40
	v_cndmask_b32_e32 v18, v56, v18, vcc_lo
	s_delay_alu instid0(VALU_DEP_2) | instskip(SKIP_1) | instid1(VALU_DEP_2)
	v_lshl_add_u32 v19, v57, 23, v19
	v_cmp_lt_i16_e32 vcc_lo, -1, v8
	v_lshl_or_b32 v18, v18, 21, v19
	v_cndmask_b32_e32 v8, 0xff800000, v111, vcc_lo
	v_and_b32_e32 v19, 0x7c0000, v10
	v_cmp_eq_u32_e32 vcc_lo, 0, v56
	s_delay_alu instid0(VALU_DEP_4) | instskip(NEXT) | instid1(VALU_DEP_4)
	v_add_nc_u32_e32 v18, 0x38000000, v18
	v_cndmask_b32_e32 v8, 0x7f800001, v8, vcc_lo
	s_delay_alu instid0(VALU_DEP_4) | instskip(NEXT) | instid1(VALU_DEP_2)
	v_cmp_eq_u32_e32 vcc_lo, 0x7c0000, v19
	v_cndmask_b32_e32 v56, v18, v8, vcc_lo
.LBB2_7116:                             ;   in Loop: Header=BB2_6264 Depth=3
	s_or_b32 exec_lo, exec_lo, s14
	s_delay_alu instid0(VALU_DEP_1) | instskip(SKIP_2) | instid1(VALU_DEP_2)
	v_dual_add_f32 v56, v9, v56 :: v_dual_mov_b32 v19, v3
	v_mov_b32_e32 v9, v3
                                        ; implicit-def: $vgpr91
	s_mov_b32 s14, exec_lo
	v_and_b32_e32 v18, 0x7f800000, v56
	v_and_b32_e32 v8, 0x7fffff, v56
	v_lshrrev_b32_e32 v57, 24, v56
	s_delay_alu instid0(VALU_DEP_3)
	v_cmpx_ne_u64_e32 0x7f800000, v[18:19]
	s_xor_b32 s15, exec_lo, s14
	s_cbranch_execz .LBB2_7130
; %bb.7117:                             ;   in Loop: Header=BB2_6264 Depth=3
	v_and_b32_e32 v18, 0x7fffffff, v56
	v_mov_b32_e32 v19, v3
	v_and_b32_e32 v58, 0x80, v57
                                        ; implicit-def: $vgpr91
	s_mov_b32 s14, exec_lo
	s_delay_alu instid0(VALU_DEP_2)
	v_cmpx_gt_u64_e32 0x47600001, v[18:19]
	s_xor_b32 s42, exec_lo, s14
	s_cbranch_execz .LBB2_7127
; %bb.7118:                             ;   in Loop: Header=BB2_6264 Depth=3
	v_mov_b32_e32 v91, 0
	s_mov_b32 s43, exec_lo
	v_cmpx_ne_u32_e32 0, v56
	s_cbranch_execz .LBB2_7126
; %bb.7119:                             ;   in Loop: Header=BB2_6264 Depth=3
	v_bfe_u32 v59, v56, 23, 8
	v_or_b32_e32 v56, 0x800000, v8
	s_delay_alu instid0(VALU_DEP_2) | instskip(SKIP_1) | instid1(VALU_DEP_2)
	v_sub_nc_u32_e32 v18, 0x71, v59
	v_cmp_gt_u32_e32 vcc_lo, 0x72, v59
	v_cndmask_b32_e32 v18, 0, v18, vcc_lo
	v_cmp_eq_u32_e32 vcc_lo, 0, v59
	s_delay_alu instid0(VALU_DEP_2) | instskip(NEXT) | instid1(VALU_DEP_1)
	v_cndmask_b32_e64 v91, v18, 0x70, vcc_lo
	v_dual_cndmask_b32 v8, v56, v8, vcc_lo :: v_dual_add_nc_u32 v18, 21, v91
	v_add_nc_u32_e32 v57, 20, v91
	s_delay_alu instid0(VALU_DEP_2) | instskip(NEXT) | instid1(VALU_DEP_2)
	v_lshlrev_b64_e64 v[18:19], v18, -1
	v_lshlrev_b64_e64 v[56:57], v57, 1
	s_delay_alu instid0(VALU_DEP_2) | instskip(SKIP_1) | instid1(VALU_DEP_4)
	v_bfi_b32 v18, v18, 0, v8
	v_lshrrev_b64 v[8:9], v91, v[8:9]
	v_bfi_b32 v19, v19, 0, 0
	s_delay_alu instid0(VALU_DEP_1) | instskip(NEXT) | instid1(VALU_DEP_3)
	v_cmp_eq_u64_e64 s14, v[18:19], v[56:57]
	v_mov_b64_e32 v[56:57], v[8:9]
	s_and_saveexec_b32 s78, s14
; %bb.7120:                             ;   in Loop: Header=BB2_6264 Depth=3
	v_bfe_u32 v18, v8, 21, 1
	v_mov_b32_e32 v19, v3
	s_delay_alu instid0(VALU_DEP_1) | instskip(NEXT) | instid1(VALU_DEP_1)
	v_add_nc_u64_e32 v[18:19], v[8:9], v[18:19]
	v_add_nc_u64_e32 v[56:57], -1, v[18:19]
; %bb.7121:                             ;   in Loop: Header=BB2_6264 Depth=3
	s_or_b32 exec_lo, exec_lo, s78
	v_add_nc_u32_e32 v9, 0xffffff81, v59
	v_lshrrev_b32_e32 v18, 23, v8
	s_mov_b32 s14, exec_lo
	s_delay_alu instid0(VALU_DEP_2) | instskip(NEXT) | instid1(VALU_DEP_1)
	v_cndmask_b32_e64 v9, v9, 0xffffff82, vcc_lo
	v_add3_u32 v57, v91, v9, v18
	v_and_b32_e32 v9, 0x1fffff, v56
                                        ; implicit-def: $vgpr56
	s_delay_alu instid0(VALU_DEP_1) | instskip(SKIP_1) | instid1(VALU_DEP_2)
	v_dual_add_nc_u32 v59, 14, v57 :: v_dual_add_nc_u32 v8, v9, v8
	v_mov_b32_e32 v9, v3
	v_cmpx_ne_u32_e32 0, v59
	s_xor_b32 s14, exec_lo, s14
; %bb.7122:                             ;   in Loop: Header=BB2_6264 Depth=3
	s_delay_alu instid0(VALU_DEP_2) | instskip(SKIP_1) | instid1(VALU_DEP_1)
	v_cmp_lt_u64_e32 vcc_lo, 0xffffff, v[8:9]
	v_add_nc_u32_e32 v18, 15, v57
	v_cndmask_b32_e32 v56, v59, v18, vcc_lo
	v_cndmask_b32_e64 v18, 0, 1, vcc_lo
	s_delay_alu instid0(VALU_DEP_1)
	v_lshrrev_b64 v[8:9], v18, v[8:9]
; %bb.7123:                             ;   in Loop: Header=BB2_6264 Depth=3
	s_and_not1_saveexec_b32 s14, s14
; %bb.7124:                             ;   in Loop: Header=BB2_6264 Depth=3
	s_delay_alu instid0(VALU_DEP_1)
	v_bfe_u32 v56, v8, 23, 1
; %bb.7125:                             ;   in Loop: Header=BB2_6264 Depth=3
	s_or_b32 exec_lo, exec_lo, s14
	s_delay_alu instid0(VALU_DEP_2) | instskip(NEXT) | instid1(VALU_DEP_2)
	v_lshrrev_b64 v[8:9], 21, v[8:9]
	v_cmp_gt_i32_e32 vcc_lo, 32, v56
	v_min_i32_e32 v18, 31, v56
	v_cmp_eq_u32_e64 s14, 0, v56
	s_delay_alu instid0(VALU_DEP_2) | instskip(SKIP_1) | instid1(VALU_DEP_2)
	v_dual_cndmask_b32 v9, 0, v9 :: v_dual_lshlrev_b32 v18, 2, v18
	v_cndmask_b32_e32 v8, 3, v8, vcc_lo
	v_and_b32_e32 v18, 0xfc, v18
	s_delay_alu instid0(VALU_DEP_2) | instskip(NEXT) | instid1(VALU_DEP_2)
	v_cmp_eq_u64_e32 vcc_lo, 0, v[8:9]
	v_and_or_b32 v8, v8, 3, v18
	s_and_b32 s14, s14, vcc_lo
	s_delay_alu instid0(VALU_DEP_1) | instid1(SALU_CYCLE_1)
	v_cndmask_b32_e64 v8, v8, 0, s14
	s_delay_alu instid0(VALU_DEP_1)
	v_or_b32_e32 v91, v8, v58
.LBB2_7126:                             ;   in Loop: Header=BB2_6264 Depth=3
	s_or_b32 exec_lo, exec_lo, s43
                                        ; implicit-def: $vgpr58
.LBB2_7127:                             ;   in Loop: Header=BB2_6264 Depth=3
	s_and_not1_saveexec_b32 s14, s42
; %bb.7128:                             ;   in Loop: Header=BB2_6264 Depth=3
	v_or_b32_e32 v91, 0x7b, v58
; %bb.7129:                             ;   in Loop: Header=BB2_6264 Depth=3
	s_or_b32 exec_lo, exec_lo, s14
                                        ; implicit-def: $vgpr56
                                        ; implicit-def: $vgpr8_vgpr9
                                        ; implicit-def: $vgpr57
.LBB2_7130:                             ;   in Loop: Header=BB2_6264 Depth=3
	s_and_not1_saveexec_b32 s14, s15
	s_cbranch_execz .LBB2_7136
; %bb.7131:                             ;   in Loop: Header=BB2_6264 Depth=3
	s_mov_b32 s15, exec_lo
                                        ; implicit-def: $vgpr91
	v_cmpx_ne_u64_e32 0, v[8:9]
	s_xor_b32 s15, exec_lo, s15
; %bb.7132:                             ;   in Loop: Header=BB2_6264 Depth=3
	v_or_b32_e32 v91, 0x7f, v57
                                        ; implicit-def: $vgpr56
; %bb.7133:                             ;   in Loop: Header=BB2_6264 Depth=3
	s_and_not1_saveexec_b32 s15, s15
; %bb.7134:                             ;   in Loop: Header=BB2_6264 Depth=3
	v_cmp_lt_i32_e32 vcc_lo, -1, v56
	v_cndmask_b32_e32 v91, 0xfc, v120, vcc_lo
; %bb.7135:                             ;   in Loop: Header=BB2_6264 Depth=3
	s_or_b32 exec_lo, exec_lo, s15
.LBB2_7136:                             ;   in Loop: Header=BB2_6264 Depth=3
	s_delay_alu instid0(SALU_CYCLE_1)
	s_or_b32 exec_lo, exec_lo, s14
	v_mov_b32_e32 v9, 0
	s_mov_b32 s14, exec_lo
	v_cmpx_lt_u32_e32 0xffffff, v2
	s_cbranch_execz .LBB2_7146
; %bb.7137:                             ;   in Loop: Header=BB2_6264 Depth=3
	v_lshrrev_b32_e32 v8, 24, v2
	v_bfrev_b32_e32 v9, 1
	s_mov_b32 s15, exec_lo
	s_delay_alu instid0(VALU_DEP_2)
	v_cmpx_ne_u32_e32 0x80, v8
	s_cbranch_execz .LBB2_7145
; %bb.7138:                             ;   in Loop: Header=BB2_6264 Depth=3
	v_and_b32_e32 v9, 0x7c000000, v2
	v_bfe_u32 v56, v2, 24, 2
	s_delay_alu instid0(VALU_DEP_2) | instskip(SKIP_1) | instid1(SALU_CYCLE_1)
	v_cmp_ne_u32_e32 vcc_lo, 0x7c000000, v9
                                        ; implicit-def: $vgpr9
	s_and_saveexec_b32 s42, vcc_lo
	s_xor_b32 s42, exec_lo, s42
	s_cbranch_execz .LBB2_7142
; %bb.7139:                             ;   in Loop: Header=BB2_6264 Depth=3
	v_bfe_u32 v9, v2, 26, 5
	s_mov_b32 s43, exec_lo
	s_delay_alu instid0(VALU_DEP_1)
	v_cmpx_eq_u32_e32 0, v9
; %bb.7140:                             ;   in Loop: Header=BB2_6264 Depth=3
	v_clz_i32_u32_e32 v9, v56
	s_delay_alu instid0(VALU_DEP_1) | instskip(NEXT) | instid1(VALU_DEP_1)
	v_min_u32_e32 v18, 32, v9
	v_subrev_nc_u32_e32 v9, 29, v18
	s_delay_alu instid0(VALU_DEP_1) | instskip(NEXT) | instid1(VALU_DEP_1)
	v_lshlrev_b64_e32 v[8:9], v9, v[8:9]
	v_dual_sub_nc_u32 v9, 30, v18 :: v_dual_bitop2_b32 v56, 3, v8 bitop3:0x40
; %bb.7141:                             ;   in Loop: Header=BB2_6264 Depth=3
	s_or_b32 exec_lo, exec_lo, s43
	v_and_b32_e32 v2, 0x80000000, v2
	s_delay_alu instid0(VALU_DEP_1) | instskip(NEXT) | instid1(VALU_DEP_1)
	v_lshl_add_u32 v2, v9, 23, v2
	v_lshl_or_b32 v2, v56, 21, v2
                                        ; implicit-def: $vgpr56
	s_delay_alu instid0(VALU_DEP_1)
	v_add_nc_u32_e32 v9, 0x38000000, v2
.LBB2_7142:                             ;   in Loop: Header=BB2_6264 Depth=3
	s_and_not1_saveexec_b32 s42, s42
; %bb.7143:                             ;   in Loop: Header=BB2_6264 Depth=3
	v_cmp_lt_i32_e32 vcc_lo, -1, v2
	v_cndmask_b32_e32 v2, 0xff800000, v111, vcc_lo
	v_cmp_eq_u32_e32 vcc_lo, 0, v56
	s_delay_alu instid0(VALU_DEP_2)
	v_cndmask_b32_e32 v9, 0x7f800001, v2, vcc_lo
; %bb.7144:                             ;   in Loop: Header=BB2_6264 Depth=3
	s_or_b32 exec_lo, exec_lo, s42
.LBB2_7145:                             ;   in Loop: Header=BB2_6264 Depth=3
	s_delay_alu instid0(SALU_CYCLE_1)
	s_or_b32 exec_lo, exec_lo, s15
.LBB2_7146:                             ;   in Loop: Header=BB2_6264 Depth=3
	s_delay_alu instid0(SALU_CYCLE_1) | instskip(SKIP_3) | instid1(VALU_DEP_2)
	s_or_b32 exec_lo, exec_lo, s14
	v_bfe_u32 v8, v10, 24, 2
	v_bfe_u32 v57, v10, 26, 5
                                        ; implicit-def: $vgpr93
	s_mov_b32 s14, exec_lo
	v_clz_i32_u32_e32 v2, v8
	s_delay_alu instid0(VALU_DEP_2) | instskip(NEXT) | instid1(VALU_DEP_2)
	v_cmp_eq_u32_e32 vcc_lo, 0, v57
	v_min_u32_e32 v56, 32, v2
	v_lshrrev_b32_e32 v2, 24, v10
	s_delay_alu instid0(VALU_DEP_2) | instskip(NEXT) | instid1(VALU_DEP_1)
	v_subrev_nc_u32_e32 v18, 29, v56
	v_lshlrev_b64_e32 v[18:19], v18, v[2:3]
	v_sub_nc_u32_e32 v19, 30, v56
	v_and_b32_e32 v56, 0x80000000, v10
	s_delay_alu instid0(VALU_DEP_2) | instskip(NEXT) | instid1(VALU_DEP_1)
	v_dual_cndmask_b32 v19, v57, v19, vcc_lo :: v_dual_bitop2_b32 v18, 3, v18 bitop3:0x40
	v_lshl_add_u32 v19, v19, 23, v56
	s_delay_alu instid0(VALU_DEP_2) | instskip(SKIP_1) | instid1(VALU_DEP_2)
	v_cndmask_b32_e32 v18, v8, v18, vcc_lo
	v_cmp_lt_i32_e32 vcc_lo, -1, v10
	v_lshl_or_b32 v18, v18, 21, v19
	v_cndmask_b32_e32 v56, 0xff800000, v111, vcc_lo
	v_and_b32_e32 v19, 0x7c000000, v10
	v_cmp_eq_u32_e32 vcc_lo, 0, v8
	s_delay_alu instid0(VALU_DEP_4) | instskip(NEXT) | instid1(VALU_DEP_4)
	v_add_nc_u32_e32 v18, 0x38000000, v18
	v_cndmask_b32_e32 v8, 0x7f800001, v56, vcc_lo
	s_delay_alu instid0(VALU_DEP_4) | instskip(NEXT) | instid1(VALU_DEP_2)
	v_cmp_eq_u32_e32 vcc_lo, 0x7c000000, v19
	v_dual_mov_b32 v19, v3 :: v_dual_cndmask_b32 v8, v18, v8
	v_cmp_ne_u32_e32 vcc_lo, 0x80, v2
	s_delay_alu instid0(VALU_DEP_2) | instskip(SKIP_1) | instid1(VALU_DEP_2)
	v_cndmask_b32_e32 v2, 0x80000000, v8, vcc_lo
	v_cmp_lt_u32_e32 vcc_lo, 0xffffff, v10
	v_cndmask_b32_e32 v2, 0, v2, vcc_lo
	s_delay_alu instid0(VALU_DEP_1) | instskip(NEXT) | instid1(VALU_DEP_1)
	v_add_f32_e32 v8, v2, v9
	v_and_b32_e32 v18, 0x7f800000, v8
	v_and_b32_e32 v2, 0x7fffff, v8
	v_lshrrev_b32_e32 v9, 24, v8
	s_delay_alu instid0(VALU_DEP_3)
	v_cmpx_ne_u64_e32 0x7f800000, v[18:19]
	s_xor_b32 s15, exec_lo, s14
	s_cbranch_execz .LBB2_7160
; %bb.7147:                             ;   in Loop: Header=BB2_6264 Depth=3
	v_and_b32_e32 v18, 0x7fffffff, v8
	v_mov_b32_e32 v19, v3
	v_and_b32_e32 v58, 0x80, v9
                                        ; implicit-def: $vgpr93
	s_mov_b32 s14, exec_lo
	s_delay_alu instid0(VALU_DEP_2)
	v_cmpx_gt_u64_e32 0x47600001, v[18:19]
	s_xor_b32 s42, exec_lo, s14
	s_cbranch_execz .LBB2_7157
; %bb.7148:                             ;   in Loop: Header=BB2_6264 Depth=3
	v_mov_b32_e32 v93, 0
	s_mov_b32 s43, exec_lo
	v_cmpx_ne_u32_e32 0, v8
	s_cbranch_execz .LBB2_7156
; %bb.7149:                             ;   in Loop: Header=BB2_6264 Depth=3
	v_bfe_u32 v59, v8, 23, 8
	v_or_b32_e32 v18, 0x800000, v2
	s_delay_alu instid0(VALU_DEP_2) | instskip(SKIP_1) | instid1(VALU_DEP_2)
	v_dual_mov_b32 v19, v3 :: v_dual_sub_nc_u32 v8, 0x71, v59
	v_cmp_gt_u32_e32 vcc_lo, 0x72, v59
	v_cndmask_b32_e32 v8, 0, v8, vcc_lo
	v_cmp_eq_u32_e32 vcc_lo, 0, v59
	s_delay_alu instid0(VALU_DEP_2) | instskip(NEXT) | instid1(VALU_DEP_1)
	v_cndmask_b32_e64 v93, v8, 0x70, vcc_lo
	v_dual_cndmask_b32 v18, v18, v2, vcc_lo :: v_dual_add_nc_u32 v8, 21, v93
	v_add_nc_u32_e32 v56, 20, v93
	s_delay_alu instid0(VALU_DEP_2) | instskip(NEXT) | instid1(VALU_DEP_2)
	v_lshlrev_b64_e64 v[8:9], v8, -1
	v_lshlrev_b64_e64 v[56:57], v56, 1
	s_delay_alu instid0(VALU_DEP_2) | instskip(NEXT) | instid1(VALU_DEP_3)
	v_bfi_b32 v105, v9, 0, 0
	v_bfi_b32 v104, v8, 0, v18
	v_lshrrev_b64 v[8:9], v93, v[18:19]
	s_delay_alu instid0(VALU_DEP_2) | instskip(NEXT) | instid1(VALU_DEP_2)
	v_cmp_eq_u64_e64 s14, v[104:105], v[56:57]
	v_mov_b64_e32 v[56:57], v[8:9]
	s_and_saveexec_b32 s78, s14
; %bb.7150:                             ;   in Loop: Header=BB2_6264 Depth=3
	v_bfe_u32 v18, v8, 21, 1
	v_mov_b32_e32 v19, v3
	s_delay_alu instid0(VALU_DEP_1) | instskip(NEXT) | instid1(VALU_DEP_1)
	v_add_nc_u64_e32 v[18:19], v[8:9], v[18:19]
	v_add_nc_u64_e32 v[56:57], -1, v[18:19]
; %bb.7151:                             ;   in Loop: Header=BB2_6264 Depth=3
	s_or_b32 exec_lo, exec_lo, s78
	v_add_nc_u32_e32 v2, 0xffffff81, v59
	s_delay_alu instid0(VALU_DEP_2) | instskip(SKIP_2) | instid1(VALU_DEP_3)
	v_and_b32_e32 v18, 0x1fffff, v56
	v_lshrrev_b32_e32 v9, 23, v8
	s_mov_b32 s14, exec_lo
                                        ; implicit-def: $vgpr56
	v_cndmask_b32_e64 v2, v2, 0xffffff82, vcc_lo
	s_delay_alu instid0(VALU_DEP_1) | instskip(SKIP_1) | instid1(VALU_DEP_2)
	v_add3_u32 v57, v93, v2, v9
	v_add_nc_u32_e32 v2, v18, v8
                                        ; implicit-def: $vgpr8_vgpr9
	v_add_nc_u32_e32 v59, 14, v57
	s_delay_alu instid0(VALU_DEP_1)
	v_cmpx_ne_u32_e32 0, v59
	s_xor_b32 s14, exec_lo, s14
; %bb.7152:                             ;   in Loop: Header=BB2_6264 Depth=3
	s_delay_alu instid0(VALU_DEP_3) | instskip(SKIP_1) | instid1(VALU_DEP_1)
	v_cmp_lt_u64_e32 vcc_lo, 0xffffff, v[2:3]
	v_add_nc_u32_e32 v8, 15, v57
	v_cndmask_b32_e32 v56, v59, v8, vcc_lo
	v_cndmask_b32_e64 v8, 0, 1, vcc_lo
	s_delay_alu instid0(VALU_DEP_1)
	v_lshrrev_b64 v[8:9], v8, v[2:3]
; %bb.7153:                             ;   in Loop: Header=BB2_6264 Depth=3
	s_and_not1_saveexec_b32 s14, s14
; %bb.7154:                             ;   in Loop: Header=BB2_6264 Depth=3
	v_mov_b64_e32 v[8:9], v[2:3]
	v_bfe_u32 v56, v2, 23, 1
; %bb.7155:                             ;   in Loop: Header=BB2_6264 Depth=3
	s_or_b32 exec_lo, exec_lo, s14
	s_delay_alu instid0(VALU_DEP_2) | instskip(NEXT) | instid1(VALU_DEP_2)
	v_lshrrev_b64 v[8:9], 21, v[8:9]
	v_cmp_gt_i32_e32 vcc_lo, 32, v56
	v_min_i32_e32 v2, 31, v56
	v_cmp_eq_u32_e64 s14, 0, v56
	s_delay_alu instid0(VALU_DEP_2) | instskip(SKIP_1) | instid1(VALU_DEP_2)
	v_dual_cndmask_b32 v9, 0, v9 :: v_dual_lshlrev_b32 v2, 2, v2
	v_cndmask_b32_e32 v8, 3, v8, vcc_lo
	v_and_b32_e32 v2, 0xfc, v2
	s_delay_alu instid0(VALU_DEP_2) | instskip(NEXT) | instid1(VALU_DEP_2)
	v_cmp_eq_u64_e32 vcc_lo, 0, v[8:9]
	v_and_or_b32 v2, v8, 3, v2
	s_and_b32 s14, s14, vcc_lo
	s_delay_alu instid0(VALU_DEP_1) | instid1(SALU_CYCLE_1)
	v_cndmask_b32_e64 v2, v2, 0, s14
	s_delay_alu instid0(VALU_DEP_1)
	v_or_b32_e32 v93, v2, v58
.LBB2_7156:                             ;   in Loop: Header=BB2_6264 Depth=3
	s_or_b32 exec_lo, exec_lo, s43
                                        ; implicit-def: $vgpr58
.LBB2_7157:                             ;   in Loop: Header=BB2_6264 Depth=3
	s_and_not1_saveexec_b32 s14, s42
; %bb.7158:                             ;   in Loop: Header=BB2_6264 Depth=3
	v_or_b32_e32 v93, 0x7b, v58
; %bb.7159:                             ;   in Loop: Header=BB2_6264 Depth=3
	s_or_b32 exec_lo, exec_lo, s14
                                        ; implicit-def: $vgpr8
                                        ; implicit-def: $vgpr9
.LBB2_7160:                             ;   in Loop: Header=BB2_6264 Depth=3
	s_and_not1_saveexec_b32 s14, s15
	s_cbranch_execz .LBB2_7166
; %bb.7161:                             ;   in Loop: Header=BB2_6264 Depth=3
	s_mov_b32 s15, exec_lo
                                        ; implicit-def: $vgpr93
	v_cmpx_ne_u64_e32 0, v[2:3]
	s_xor_b32 s15, exec_lo, s15
; %bb.7162:                             ;   in Loop: Header=BB2_6264 Depth=3
	v_or_b32_e32 v93, 0x7f, v9
                                        ; implicit-def: $vgpr8
; %bb.7163:                             ;   in Loop: Header=BB2_6264 Depth=3
	s_and_not1_saveexec_b32 s15, s15
; %bb.7164:                             ;   in Loop: Header=BB2_6264 Depth=3
	v_cmp_lt_i32_e32 vcc_lo, -1, v8
	v_cndmask_b32_e32 v93, 0xfc, v120, vcc_lo
; %bb.7165:                             ;   in Loop: Header=BB2_6264 Depth=3
	s_or_b32 exec_lo, exec_lo, s15
.LBB2_7166:                             ;   in Loop: Header=BB2_6264 Depth=3
	s_delay_alu instid0(SALU_CYCLE_1) | instskip(SKIP_4) | instid1(VALU_DEP_2)
	s_or_b32 exec_lo, exec_lo, s14
	v_dual_lshlrev_b32 v2, 24, v90 :: v_dual_lshlrev_b32 v8, 16, v88
	v_lshl_or_b32 v78, v78, 8, v17
	v_mov_b32_e32 v56, 0
	s_mov_b32 s14, exec_lo
	v_or3_b32 v2, v8, v2, v78
	v_cmpx_ne_u32_e32 0, v17
	s_cbranch_execz .LBB2_7176
; %bb.7167:                             ;   in Loop: Header=BB2_6264 Depth=3
	v_bfrev_b32_e32 v56, 1
	s_mov_b32 s15, exec_lo
	v_cmpx_ne_u32_e32 0x80, v17
	s_cbranch_execz .LBB2_7175
; %bb.7168:                             ;   in Loop: Header=BB2_6264 Depth=3
	v_and_b32_e32 v9, 0x7c, v17
	v_and_b32_e32 v8, 3, v17
	s_mov_b32 s42, exec_lo
                                        ; implicit-def: $vgpr56
	s_delay_alu instid0(VALU_DEP_2)
	v_cmpx_ne_u32_e32 0x7c, v9
	s_xor_b32 s42, exec_lo, s42
	s_cbranch_execz .LBB2_7172
; %bb.7169:                             ;   in Loop: Header=BB2_6264 Depth=3
	v_bfe_u32 v9, v17, 2, 5
	s_mov_b32 s43, exec_lo
	s_delay_alu instid0(VALU_DEP_1)
	v_cmpx_eq_u32_e32 0, v9
; %bb.7170:                             ;   in Loop: Header=BB2_6264 Depth=3
	v_clz_i32_u32_e32 v8, v8
	s_delay_alu instid0(VALU_DEP_1) | instskip(NEXT) | instid1(VALU_DEP_1)
	v_min_u32_e32 v18, 32, v8
	v_subrev_nc_u32_e32 v8, 29, v18
	s_delay_alu instid0(VALU_DEP_1) | instskip(NEXT) | instid1(VALU_DEP_1)
	v_lshlrev_b64_e32 v[8:9], v8, v[2:3]
	v_dual_sub_nc_u32 v9, 30, v18 :: v_dual_bitop2_b32 v8, 3, v8 bitop3:0x40
; %bb.7171:                             ;   in Loop: Header=BB2_6264 Depth=3
	s_or_b32 exec_lo, exec_lo, s43
	v_lshlrev_b32_e32 v17, 24, v17
	s_delay_alu instid0(VALU_DEP_1) | instskip(NEXT) | instid1(VALU_DEP_1)
	v_and_b32_e32 v17, 0x80000000, v17
	v_lshl_add_u32 v9, v9, 23, v17
                                        ; implicit-def: $vgpr17
	s_delay_alu instid0(VALU_DEP_1) | instskip(NEXT) | instid1(VALU_DEP_1)
	v_lshl_or_b32 v8, v8, 21, v9
	v_add_nc_u32_e32 v56, 0x38000000, v8
                                        ; implicit-def: $vgpr8
.LBB2_7172:                             ;   in Loop: Header=BB2_6264 Depth=3
	s_and_not1_saveexec_b32 s42, s42
; %bb.7173:                             ;   in Loop: Header=BB2_6264 Depth=3
	v_and_b32_e32 v9, 0x80, v17
	s_delay_alu instid0(VALU_DEP_1) | instskip(SKIP_2) | instid1(VALU_DEP_2)
	v_cmp_eq_u32_e32 vcc_lo, 0, v9
	v_cndmask_b32_e32 v9, 0xff800000, v111, vcc_lo
	v_cmp_eq_u32_e32 vcc_lo, 0, v8
	v_cndmask_b32_e32 v56, 0x7f800001, v9, vcc_lo
; %bb.7174:                             ;   in Loop: Header=BB2_6264 Depth=3
	s_or_b32 exec_lo, exec_lo, s42
.LBB2_7175:                             ;   in Loop: Header=BB2_6264 Depth=3
	s_delay_alu instid0(SALU_CYCLE_1)
	s_or_b32 exec_lo, exec_lo, s15
.LBB2_7176:                             ;   in Loop: Header=BB2_6264 Depth=3
	s_delay_alu instid0(SALU_CYCLE_1) | instskip(SKIP_4) | instid1(VALU_DEP_2)
	s_or_b32 exec_lo, exec_lo, s14
	v_and_b32_e32 v9, 0xff, v11
	v_mov_b32_e32 v8, v11
	s_mov_b32 s15, 0
	s_mov_b32 s14, exec_lo
	v_cmpx_lt_i16_e32 0x7f, v9
	s_xor_b32 s14, exec_lo, s14
	s_cbranch_execz .LBB2_7325
; %bb.7177:                             ;   in Loop: Header=BB2_6264 Depth=3
	s_mov_b32 s15, -1
	s_mov_b32 s42, exec_lo
	v_cmpx_eq_u16_e32 0x80, v9
; %bb.7178:                             ;   in Loop: Header=BB2_6264 Depth=3
	s_xor_b32 s15, exec_lo, -1
; %bb.7179:                             ;   in Loop: Header=BB2_6264 Depth=3
	s_or_b32 exec_lo, exec_lo, s42
	s_delay_alu instid0(SALU_CYCLE_1)
	s_and_b32 s15, s15, exec_lo
                                        ; implicit-def: $vgpr9
	s_or_saveexec_b32 s14, s14
	v_bfrev_b32_e32 v17, 1
	s_xor_b32 exec_lo, exec_lo, s14
	s_cbranch_execnz .LBB2_7326
.LBB2_7180:                             ;   in Loop: Header=BB2_6264 Depth=3
	s_or_b32 exec_lo, exec_lo, s14
	v_mov_b32_e32 v9, v3
	s_and_saveexec_b32 s14, s15
	s_cbranch_execz .LBB2_7182
.LBB2_7181:                             ;   in Loop: Header=BB2_6264 Depth=3
	v_and_b32_e32 v17, 3, v11
	s_delay_alu instid0(VALU_DEP_1) | instskip(NEXT) | instid1(VALU_DEP_1)
	v_clz_i32_u32_e32 v18, v17
	v_min_u32_e32 v57, 32, v18
	s_delay_alu instid0(VALU_DEP_1) | instskip(NEXT) | instid1(VALU_DEP_1)
	v_subrev_nc_u32_e32 v18, 29, v57
	v_lshlrev_b64_e32 v[18:19], v18, v[8:9]
	v_bfe_u32 v19, v11, 2, 5
	v_dual_lshlrev_b32 v9, 24, v11 :: v_dual_sub_nc_u32 v57, 30, v57
	s_delay_alu instid0(VALU_DEP_2) | instskip(NEXT) | instid1(VALU_DEP_2)
	v_cmp_eq_u32_e32 vcc_lo, 0, v19
	v_and_b32_e32 v9, 0x80000000, v9
	s_delay_alu instid0(VALU_DEP_3) | instskip(SKIP_1) | instid1(VALU_DEP_2)
	v_dual_cndmask_b32 v19, v19, v57, vcc_lo :: v_dual_bitop2_b32 v18, 3, v18 bitop3:0x40
	v_bfe_i32 v57, v11, 0, 8
	v_cndmask_b32_e32 v18, v17, v18, vcc_lo
	s_delay_alu instid0(VALU_DEP_3) | instskip(NEXT) | instid1(VALU_DEP_3)
	v_lshl_add_u32 v9, v19, 23, v9
	v_cmp_lt_i16_e32 vcc_lo, -1, v57
	s_delay_alu instid0(VALU_DEP_2) | instskip(SKIP_3) | instid1(VALU_DEP_4)
	v_lshl_or_b32 v9, v18, 21, v9
	v_cndmask_b32_e32 v19, 0xff800000, v111, vcc_lo
	v_and_b32_e32 v18, 0x7c, v11
	v_cmp_eq_u32_e32 vcc_lo, 0, v17
	v_add_nc_u32_e32 v9, 0x38000000, v9
	s_delay_alu instid0(VALU_DEP_4) | instskip(NEXT) | instid1(VALU_DEP_4)
	v_cndmask_b32_e32 v17, 0x7f800001, v19, vcc_lo
	v_cmp_eq_u32_e32 vcc_lo, 0x7c, v18
	s_delay_alu instid0(VALU_DEP_2)
	v_cndmask_b32_e32 v17, v9, v17, vcc_lo
.LBB2_7182:                             ;   in Loop: Header=BB2_6264 Depth=3
	s_or_b32 exec_lo, exec_lo, s14
	s_delay_alu instid0(VALU_DEP_1) | instskip(SKIP_2) | instid1(VALU_DEP_2)
	v_dual_add_f32 v58, v56, v17 :: v_dual_mov_b32 v19, v3
	v_mov_b32_e32 v57, v3
                                        ; implicit-def: $vgpr17
	s_mov_b32 s14, exec_lo
	v_and_b32_e32 v18, 0x7f800000, v58
	v_and_b32_e32 v56, 0x7fffff, v58
	v_lshrrev_b32_e32 v9, 24, v58
	s_delay_alu instid0(VALU_DEP_3)
	v_cmpx_ne_u64_e32 0x7f800000, v[18:19]
	s_xor_b32 s15, exec_lo, s14
	s_cbranch_execz .LBB2_7196
; %bb.7183:                             ;   in Loop: Header=BB2_6264 Depth=3
	v_and_b32_e32 v18, 0x7fffffff, v58
	v_mov_b32_e32 v19, v3
	v_and_b32_e32 v9, 0x80, v9
                                        ; implicit-def: $vgpr17
	s_mov_b32 s14, exec_lo
	s_delay_alu instid0(VALU_DEP_2)
	v_cmpx_gt_u64_e32 0x47600001, v[18:19]
	s_xor_b32 s42, exec_lo, s14
	s_cbranch_execz .LBB2_7193
; %bb.7184:                             ;   in Loop: Header=BB2_6264 Depth=3
	v_mov_b32_e32 v17, 0
	s_mov_b32 s43, exec_lo
	v_cmpx_ne_u32_e32 0, v58
	s_cbranch_execz .LBB2_7192
; %bb.7185:                             ;   in Loop: Header=BB2_6264 Depth=3
	v_bfe_u32 v17, v58, 23, 8
	v_or_b32_e32 v58, 0x800000, v56
	s_delay_alu instid0(VALU_DEP_2) | instskip(SKIP_1) | instid1(VALU_DEP_2)
	v_sub_nc_u32_e32 v18, 0x71, v17
	v_cmp_gt_u32_e32 vcc_lo, 0x72, v17
	v_cndmask_b32_e32 v18, 0, v18, vcc_lo
	v_cmp_eq_u32_e32 vcc_lo, 0, v17
	s_delay_alu instid0(VALU_DEP_2) | instskip(SKIP_1) | instid1(VALU_DEP_2)
	v_cndmask_b32_e64 v88, v18, 0x70, vcc_lo
	v_cndmask_b32_e32 v56, v58, v56, vcc_lo
	v_dual_add_nc_u32 v18, 21, v88 :: v_dual_add_nc_u32 v59, 20, v88
	s_delay_alu instid0(VALU_DEP_1) | instskip(NEXT) | instid1(VALU_DEP_2)
	v_lshlrev_b64_e64 v[18:19], v18, -1
	v_lshlrev_b64_e64 v[58:59], v59, 1
	s_delay_alu instid0(VALU_DEP_2) | instskip(SKIP_1) | instid1(VALU_DEP_4)
	v_bfi_b32 v18, v18, 0, v56
	v_lshrrev_b64 v[56:57], v88, v[56:57]
	v_bfi_b32 v19, v19, 0, 0
	s_delay_alu instid0(VALU_DEP_1) | instskip(NEXT) | instid1(VALU_DEP_3)
	v_cmp_eq_u64_e64 s14, v[18:19], v[58:59]
	v_mov_b64_e32 v[58:59], v[56:57]
	s_and_saveexec_b32 s78, s14
; %bb.7186:                             ;   in Loop: Header=BB2_6264 Depth=3
	v_bfe_u32 v18, v56, 21, 1
	v_mov_b32_e32 v19, v3
	s_delay_alu instid0(VALU_DEP_1) | instskip(NEXT) | instid1(VALU_DEP_1)
	v_add_nc_u64_e32 v[18:19], v[56:57], v[18:19]
	v_add_nc_u64_e32 v[58:59], -1, v[18:19]
; %bb.7187:                             ;   in Loop: Header=BB2_6264 Depth=3
	s_or_b32 exec_lo, exec_lo, s78
	v_add_nc_u32_e32 v17, 0xffffff81, v17
	v_lshrrev_b32_e32 v18, 23, v56
	s_mov_b32 s14, exec_lo
	v_mov_b32_e32 v57, v3
	s_delay_alu instid0(VALU_DEP_3) | instskip(NEXT) | instid1(VALU_DEP_1)
	v_cndmask_b32_e64 v17, v17, 0xffffff82, vcc_lo
	v_add3_u32 v59, v88, v17, v18
	v_and_b32_e32 v17, 0x1fffff, v58
	s_delay_alu instid0(VALU_DEP_1) | instskip(NEXT) | instid1(VALU_DEP_1)
	v_dual_add_nc_u32 v58, 14, v59 :: v_dual_add_nc_u32 v56, v17, v56
                                        ; implicit-def: $vgpr17
	v_cmpx_ne_u32_e32 0, v58
	s_xor_b32 s14, exec_lo, s14
; %bb.7188:                             ;   in Loop: Header=BB2_6264 Depth=3
	s_delay_alu instid0(VALU_DEP_2) | instskip(SKIP_2) | instid1(VALU_DEP_2)
	v_cmp_lt_u64_e32 vcc_lo, 0xffffff, v[56:57]
	v_add_nc_u32_e32 v17, 15, v59
	v_cndmask_b32_e64 v18, 0, 1, vcc_lo
	v_cndmask_b32_e32 v17, v58, v17, vcc_lo
	s_delay_alu instid0(VALU_DEP_2)
	v_lshrrev_b64 v[56:57], v18, v[56:57]
; %bb.7189:                             ;   in Loop: Header=BB2_6264 Depth=3
	s_and_not1_saveexec_b32 s14, s14
; %bb.7190:                             ;   in Loop: Header=BB2_6264 Depth=3
	s_delay_alu instid0(VALU_DEP_1)
	v_bfe_u32 v17, v56, 23, 1
; %bb.7191:                             ;   in Loop: Header=BB2_6264 Depth=3
	s_or_b32 exec_lo, exec_lo, s14
	s_delay_alu instid0(VALU_DEP_2) | instskip(NEXT) | instid1(VALU_DEP_2)
	v_lshrrev_b64 v[18:19], 21, v[56:57]
	v_cmp_gt_i32_e32 vcc_lo, 32, v17
	v_min_i32_e32 v56, 31, v17
	v_cmp_eq_u32_e64 s14, 0, v17
	s_delay_alu instid0(VALU_DEP_2) | instskip(SKIP_1) | instid1(VALU_DEP_2)
	v_dual_cndmask_b32 v19, 0, v19 :: v_dual_lshlrev_b32 v56, 2, v56
	v_cndmask_b32_e32 v18, 3, v18, vcc_lo
	v_and_b32_e32 v56, 0xfc, v56
	s_delay_alu instid0(VALU_DEP_2) | instskip(NEXT) | instid1(VALU_DEP_2)
	v_cmp_eq_u64_e32 vcc_lo, 0, v[18:19]
	v_and_or_b32 v17, v18, 3, v56
	s_and_b32 s14, s14, vcc_lo
	s_delay_alu instid0(VALU_DEP_1) | instid1(SALU_CYCLE_1)
	v_cndmask_b32_e64 v17, v17, 0, s14
	s_delay_alu instid0(VALU_DEP_1)
	v_or_b32_e32 v17, v17, v9
.LBB2_7192:                             ;   in Loop: Header=BB2_6264 Depth=3
	s_or_b32 exec_lo, exec_lo, s43
                                        ; implicit-def: $vgpr9
.LBB2_7193:                             ;   in Loop: Header=BB2_6264 Depth=3
	s_and_not1_saveexec_b32 s14, s42
; %bb.7194:                             ;   in Loop: Header=BB2_6264 Depth=3
	v_or_b32_e32 v17, 0x7b, v9
; %bb.7195:                             ;   in Loop: Header=BB2_6264 Depth=3
	s_or_b32 exec_lo, exec_lo, s14
                                        ; implicit-def: $vgpr58
                                        ; implicit-def: $vgpr56_vgpr57
                                        ; implicit-def: $vgpr9
.LBB2_7196:                             ;   in Loop: Header=BB2_6264 Depth=3
	s_and_not1_saveexec_b32 s14, s15
	s_cbranch_execz .LBB2_7202
; %bb.7197:                             ;   in Loop: Header=BB2_6264 Depth=3
	s_mov_b32 s15, exec_lo
                                        ; implicit-def: $vgpr17
	v_cmpx_ne_u64_e32 0, v[56:57]
	s_xor_b32 s15, exec_lo, s15
; %bb.7198:                             ;   in Loop: Header=BB2_6264 Depth=3
	v_or_b32_e32 v17, 0x7f, v9
                                        ; implicit-def: $vgpr58
; %bb.7199:                             ;   in Loop: Header=BB2_6264 Depth=3
	s_and_not1_saveexec_b32 s15, s15
; %bb.7200:                             ;   in Loop: Header=BB2_6264 Depth=3
	v_cmp_lt_i32_e32 vcc_lo, -1, v58
	v_cndmask_b32_e32 v17, 0xfc, v120, vcc_lo
; %bb.7201:                             ;   in Loop: Header=BB2_6264 Depth=3
	s_or_b32 exec_lo, exec_lo, s15
.LBB2_7202:                             ;   in Loop: Header=BB2_6264 Depth=3
	s_delay_alu instid0(SALU_CYCLE_1) | instskip(SKIP_3) | instid1(VALU_DEP_2)
	s_or_b32 exec_lo, exec_lo, s14
	v_lshrrev_b16 v56, 8, v78
	v_mov_b32_e32 v9, 0
	s_mov_b32 s14, exec_lo
	v_cmpx_ne_u16_e32 0, v56
	s_cbranch_execz .LBB2_7212
; %bb.7203:                             ;   in Loop: Header=BB2_6264 Depth=3
	v_bfrev_b32_e32 v9, 1
	s_mov_b32 s15, exec_lo
	v_cmpx_ne_u16_e32 0x80, v56
	s_cbranch_execz .LBB2_7211
; %bb.7204:                             ;   in Loop: Header=BB2_6264 Depth=3
	v_and_b32_e32 v58, 0xffff, v56
	s_delay_alu instid0(VALU_DEP_1) | instskip(SKIP_1) | instid1(VALU_DEP_2)
	v_and_b32_e32 v9, 0x7c, v58
	v_and_b32_e32 v57, 3, v58
	v_cmp_ne_u32_e32 vcc_lo, 0x7c, v9
                                        ; implicit-def: $vgpr9
	s_and_saveexec_b32 s42, vcc_lo
	s_delay_alu instid0(SALU_CYCLE_1)
	s_xor_b32 s42, exec_lo, s42
	s_cbranch_execz .LBB2_7208
; %bb.7205:                             ;   in Loop: Header=BB2_6264 Depth=3
	v_bfe_u32 v9, v58, 2, 5
	s_mov_b32 s43, exec_lo
	s_delay_alu instid0(VALU_DEP_1)
	v_cmpx_eq_u32_e32 0, v9
	s_cbranch_execz .LBB2_7207
; %bb.7206:                             ;   in Loop: Header=BB2_6264 Depth=3
	v_clz_i32_u32_e32 v9, v57
	s_delay_alu instid0(VALU_DEP_1) | instskip(SKIP_1) | instid1(VALU_DEP_2)
	v_min_u32_e32 v9, 32, v9
	v_mov_b32_e32 v57, v3
	v_subrev_nc_u32_e32 v18, 29, v9
	v_sub_nc_u32_e32 v9, 30, v9
	s_delay_alu instid0(VALU_DEP_2) | instskip(NEXT) | instid1(VALU_DEP_1)
	v_lshlrev_b64_e32 v[18:19], v18, v[56:57]
	v_and_b32_e32 v57, 3, v18
.LBB2_7207:                             ;   in Loop: Header=BB2_6264 Depth=3
	s_or_b32 exec_lo, exec_lo, s43
	v_lshlrev_b32_e32 v18, 16, v78
                                        ; implicit-def: $vgpr78
	s_delay_alu instid0(VALU_DEP_1) | instskip(NEXT) | instid1(VALU_DEP_1)
	v_and_b32_e32 v18, 0x80000000, v18
	v_lshl_add_u32 v9, v9, 23, v18
	s_delay_alu instid0(VALU_DEP_1) | instskip(NEXT) | instid1(VALU_DEP_1)
	v_lshl_or_b32 v9, v57, 21, v9
                                        ; implicit-def: $vgpr57
	v_add_nc_u32_e32 v9, 0x38000000, v9
.LBB2_7208:                             ;   in Loop: Header=BB2_6264 Depth=3
	s_and_not1_saveexec_b32 s42, s42
; %bb.7209:                             ;   in Loop: Header=BB2_6264 Depth=3
	v_cmp_lt_i16_e32 vcc_lo, -1, v78
	v_cndmask_b32_e32 v9, 0xff800000, v111, vcc_lo
	v_cmp_eq_u32_e32 vcc_lo, 0, v57
	s_delay_alu instid0(VALU_DEP_2)
	v_cndmask_b32_e32 v9, 0x7f800001, v9, vcc_lo
; %bb.7210:                             ;   in Loop: Header=BB2_6264 Depth=3
	s_or_b32 exec_lo, exec_lo, s42
.LBB2_7211:                             ;   in Loop: Header=BB2_6264 Depth=3
	s_delay_alu instid0(SALU_CYCLE_1)
	s_or_b32 exec_lo, exec_lo, s15
.LBB2_7212:                             ;   in Loop: Header=BB2_6264 Depth=3
	s_delay_alu instid0(SALU_CYCLE_1) | instskip(SKIP_3) | instid1(VALU_DEP_1)
	s_or_b32 exec_lo, exec_lo, s14
	v_lshrrev_b16 v56, 8, v8
	s_mov_b32 s15, 0
	s_mov_b32 s14, exec_lo
	v_cmpx_lt_i16_e32 0x7f, v56
	s_xor_b32 s14, exec_lo, s14
	s_cbranch_execz .LBB2_7327
; %bb.7213:                             ;   in Loop: Header=BB2_6264 Depth=3
	s_mov_b32 s15, -1
	s_mov_b32 s42, exec_lo
	v_cmpx_eq_u16_e32 0x80, v56
; %bb.7214:                             ;   in Loop: Header=BB2_6264 Depth=3
	s_xor_b32 s15, exec_lo, -1
; %bb.7215:                             ;   in Loop: Header=BB2_6264 Depth=3
	s_or_b32 exec_lo, exec_lo, s42
	s_delay_alu instid0(SALU_CYCLE_1)
	s_and_b32 s15, s15, exec_lo
	s_or_saveexec_b32 s14, s14
	v_bfrev_b32_e32 v57, 1
	s_xor_b32 exec_lo, exec_lo, s14
	s_cbranch_execnz .LBB2_7328
.LBB2_7216:                             ;   in Loop: Header=BB2_6264 Depth=3
	s_or_b32 exec_lo, exec_lo, s14
	s_and_saveexec_b32 s14, s15
	s_cbranch_execz .LBB2_7218
.LBB2_7217:                             ;   in Loop: Header=BB2_6264 Depth=3
	v_and_b32_e32 v58, 0xffff, v56
	s_delay_alu instid0(VALU_DEP_1) | instskip(NEXT) | instid1(VALU_DEP_1)
	v_dual_mov_b32 v57, v3 :: v_dual_bitop2_b32 v59, 3, v58 bitop3:0x40
	v_clz_i32_u32_e32 v18, v59
	s_delay_alu instid0(VALU_DEP_1) | instskip(NEXT) | instid1(VALU_DEP_1)
	v_min_u32_e32 v78, 32, v18
	v_subrev_nc_u32_e32 v18, 29, v78
	s_delay_alu instid0(VALU_DEP_1) | instskip(SKIP_2) | instid1(VALU_DEP_2)
	v_lshlrev_b64_e32 v[18:19], v18, v[56:57]
	v_dual_lshlrev_b32 v19, 24, v56 :: v_dual_sub_nc_u32 v57, 30, v78
	v_bfe_u32 v56, v58, 2, 5
	v_and_b32_e32 v19, 0x80000000, v19
	s_delay_alu instid0(VALU_DEP_2) | instskip(NEXT) | instid1(VALU_DEP_4)
	v_cmp_eq_u32_e32 vcc_lo, 0, v56
	v_dual_cndmask_b32 v56, v56, v57, vcc_lo :: v_dual_bitop2_b32 v18, 3, v18 bitop3:0x40
	s_delay_alu instid0(VALU_DEP_1) | instskip(SKIP_1) | instid1(VALU_DEP_3)
	v_cndmask_b32_e32 v18, v59, v18, vcc_lo
	v_cmp_lt_i16_e32 vcc_lo, -1, v8
	v_lshl_add_u32 v19, v56, 23, v19
	v_cndmask_b32_e32 v8, 0xff800000, v111, vcc_lo
	v_cmp_eq_u32_e32 vcc_lo, 0, v59
	s_delay_alu instid0(VALU_DEP_3) | instskip(SKIP_1) | instid1(VALU_DEP_4)
	v_lshl_or_b32 v18, v18, 21, v19
	v_and_b32_e32 v19, 0x7c, v58
	v_cndmask_b32_e32 v8, 0x7f800001, v8, vcc_lo
	s_delay_alu instid0(VALU_DEP_3) | instskip(NEXT) | instid1(VALU_DEP_3)
	v_add_nc_u32_e32 v18, 0x38000000, v18
	v_cmp_eq_u32_e32 vcc_lo, 0x7c, v19
	s_delay_alu instid0(VALU_DEP_2)
	v_cndmask_b32_e32 v57, v18, v8, vcc_lo
.LBB2_7218:                             ;   in Loop: Header=BB2_6264 Depth=3
	s_or_b32 exec_lo, exec_lo, s14
	s_delay_alu instid0(VALU_DEP_1) | instskip(SKIP_2) | instid1(VALU_DEP_2)
	v_dual_add_f32 v56, v9, v57 :: v_dual_mov_b32 v19, v3
	v_mov_b32_e32 v9, v3
                                        ; implicit-def: $vgpr58
	s_mov_b32 s14, exec_lo
	v_and_b32_e32 v18, 0x7f800000, v56
	v_and_b32_e32 v8, 0x7fffff, v56
	v_lshrrev_b32_e32 v57, 24, v56
	s_delay_alu instid0(VALU_DEP_3)
	v_cmpx_ne_u64_e32 0x7f800000, v[18:19]
	s_xor_b32 s15, exec_lo, s14
	s_cbranch_execz .LBB2_7232
; %bb.7219:                             ;   in Loop: Header=BB2_6264 Depth=3
	v_and_b32_e32 v18, 0x7fffffff, v56
	v_mov_b32_e32 v19, v3
	v_and_b32_e32 v59, 0x80, v57
                                        ; implicit-def: $vgpr58
	s_mov_b32 s14, exec_lo
	s_delay_alu instid0(VALU_DEP_2)
	v_cmpx_gt_u64_e32 0x47600001, v[18:19]
	s_xor_b32 s42, exec_lo, s14
	s_cbranch_execz .LBB2_7229
; %bb.7220:                             ;   in Loop: Header=BB2_6264 Depth=3
	v_mov_b32_e32 v58, 0
	s_mov_b32 s43, exec_lo
	v_cmpx_ne_u32_e32 0, v56
	s_cbranch_execz .LBB2_7228
; %bb.7221:                             ;   in Loop: Header=BB2_6264 Depth=3
	v_bfe_u32 v58, v56, 23, 8
	v_or_b32_e32 v56, 0x800000, v8
	s_delay_alu instid0(VALU_DEP_2) | instskip(SKIP_1) | instid1(VALU_DEP_2)
	v_sub_nc_u32_e32 v18, 0x71, v58
	v_cmp_gt_u32_e32 vcc_lo, 0x72, v58
	v_cndmask_b32_e32 v18, 0, v18, vcc_lo
	v_cmp_eq_u32_e32 vcc_lo, 0, v58
	v_cndmask_b32_e32 v8, v56, v8, vcc_lo
	s_delay_alu instid0(VALU_DEP_3) | instskip(NEXT) | instid1(VALU_DEP_1)
	v_cndmask_b32_e64 v78, v18, 0x70, vcc_lo
	v_dual_add_nc_u32 v18, 21, v78 :: v_dual_add_nc_u32 v57, 20, v78
	s_delay_alu instid0(VALU_DEP_1) | instskip(NEXT) | instid1(VALU_DEP_2)
	v_lshlrev_b64_e64 v[18:19], v18, -1
	v_lshlrev_b64_e64 v[56:57], v57, 1
	s_delay_alu instid0(VALU_DEP_2) | instskip(SKIP_1) | instid1(VALU_DEP_4)
	v_bfi_b32 v18, v18, 0, v8
	v_lshrrev_b64 v[8:9], v78, v[8:9]
	v_bfi_b32 v19, v19, 0, 0
	s_delay_alu instid0(VALU_DEP_1) | instskip(NEXT) | instid1(VALU_DEP_3)
	v_cmp_eq_u64_e64 s14, v[18:19], v[56:57]
	v_mov_b64_e32 v[56:57], v[8:9]
	s_and_saveexec_b32 s78, s14
; %bb.7222:                             ;   in Loop: Header=BB2_6264 Depth=3
	v_bfe_u32 v18, v8, 21, 1
	v_mov_b32_e32 v19, v3
	s_delay_alu instid0(VALU_DEP_1) | instskip(NEXT) | instid1(VALU_DEP_1)
	v_add_nc_u64_e32 v[18:19], v[8:9], v[18:19]
	v_add_nc_u64_e32 v[56:57], -1, v[18:19]
; %bb.7223:                             ;   in Loop: Header=BB2_6264 Depth=3
	s_or_b32 exec_lo, exec_lo, s78
	v_add_nc_u32_e32 v9, 0xffffff81, v58
	v_lshrrev_b32_e32 v18, 23, v8
	s_mov_b32 s14, exec_lo
	s_delay_alu instid0(VALU_DEP_2) | instskip(NEXT) | instid1(VALU_DEP_1)
	v_cndmask_b32_e64 v9, v9, 0xffffff82, vcc_lo
	v_add3_u32 v57, v78, v9, v18
	v_and_b32_e32 v9, 0x1fffff, v56
                                        ; implicit-def: $vgpr56
	s_delay_alu instid0(VALU_DEP_1) | instskip(SKIP_1) | instid1(VALU_DEP_2)
	v_dual_add_nc_u32 v58, 14, v57 :: v_dual_add_nc_u32 v8, v9, v8
	v_mov_b32_e32 v9, v3
	v_cmpx_ne_u32_e32 0, v58
	s_xor_b32 s14, exec_lo, s14
; %bb.7224:                             ;   in Loop: Header=BB2_6264 Depth=3
	s_delay_alu instid0(VALU_DEP_2) | instskip(SKIP_1) | instid1(VALU_DEP_1)
	v_cmp_lt_u64_e32 vcc_lo, 0xffffff, v[8:9]
	v_add_nc_u32_e32 v18, 15, v57
	v_cndmask_b32_e32 v56, v58, v18, vcc_lo
	v_cndmask_b32_e64 v18, 0, 1, vcc_lo
	s_delay_alu instid0(VALU_DEP_1)
	v_lshrrev_b64 v[8:9], v18, v[8:9]
; %bb.7225:                             ;   in Loop: Header=BB2_6264 Depth=3
	s_and_not1_saveexec_b32 s14, s14
; %bb.7226:                             ;   in Loop: Header=BB2_6264 Depth=3
	s_delay_alu instid0(VALU_DEP_1)
	v_bfe_u32 v56, v8, 23, 1
; %bb.7227:                             ;   in Loop: Header=BB2_6264 Depth=3
	s_or_b32 exec_lo, exec_lo, s14
	s_delay_alu instid0(VALU_DEP_2) | instskip(NEXT) | instid1(VALU_DEP_2)
	v_lshrrev_b64 v[8:9], 21, v[8:9]
	v_cmp_gt_i32_e32 vcc_lo, 32, v56
	v_min_i32_e32 v18, 31, v56
	v_cmp_eq_u32_e64 s14, 0, v56
	s_delay_alu instid0(VALU_DEP_2) | instskip(SKIP_1) | instid1(VALU_DEP_2)
	v_dual_cndmask_b32 v9, 0, v9 :: v_dual_lshlrev_b32 v18, 2, v18
	v_cndmask_b32_e32 v8, 3, v8, vcc_lo
	v_and_b32_e32 v18, 0xfc, v18
	s_delay_alu instid0(VALU_DEP_2) | instskip(NEXT) | instid1(VALU_DEP_2)
	v_cmp_eq_u64_e32 vcc_lo, 0, v[8:9]
	v_and_or_b32 v8, v8, 3, v18
	s_and_b32 s14, s14, vcc_lo
	s_delay_alu instid0(VALU_DEP_1) | instid1(SALU_CYCLE_1)
	v_cndmask_b32_e64 v8, v8, 0, s14
	s_delay_alu instid0(VALU_DEP_1)
	v_or_b32_e32 v58, v8, v59
.LBB2_7228:                             ;   in Loop: Header=BB2_6264 Depth=3
	s_or_b32 exec_lo, exec_lo, s43
                                        ; implicit-def: $vgpr59
.LBB2_7229:                             ;   in Loop: Header=BB2_6264 Depth=3
	s_and_not1_saveexec_b32 s14, s42
; %bb.7230:                             ;   in Loop: Header=BB2_6264 Depth=3
	v_or_b32_e32 v58, 0x7b, v59
; %bb.7231:                             ;   in Loop: Header=BB2_6264 Depth=3
	s_or_b32 exec_lo, exec_lo, s14
                                        ; implicit-def: $vgpr56
                                        ; implicit-def: $vgpr8_vgpr9
                                        ; implicit-def: $vgpr57
.LBB2_7232:                             ;   in Loop: Header=BB2_6264 Depth=3
	s_and_not1_saveexec_b32 s14, s15
	s_cbranch_execz .LBB2_7238
; %bb.7233:                             ;   in Loop: Header=BB2_6264 Depth=3
	s_mov_b32 s15, exec_lo
                                        ; implicit-def: $vgpr58
	v_cmpx_ne_u64_e32 0, v[8:9]
	s_xor_b32 s15, exec_lo, s15
; %bb.7234:                             ;   in Loop: Header=BB2_6264 Depth=3
	v_or_b32_e32 v58, 0x7f, v57
                                        ; implicit-def: $vgpr56
; %bb.7235:                             ;   in Loop: Header=BB2_6264 Depth=3
	s_and_not1_saveexec_b32 s15, s15
; %bb.7236:                             ;   in Loop: Header=BB2_6264 Depth=3
	v_cmp_lt_i32_e32 vcc_lo, -1, v56
	v_cndmask_b32_e32 v58, 0xfc, v120, vcc_lo
; %bb.7237:                             ;   in Loop: Header=BB2_6264 Depth=3
	s_or_b32 exec_lo, exec_lo, s15
.LBB2_7238:                             ;   in Loop: Header=BB2_6264 Depth=3
	s_delay_alu instid0(SALU_CYCLE_1) | instskip(SKIP_2) | instid1(VALU_DEP_1)
	s_or_b32 exec_lo, exec_lo, s14
	v_dual_mov_b32 v9, 0 :: v_dual_lshrrev_b32 v8, 16, v2
	s_mov_b32 s14, exec_lo
	v_and_b32_e32 v56, 0xff, v8
	s_delay_alu instid0(VALU_DEP_1)
	v_cmpx_ne_u16_e32 0, v56
	s_cbranch_execz .LBB2_7248
; %bb.7239:                             ;   in Loop: Header=BB2_6264 Depth=3
	v_bfrev_b32_e32 v9, 1
	s_mov_b32 s15, exec_lo
	v_cmpx_ne_u16_e32 0x80, v56
	s_cbranch_execz .LBB2_7247
; %bb.7240:                             ;   in Loop: Header=BB2_6264 Depth=3
	v_and_b32_e32 v9, 0x7c0000, v2
	v_bfe_u32 v56, v2, 16, 2
	s_delay_alu instid0(VALU_DEP_2) | instskip(SKIP_1) | instid1(SALU_CYCLE_1)
	v_cmp_ne_u32_e32 vcc_lo, 0x7c0000, v9
                                        ; implicit-def: $vgpr9
	s_and_saveexec_b32 s42, vcc_lo
	s_xor_b32 s42, exec_lo, s42
	s_cbranch_execz .LBB2_7244
; %bb.7241:                             ;   in Loop: Header=BB2_6264 Depth=3
	v_bfe_u32 v9, v2, 18, 5
	s_mov_b32 s43, exec_lo
	s_delay_alu instid0(VALU_DEP_1)
	v_cmpx_eq_u32_e32 0, v9
; %bb.7242:                             ;   in Loop: Header=BB2_6264 Depth=3
	v_clz_i32_u32_e32 v9, v56
	s_delay_alu instid0(VALU_DEP_1) | instskip(NEXT) | instid1(VALU_DEP_1)
	v_min_u32_e32 v9, 32, v9
	v_subrev_nc_u32_e32 v18, 29, v9
	s_delay_alu instid0(VALU_DEP_1) | instskip(NEXT) | instid1(VALU_DEP_1)
	v_lshlrev_b64_e32 v[18:19], v18, v[8:9]
	v_dual_sub_nc_u32 v9, 30, v9 :: v_dual_bitop2_b32 v56, 3, v18 bitop3:0x40
; %bb.7243:                             ;   in Loop: Header=BB2_6264 Depth=3
	s_or_b32 exec_lo, exec_lo, s43
	v_lshlrev_b32_e32 v8, 24, v8
	s_delay_alu instid0(VALU_DEP_1) | instskip(NEXT) | instid1(VALU_DEP_1)
	v_and_b32_e32 v8, 0x80000000, v8
	v_lshl_add_u32 v8, v9, 23, v8
	s_delay_alu instid0(VALU_DEP_1) | instskip(NEXT) | instid1(VALU_DEP_1)
	v_lshl_or_b32 v8, v56, 21, v8
                                        ; implicit-def: $vgpr56
	v_add_nc_u32_e32 v9, 0x38000000, v8
                                        ; implicit-def: $vgpr8
.LBB2_7244:                             ;   in Loop: Header=BB2_6264 Depth=3
	s_and_not1_saveexec_b32 s42, s42
; %bb.7245:                             ;   in Loop: Header=BB2_6264 Depth=3
	v_bfe_i32 v8, v8, 0, 8
	s_delay_alu instid0(VALU_DEP_1) | instskip(SKIP_2) | instid1(VALU_DEP_2)
	v_cmp_lt_i16_e32 vcc_lo, -1, v8
	v_cndmask_b32_e32 v8, 0xff800000, v111, vcc_lo
	v_cmp_eq_u32_e32 vcc_lo, 0, v56
	v_cndmask_b32_e32 v9, 0x7f800001, v8, vcc_lo
; %bb.7246:                             ;   in Loop: Header=BB2_6264 Depth=3
	s_or_b32 exec_lo, exec_lo, s42
.LBB2_7247:                             ;   in Loop: Header=BB2_6264 Depth=3
	s_delay_alu instid0(SALU_CYCLE_1)
	s_or_b32 exec_lo, exec_lo, s15
.LBB2_7248:                             ;   in Loop: Header=BB2_6264 Depth=3
	s_delay_alu instid0(SALU_CYCLE_1) | instskip(SKIP_3) | instid1(VALU_DEP_1)
	s_or_b32 exec_lo, exec_lo, s14
	v_lshrrev_b32_e32 v8, 16, v11
	s_mov_b32 s15, 0
	s_mov_b32 s14, exec_lo
	v_and_b32_e32 v57, 0xff, v8
	s_delay_alu instid0(VALU_DEP_1)
	v_cmpx_lt_i16_e32 0x7f, v57
	s_xor_b32 s14, exec_lo, s14
	s_cbranch_execz .LBB2_7329
; %bb.7249:                             ;   in Loop: Header=BB2_6264 Depth=3
	s_mov_b32 s15, -1
	s_mov_b32 s42, exec_lo
	v_cmpx_eq_u16_e32 0x80, v57
; %bb.7250:                             ;   in Loop: Header=BB2_6264 Depth=3
	s_xor_b32 s15, exec_lo, -1
; %bb.7251:                             ;   in Loop: Header=BB2_6264 Depth=3
	s_or_b32 exec_lo, exec_lo, s42
	s_delay_alu instid0(SALU_CYCLE_1)
	s_and_b32 s15, s15, exec_lo
                                        ; implicit-def: $vgpr57
	s_or_saveexec_b32 s14, s14
	v_bfrev_b32_e32 v56, 1
	s_xor_b32 exec_lo, exec_lo, s14
	s_cbranch_execnz .LBB2_7330
.LBB2_7252:                             ;   in Loop: Header=BB2_6264 Depth=3
	s_or_b32 exec_lo, exec_lo, s14
	s_and_saveexec_b32 s14, s15
	s_cbranch_execz .LBB2_7254
.LBB2_7253:                             ;   in Loop: Header=BB2_6264 Depth=3
	v_and_b32_e32 v56, 3, v8
	v_bfe_u32 v59, v11, 18, 5
	s_delay_alu instid0(VALU_DEP_2) | instskip(NEXT) | instid1(VALU_DEP_2)
	v_clz_i32_u32_e32 v18, v56
	v_cmp_eq_u32_e32 vcc_lo, 0, v59
	s_delay_alu instid0(VALU_DEP_2) | instskip(NEXT) | instid1(VALU_DEP_1)
	v_min_u32_e32 v57, 32, v18
	v_subrev_nc_u32_e32 v18, 29, v57
	s_delay_alu instid0(VALU_DEP_1) | instskip(SKIP_2) | instid1(VALU_DEP_2)
	v_lshlrev_b64_e32 v[18:19], v18, v[8:9]
	v_dual_lshlrev_b32 v19, 24, v8 :: v_dual_sub_nc_u32 v57, 30, v57
	v_bfe_i32 v8, v8, 0, 8
	v_and_b32_e32 v19, 0x80000000, v19
	s_delay_alu instid0(VALU_DEP_3) | instskip(NEXT) | instid1(VALU_DEP_1)
	v_dual_cndmask_b32 v57, v59, v57, vcc_lo :: v_dual_bitop2_b32 v18, 3, v18 bitop3:0x40
	v_cndmask_b32_e32 v18, v56, v18, vcc_lo
	s_delay_alu instid0(VALU_DEP_2) | instskip(SKIP_1) | instid1(VALU_DEP_2)
	v_lshl_add_u32 v19, v57, 23, v19
	v_cmp_lt_i16_e32 vcc_lo, -1, v8
	v_lshl_or_b32 v18, v18, 21, v19
	v_cndmask_b32_e32 v8, 0xff800000, v111, vcc_lo
	v_and_b32_e32 v19, 0x7c0000, v11
	v_cmp_eq_u32_e32 vcc_lo, 0, v56
	s_delay_alu instid0(VALU_DEP_4) | instskip(NEXT) | instid1(VALU_DEP_4)
	v_add_nc_u32_e32 v18, 0x38000000, v18
	v_cndmask_b32_e32 v8, 0x7f800001, v8, vcc_lo
	s_delay_alu instid0(VALU_DEP_4) | instskip(NEXT) | instid1(VALU_DEP_2)
	v_cmp_eq_u32_e32 vcc_lo, 0x7c0000, v19
	v_cndmask_b32_e32 v56, v18, v8, vcc_lo
.LBB2_7254:                             ;   in Loop: Header=BB2_6264 Depth=3
	s_or_b32 exec_lo, exec_lo, s14
	s_delay_alu instid0(VALU_DEP_1) | instskip(SKIP_2) | instid1(VALU_DEP_2)
	v_dual_add_f32 v57, v9, v56 :: v_dual_mov_b32 v19, v3
	v_mov_b32_e32 v9, v3
                                        ; implicit-def: $vgpr56
	s_mov_b32 s14, exec_lo
	v_and_b32_e32 v18, 0x7f800000, v57
	v_and_b32_e32 v8, 0x7fffff, v57
	v_lshrrev_b32_e32 v59, 24, v57
	s_delay_alu instid0(VALU_DEP_3)
	v_cmpx_ne_u64_e32 0x7f800000, v[18:19]
	s_xor_b32 s15, exec_lo, s14
	s_cbranch_execz .LBB2_7268
; %bb.7255:                             ;   in Loop: Header=BB2_6264 Depth=3
	v_and_b32_e32 v18, 0x7fffffff, v57
	v_mov_b32_e32 v19, v3
	v_and_b32_e32 v59, 0x80, v59
                                        ; implicit-def: $vgpr56
	s_mov_b32 s14, exec_lo
	s_delay_alu instid0(VALU_DEP_2)
	v_cmpx_gt_u64_e32 0x47600001, v[18:19]
	s_xor_b32 s42, exec_lo, s14
	s_cbranch_execz .LBB2_7265
; %bb.7256:                             ;   in Loop: Header=BB2_6264 Depth=3
	v_mov_b32_e32 v56, 0
	s_mov_b32 s43, exec_lo
	v_cmpx_ne_u32_e32 0, v57
	s_cbranch_execz .LBB2_7264
; %bb.7257:                             ;   in Loop: Header=BB2_6264 Depth=3
	v_bfe_u32 v78, v57, 23, 8
	v_or_b32_e32 v56, 0x800000, v8
	s_delay_alu instid0(VALU_DEP_2) | instskip(SKIP_1) | instid1(VALU_DEP_2)
	v_sub_nc_u32_e32 v18, 0x71, v78
	v_cmp_gt_u32_e32 vcc_lo, 0x72, v78
	v_cndmask_b32_e32 v18, 0, v18, vcc_lo
	v_cmp_eq_u32_e32 vcc_lo, 0, v78
	s_delay_alu instid0(VALU_DEP_2) | instskip(SKIP_1) | instid1(VALU_DEP_2)
	v_cndmask_b32_e64 v88, v18, 0x70, vcc_lo
	v_cndmask_b32_e32 v8, v56, v8, vcc_lo
	v_dual_add_nc_u32 v18, 21, v88 :: v_dual_add_nc_u32 v57, 20, v88
	s_delay_alu instid0(VALU_DEP_1) | instskip(NEXT) | instid1(VALU_DEP_2)
	v_lshlrev_b64_e64 v[18:19], v18, -1
	v_lshlrev_b64_e64 v[56:57], v57, 1
	s_delay_alu instid0(VALU_DEP_2) | instskip(SKIP_1) | instid1(VALU_DEP_4)
	v_bfi_b32 v18, v18, 0, v8
	v_lshrrev_b64 v[8:9], v88, v[8:9]
	v_bfi_b32 v19, v19, 0, 0
	s_delay_alu instid0(VALU_DEP_1) | instskip(NEXT) | instid1(VALU_DEP_3)
	v_cmp_eq_u64_e64 s14, v[18:19], v[56:57]
	v_mov_b64_e32 v[56:57], v[8:9]
	s_and_saveexec_b32 s78, s14
; %bb.7258:                             ;   in Loop: Header=BB2_6264 Depth=3
	v_bfe_u32 v18, v8, 21, 1
	v_mov_b32_e32 v19, v3
	s_delay_alu instid0(VALU_DEP_1) | instskip(NEXT) | instid1(VALU_DEP_1)
	v_add_nc_u64_e32 v[18:19], v[8:9], v[18:19]
	v_add_nc_u64_e32 v[56:57], -1, v[18:19]
; %bb.7259:                             ;   in Loop: Header=BB2_6264 Depth=3
	s_or_b32 exec_lo, exec_lo, s78
	v_add_nc_u32_e32 v9, 0xffffff81, v78
	v_lshrrev_b32_e32 v18, 23, v8
	s_mov_b32 s14, exec_lo
	s_delay_alu instid0(VALU_DEP_2) | instskip(NEXT) | instid1(VALU_DEP_1)
	v_cndmask_b32_e64 v9, v9, 0xffffff82, vcc_lo
	v_add3_u32 v57, v88, v9, v18
	v_and_b32_e32 v9, 0x1fffff, v56
                                        ; implicit-def: $vgpr56
	s_delay_alu instid0(VALU_DEP_1) | instskip(SKIP_1) | instid1(VALU_DEP_2)
	v_dual_add_nc_u32 v78, 14, v57 :: v_dual_add_nc_u32 v8, v9, v8
	v_mov_b32_e32 v9, v3
	v_cmpx_ne_u32_e32 0, v78
	s_xor_b32 s14, exec_lo, s14
; %bb.7260:                             ;   in Loop: Header=BB2_6264 Depth=3
	s_delay_alu instid0(VALU_DEP_2) | instskip(SKIP_1) | instid1(VALU_DEP_1)
	v_cmp_lt_u64_e32 vcc_lo, 0xffffff, v[8:9]
	v_add_nc_u32_e32 v18, 15, v57
	v_cndmask_b32_e32 v56, v78, v18, vcc_lo
	v_cndmask_b32_e64 v18, 0, 1, vcc_lo
	s_delay_alu instid0(VALU_DEP_1)
	v_lshrrev_b64 v[8:9], v18, v[8:9]
; %bb.7261:                             ;   in Loop: Header=BB2_6264 Depth=3
	s_and_not1_saveexec_b32 s14, s14
; %bb.7262:                             ;   in Loop: Header=BB2_6264 Depth=3
	s_delay_alu instid0(VALU_DEP_1)
	v_bfe_u32 v56, v8, 23, 1
; %bb.7263:                             ;   in Loop: Header=BB2_6264 Depth=3
	s_or_b32 exec_lo, exec_lo, s14
	s_delay_alu instid0(VALU_DEP_2) | instskip(NEXT) | instid1(VALU_DEP_2)
	v_lshrrev_b64 v[8:9], 21, v[8:9]
	v_cmp_gt_i32_e32 vcc_lo, 32, v56
	v_min_i32_e32 v18, 31, v56
	v_cmp_eq_u32_e64 s14, 0, v56
	s_delay_alu instid0(VALU_DEP_2) | instskip(SKIP_1) | instid1(VALU_DEP_2)
	v_dual_cndmask_b32 v9, 0, v9 :: v_dual_lshlrev_b32 v18, 2, v18
	v_cndmask_b32_e32 v8, 3, v8, vcc_lo
	v_and_b32_e32 v18, 0xfc, v18
	s_delay_alu instid0(VALU_DEP_2) | instskip(NEXT) | instid1(VALU_DEP_2)
	v_cmp_eq_u64_e32 vcc_lo, 0, v[8:9]
	v_and_or_b32 v8, v8, 3, v18
	s_and_b32 s14, s14, vcc_lo
	s_delay_alu instid0(VALU_DEP_1) | instid1(SALU_CYCLE_1)
	v_cndmask_b32_e64 v8, v8, 0, s14
	s_delay_alu instid0(VALU_DEP_1)
	v_or_b32_e32 v56, v8, v59
.LBB2_7264:                             ;   in Loop: Header=BB2_6264 Depth=3
	s_or_b32 exec_lo, exec_lo, s43
                                        ; implicit-def: $vgpr59
.LBB2_7265:                             ;   in Loop: Header=BB2_6264 Depth=3
	s_and_not1_saveexec_b32 s14, s42
; %bb.7266:                             ;   in Loop: Header=BB2_6264 Depth=3
	v_or_b32_e32 v56, 0x7b, v59
; %bb.7267:                             ;   in Loop: Header=BB2_6264 Depth=3
	s_or_b32 exec_lo, exec_lo, s14
                                        ; implicit-def: $vgpr57
                                        ; implicit-def: $vgpr8_vgpr9
                                        ; implicit-def: $vgpr59
.LBB2_7268:                             ;   in Loop: Header=BB2_6264 Depth=3
	s_and_not1_saveexec_b32 s14, s15
	s_cbranch_execz .LBB2_7274
; %bb.7269:                             ;   in Loop: Header=BB2_6264 Depth=3
	s_mov_b32 s15, exec_lo
                                        ; implicit-def: $vgpr56
	v_cmpx_ne_u64_e32 0, v[8:9]
	s_xor_b32 s15, exec_lo, s15
; %bb.7270:                             ;   in Loop: Header=BB2_6264 Depth=3
	v_or_b32_e32 v56, 0x7f, v59
                                        ; implicit-def: $vgpr57
; %bb.7271:                             ;   in Loop: Header=BB2_6264 Depth=3
	s_and_not1_saveexec_b32 s15, s15
; %bb.7272:                             ;   in Loop: Header=BB2_6264 Depth=3
	v_cmp_lt_i32_e32 vcc_lo, -1, v57
	v_cndmask_b32_e32 v56, 0xfc, v120, vcc_lo
; %bb.7273:                             ;   in Loop: Header=BB2_6264 Depth=3
	s_or_b32 exec_lo, exec_lo, s15
.LBB2_7274:                             ;   in Loop: Header=BB2_6264 Depth=3
	s_delay_alu instid0(SALU_CYCLE_1)
	s_or_b32 exec_lo, exec_lo, s14
	v_mov_b32_e32 v9, 0
	s_mov_b32 s14, exec_lo
	v_cmpx_lt_u32_e32 0xffffff, v2
	s_cbranch_execz .LBB2_7284
; %bb.7275:                             ;   in Loop: Header=BB2_6264 Depth=3
	v_lshrrev_b32_e32 v8, 24, v2
	v_bfrev_b32_e32 v9, 1
	s_mov_b32 s15, exec_lo
	s_delay_alu instid0(VALU_DEP_2)
	v_cmpx_ne_u32_e32 0x80, v8
	s_cbranch_execz .LBB2_7283
; %bb.7276:                             ;   in Loop: Header=BB2_6264 Depth=3
	v_and_b32_e32 v9, 0x7c000000, v2
	v_bfe_u32 v57, v2, 24, 2
	s_delay_alu instid0(VALU_DEP_2) | instskip(SKIP_1) | instid1(SALU_CYCLE_1)
	v_cmp_ne_u32_e32 vcc_lo, 0x7c000000, v9
                                        ; implicit-def: $vgpr9
	s_and_saveexec_b32 s42, vcc_lo
	s_xor_b32 s42, exec_lo, s42
	s_cbranch_execz .LBB2_7280
; %bb.7277:                             ;   in Loop: Header=BB2_6264 Depth=3
	v_bfe_u32 v9, v2, 26, 5
	s_mov_b32 s43, exec_lo
	s_delay_alu instid0(VALU_DEP_1)
	v_cmpx_eq_u32_e32 0, v9
; %bb.7278:                             ;   in Loop: Header=BB2_6264 Depth=3
	v_clz_i32_u32_e32 v9, v57
	s_delay_alu instid0(VALU_DEP_1) | instskip(NEXT) | instid1(VALU_DEP_1)
	v_min_u32_e32 v18, 32, v9
	v_subrev_nc_u32_e32 v9, 29, v18
	s_delay_alu instid0(VALU_DEP_1) | instskip(NEXT) | instid1(VALU_DEP_1)
	v_lshlrev_b64_e32 v[8:9], v9, v[8:9]
	v_dual_sub_nc_u32 v9, 30, v18 :: v_dual_bitop2_b32 v57, 3, v8 bitop3:0x40
; %bb.7279:                             ;   in Loop: Header=BB2_6264 Depth=3
	s_or_b32 exec_lo, exec_lo, s43
	v_and_b32_e32 v2, 0x80000000, v2
	s_delay_alu instid0(VALU_DEP_1) | instskip(NEXT) | instid1(VALU_DEP_1)
	v_lshl_add_u32 v2, v9, 23, v2
	v_lshl_or_b32 v2, v57, 21, v2
                                        ; implicit-def: $vgpr57
	s_delay_alu instid0(VALU_DEP_1)
	v_add_nc_u32_e32 v9, 0x38000000, v2
.LBB2_7280:                             ;   in Loop: Header=BB2_6264 Depth=3
	s_and_not1_saveexec_b32 s42, s42
; %bb.7281:                             ;   in Loop: Header=BB2_6264 Depth=3
	v_cmp_lt_i32_e32 vcc_lo, -1, v2
	v_cndmask_b32_e32 v2, 0xff800000, v111, vcc_lo
	v_cmp_eq_u32_e32 vcc_lo, 0, v57
	s_delay_alu instid0(VALU_DEP_2)
	v_cndmask_b32_e32 v9, 0x7f800001, v2, vcc_lo
; %bb.7282:                             ;   in Loop: Header=BB2_6264 Depth=3
	s_or_b32 exec_lo, exec_lo, s42
.LBB2_7283:                             ;   in Loop: Header=BB2_6264 Depth=3
	s_delay_alu instid0(SALU_CYCLE_1)
	s_or_b32 exec_lo, exec_lo, s15
.LBB2_7284:                             ;   in Loop: Header=BB2_6264 Depth=3
	s_delay_alu instid0(SALU_CYCLE_1) | instskip(SKIP_2) | instid1(VALU_DEP_2)
	s_or_b32 exec_lo, exec_lo, s14
	v_bfe_u32 v8, v11, 24, 2
	v_bfe_u32 v59, v11, 26, 5
	v_clz_i32_u32_e32 v2, v8
	s_delay_alu instid0(VALU_DEP_2) | instskip(NEXT) | instid1(VALU_DEP_2)
	v_cmp_eq_u32_e32 vcc_lo, 0, v59
	v_min_u32_e32 v57, 32, v2
	v_lshrrev_b32_e32 v2, 24, v11
	s_delay_alu instid0(VALU_DEP_2) | instskip(NEXT) | instid1(VALU_DEP_1)
	v_subrev_nc_u32_e32 v18, 29, v57
	v_lshlrev_b64_e32 v[18:19], v18, v[2:3]
	v_sub_nc_u32_e32 v19, 30, v57
	v_and_b32_e32 v57, 0x80000000, v11
	s_delay_alu instid0(VALU_DEP_2) | instskip(NEXT) | instid1(VALU_DEP_1)
	v_dual_cndmask_b32 v19, v59, v19, vcc_lo :: v_dual_bitop2_b32 v18, 3, v18 bitop3:0x40
	v_lshl_add_u32 v19, v19, 23, v57
	s_delay_alu instid0(VALU_DEP_2) | instskip(SKIP_1) | instid1(VALU_DEP_2)
	v_cndmask_b32_e32 v18, v8, v18, vcc_lo
	v_cmp_lt_i64_e32 vcc_lo, -1, v[10:11]
	v_lshl_or_b32 v18, v18, 21, v19
	v_and_b32_e32 v19, 0x7c000000, v11
	v_cndmask_b32_e32 v57, 0xff800000, v111, vcc_lo
	v_cmp_eq_u32_e32 vcc_lo, 0, v8
	s_delay_alu instid0(VALU_DEP_4) | instskip(NEXT) | instid1(VALU_DEP_3)
	v_add_nc_u32_e32 v18, 0x38000000, v18
	v_cndmask_b32_e32 v8, 0x7f800001, v57, vcc_lo
	v_cmp_eq_u32_e32 vcc_lo, 0x7c000000, v19
	s_delay_alu instid0(VALU_DEP_2) | instskip(SKIP_1) | instid1(VALU_DEP_2)
	v_cndmask_b32_e32 v8, v18, v8, vcc_lo
	v_cmp_ne_u32_e32 vcc_lo, 0x80, v2
	v_cndmask_b32_e32 v2, 0x80000000, v8, vcc_lo
	v_cmp_lt_u64_e32 vcc_lo, s[22:23], v[10:11]
	v_mov_b32_e32 v11, v3
                                        ; implicit-def: $vgpr8
	s_delay_alu instid0(VALU_DEP_3) | instskip(NEXT) | instid1(VALU_DEP_1)
	v_cndmask_b32_e32 v2, 0, v2, vcc_lo
	v_add_f32_e32 v9, v2, v9
	s_delay_alu instid0(VALU_DEP_1) | instskip(SKIP_1) | instid1(VALU_DEP_2)
	v_and_b32_e32 v10, 0x7f800000, v9
	v_and_b32_e32 v2, 0x7fffff, v9
	v_cmp_ne_u64_e32 vcc_lo, 0x7f800000, v[10:11]
	v_lshrrev_b32_e32 v10, 24, v9
	s_and_saveexec_b32 s14, vcc_lo
	s_delay_alu instid0(SALU_CYCLE_1)
	s_xor_b32 s15, exec_lo, s14
	s_cbranch_execz .LBB2_7298
; %bb.7285:                             ;   in Loop: Header=BB2_6264 Depth=3
	v_and_b32_e32 v18, 0x7fffffff, v9
	v_mov_b32_e32 v19, v3
	v_and_b32_e32 v57, 0x80, v10
                                        ; implicit-def: $vgpr8
	s_mov_b32 s14, exec_lo
	s_delay_alu instid0(VALU_DEP_2)
	v_cmpx_gt_u64_e32 0x47600001, v[18:19]
	s_xor_b32 s42, exec_lo, s14
	s_cbranch_execz .LBB2_7295
; %bb.7286:                             ;   in Loop: Header=BB2_6264 Depth=3
	v_mov_b32_e32 v8, 0
	s_mov_b32 s43, exec_lo
	v_cmpx_ne_u32_e32 0, v9
	s_cbranch_execz .LBB2_7294
; %bb.7287:                             ;   in Loop: Header=BB2_6264 Depth=3
	v_bfe_u32 v59, v9, 23, 8
	v_or_b32_e32 v10, 0x800000, v2
	s_mov_b32 s78, exec_lo
	s_delay_alu instid0(VALU_DEP_2) | instskip(SKIP_1) | instid1(VALU_DEP_2)
	v_dual_mov_b32 v11, v3 :: v_dual_sub_nc_u32 v8, 0x71, v59
	v_cmp_gt_u32_e32 vcc_lo, 0x72, v59
	v_cndmask_b32_e32 v8, 0, v8, vcc_lo
	v_cmp_eq_u32_e32 vcc_lo, 0, v59
	s_delay_alu instid0(VALU_DEP_2) | instskip(SKIP_1) | instid1(VALU_DEP_2)
	v_cndmask_b32_e64 v78, v8, 0x70, vcc_lo
	v_cndmask_b32_e32 v10, v10, v2, vcc_lo
	v_dual_add_nc_u32 v8, 21, v78 :: v_dual_add_nc_u32 v18, 20, v78
	s_delay_alu instid0(VALU_DEP_1) | instskip(NEXT) | instid1(VALU_DEP_2)
	v_lshlrev_b64_e64 v[8:9], v8, -1
	v_lshlrev_b64_e64 v[18:19], v18, 1
	s_delay_alu instid0(VALU_DEP_2) | instskip(NEXT) | instid1(VALU_DEP_3)
	v_bfi_b32 v105, v9, 0, 0
	v_bfi_b32 v104, v8, 0, v10
	v_lshrrev_b64 v[8:9], v78, v[10:11]
	s_delay_alu instid0(VALU_DEP_1) | instskip(NEXT) | instid1(VALU_DEP_3)
	v_mov_b64_e32 v[10:11], v[8:9]
	v_cmpx_eq_u64_e64 v[104:105], v[18:19]
; %bb.7288:                             ;   in Loop: Header=BB2_6264 Depth=3
	v_bfe_u32 v10, v8, 21, 1
	v_mov_b32_e32 v11, v3
	s_delay_alu instid0(VALU_DEP_1) | instskip(NEXT) | instid1(VALU_DEP_1)
	v_add_nc_u64_e32 v[10:11], v[8:9], v[10:11]
	v_add_nc_u64_e32 v[10:11], -1, v[10:11]
; %bb.7289:                             ;   in Loop: Header=BB2_6264 Depth=3
	s_or_b32 exec_lo, exec_lo, s78
	v_add_nc_u32_e32 v2, 0xffffff81, v59
	s_delay_alu instid0(VALU_DEP_2) | instskip(SKIP_2) | instid1(VALU_DEP_3)
	v_and_b32_e32 v10, 0x1fffff, v10
	v_lshrrev_b32_e32 v9, 23, v8
	s_mov_b32 s14, exec_lo
	v_cndmask_b32_e64 v2, v2, 0xffffff82, vcc_lo
	s_delay_alu instid0(VALU_DEP_1) | instskip(SKIP_1) | instid1(VALU_DEP_2)
	v_add3_u32 v11, v78, v2, v9
	v_add_nc_u32_e32 v2, v10, v8
                                        ; implicit-def: $vgpr8_vgpr9
                                        ; implicit-def: $vgpr10
	v_add_nc_u32_e32 v59, 14, v11
	s_delay_alu instid0(VALU_DEP_1)
	v_cmpx_ne_u32_e32 0, v59
	s_xor_b32 s14, exec_lo, s14
; %bb.7290:                             ;   in Loop: Header=BB2_6264 Depth=3
	s_delay_alu instid0(VALU_DEP_3) | instskip(SKIP_1) | instid1(VALU_DEP_1)
	v_cmp_lt_u64_e32 vcc_lo, 0xffffff, v[2:3]
	v_add_nc_u32_e32 v8, 15, v11
	v_cndmask_b32_e32 v10, v59, v8, vcc_lo
	v_cndmask_b32_e64 v8, 0, 1, vcc_lo
	s_delay_alu instid0(VALU_DEP_1)
	v_lshrrev_b64 v[8:9], v8, v[2:3]
; %bb.7291:                             ;   in Loop: Header=BB2_6264 Depth=3
	s_and_not1_saveexec_b32 s14, s14
; %bb.7292:                             ;   in Loop: Header=BB2_6264 Depth=3
	v_mov_b64_e32 v[8:9], v[2:3]
	v_bfe_u32 v10, v2, 23, 1
; %bb.7293:                             ;   in Loop: Header=BB2_6264 Depth=3
	s_or_b32 exec_lo, exec_lo, s14
	s_delay_alu instid0(VALU_DEP_2) | instskip(NEXT) | instid1(VALU_DEP_2)
	v_lshrrev_b64 v[8:9], 21, v[8:9]
	v_cmp_gt_i32_e32 vcc_lo, 32, v10
	v_min_i32_e32 v2, 31, v10
	v_cmp_eq_u32_e64 s14, 0, v10
	s_delay_alu instid0(VALU_DEP_2) | instskip(SKIP_1) | instid1(VALU_DEP_2)
	v_dual_cndmask_b32 v9, 0, v9 :: v_dual_lshlrev_b32 v2, 2, v2
	v_cndmask_b32_e32 v8, 3, v8, vcc_lo
	v_and_b32_e32 v2, 0xfc, v2
	s_delay_alu instid0(VALU_DEP_2) | instskip(NEXT) | instid1(VALU_DEP_2)
	v_cmp_eq_u64_e32 vcc_lo, 0, v[8:9]
	v_and_or_b32 v2, v8, 3, v2
	s_and_b32 s14, s14, vcc_lo
	s_delay_alu instid0(VALU_DEP_1) | instid1(SALU_CYCLE_1)
	v_cndmask_b32_e64 v2, v2, 0, s14
	s_delay_alu instid0(VALU_DEP_1)
	v_or_b32_e32 v8, v2, v57
.LBB2_7294:                             ;   in Loop: Header=BB2_6264 Depth=3
	s_or_b32 exec_lo, exec_lo, s43
                                        ; implicit-def: $vgpr57
.LBB2_7295:                             ;   in Loop: Header=BB2_6264 Depth=3
	s_and_not1_saveexec_b32 s14, s42
; %bb.7296:                             ;   in Loop: Header=BB2_6264 Depth=3
	v_or_b32_e32 v8, 0x7b, v57
; %bb.7297:                             ;   in Loop: Header=BB2_6264 Depth=3
	s_or_b32 exec_lo, exec_lo, s14
                                        ; implicit-def: $vgpr9
                                        ; implicit-def: $vgpr10
.LBB2_7298:                             ;   in Loop: Header=BB2_6264 Depth=3
	s_and_not1_saveexec_b32 s14, s15
	s_cbranch_execz .LBB2_7304
; %bb.7299:                             ;   in Loop: Header=BB2_6264 Depth=3
	s_mov_b32 s15, exec_lo
                                        ; implicit-def: $vgpr8
	v_cmpx_ne_u64_e32 0, v[2:3]
	s_xor_b32 s15, exec_lo, s15
; %bb.7300:                             ;   in Loop: Header=BB2_6264 Depth=3
	v_or_b32_e32 v8, 0x7f, v10
                                        ; implicit-def: $vgpr9
; %bb.7301:                             ;   in Loop: Header=BB2_6264 Depth=3
	s_and_not1_saveexec_b32 s15, s15
; %bb.7302:                             ;   in Loop: Header=BB2_6264 Depth=3
	v_cmp_lt_i32_e32 vcc_lo, -1, v9
	v_cndmask_b32_e32 v8, 0xfc, v120, vcc_lo
; %bb.7303:                             ;   in Loop: Header=BB2_6264 Depth=3
	s_or_b32 exec_lo, exec_lo, s15
.LBB2_7304:                             ;   in Loop: Header=BB2_6264 Depth=3
	s_delay_alu instid0(SALU_CYCLE_1)
	s_or_b32 exec_lo, exec_lo, s14
	v_lshl_or_b32 v2, v61, 8, v60
	v_lshlrev_b32_e32 v9, 16, v94
	v_dual_lshlrev_b32 v10, 24, v30 :: v_dual_lshlrev_b32 v18, 24, v92
	v_lshl_or_b32 v11, v76, 8, v16
	v_lshlrev_b32_e32 v16, 16, v79
	v_lshl_or_b32 v19, v89, 8, v77
	v_dual_lshlrev_b32 v30, 16, v91 :: v_dual_lshlrev_b32 v57, 24, v93
	v_lshlrev_b32_e32 v59, 24, v8
	v_lshlrev_b32_e32 v56, 16, v56
	v_lshl_or_b32 v17, v58, 8, v17
	v_or3_b32 v9, v2, v9, v10
	v_or3_b32 v8, v11, v16, v18
	;; [unrolled: 1-line block ×3, first 2 shown]
	s_mov_b64 s[42:43], 0
	v_or3_b32 v11, v17, v56, v59
	s_mov_b32 s78, -1
.LBB2_7305:                             ;   Parent Loop BB2_47 Depth=1
                                        ;     Parent Loop BB2_5115 Depth=2
                                        ;       Parent Loop BB2_6264 Depth=3
                                        ; =>      This Inner Loop Header: Depth=4
	s_cmp_eq_u32 s42, 1
	s_cselect_b32 vcc_lo, -1, 0
	s_cmp_eq_u32 s42, 0
	s_wait_xcnt 0x0
	v_dual_cndmask_b32 v17, v43, v45 :: v_dual_cndmask_b32 v16, v42, v44
	s_cselect_b32 s14, -1, 0
	s_and_b32 s15, exec_lo, s78
	s_mov_b64 s[42:43], 1
	s_mov_b32 s78, 0
	v_add_nc_u64_e32 v[18:19], 0x200, v[16:17]
	global_store_b128 v[16:17], v[8:11], off th:TH_STORE_NT
	v_dual_cndmask_b32 v45, v45, v19 :: v_dual_cndmask_b32 v44, v44, v18
	v_dual_cndmask_b32 v43, v43, v19, s14 :: v_dual_cndmask_b32 v42, v42, v18, s14
	s_mov_b32 vcc_lo, s15
	s_cbranch_vccnz .LBB2_7305
; %bb.7306:                             ;   in Loop: Header=BB2_6264 Depth=3
	v_sub_nc_u32_e32 v75, v75, v52
	v_add_nc_u64_e32 v[40:41], v[40:41], v[82:83]
	v_add_nc_u64_e32 v[46:47], v[46:47], v[82:83]
	;; [unrolled: 1-line block ×4, first 2 shown]
	v_cmp_gt_i32_e32 vcc_lo, 16, v75
	v_sub_nc_u32_e32 v74, v74, v32
	s_or_b32 s75, vcc_lo, s75
	s_wait_xcnt 0x0
	s_and_not1_b32 exec_lo, exec_lo, s75
	s_cbranch_execnz .LBB2_6264
	s_branch .LBB2_7331
.LBB2_7307:                             ;   in Loop: Header=BB2_6264 Depth=3
	s_or_saveexec_b32 s14, s14
	v_bfrev_b32_e32 v16, 1
	s_xor_b32 exec_lo, exec_lo, s14
	s_cbranch_execz .LBB2_6766
.LBB2_7308:                             ;   in Loop: Header=BB2_6264 Depth=3
	v_cmp_ne_u16_e32 vcc_lo, 0, v57
	v_mov_b32_e32 v16, 0
	s_and_not1_b32 s15, s15, exec_lo
	s_and_b32 s42, vcc_lo, exec_lo
	s_delay_alu instid0(SALU_CYCLE_1)
	s_or_b32 s15, s15, s42
	s_or_b32 exec_lo, exec_lo, s14
	s_and_saveexec_b32 s14, s15
	s_cbranch_execnz .LBB2_6767
	s_branch .LBB2_6768
.LBB2_7309:                             ;   in Loop: Header=BB2_6264 Depth=3
	s_or_saveexec_b32 s14, s14
	v_bfrev_b32_e32 v30, 1
	s_xor_b32 exec_lo, exec_lo, s14
	s_cbranch_execz .LBB2_6802
.LBB2_7310:                             ;   in Loop: Header=BB2_6264 Depth=3
	v_cmp_ne_u16_e32 vcc_lo, 0, v56
	v_mov_b32_e32 v30, 0
	s_and_not1_b32 s15, s15, exec_lo
	s_and_b32 s42, vcc_lo, exec_lo
	s_delay_alu instid0(SALU_CYCLE_1)
	s_or_b32 s15, s15, s42
	s_or_b32 exec_lo, exec_lo, s14
	s_and_saveexec_b32 s14, s15
	s_cbranch_execnz .LBB2_6803
	s_branch .LBB2_6804
.LBB2_7311:                             ;   in Loop: Header=BB2_6264 Depth=3
	s_or_saveexec_b32 s14, s14
	v_bfrev_b32_e32 v57, 1
	s_xor_b32 exec_lo, exec_lo, s14
	s_cbranch_execz .LBB2_6838
.LBB2_7312:                             ;   in Loop: Header=BB2_6264 Depth=3
	v_cmp_ne_u16_e32 vcc_lo, 0, v58
	v_mov_b32_e32 v57, 0
	s_and_not1_b32 s15, s15, exec_lo
	s_and_b32 s42, vcc_lo, exec_lo
	s_delay_alu instid0(SALU_CYCLE_1)
	s_or_b32 s15, s15, s42
	s_or_b32 exec_lo, exec_lo, s14
	s_and_saveexec_b32 s14, s15
	s_cbranch_execnz .LBB2_6839
	s_branch .LBB2_6840
.LBB2_7313:                             ;   in Loop: Header=BB2_6264 Depth=3
	s_or_saveexec_b32 s14, s14
	v_bfrev_b32_e32 v59, 1
	s_xor_b32 exec_lo, exec_lo, s14
	s_cbranch_execz .LBB2_6904
.LBB2_7314:                             ;   in Loop: Header=BB2_6264 Depth=3
	v_cmp_ne_u16_e32 vcc_lo, 0, v57
	v_mov_b32_e32 v59, 0
	s_and_not1_b32 s15, s15, exec_lo
	s_and_b32 s42, vcc_lo, exec_lo
	s_delay_alu instid0(SALU_CYCLE_1)
	s_or_b32 s15, s15, s42
	s_or_b32 exec_lo, exec_lo, s14
	v_mov_b32_e32 v57, v3
	s_and_saveexec_b32 s14, s15
	s_cbranch_execnz .LBB2_6905
	s_branch .LBB2_6906
.LBB2_7315:                             ;   in Loop: Header=BB2_6264 Depth=3
	s_or_saveexec_b32 s14, s14
	v_bfrev_b32_e32 v30, 1
	s_xor_b32 exec_lo, exec_lo, s14
	s_cbranch_execz .LBB2_6940
.LBB2_7316:                             ;   in Loop: Header=BB2_6264 Depth=3
	v_cmp_ne_u16_e32 vcc_lo, 0, v58
	v_mov_b32_e32 v30, 0
	s_and_not1_b32 s15, s15, exec_lo
	s_and_b32 s42, vcc_lo, exec_lo
	s_delay_alu instid0(SALU_CYCLE_1)
	s_or_b32 s15, s15, s42
	s_or_b32 exec_lo, exec_lo, s14
	s_and_saveexec_b32 s14, s15
	s_cbranch_execnz .LBB2_6941
	s_branch .LBB2_6942
.LBB2_7317:                             ;   in Loop: Header=BB2_6264 Depth=3
	s_or_saveexec_b32 s14, s14
	v_bfrev_b32_e32 v57, 1
	s_xor_b32 exec_lo, exec_lo, s14
	s_cbranch_execz .LBB2_6976
.LBB2_7318:                             ;   in Loop: Header=BB2_6264 Depth=3
	v_cmp_ne_u16_e32 vcc_lo, 0, v58
	v_mov_b32_e32 v57, 0
	s_and_not1_b32 s15, s15, exec_lo
	s_and_b32 s42, vcc_lo, exec_lo
	s_delay_alu instid0(SALU_CYCLE_1)
	s_or_b32 s15, s15, s42
	s_or_b32 exec_lo, exec_lo, s14
	s_and_saveexec_b32 s14, s15
	s_cbranch_execnz .LBB2_6977
	s_branch .LBB2_6978
.LBB2_7319:                             ;   in Loop: Header=BB2_6264 Depth=3
	s_or_saveexec_b32 s14, s14
	v_bfrev_b32_e32 v9, 1
	s_xor_b32 exec_lo, exec_lo, s14
	s_cbranch_execz .LBB2_7042
.LBB2_7320:                             ;   in Loop: Header=BB2_6264 Depth=3
	v_cmp_ne_u16_e32 vcc_lo, 0, v56
	v_mov_b32_e32 v9, 0
	s_and_not1_b32 s15, s15, exec_lo
	s_and_b32 s42, vcc_lo, exec_lo
	s_delay_alu instid0(SALU_CYCLE_1)
	s_or_b32 s15, s15, s42
	s_or_b32 exec_lo, exec_lo, s14
	s_and_saveexec_b32 s14, s15
	s_cbranch_execnz .LBB2_7043
	s_branch .LBB2_7044
.LBB2_7321:                             ;   in Loop: Header=BB2_6264 Depth=3
	s_or_saveexec_b32 s14, s14
	v_bfrev_b32_e32 v9, 1
	s_xor_b32 exec_lo, exec_lo, s14
	s_cbranch_execz .LBB2_7078
.LBB2_7322:                             ;   in Loop: Header=BB2_6264 Depth=3
	v_cmp_ne_u16_e32 vcc_lo, 0, v8
	v_mov_b32_e32 v9, 0
	s_and_not1_b32 s15, s15, exec_lo
	s_and_b32 s42, vcc_lo, exec_lo
	s_delay_alu instid0(SALU_CYCLE_1)
	s_or_b32 s15, s15, s42
	s_or_b32 exec_lo, exec_lo, s14
	s_and_saveexec_b32 s14, s15
	s_cbranch_execnz .LBB2_7079
	s_branch .LBB2_7080
.LBB2_7323:                             ;   in Loop: Header=BB2_6264 Depth=3
	s_or_saveexec_b32 s14, s14
	v_bfrev_b32_e32 v56, 1
	s_xor_b32 exec_lo, exec_lo, s14
	s_cbranch_execz .LBB2_7114
.LBB2_7324:                             ;   in Loop: Header=BB2_6264 Depth=3
	v_cmp_ne_u16_e32 vcc_lo, 0, v57
	v_mov_b32_e32 v56, 0
	s_and_not1_b32 s15, s15, exec_lo
	s_and_b32 s42, vcc_lo, exec_lo
	s_delay_alu instid0(SALU_CYCLE_1)
	s_or_b32 s15, s15, s42
	s_or_b32 exec_lo, exec_lo, s14
	s_and_saveexec_b32 s14, s15
	s_cbranch_execnz .LBB2_7115
	s_branch .LBB2_7116
.LBB2_7325:                             ;   in Loop: Header=BB2_6264 Depth=3
	s_or_saveexec_b32 s14, s14
	v_bfrev_b32_e32 v17, 1
	s_xor_b32 exec_lo, exec_lo, s14
	s_cbranch_execz .LBB2_7180
.LBB2_7326:                             ;   in Loop: Header=BB2_6264 Depth=3
	v_cmp_ne_u16_e32 vcc_lo, 0, v9
	v_mov_b32_e32 v17, 0
	s_and_not1_b32 s15, s15, exec_lo
	s_and_b32 s42, vcc_lo, exec_lo
	s_delay_alu instid0(SALU_CYCLE_1)
	s_or_b32 s15, s15, s42
	s_or_b32 exec_lo, exec_lo, s14
	v_mov_b32_e32 v9, v3
	s_and_saveexec_b32 s14, s15
	s_cbranch_execnz .LBB2_7181
	s_branch .LBB2_7182
.LBB2_7327:                             ;   in Loop: Header=BB2_6264 Depth=3
	s_or_saveexec_b32 s14, s14
	v_bfrev_b32_e32 v57, 1
	s_xor_b32 exec_lo, exec_lo, s14
	s_cbranch_execz .LBB2_7216
.LBB2_7328:                             ;   in Loop: Header=BB2_6264 Depth=3
	v_cmp_ne_u16_e32 vcc_lo, 0, v56
	v_mov_b32_e32 v57, 0
	s_and_not1_b32 s15, s15, exec_lo
	s_and_b32 s42, vcc_lo, exec_lo
	s_delay_alu instid0(SALU_CYCLE_1)
	s_or_b32 s15, s15, s42
	s_or_b32 exec_lo, exec_lo, s14
	s_and_saveexec_b32 s14, s15
	s_cbranch_execnz .LBB2_7217
	s_branch .LBB2_7218
.LBB2_7329:                             ;   in Loop: Header=BB2_6264 Depth=3
	s_or_saveexec_b32 s14, s14
	v_bfrev_b32_e32 v56, 1
	s_xor_b32 exec_lo, exec_lo, s14
	s_cbranch_execz .LBB2_7252
.LBB2_7330:                             ;   in Loop: Header=BB2_6264 Depth=3
	v_cmp_ne_u16_e32 vcc_lo, 0, v57
	v_mov_b32_e32 v56, 0
	s_and_not1_b32 s15, s15, exec_lo
	s_and_b32 s42, vcc_lo, exec_lo
	s_delay_alu instid0(SALU_CYCLE_1)
	s_or_b32 s15, s15, s42
	s_or_b32 exec_lo, exec_lo, s14
	s_and_saveexec_b32 s14, s15
	s_cbranch_execnz .LBB2_7253
	s_branch .LBB2_7254
.LBB2_7331:                             ;   in Loop: Header=BB2_5115 Depth=2
	s_or_b32 exec_lo, exec_lo, s75
.LBB2_7332:                             ;   in Loop: Header=BB2_5115 Depth=2
	s_delay_alu instid0(SALU_CYCLE_1) | instskip(NEXT) | instid1(VALU_DEP_2)
	s_or_b32 exec_lo, exec_lo, s74
	v_cmp_lt_i32_e32 vcc_lo, 0, v74
	v_dual_cndmask_b32 v9, 0, v32, vcc_lo :: v_dual_bitop2_b32 v2, 15, v103 bitop3:0x40
	s_delay_alu instid0(VALU_DEP_1) | instskip(NEXT) | instid1(VALU_DEP_1)
	v_dual_sub_nc_u32 v8, v72, v2 :: v_dual_cndmask_b32 v124, v72, v2, s13
	v_dual_cndmask_b32 v2, 0, v8, s13 :: v_dual_sub_nc_u32 v8, v9, v74
	s_delay_alu instid0(VALU_DEP_2) | instskip(NEXT) | instid1(VALU_DEP_2)
	v_cmp_ne_u32_e32 vcc_lo, 0, v124
	v_add3_u32 v30, v63, v73, v2
	s_delay_alu instid0(VALU_DEP_3)
	v_lshl_add_u32 v125, v8, 5, v62
	s_and_b32 s14, vcc_lo, exec_lo
.LBB2_7333:                             ;   in Loop: Header=BB2_5115 Depth=2
	s_or_b32 exec_lo, exec_lo, s73
	s_and_saveexec_b32 s73, s14
	s_cbranch_execz .LBB2_8062
.LBB2_7334:                             ;   in Loop: Header=BB2_5115 Depth=2
	v_dual_ashrrev_i32 v2, 31, v125 :: v_dual_ashrrev_i32 v8, 31, v124
	s_mov_b32 s42, exec_lo
	s_delay_alu instid0(VALU_DEP_1) | instskip(NEXT) | instid1(VALU_DEP_1)
	v_dual_lshrrev_b32 v2, 27, v2 :: v_dual_lshrrev_b32 v8, 24, v8
	v_dual_add_nc_u32 v2, v125, v2 :: v_dual_add_nc_u32 v8, v124, v8
	s_delay_alu instid0(VALU_DEP_1) | instskip(NEXT) | instid1(VALU_DEP_1)
	v_dual_ashrrev_i32 v103, 5, v2 :: v_dual_ashrrev_i32 v16, 8, v8
	v_sub_nc_u32_e32 v126, v16, v103
	s_delay_alu instid0(VALU_DEP_1)
	v_cmpx_lt_i32_e32 0, v126
	s_cbranch_execz .LBB2_7970
; %bb.7335:                             ;   in Loop: Header=BB2_5115 Depth=2
	v_and_b32_e32 v2, 0xffffffe0, v2
	s_trap 2
	ds_load_b64 v[10:11], v0
	v_lshlrev_b32_e32 v8, 8, v103
	s_mov_b32 s43, 0
	v_sub_nc_u32_e32 v2, v125, v2
	s_delay_alu instid0(VALU_DEP_1) | instskip(NEXT) | instid1(VALU_DEP_1)
	v_add3_u32 v18, v30, v2, v8
	v_ashrrev_i32_e32 v19, 31, v18
	s_delay_alu instid0(VALU_DEP_1)
	v_add_nc_u64_e32 v[8:9], v[18:19], v[114:115]
	v_add_nc_u64_e32 v[40:41], v[18:19], v[116:117]
	s_wait_dscnt 0x0
	v_add_nc_u64_e32 v[10:11], v[10:11], v[18:19]
	v_add_nc_u64_e32 v[118:119], v[18:19], v[118:119]
	s_branch .LBB2_7338
.LBB2_7336:                             ;   in Loop: Header=BB2_7338 Depth=3
	s_or_b32 exec_lo, exec_lo, s14
.LBB2_7337:                             ;   in Loop: Header=BB2_7338 Depth=3
	s_delay_alu instid0(SALU_CYCLE_1)
	s_or_b32 exec_lo, exec_lo, s13
	v_sub_nc_u32_e32 v126, v126, v32
	s_clause 0x7
	flat_store_b8 v[40:41], v17 th:TH_STORE_NT
	flat_store_b8 v[40:41], v76 offset:32 th:TH_STORE_NT
	flat_store_b8 v[40:41], v74 offset:64 th:TH_STORE_NT
	;; [unrolled: 1-line block ×7, first 2 shown]
	s_clause 0x7
	flat_store_b8 v[118:119], v17 th:TH_STORE_NT
	flat_store_b8 v[118:119], v76 offset:32 th:TH_STORE_NT
	flat_store_b8 v[118:119], v74 offset:64 th:TH_STORE_NT
	;; [unrolled: 1-line block ×7, first 2 shown]
	v_add_nc_u64_e32 v[8:9], v[8:9], v[54:55]
	v_add_nc_u64_e32 v[10:11], v[10:11], v[54:55]
	s_wait_xcnt 0x8
	v_add_nc_u64_e32 v[40:41], v[40:41], v[54:55]
	v_cmp_gt_i32_e32 vcc_lo, 1, v126
	s_wait_xcnt 0x0
	v_add_nc_u64_e32 v[118:119], v[118:119], v[54:55]
	s_or_b32 s43, vcc_lo, s43
	s_delay_alu instid0(SALU_CYCLE_1)
	s_and_not1_b32 exec_lo, exec_lo, s43
	s_cbranch_execz .LBB2_7969
.LBB2_7338:                             ;   Parent Loop BB2_47 Depth=1
                                        ;     Parent Loop BB2_5115 Depth=2
                                        ; =>    This Inner Loop Header: Depth=3
	s_trap 2
	ds_load_b64 v[18:19], v0
	s_mov_b32 s74, 0
	s_wait_dscnt 0x0
	v_and_b32_e32 v2, 0xff, v18
	v_readfirstlane_b32 s14, v18
	v_readfirstlane_b32 s15, v19
	s_delay_alu instid0(VALU_DEP_3)
	v_cmp_eq_u32_e32 vcc_lo, 0, v2
	s_cbranch_vccnz .LBB2_7346
; %bb.7339:                             ;   in Loop: Header=BB2_7338 Depth=3
	s_bfe_i32 s13, s14, 0x80000
	s_delay_alu instid0(SALU_CYCLE_1) | instskip(NEXT) | instid1(SALU_CYCLE_1)
	s_and_b32 s74, 0xffff, s13
	s_cmp_eq_u32 s74, 0xff80
	s_brev_b32 s74, 1
	s_cbranch_scc1 .LBB2_7346
; %bb.7340:                             ;   in Loop: Header=BB2_7338 Depth=3
	s_and_b32 s74, s14, 0x7c
	s_and_b32 s75, s14, 3
	s_cmp_lg_u32 s74, 0x7c
	s_mov_b32 s76, -1
                                        ; implicit-def: $sgpr74
	s_cbranch_scc0 .LBB2_7344
; %bb.7341:                             ;   in Loop: Header=BB2_7338 Depth=3
	s_bfe_u32 s74, s14, 0x50002
	s_mov_b32 s76, s75
	s_cmp_lg_u32 s74, 0
	s_cbranch_scc1 .LBB2_7343
; %bb.7342:                             ;   in Loop: Header=BB2_7338 Depth=3
	s_clz_i32_u32 s74, s75
	s_delay_alu instid0(SALU_CYCLE_1) | instskip(NEXT) | instid1(SALU_CYCLE_1)
	s_min_u32 s74, s74, 32
	s_sub_co_i32 s76, s74, 29
	s_sub_co_i32 s74, 30, s74
	s_lshl_b64 s[14:15], s[14:15], s76
	s_delay_alu instid0(SALU_CYCLE_1)
	s_and_b32 s76, s14, 3
.LBB2_7343:                             ;   in Loop: Header=BB2_7338 Depth=3
	s_sext_i32_i16 s14, s13
	s_lshl_b32 s15, s74, 23
	s_and_b32 s14, s14, 0x80000000
	s_lshl_b32 s74, s76, 21
	s_add_co_i32 s15, s15, s14
	s_mov_b32 s76, 0
	s_or_b32 s14, s15, s74
	s_delay_alu instid0(SALU_CYCLE_1)
	s_add_co_i32 s74, s14, 0x38000000
.LBB2_7344:                             ;   in Loop: Header=BB2_7338 Depth=3
	s_and_b32 vcc_lo, exec_lo, s76
	s_cbranch_vccz .LBB2_7346
; %bb.7345:                             ;   in Loop: Header=BB2_7338 Depth=3
	s_sext_i32_i16 s13, s13
	s_delay_alu instid0(SALU_CYCLE_1)
	s_cmp_gt_i32 s13, -1
	s_cselect_b32 s13, s47, 0xff800000
	s_cmp_eq_u32 s75, 0
	s_cselect_b32 s74, s13, 0x7f800001
.LBB2_7346:                             ;   in Loop: Header=BB2_7338 Depth=3
	flat_load_i8 v42, v[8:9] th:TH_LOAD_NT
	v_mov_b32_e32 v17, 0
	s_mov_b32 s13, exec_lo
	s_wait_loadcnt_dscnt 0x0
	v_cmpx_ne_u16_e32 0, v42
	s_cbranch_execz .LBB2_7356
; %bb.7347:                             ;   in Loop: Header=BB2_7338 Depth=3
	v_bfrev_b32_e32 v17, 1
	s_mov_b32 s14, exec_lo
	v_cmpx_ne_u16_e32 0xff80, v42
	s_cbranch_execz .LBB2_7355
; %bb.7348:                             ;   in Loop: Header=BB2_7338 Depth=3
	v_and_b32_e32 v17, 0x7c, v42
	v_and_b32_e32 v2, 3, v42
	s_delay_alu instid0(VALU_DEP_2) | instskip(SKIP_1) | instid1(SALU_CYCLE_1)
	v_cmp_ne_u32_e32 vcc_lo, 0x7c, v17
                                        ; implicit-def: $vgpr17
	s_and_saveexec_b32 s15, vcc_lo
	s_xor_b32 s15, exec_lo, s15
	s_cbranch_execz .LBB2_7352
; %bb.7349:                             ;   in Loop: Header=BB2_7338 Depth=3
	v_and_b32_e32 v17, 0xff, v42
	s_mov_b32 s75, exec_lo
	s_delay_alu instid0(VALU_DEP_1) | instskip(NEXT) | instid1(VALU_DEP_1)
	v_bfe_u32 v17, v17, 2, 5
	v_cmpx_eq_u32_e32 0, v17
	s_cbranch_execz .LBB2_7351
; %bb.7350:                             ;   in Loop: Header=BB2_7338 Depth=3
	v_clz_i32_u32_e32 v2, v2
	s_delay_alu instid0(VALU_DEP_1) | instskip(SKIP_1) | instid1(VALU_DEP_2)
	v_min_u32_e32 v2, 32, v2
	v_mov_b32_e32 v43, v3
	v_subrev_nc_u32_e32 v17, 29, v2
	s_delay_alu instid0(VALU_DEP_1) | instskip(SKIP_1) | instid1(VALU_DEP_2)
	v_lshlrev_b64_e32 v[18:19], v17, v[42:43]
	v_sub_nc_u32_e32 v17, 30, v2
	v_and_b32_e32 v2, 3, v18
.LBB2_7351:                             ;   in Loop: Header=BB2_7338 Depth=3
	s_or_b32 exec_lo, exec_lo, s75
	v_bfe_i32 v18, v42, 0, 16
                                        ; implicit-def: $vgpr42
	s_delay_alu instid0(VALU_DEP_1) | instskip(NEXT) | instid1(VALU_DEP_1)
	v_and_b32_e32 v18, 0x80000000, v18
	v_lshl_add_u32 v17, v17, 23, v18
	s_delay_alu instid0(VALU_DEP_1) | instskip(NEXT) | instid1(VALU_DEP_1)
	v_lshl_or_b32 v2, v2, 21, v17
	v_add_nc_u32_e32 v17, 0x38000000, v2
                                        ; implicit-def: $vgpr2
.LBB2_7352:                             ;   in Loop: Header=BB2_7338 Depth=3
	s_and_not1_saveexec_b32 s15, s15
; %bb.7353:                             ;   in Loop: Header=BB2_7338 Depth=3
	v_cmp_lt_i16_e32 vcc_lo, -1, v42
	v_cndmask_b32_e32 v17, 0xff800000, v111, vcc_lo
	v_cmp_eq_u32_e32 vcc_lo, 0, v2
	s_delay_alu instid0(VALU_DEP_2)
	v_cndmask_b32_e32 v17, 0x7f800001, v17, vcc_lo
; %bb.7354:                             ;   in Loop: Header=BB2_7338 Depth=3
	s_or_b32 exec_lo, exec_lo, s15
.LBB2_7355:                             ;   in Loop: Header=BB2_7338 Depth=3
	s_delay_alu instid0(SALU_CYCLE_1)
	s_or_b32 exec_lo, exec_lo, s14
.LBB2_7356:                             ;   in Loop: Header=BB2_7338 Depth=3
	s_delay_alu instid0(SALU_CYCLE_1) | instskip(NEXT) | instid1(VALU_DEP_1)
	s_or_b32 exec_lo, exec_lo, s13
	v_dual_mul_f32 v42, s74, v17 :: v_dual_mov_b32 v19, v3
                                        ; implicit-def: $vgpr76
	s_mov_b32 s13, exec_lo
	s_delay_alu instid0(VALU_DEP_1) | instskip(SKIP_1) | instid1(VALU_DEP_2)
	v_and_b32_e32 v18, 0x7f800000, v42
	v_and_b32_e32 v2, 0x7fffff, v42
	v_cmpx_ne_u64_e32 0x7f800000, v[18:19]
	s_xor_b32 s14, exec_lo, s13
	s_cbranch_execz .LBB2_7374
; %bb.7357:                             ;   in Loop: Header=BB2_7338 Depth=3
	v_dual_mov_b32 v19, v3 :: v_dual_lshrrev_b32 v17, 24, v42
	v_and_b32_e32 v18, 0x7fffffff, v42
                                        ; implicit-def: $vgpr76
	s_mov_b32 s13, exec_lo
	s_delay_alu instid0(VALU_DEP_2) | instskip(NEXT) | instid1(VALU_DEP_2)
	v_and_b32_e32 v17, 0x80, v17
	v_cmpx_gt_u64_e32 0x47600001, v[18:19]
	s_xor_b32 s15, exec_lo, s13
	s_cbranch_execz .LBB2_7371
; %bb.7358:                             ;   in Loop: Header=BB2_7338 Depth=3
	v_mov_b32_e32 v76, 0
	s_mov_b32 s75, exec_lo
	v_cmpx_ne_u32_e32 0, v42
	s_cbranch_execz .LBB2_7370
; %bb.7359:                             ;   in Loop: Header=BB2_7338 Depth=3
	v_bfe_u32 v46, v42, 23, 8
	v_or_b32_e32 v42, 0x800000, v2
	s_delay_alu instid0(VALU_DEP_2) | instskip(SKIP_1) | instid1(VALU_DEP_2)
	v_dual_mov_b32 v43, v3 :: v_dual_sub_nc_u32 v18, 0x71, v46
	v_cmp_gt_u32_e32 vcc_lo, 0x72, v46
	v_cndmask_b32_e32 v18, 0, v18, vcc_lo
	v_cmp_eq_u32_e32 vcc_lo, 0, v46
	s_delay_alu instid0(VALU_DEP_2) | instskip(NEXT) | instid1(VALU_DEP_1)
	v_cndmask_b32_e64 v47, v18, 0x70, vcc_lo
	v_dual_cndmask_b32 v42, v42, v2, vcc_lo :: v_dual_add_nc_u32 v18, 21, v47
	v_add_nc_u32_e32 v44, 20, v47
	s_delay_alu instid0(VALU_DEP_2) | instskip(NEXT) | instid1(VALU_DEP_2)
	v_lshlrev_b64_e64 v[18:19], v18, -1
	v_lshlrev_b64_e64 v[44:45], v44, 1
	s_delay_alu instid0(VALU_DEP_2) | instskip(SKIP_1) | instid1(VALU_DEP_4)
	v_bfi_b32 v18, v18, 0, v42
	v_lshrrev_b64 v[42:43], v47, v[42:43]
	v_bfi_b32 v19, v19, 0, 0
	s_delay_alu instid0(VALU_DEP_1) | instskip(NEXT) | instid1(VALU_DEP_3)
	v_cmp_eq_u64_e64 s13, v[18:19], v[44:45]
	v_mov_b64_e32 v[44:45], v[42:43]
	s_and_saveexec_b32 s76, s13
; %bb.7360:                             ;   in Loop: Header=BB2_7338 Depth=3
	v_bfe_u32 v18, v42, 21, 1
	v_mov_b32_e32 v19, v3
	s_delay_alu instid0(VALU_DEP_1) | instskip(NEXT) | instid1(VALU_DEP_1)
	v_add_nc_u64_e32 v[18:19], v[42:43], v[18:19]
	v_add_nc_u64_e32 v[44:45], -1, v[18:19]
; %bb.7361:                             ;   in Loop: Header=BB2_7338 Depth=3
	s_or_b32 exec_lo, exec_lo, s76
	v_add_nc_u32_e32 v2, 0xffffff81, v46
	s_delay_alu instid0(VALU_DEP_2) | instskip(SKIP_2) | instid1(VALU_DEP_3)
	v_and_b32_e32 v19, 0x1fffff, v44
	v_lshrrev_b32_e32 v18, 23, v42
	s_mov_b32 s13, exec_lo
                                        ; implicit-def: $vgpr44
	v_cndmask_b32_e64 v2, v2, 0xffffff82, vcc_lo
	s_delay_alu instid0(VALU_DEP_1) | instskip(SKIP_1) | instid1(VALU_DEP_2)
	v_add3_u32 v45, v47, v2, v18
	v_add_nc_u32_e32 v2, v19, v42
                                        ; implicit-def: $vgpr42_vgpr43
	v_add_nc_u32_e32 v46, 14, v45
	s_delay_alu instid0(VALU_DEP_1)
	v_cmpx_ne_u32_e32 0, v46
	s_xor_b32 s13, exec_lo, s13
; %bb.7362:                             ;   in Loop: Header=BB2_7338 Depth=3
	s_delay_alu instid0(VALU_DEP_3) | instskip(SKIP_1) | instid1(VALU_DEP_1)
	v_cmp_lt_u64_e32 vcc_lo, 0xffffff, v[2:3]
	v_add_nc_u32_e32 v18, 15, v45
	v_cndmask_b32_e32 v44, v46, v18, vcc_lo
	v_cndmask_b32_e64 v18, 0, 1, vcc_lo
	s_delay_alu instid0(VALU_DEP_1)
	v_lshrrev_b64 v[42:43], v18, v[2:3]
; %bb.7363:                             ;   in Loop: Header=BB2_7338 Depth=3
	s_and_not1_saveexec_b32 s13, s13
; %bb.7364:                             ;   in Loop: Header=BB2_7338 Depth=3
	v_mov_b64_e32 v[42:43], v[2:3]
	v_bfe_u32 v44, v2, 23, 1
; %bb.7365:                             ;   in Loop: Header=BB2_7338 Depth=3
	s_or_b32 exec_lo, exec_lo, s13
	s_delay_alu instid0(VALU_DEP_2) | instskip(NEXT) | instid1(VALU_DEP_2)
	v_lshrrev_b64 v[18:19], 21, v[42:43]
	v_cmp_gt_i32_e32 vcc_lo, 32, v44
	v_cmp_ne_u32_e64 s13, 0, v44
                                        ; implicit-def: $vgpr76
	s_delay_alu instid0(VALU_DEP_3) | instskip(NEXT) | instid1(VALU_DEP_1)
	v_dual_cndmask_b32 v43, 0, v19 :: v_dual_cndmask_b32 v42, 3, v18
	v_cmp_ne_u64_e32 vcc_lo, 0, v[42:43]
	s_or_b32 s13, s13, vcc_lo
	s_delay_alu instid0(SALU_CYCLE_1) | instskip(NEXT) | instid1(SALU_CYCLE_1)
	s_and_saveexec_b32 s76, s13
	s_xor_b32 s13, exec_lo, s76
; %bb.7366:                             ;   in Loop: Header=BB2_7338 Depth=3
	v_min_i32_e32 v2, 31, v44
	s_delay_alu instid0(VALU_DEP_1) | instskip(NEXT) | instid1(VALU_DEP_1)
	v_lshl_or_b32 v2, v2, 2, v17
                                        ; implicit-def: $vgpr17
	v_and_or_b32 v76, v42, 3, v2
; %bb.7367:                             ;   in Loop: Header=BB2_7338 Depth=3
	s_and_not1_saveexec_b32 s13, s13
; %bb.7368:                             ;   in Loop: Header=BB2_7338 Depth=3
	v_mov_b32_e32 v76, v17
; %bb.7369:                             ;   in Loop: Header=BB2_7338 Depth=3
	s_or_b32 exec_lo, exec_lo, s13
.LBB2_7370:                             ;   in Loop: Header=BB2_7338 Depth=3
	s_delay_alu instid0(SALU_CYCLE_1)
	s_or_b32 exec_lo, exec_lo, s75
                                        ; implicit-def: $vgpr17
.LBB2_7371:                             ;   in Loop: Header=BB2_7338 Depth=3
	s_and_not1_saveexec_b32 s13, s15
; %bb.7372:                             ;   in Loop: Header=BB2_7338 Depth=3
	v_or_b32_e32 v76, 0x7b, v17
; %bb.7373:                             ;   in Loop: Header=BB2_7338 Depth=3
	s_or_b32 exec_lo, exec_lo, s13
                                        ; implicit-def: $vgpr42
.LBB2_7374:                             ;   in Loop: Header=BB2_7338 Depth=3
	s_and_not1_saveexec_b32 s13, s14
	s_cbranch_execz .LBB2_7380
; %bb.7375:                             ;   in Loop: Header=BB2_7338 Depth=3
	s_mov_b32 s14, exec_lo
                                        ; implicit-def: $vgpr76
	v_cmpx_ne_u64_e32 0, v[2:3]
	s_xor_b32 s14, exec_lo, s14
; %bb.7376:                             ;   in Loop: Header=BB2_7338 Depth=3
	v_lshrrev_b32_e32 v2, 24, v42
                                        ; implicit-def: $vgpr42
	s_delay_alu instid0(VALU_DEP_1)
	v_or_b32_e32 v76, 0x7f, v2
; %bb.7377:                             ;   in Loop: Header=BB2_7338 Depth=3
	s_and_not1_saveexec_b32 s14, s14
; %bb.7378:                             ;   in Loop: Header=BB2_7338 Depth=3
	v_cmp_lt_i32_e32 vcc_lo, -1, v42
	v_cndmask_b32_e64 v76, -4, 0x7c, vcc_lo
; %bb.7379:                             ;   in Loop: Header=BB2_7338 Depth=3
	s_or_b32 exec_lo, exec_lo, s14
.LBB2_7380:                             ;   in Loop: Header=BB2_7338 Depth=3
	s_delay_alu instid0(SALU_CYCLE_1)
	s_or_b32 exec_lo, exec_lo, s13
	flat_load_i8 v42, v[8:9] offset:32 th:TH_LOAD_NT
	v_mov_b32_e32 v17, 0
	s_mov_b32 s13, exec_lo
	s_wait_loadcnt_dscnt 0x0
	v_cmpx_ne_u16_e32 0, v42
	s_cbranch_execz .LBB2_7390
; %bb.7381:                             ;   in Loop: Header=BB2_7338 Depth=3
	v_bfrev_b32_e32 v17, 1
	s_mov_b32 s14, exec_lo
	v_cmpx_ne_u16_e32 0xff80, v42
	s_cbranch_execz .LBB2_7389
; %bb.7382:                             ;   in Loop: Header=BB2_7338 Depth=3
	v_and_b32_e32 v17, 0x7c, v42
	v_and_b32_e32 v2, 3, v42
	s_delay_alu instid0(VALU_DEP_2) | instskip(SKIP_1) | instid1(SALU_CYCLE_1)
	v_cmp_ne_u32_e32 vcc_lo, 0x7c, v17
                                        ; implicit-def: $vgpr17
	s_and_saveexec_b32 s15, vcc_lo
	s_xor_b32 s15, exec_lo, s15
	s_cbranch_execz .LBB2_7386
; %bb.7383:                             ;   in Loop: Header=BB2_7338 Depth=3
	v_and_b32_e32 v17, 0xff, v42
	s_mov_b32 s75, exec_lo
	s_delay_alu instid0(VALU_DEP_1) | instskip(NEXT) | instid1(VALU_DEP_1)
	v_bfe_u32 v17, v17, 2, 5
	v_cmpx_eq_u32_e32 0, v17
	s_cbranch_execz .LBB2_7385
; %bb.7384:                             ;   in Loop: Header=BB2_7338 Depth=3
	v_clz_i32_u32_e32 v2, v2
	s_delay_alu instid0(VALU_DEP_1) | instskip(SKIP_1) | instid1(VALU_DEP_2)
	v_min_u32_e32 v2, 32, v2
	v_mov_b32_e32 v43, v3
	v_subrev_nc_u32_e32 v17, 29, v2
	s_delay_alu instid0(VALU_DEP_1) | instskip(SKIP_1) | instid1(VALU_DEP_2)
	v_lshlrev_b64_e32 v[18:19], v17, v[42:43]
	v_sub_nc_u32_e32 v17, 30, v2
	v_and_b32_e32 v2, 3, v18
.LBB2_7385:                             ;   in Loop: Header=BB2_7338 Depth=3
	s_or_b32 exec_lo, exec_lo, s75
	v_bfe_i32 v18, v42, 0, 16
                                        ; implicit-def: $vgpr42
	s_delay_alu instid0(VALU_DEP_1) | instskip(NEXT) | instid1(VALU_DEP_1)
	v_and_b32_e32 v18, 0x80000000, v18
	v_lshl_add_u32 v17, v17, 23, v18
	s_delay_alu instid0(VALU_DEP_1) | instskip(NEXT) | instid1(VALU_DEP_1)
	v_lshl_or_b32 v2, v2, 21, v17
	v_add_nc_u32_e32 v17, 0x38000000, v2
                                        ; implicit-def: $vgpr2
.LBB2_7386:                             ;   in Loop: Header=BB2_7338 Depth=3
	s_and_not1_saveexec_b32 s15, s15
; %bb.7387:                             ;   in Loop: Header=BB2_7338 Depth=3
	v_cmp_lt_i16_e32 vcc_lo, -1, v42
	v_cndmask_b32_e32 v17, 0xff800000, v111, vcc_lo
	v_cmp_eq_u32_e32 vcc_lo, 0, v2
	s_delay_alu instid0(VALU_DEP_2)
	v_cndmask_b32_e32 v17, 0x7f800001, v17, vcc_lo
; %bb.7388:                             ;   in Loop: Header=BB2_7338 Depth=3
	s_or_b32 exec_lo, exec_lo, s15
.LBB2_7389:                             ;   in Loop: Header=BB2_7338 Depth=3
	s_delay_alu instid0(SALU_CYCLE_1)
	s_or_b32 exec_lo, exec_lo, s14
.LBB2_7390:                             ;   in Loop: Header=BB2_7338 Depth=3
	s_delay_alu instid0(SALU_CYCLE_1) | instskip(NEXT) | instid1(VALU_DEP_1)
	s_or_b32 exec_lo, exec_lo, s13
	v_dual_mul_f32 v42, s74, v17 :: v_dual_mov_b32 v19, v3
                                        ; implicit-def: $vgpr74
	s_mov_b32 s13, exec_lo
	s_delay_alu instid0(VALU_DEP_1) | instskip(SKIP_1) | instid1(VALU_DEP_2)
	v_and_b32_e32 v18, 0x7f800000, v42
	v_and_b32_e32 v2, 0x7fffff, v42
	v_cmpx_ne_u64_e32 0x7f800000, v[18:19]
	s_xor_b32 s14, exec_lo, s13
	s_cbranch_execz .LBB2_7408
; %bb.7391:                             ;   in Loop: Header=BB2_7338 Depth=3
	v_dual_mov_b32 v19, v3 :: v_dual_lshrrev_b32 v17, 24, v42
	v_and_b32_e32 v18, 0x7fffffff, v42
                                        ; implicit-def: $vgpr74
	s_mov_b32 s13, exec_lo
	s_delay_alu instid0(VALU_DEP_2) | instskip(NEXT) | instid1(VALU_DEP_2)
	v_and_b32_e32 v17, 0x80, v17
	v_cmpx_gt_u64_e32 0x47600001, v[18:19]
	s_xor_b32 s15, exec_lo, s13
	s_cbranch_execz .LBB2_7405
; %bb.7392:                             ;   in Loop: Header=BB2_7338 Depth=3
	v_mov_b32_e32 v74, 0
	s_mov_b32 s75, exec_lo
	v_cmpx_ne_u32_e32 0, v42
	s_cbranch_execz .LBB2_7404
; %bb.7393:                             ;   in Loop: Header=BB2_7338 Depth=3
	v_bfe_u32 v46, v42, 23, 8
	v_or_b32_e32 v42, 0x800000, v2
	s_delay_alu instid0(VALU_DEP_2) | instskip(SKIP_1) | instid1(VALU_DEP_2)
	v_dual_mov_b32 v43, v3 :: v_dual_sub_nc_u32 v18, 0x71, v46
	v_cmp_gt_u32_e32 vcc_lo, 0x72, v46
	v_cndmask_b32_e32 v18, 0, v18, vcc_lo
	v_cmp_eq_u32_e32 vcc_lo, 0, v46
	s_delay_alu instid0(VALU_DEP_2) | instskip(NEXT) | instid1(VALU_DEP_1)
	v_cndmask_b32_e64 v47, v18, 0x70, vcc_lo
	v_dual_cndmask_b32 v42, v42, v2, vcc_lo :: v_dual_add_nc_u32 v18, 21, v47
	v_add_nc_u32_e32 v44, 20, v47
	s_delay_alu instid0(VALU_DEP_2) | instskip(NEXT) | instid1(VALU_DEP_2)
	v_lshlrev_b64_e64 v[18:19], v18, -1
	v_lshlrev_b64_e64 v[44:45], v44, 1
	s_delay_alu instid0(VALU_DEP_2) | instskip(SKIP_1) | instid1(VALU_DEP_4)
	v_bfi_b32 v18, v18, 0, v42
	v_lshrrev_b64 v[42:43], v47, v[42:43]
	v_bfi_b32 v19, v19, 0, 0
	s_delay_alu instid0(VALU_DEP_1) | instskip(NEXT) | instid1(VALU_DEP_3)
	v_cmp_eq_u64_e64 s13, v[18:19], v[44:45]
	v_mov_b64_e32 v[44:45], v[42:43]
	s_and_saveexec_b32 s76, s13
; %bb.7394:                             ;   in Loop: Header=BB2_7338 Depth=3
	v_bfe_u32 v18, v42, 21, 1
	v_mov_b32_e32 v19, v3
	s_delay_alu instid0(VALU_DEP_1) | instskip(NEXT) | instid1(VALU_DEP_1)
	v_add_nc_u64_e32 v[18:19], v[42:43], v[18:19]
	v_add_nc_u64_e32 v[44:45], -1, v[18:19]
; %bb.7395:                             ;   in Loop: Header=BB2_7338 Depth=3
	s_or_b32 exec_lo, exec_lo, s76
	v_add_nc_u32_e32 v2, 0xffffff81, v46
	s_delay_alu instid0(VALU_DEP_2) | instskip(SKIP_2) | instid1(VALU_DEP_3)
	v_and_b32_e32 v19, 0x1fffff, v44
	v_lshrrev_b32_e32 v18, 23, v42
	s_mov_b32 s13, exec_lo
                                        ; implicit-def: $vgpr44
	v_cndmask_b32_e64 v2, v2, 0xffffff82, vcc_lo
	s_delay_alu instid0(VALU_DEP_1) | instskip(SKIP_1) | instid1(VALU_DEP_2)
	v_add3_u32 v45, v47, v2, v18
	v_add_nc_u32_e32 v2, v19, v42
                                        ; implicit-def: $vgpr42_vgpr43
	v_add_nc_u32_e32 v46, 14, v45
	s_delay_alu instid0(VALU_DEP_1)
	v_cmpx_ne_u32_e32 0, v46
	s_xor_b32 s13, exec_lo, s13
; %bb.7396:                             ;   in Loop: Header=BB2_7338 Depth=3
	s_delay_alu instid0(VALU_DEP_3) | instskip(SKIP_1) | instid1(VALU_DEP_1)
	v_cmp_lt_u64_e32 vcc_lo, 0xffffff, v[2:3]
	v_add_nc_u32_e32 v18, 15, v45
	v_cndmask_b32_e32 v44, v46, v18, vcc_lo
	v_cndmask_b32_e64 v18, 0, 1, vcc_lo
	s_delay_alu instid0(VALU_DEP_1)
	v_lshrrev_b64 v[42:43], v18, v[2:3]
; %bb.7397:                             ;   in Loop: Header=BB2_7338 Depth=3
	s_and_not1_saveexec_b32 s13, s13
; %bb.7398:                             ;   in Loop: Header=BB2_7338 Depth=3
	v_mov_b64_e32 v[42:43], v[2:3]
	v_bfe_u32 v44, v2, 23, 1
; %bb.7399:                             ;   in Loop: Header=BB2_7338 Depth=3
	s_or_b32 exec_lo, exec_lo, s13
	s_delay_alu instid0(VALU_DEP_2) | instskip(NEXT) | instid1(VALU_DEP_2)
	v_lshrrev_b64 v[18:19], 21, v[42:43]
	v_cmp_gt_i32_e32 vcc_lo, 32, v44
	v_cmp_ne_u32_e64 s13, 0, v44
                                        ; implicit-def: $vgpr74
	s_delay_alu instid0(VALU_DEP_3) | instskip(NEXT) | instid1(VALU_DEP_1)
	v_dual_cndmask_b32 v43, 0, v19 :: v_dual_cndmask_b32 v42, 3, v18
	v_cmp_ne_u64_e32 vcc_lo, 0, v[42:43]
	s_or_b32 s13, s13, vcc_lo
	s_delay_alu instid0(SALU_CYCLE_1) | instskip(NEXT) | instid1(SALU_CYCLE_1)
	s_and_saveexec_b32 s76, s13
	s_xor_b32 s13, exec_lo, s76
; %bb.7400:                             ;   in Loop: Header=BB2_7338 Depth=3
	v_min_i32_e32 v2, 31, v44
	s_delay_alu instid0(VALU_DEP_1) | instskip(NEXT) | instid1(VALU_DEP_1)
	v_lshl_or_b32 v2, v2, 2, v17
                                        ; implicit-def: $vgpr17
	v_and_or_b32 v74, v42, 3, v2
; %bb.7401:                             ;   in Loop: Header=BB2_7338 Depth=3
	s_and_not1_saveexec_b32 s13, s13
; %bb.7402:                             ;   in Loop: Header=BB2_7338 Depth=3
	v_mov_b32_e32 v74, v17
; %bb.7403:                             ;   in Loop: Header=BB2_7338 Depth=3
	s_or_b32 exec_lo, exec_lo, s13
.LBB2_7404:                             ;   in Loop: Header=BB2_7338 Depth=3
	s_delay_alu instid0(SALU_CYCLE_1)
	s_or_b32 exec_lo, exec_lo, s75
                                        ; implicit-def: $vgpr17
.LBB2_7405:                             ;   in Loop: Header=BB2_7338 Depth=3
	s_and_not1_saveexec_b32 s13, s15
; %bb.7406:                             ;   in Loop: Header=BB2_7338 Depth=3
	v_or_b32_e32 v74, 0x7b, v17
; %bb.7407:                             ;   in Loop: Header=BB2_7338 Depth=3
	s_or_b32 exec_lo, exec_lo, s13
                                        ; implicit-def: $vgpr42
.LBB2_7408:                             ;   in Loop: Header=BB2_7338 Depth=3
	s_and_not1_saveexec_b32 s13, s14
	s_cbranch_execz .LBB2_7414
; %bb.7409:                             ;   in Loop: Header=BB2_7338 Depth=3
	s_mov_b32 s14, exec_lo
                                        ; implicit-def: $vgpr74
	v_cmpx_ne_u64_e32 0, v[2:3]
	s_xor_b32 s14, exec_lo, s14
; %bb.7410:                             ;   in Loop: Header=BB2_7338 Depth=3
	v_lshrrev_b32_e32 v2, 24, v42
                                        ; implicit-def: $vgpr42
	s_delay_alu instid0(VALU_DEP_1)
	v_or_b32_e32 v74, 0x7f, v2
; %bb.7411:                             ;   in Loop: Header=BB2_7338 Depth=3
	s_and_not1_saveexec_b32 s14, s14
; %bb.7412:                             ;   in Loop: Header=BB2_7338 Depth=3
	v_cmp_lt_i32_e32 vcc_lo, -1, v42
	v_cndmask_b32_e64 v74, -4, 0x7c, vcc_lo
; %bb.7413:                             ;   in Loop: Header=BB2_7338 Depth=3
	s_or_b32 exec_lo, exec_lo, s14
.LBB2_7414:                             ;   in Loop: Header=BB2_7338 Depth=3
	s_delay_alu instid0(SALU_CYCLE_1)
	s_or_b32 exec_lo, exec_lo, s13
	flat_load_i8 v42, v[8:9] offset:64 th:TH_LOAD_NT
	v_mov_b32_e32 v17, 0
	s_mov_b32 s13, exec_lo
	s_wait_loadcnt_dscnt 0x0
	v_cmpx_ne_u16_e32 0, v42
	s_cbranch_execz .LBB2_7424
; %bb.7415:                             ;   in Loop: Header=BB2_7338 Depth=3
	v_bfrev_b32_e32 v17, 1
	s_mov_b32 s14, exec_lo
	v_cmpx_ne_u16_e32 0xff80, v42
	s_cbranch_execz .LBB2_7423
; %bb.7416:                             ;   in Loop: Header=BB2_7338 Depth=3
	v_and_b32_e32 v17, 0x7c, v42
	v_and_b32_e32 v2, 3, v42
	s_delay_alu instid0(VALU_DEP_2) | instskip(SKIP_1) | instid1(SALU_CYCLE_1)
	v_cmp_ne_u32_e32 vcc_lo, 0x7c, v17
                                        ; implicit-def: $vgpr17
	s_and_saveexec_b32 s15, vcc_lo
	s_xor_b32 s15, exec_lo, s15
	s_cbranch_execz .LBB2_7420
; %bb.7417:                             ;   in Loop: Header=BB2_7338 Depth=3
	v_and_b32_e32 v17, 0xff, v42
	s_mov_b32 s75, exec_lo
	s_delay_alu instid0(VALU_DEP_1) | instskip(NEXT) | instid1(VALU_DEP_1)
	v_bfe_u32 v17, v17, 2, 5
	v_cmpx_eq_u32_e32 0, v17
	s_cbranch_execz .LBB2_7419
; %bb.7418:                             ;   in Loop: Header=BB2_7338 Depth=3
	v_clz_i32_u32_e32 v2, v2
	s_delay_alu instid0(VALU_DEP_1) | instskip(SKIP_1) | instid1(VALU_DEP_2)
	v_min_u32_e32 v2, 32, v2
	v_mov_b32_e32 v43, v3
	v_subrev_nc_u32_e32 v17, 29, v2
	s_delay_alu instid0(VALU_DEP_1) | instskip(SKIP_1) | instid1(VALU_DEP_2)
	v_lshlrev_b64_e32 v[18:19], v17, v[42:43]
	v_sub_nc_u32_e32 v17, 30, v2
	v_and_b32_e32 v2, 3, v18
.LBB2_7419:                             ;   in Loop: Header=BB2_7338 Depth=3
	s_or_b32 exec_lo, exec_lo, s75
	v_bfe_i32 v18, v42, 0, 16
                                        ; implicit-def: $vgpr42
	s_delay_alu instid0(VALU_DEP_1) | instskip(NEXT) | instid1(VALU_DEP_1)
	v_and_b32_e32 v18, 0x80000000, v18
	v_lshl_add_u32 v17, v17, 23, v18
	s_delay_alu instid0(VALU_DEP_1) | instskip(NEXT) | instid1(VALU_DEP_1)
	v_lshl_or_b32 v2, v2, 21, v17
	v_add_nc_u32_e32 v17, 0x38000000, v2
                                        ; implicit-def: $vgpr2
.LBB2_7420:                             ;   in Loop: Header=BB2_7338 Depth=3
	s_and_not1_saveexec_b32 s15, s15
; %bb.7421:                             ;   in Loop: Header=BB2_7338 Depth=3
	v_cmp_lt_i16_e32 vcc_lo, -1, v42
	v_cndmask_b32_e32 v17, 0xff800000, v111, vcc_lo
	v_cmp_eq_u32_e32 vcc_lo, 0, v2
	s_delay_alu instid0(VALU_DEP_2)
	v_cndmask_b32_e32 v17, 0x7f800001, v17, vcc_lo
; %bb.7422:                             ;   in Loop: Header=BB2_7338 Depth=3
	s_or_b32 exec_lo, exec_lo, s15
.LBB2_7423:                             ;   in Loop: Header=BB2_7338 Depth=3
	s_delay_alu instid0(SALU_CYCLE_1)
	s_or_b32 exec_lo, exec_lo, s14
.LBB2_7424:                             ;   in Loop: Header=BB2_7338 Depth=3
	s_delay_alu instid0(SALU_CYCLE_1) | instskip(NEXT) | instid1(VALU_DEP_1)
	s_or_b32 exec_lo, exec_lo, s13
	v_dual_mul_f32 v42, s74, v17 :: v_dual_mov_b32 v19, v3
                                        ; implicit-def: $vgpr72
	s_mov_b32 s13, exec_lo
	s_delay_alu instid0(VALU_DEP_1) | instskip(SKIP_1) | instid1(VALU_DEP_2)
	v_and_b32_e32 v18, 0x7f800000, v42
	v_and_b32_e32 v2, 0x7fffff, v42
	v_cmpx_ne_u64_e32 0x7f800000, v[18:19]
	s_xor_b32 s14, exec_lo, s13
	s_cbranch_execz .LBB2_7442
; %bb.7425:                             ;   in Loop: Header=BB2_7338 Depth=3
	v_dual_mov_b32 v19, v3 :: v_dual_lshrrev_b32 v17, 24, v42
	v_and_b32_e32 v18, 0x7fffffff, v42
                                        ; implicit-def: $vgpr72
	s_mov_b32 s13, exec_lo
	s_delay_alu instid0(VALU_DEP_2) | instskip(NEXT) | instid1(VALU_DEP_2)
	v_and_b32_e32 v17, 0x80, v17
	v_cmpx_gt_u64_e32 0x47600001, v[18:19]
	s_xor_b32 s15, exec_lo, s13
	s_cbranch_execz .LBB2_7439
; %bb.7426:                             ;   in Loop: Header=BB2_7338 Depth=3
	v_mov_b32_e32 v72, 0
	s_mov_b32 s75, exec_lo
	v_cmpx_ne_u32_e32 0, v42
	s_cbranch_execz .LBB2_7438
; %bb.7427:                             ;   in Loop: Header=BB2_7338 Depth=3
	v_bfe_u32 v46, v42, 23, 8
	v_or_b32_e32 v42, 0x800000, v2
	s_delay_alu instid0(VALU_DEP_2) | instskip(SKIP_1) | instid1(VALU_DEP_2)
	v_dual_mov_b32 v43, v3 :: v_dual_sub_nc_u32 v18, 0x71, v46
	v_cmp_gt_u32_e32 vcc_lo, 0x72, v46
	v_cndmask_b32_e32 v18, 0, v18, vcc_lo
	v_cmp_eq_u32_e32 vcc_lo, 0, v46
	s_delay_alu instid0(VALU_DEP_2) | instskip(NEXT) | instid1(VALU_DEP_1)
	v_cndmask_b32_e64 v47, v18, 0x70, vcc_lo
	v_dual_cndmask_b32 v42, v42, v2, vcc_lo :: v_dual_add_nc_u32 v18, 21, v47
	v_add_nc_u32_e32 v44, 20, v47
	s_delay_alu instid0(VALU_DEP_2) | instskip(NEXT) | instid1(VALU_DEP_2)
	v_lshlrev_b64_e64 v[18:19], v18, -1
	v_lshlrev_b64_e64 v[44:45], v44, 1
	s_delay_alu instid0(VALU_DEP_2) | instskip(SKIP_1) | instid1(VALU_DEP_4)
	v_bfi_b32 v18, v18, 0, v42
	v_lshrrev_b64 v[42:43], v47, v[42:43]
	v_bfi_b32 v19, v19, 0, 0
	s_delay_alu instid0(VALU_DEP_1) | instskip(NEXT) | instid1(VALU_DEP_3)
	v_cmp_eq_u64_e64 s13, v[18:19], v[44:45]
	v_mov_b64_e32 v[44:45], v[42:43]
	s_and_saveexec_b32 s76, s13
; %bb.7428:                             ;   in Loop: Header=BB2_7338 Depth=3
	v_bfe_u32 v18, v42, 21, 1
	v_mov_b32_e32 v19, v3
	s_delay_alu instid0(VALU_DEP_1) | instskip(NEXT) | instid1(VALU_DEP_1)
	v_add_nc_u64_e32 v[18:19], v[42:43], v[18:19]
	v_add_nc_u64_e32 v[44:45], -1, v[18:19]
; %bb.7429:                             ;   in Loop: Header=BB2_7338 Depth=3
	s_or_b32 exec_lo, exec_lo, s76
	v_add_nc_u32_e32 v2, 0xffffff81, v46
	s_delay_alu instid0(VALU_DEP_2) | instskip(SKIP_2) | instid1(VALU_DEP_3)
	v_and_b32_e32 v19, 0x1fffff, v44
	v_lshrrev_b32_e32 v18, 23, v42
	s_mov_b32 s13, exec_lo
                                        ; implicit-def: $vgpr44
	v_cndmask_b32_e64 v2, v2, 0xffffff82, vcc_lo
	s_delay_alu instid0(VALU_DEP_1) | instskip(SKIP_1) | instid1(VALU_DEP_2)
	v_add3_u32 v45, v47, v2, v18
	v_add_nc_u32_e32 v2, v19, v42
                                        ; implicit-def: $vgpr42_vgpr43
	v_add_nc_u32_e32 v46, 14, v45
	s_delay_alu instid0(VALU_DEP_1)
	v_cmpx_ne_u32_e32 0, v46
	s_xor_b32 s13, exec_lo, s13
; %bb.7430:                             ;   in Loop: Header=BB2_7338 Depth=3
	s_delay_alu instid0(VALU_DEP_3) | instskip(SKIP_1) | instid1(VALU_DEP_1)
	v_cmp_lt_u64_e32 vcc_lo, 0xffffff, v[2:3]
	v_add_nc_u32_e32 v18, 15, v45
	v_cndmask_b32_e32 v44, v46, v18, vcc_lo
	v_cndmask_b32_e64 v18, 0, 1, vcc_lo
	s_delay_alu instid0(VALU_DEP_1)
	v_lshrrev_b64 v[42:43], v18, v[2:3]
; %bb.7431:                             ;   in Loop: Header=BB2_7338 Depth=3
	s_and_not1_saveexec_b32 s13, s13
; %bb.7432:                             ;   in Loop: Header=BB2_7338 Depth=3
	v_mov_b64_e32 v[42:43], v[2:3]
	v_bfe_u32 v44, v2, 23, 1
; %bb.7433:                             ;   in Loop: Header=BB2_7338 Depth=3
	s_or_b32 exec_lo, exec_lo, s13
	s_delay_alu instid0(VALU_DEP_2) | instskip(NEXT) | instid1(VALU_DEP_2)
	v_lshrrev_b64 v[18:19], 21, v[42:43]
	v_cmp_gt_i32_e32 vcc_lo, 32, v44
	v_cmp_ne_u32_e64 s13, 0, v44
                                        ; implicit-def: $vgpr72
	s_delay_alu instid0(VALU_DEP_3) | instskip(NEXT) | instid1(VALU_DEP_1)
	v_dual_cndmask_b32 v43, 0, v19 :: v_dual_cndmask_b32 v42, 3, v18
	v_cmp_ne_u64_e32 vcc_lo, 0, v[42:43]
	s_or_b32 s13, s13, vcc_lo
	s_delay_alu instid0(SALU_CYCLE_1) | instskip(NEXT) | instid1(SALU_CYCLE_1)
	s_and_saveexec_b32 s76, s13
	s_xor_b32 s13, exec_lo, s76
; %bb.7434:                             ;   in Loop: Header=BB2_7338 Depth=3
	v_min_i32_e32 v2, 31, v44
	s_delay_alu instid0(VALU_DEP_1) | instskip(NEXT) | instid1(VALU_DEP_1)
	v_lshl_or_b32 v2, v2, 2, v17
                                        ; implicit-def: $vgpr17
	v_and_or_b32 v72, v42, 3, v2
; %bb.7435:                             ;   in Loop: Header=BB2_7338 Depth=3
	s_and_not1_saveexec_b32 s13, s13
; %bb.7436:                             ;   in Loop: Header=BB2_7338 Depth=3
	v_mov_b32_e32 v72, v17
; %bb.7437:                             ;   in Loop: Header=BB2_7338 Depth=3
	s_or_b32 exec_lo, exec_lo, s13
.LBB2_7438:                             ;   in Loop: Header=BB2_7338 Depth=3
	s_delay_alu instid0(SALU_CYCLE_1)
	s_or_b32 exec_lo, exec_lo, s75
                                        ; implicit-def: $vgpr17
.LBB2_7439:                             ;   in Loop: Header=BB2_7338 Depth=3
	s_and_not1_saveexec_b32 s13, s15
; %bb.7440:                             ;   in Loop: Header=BB2_7338 Depth=3
	v_or_b32_e32 v72, 0x7b, v17
; %bb.7441:                             ;   in Loop: Header=BB2_7338 Depth=3
	s_or_b32 exec_lo, exec_lo, s13
                                        ; implicit-def: $vgpr42
.LBB2_7442:                             ;   in Loop: Header=BB2_7338 Depth=3
	s_and_not1_saveexec_b32 s13, s14
	s_cbranch_execz .LBB2_7448
; %bb.7443:                             ;   in Loop: Header=BB2_7338 Depth=3
	s_mov_b32 s14, exec_lo
                                        ; implicit-def: $vgpr72
	v_cmpx_ne_u64_e32 0, v[2:3]
	s_xor_b32 s14, exec_lo, s14
; %bb.7444:                             ;   in Loop: Header=BB2_7338 Depth=3
	v_lshrrev_b32_e32 v2, 24, v42
                                        ; implicit-def: $vgpr42
	s_delay_alu instid0(VALU_DEP_1)
	v_or_b32_e32 v72, 0x7f, v2
; %bb.7445:                             ;   in Loop: Header=BB2_7338 Depth=3
	s_and_not1_saveexec_b32 s14, s14
; %bb.7446:                             ;   in Loop: Header=BB2_7338 Depth=3
	v_cmp_lt_i32_e32 vcc_lo, -1, v42
	v_cndmask_b32_e64 v72, -4, 0x7c, vcc_lo
; %bb.7447:                             ;   in Loop: Header=BB2_7338 Depth=3
	s_or_b32 exec_lo, exec_lo, s14
.LBB2_7448:                             ;   in Loop: Header=BB2_7338 Depth=3
	s_delay_alu instid0(SALU_CYCLE_1)
	s_or_b32 exec_lo, exec_lo, s13
	flat_load_i8 v42, v[8:9] offset:96 th:TH_LOAD_NT
	v_mov_b32_e32 v17, 0
	s_mov_b32 s13, exec_lo
	s_wait_loadcnt_dscnt 0x0
	v_cmpx_ne_u16_e32 0, v42
	s_cbranch_execz .LBB2_7458
; %bb.7449:                             ;   in Loop: Header=BB2_7338 Depth=3
	v_bfrev_b32_e32 v17, 1
	s_mov_b32 s14, exec_lo
	v_cmpx_ne_u16_e32 0xff80, v42
	s_cbranch_execz .LBB2_7457
; %bb.7450:                             ;   in Loop: Header=BB2_7338 Depth=3
	v_and_b32_e32 v17, 0x7c, v42
	v_and_b32_e32 v2, 3, v42
	s_delay_alu instid0(VALU_DEP_2) | instskip(SKIP_1) | instid1(SALU_CYCLE_1)
	v_cmp_ne_u32_e32 vcc_lo, 0x7c, v17
                                        ; implicit-def: $vgpr17
	s_and_saveexec_b32 s15, vcc_lo
	s_xor_b32 s15, exec_lo, s15
	s_cbranch_execz .LBB2_7454
; %bb.7451:                             ;   in Loop: Header=BB2_7338 Depth=3
	v_and_b32_e32 v17, 0xff, v42
	s_mov_b32 s75, exec_lo
	s_delay_alu instid0(VALU_DEP_1) | instskip(NEXT) | instid1(VALU_DEP_1)
	v_bfe_u32 v17, v17, 2, 5
	v_cmpx_eq_u32_e32 0, v17
	s_cbranch_execz .LBB2_7453
; %bb.7452:                             ;   in Loop: Header=BB2_7338 Depth=3
	v_clz_i32_u32_e32 v2, v2
	s_delay_alu instid0(VALU_DEP_1) | instskip(SKIP_1) | instid1(VALU_DEP_2)
	v_min_u32_e32 v2, 32, v2
	v_mov_b32_e32 v43, v3
	v_subrev_nc_u32_e32 v17, 29, v2
	s_delay_alu instid0(VALU_DEP_1) | instskip(SKIP_1) | instid1(VALU_DEP_2)
	v_lshlrev_b64_e32 v[18:19], v17, v[42:43]
	v_sub_nc_u32_e32 v17, 30, v2
	v_and_b32_e32 v2, 3, v18
.LBB2_7453:                             ;   in Loop: Header=BB2_7338 Depth=3
	s_or_b32 exec_lo, exec_lo, s75
	v_bfe_i32 v18, v42, 0, 16
                                        ; implicit-def: $vgpr42
	s_delay_alu instid0(VALU_DEP_1) | instskip(NEXT) | instid1(VALU_DEP_1)
	v_and_b32_e32 v18, 0x80000000, v18
	v_lshl_add_u32 v17, v17, 23, v18
	s_delay_alu instid0(VALU_DEP_1) | instskip(NEXT) | instid1(VALU_DEP_1)
	v_lshl_or_b32 v2, v2, 21, v17
	v_add_nc_u32_e32 v17, 0x38000000, v2
                                        ; implicit-def: $vgpr2
.LBB2_7454:                             ;   in Loop: Header=BB2_7338 Depth=3
	s_and_not1_saveexec_b32 s15, s15
; %bb.7455:                             ;   in Loop: Header=BB2_7338 Depth=3
	v_cmp_lt_i16_e32 vcc_lo, -1, v42
	v_cndmask_b32_e32 v17, 0xff800000, v111, vcc_lo
	v_cmp_eq_u32_e32 vcc_lo, 0, v2
	s_delay_alu instid0(VALU_DEP_2)
	v_cndmask_b32_e32 v17, 0x7f800001, v17, vcc_lo
; %bb.7456:                             ;   in Loop: Header=BB2_7338 Depth=3
	s_or_b32 exec_lo, exec_lo, s15
.LBB2_7457:                             ;   in Loop: Header=BB2_7338 Depth=3
	s_delay_alu instid0(SALU_CYCLE_1)
	s_or_b32 exec_lo, exec_lo, s14
.LBB2_7458:                             ;   in Loop: Header=BB2_7338 Depth=3
	s_delay_alu instid0(SALU_CYCLE_1) | instskip(NEXT) | instid1(VALU_DEP_1)
	s_or_b32 exec_lo, exec_lo, s13
	v_dual_mul_f32 v42, s74, v17 :: v_dual_mov_b32 v19, v3
                                        ; implicit-def: $vgpr60
	s_mov_b32 s13, exec_lo
	s_delay_alu instid0(VALU_DEP_1) | instskip(SKIP_1) | instid1(VALU_DEP_2)
	v_and_b32_e32 v18, 0x7f800000, v42
	v_and_b32_e32 v2, 0x7fffff, v42
	v_cmpx_ne_u64_e32 0x7f800000, v[18:19]
	s_xor_b32 s14, exec_lo, s13
	s_cbranch_execz .LBB2_7476
; %bb.7459:                             ;   in Loop: Header=BB2_7338 Depth=3
	v_dual_mov_b32 v19, v3 :: v_dual_lshrrev_b32 v17, 24, v42
	v_and_b32_e32 v18, 0x7fffffff, v42
                                        ; implicit-def: $vgpr60
	s_mov_b32 s13, exec_lo
	s_delay_alu instid0(VALU_DEP_2) | instskip(NEXT) | instid1(VALU_DEP_2)
	v_and_b32_e32 v17, 0x80, v17
	v_cmpx_gt_u64_e32 0x47600001, v[18:19]
	s_xor_b32 s15, exec_lo, s13
	s_cbranch_execz .LBB2_7473
; %bb.7460:                             ;   in Loop: Header=BB2_7338 Depth=3
	v_mov_b32_e32 v60, 0
	s_mov_b32 s75, exec_lo
	v_cmpx_ne_u32_e32 0, v42
	s_cbranch_execz .LBB2_7472
; %bb.7461:                             ;   in Loop: Header=BB2_7338 Depth=3
	v_bfe_u32 v46, v42, 23, 8
	v_or_b32_e32 v42, 0x800000, v2
	s_delay_alu instid0(VALU_DEP_2) | instskip(SKIP_1) | instid1(VALU_DEP_2)
	v_dual_mov_b32 v43, v3 :: v_dual_sub_nc_u32 v18, 0x71, v46
	v_cmp_gt_u32_e32 vcc_lo, 0x72, v46
	v_cndmask_b32_e32 v18, 0, v18, vcc_lo
	v_cmp_eq_u32_e32 vcc_lo, 0, v46
	s_delay_alu instid0(VALU_DEP_2) | instskip(NEXT) | instid1(VALU_DEP_1)
	v_cndmask_b32_e64 v47, v18, 0x70, vcc_lo
	v_dual_cndmask_b32 v42, v42, v2, vcc_lo :: v_dual_add_nc_u32 v18, 21, v47
	v_add_nc_u32_e32 v44, 20, v47
	s_delay_alu instid0(VALU_DEP_2) | instskip(NEXT) | instid1(VALU_DEP_2)
	v_lshlrev_b64_e64 v[18:19], v18, -1
	v_lshlrev_b64_e64 v[44:45], v44, 1
	s_delay_alu instid0(VALU_DEP_2) | instskip(SKIP_1) | instid1(VALU_DEP_4)
	v_bfi_b32 v18, v18, 0, v42
	v_lshrrev_b64 v[42:43], v47, v[42:43]
	v_bfi_b32 v19, v19, 0, 0
	s_delay_alu instid0(VALU_DEP_1) | instskip(NEXT) | instid1(VALU_DEP_3)
	v_cmp_eq_u64_e64 s13, v[18:19], v[44:45]
	v_mov_b64_e32 v[44:45], v[42:43]
	s_and_saveexec_b32 s76, s13
; %bb.7462:                             ;   in Loop: Header=BB2_7338 Depth=3
	v_bfe_u32 v18, v42, 21, 1
	v_mov_b32_e32 v19, v3
	s_delay_alu instid0(VALU_DEP_1) | instskip(NEXT) | instid1(VALU_DEP_1)
	v_add_nc_u64_e32 v[18:19], v[42:43], v[18:19]
	v_add_nc_u64_e32 v[44:45], -1, v[18:19]
; %bb.7463:                             ;   in Loop: Header=BB2_7338 Depth=3
	s_or_b32 exec_lo, exec_lo, s76
	v_add_nc_u32_e32 v2, 0xffffff81, v46
	s_delay_alu instid0(VALU_DEP_2) | instskip(SKIP_2) | instid1(VALU_DEP_3)
	v_and_b32_e32 v19, 0x1fffff, v44
	v_lshrrev_b32_e32 v18, 23, v42
	s_mov_b32 s13, exec_lo
                                        ; implicit-def: $vgpr44
	v_cndmask_b32_e64 v2, v2, 0xffffff82, vcc_lo
	s_delay_alu instid0(VALU_DEP_1) | instskip(SKIP_1) | instid1(VALU_DEP_2)
	v_add3_u32 v45, v47, v2, v18
	v_add_nc_u32_e32 v2, v19, v42
                                        ; implicit-def: $vgpr42_vgpr43
	v_add_nc_u32_e32 v46, 14, v45
	s_delay_alu instid0(VALU_DEP_1)
	v_cmpx_ne_u32_e32 0, v46
	s_xor_b32 s13, exec_lo, s13
; %bb.7464:                             ;   in Loop: Header=BB2_7338 Depth=3
	s_delay_alu instid0(VALU_DEP_3) | instskip(SKIP_1) | instid1(VALU_DEP_1)
	v_cmp_lt_u64_e32 vcc_lo, 0xffffff, v[2:3]
	v_add_nc_u32_e32 v18, 15, v45
	v_cndmask_b32_e32 v44, v46, v18, vcc_lo
	v_cndmask_b32_e64 v18, 0, 1, vcc_lo
	s_delay_alu instid0(VALU_DEP_1)
	v_lshrrev_b64 v[42:43], v18, v[2:3]
; %bb.7465:                             ;   in Loop: Header=BB2_7338 Depth=3
	s_and_not1_saveexec_b32 s13, s13
; %bb.7466:                             ;   in Loop: Header=BB2_7338 Depth=3
	v_mov_b64_e32 v[42:43], v[2:3]
	v_bfe_u32 v44, v2, 23, 1
; %bb.7467:                             ;   in Loop: Header=BB2_7338 Depth=3
	s_or_b32 exec_lo, exec_lo, s13
	s_delay_alu instid0(VALU_DEP_2) | instskip(NEXT) | instid1(VALU_DEP_2)
	v_lshrrev_b64 v[18:19], 21, v[42:43]
	v_cmp_gt_i32_e32 vcc_lo, 32, v44
	v_cmp_ne_u32_e64 s13, 0, v44
                                        ; implicit-def: $vgpr60
	s_delay_alu instid0(VALU_DEP_3) | instskip(NEXT) | instid1(VALU_DEP_1)
	v_dual_cndmask_b32 v43, 0, v19 :: v_dual_cndmask_b32 v42, 3, v18
	v_cmp_ne_u64_e32 vcc_lo, 0, v[42:43]
	s_or_b32 s13, s13, vcc_lo
	s_delay_alu instid0(SALU_CYCLE_1) | instskip(NEXT) | instid1(SALU_CYCLE_1)
	s_and_saveexec_b32 s76, s13
	s_xor_b32 s13, exec_lo, s76
; %bb.7468:                             ;   in Loop: Header=BB2_7338 Depth=3
	v_min_i32_e32 v2, 31, v44
	s_delay_alu instid0(VALU_DEP_1) | instskip(NEXT) | instid1(VALU_DEP_1)
	v_lshl_or_b32 v2, v2, 2, v17
                                        ; implicit-def: $vgpr17
	v_and_or_b32 v60, v42, 3, v2
; %bb.7469:                             ;   in Loop: Header=BB2_7338 Depth=3
	s_and_not1_saveexec_b32 s13, s13
; %bb.7470:                             ;   in Loop: Header=BB2_7338 Depth=3
	v_mov_b32_e32 v60, v17
; %bb.7471:                             ;   in Loop: Header=BB2_7338 Depth=3
	s_or_b32 exec_lo, exec_lo, s13
.LBB2_7472:                             ;   in Loop: Header=BB2_7338 Depth=3
	s_delay_alu instid0(SALU_CYCLE_1)
	s_or_b32 exec_lo, exec_lo, s75
                                        ; implicit-def: $vgpr17
.LBB2_7473:                             ;   in Loop: Header=BB2_7338 Depth=3
	s_and_not1_saveexec_b32 s13, s15
; %bb.7474:                             ;   in Loop: Header=BB2_7338 Depth=3
	v_or_b32_e32 v60, 0x7b, v17
; %bb.7475:                             ;   in Loop: Header=BB2_7338 Depth=3
	s_or_b32 exec_lo, exec_lo, s13
                                        ; implicit-def: $vgpr42
.LBB2_7476:                             ;   in Loop: Header=BB2_7338 Depth=3
	s_and_not1_saveexec_b32 s13, s14
	s_cbranch_execz .LBB2_7482
; %bb.7477:                             ;   in Loop: Header=BB2_7338 Depth=3
	s_mov_b32 s14, exec_lo
                                        ; implicit-def: $vgpr60
	v_cmpx_ne_u64_e32 0, v[2:3]
	s_xor_b32 s14, exec_lo, s14
; %bb.7478:                             ;   in Loop: Header=BB2_7338 Depth=3
	v_lshrrev_b32_e32 v2, 24, v42
                                        ; implicit-def: $vgpr42
	s_delay_alu instid0(VALU_DEP_1)
	v_or_b32_e32 v60, 0x7f, v2
; %bb.7479:                             ;   in Loop: Header=BB2_7338 Depth=3
	s_and_not1_saveexec_b32 s14, s14
; %bb.7480:                             ;   in Loop: Header=BB2_7338 Depth=3
	v_cmp_lt_i32_e32 vcc_lo, -1, v42
	v_cndmask_b32_e64 v60, -4, 0x7c, vcc_lo
; %bb.7481:                             ;   in Loop: Header=BB2_7338 Depth=3
	s_or_b32 exec_lo, exec_lo, s14
.LBB2_7482:                             ;   in Loop: Header=BB2_7338 Depth=3
	s_delay_alu instid0(SALU_CYCLE_1)
	s_or_b32 exec_lo, exec_lo, s13
	flat_load_i8 v42, v[8:9] offset:128 th:TH_LOAD_NT
	v_mov_b32_e32 v17, 0
	s_mov_b32 s13, exec_lo
	s_wait_loadcnt_dscnt 0x0
	v_cmpx_ne_u16_e32 0, v42
	s_cbranch_execz .LBB2_7492
; %bb.7483:                             ;   in Loop: Header=BB2_7338 Depth=3
	v_bfrev_b32_e32 v17, 1
	s_mov_b32 s14, exec_lo
	v_cmpx_ne_u16_e32 0xff80, v42
	s_cbranch_execz .LBB2_7491
; %bb.7484:                             ;   in Loop: Header=BB2_7338 Depth=3
	v_and_b32_e32 v17, 0x7c, v42
	v_and_b32_e32 v2, 3, v42
	s_delay_alu instid0(VALU_DEP_2) | instskip(SKIP_1) | instid1(SALU_CYCLE_1)
	v_cmp_ne_u32_e32 vcc_lo, 0x7c, v17
                                        ; implicit-def: $vgpr17
	s_and_saveexec_b32 s15, vcc_lo
	s_xor_b32 s15, exec_lo, s15
	s_cbranch_execz .LBB2_7488
; %bb.7485:                             ;   in Loop: Header=BB2_7338 Depth=3
	v_and_b32_e32 v17, 0xff, v42
	s_mov_b32 s75, exec_lo
	s_delay_alu instid0(VALU_DEP_1) | instskip(NEXT) | instid1(VALU_DEP_1)
	v_bfe_u32 v17, v17, 2, 5
	v_cmpx_eq_u32_e32 0, v17
	s_cbranch_execz .LBB2_7487
; %bb.7486:                             ;   in Loop: Header=BB2_7338 Depth=3
	v_clz_i32_u32_e32 v2, v2
	s_delay_alu instid0(VALU_DEP_1) | instskip(SKIP_1) | instid1(VALU_DEP_2)
	v_min_u32_e32 v2, 32, v2
	v_mov_b32_e32 v43, v3
	v_subrev_nc_u32_e32 v17, 29, v2
	s_delay_alu instid0(VALU_DEP_1) | instskip(SKIP_1) | instid1(VALU_DEP_2)
	v_lshlrev_b64_e32 v[18:19], v17, v[42:43]
	v_sub_nc_u32_e32 v17, 30, v2
	v_and_b32_e32 v2, 3, v18
.LBB2_7487:                             ;   in Loop: Header=BB2_7338 Depth=3
	s_or_b32 exec_lo, exec_lo, s75
	v_bfe_i32 v18, v42, 0, 16
                                        ; implicit-def: $vgpr42
	s_delay_alu instid0(VALU_DEP_1) | instskip(NEXT) | instid1(VALU_DEP_1)
	v_and_b32_e32 v18, 0x80000000, v18
	v_lshl_add_u32 v17, v17, 23, v18
	s_delay_alu instid0(VALU_DEP_1) | instskip(NEXT) | instid1(VALU_DEP_1)
	v_lshl_or_b32 v2, v2, 21, v17
	v_add_nc_u32_e32 v17, 0x38000000, v2
                                        ; implicit-def: $vgpr2
.LBB2_7488:                             ;   in Loop: Header=BB2_7338 Depth=3
	s_and_not1_saveexec_b32 s15, s15
; %bb.7489:                             ;   in Loop: Header=BB2_7338 Depth=3
	v_cmp_lt_i16_e32 vcc_lo, -1, v42
	v_cndmask_b32_e32 v17, 0xff800000, v111, vcc_lo
	v_cmp_eq_u32_e32 vcc_lo, 0, v2
	s_delay_alu instid0(VALU_DEP_2)
	v_cndmask_b32_e32 v17, 0x7f800001, v17, vcc_lo
; %bb.7490:                             ;   in Loop: Header=BB2_7338 Depth=3
	s_or_b32 exec_lo, exec_lo, s15
.LBB2_7491:                             ;   in Loop: Header=BB2_7338 Depth=3
	s_delay_alu instid0(SALU_CYCLE_1)
	s_or_b32 exec_lo, exec_lo, s14
.LBB2_7492:                             ;   in Loop: Header=BB2_7338 Depth=3
	s_delay_alu instid0(SALU_CYCLE_1) | instskip(NEXT) | instid1(VALU_DEP_1)
	s_or_b32 exec_lo, exec_lo, s13
	v_dual_mul_f32 v42, s74, v17 :: v_dual_mov_b32 v19, v3
                                        ; implicit-def: $vgpr58
	s_mov_b32 s13, exec_lo
	s_delay_alu instid0(VALU_DEP_1) | instskip(SKIP_1) | instid1(VALU_DEP_2)
	v_and_b32_e32 v18, 0x7f800000, v42
	v_and_b32_e32 v2, 0x7fffff, v42
	v_cmpx_ne_u64_e32 0x7f800000, v[18:19]
	s_xor_b32 s14, exec_lo, s13
	s_cbranch_execz .LBB2_7510
; %bb.7493:                             ;   in Loop: Header=BB2_7338 Depth=3
	v_dual_mov_b32 v19, v3 :: v_dual_lshrrev_b32 v17, 24, v42
	v_and_b32_e32 v18, 0x7fffffff, v42
                                        ; implicit-def: $vgpr58
	s_mov_b32 s13, exec_lo
	s_delay_alu instid0(VALU_DEP_2) | instskip(NEXT) | instid1(VALU_DEP_2)
	v_and_b32_e32 v17, 0x80, v17
	v_cmpx_gt_u64_e32 0x47600001, v[18:19]
	s_xor_b32 s15, exec_lo, s13
	s_cbranch_execz .LBB2_7507
; %bb.7494:                             ;   in Loop: Header=BB2_7338 Depth=3
	v_mov_b32_e32 v58, 0
	s_mov_b32 s75, exec_lo
	v_cmpx_ne_u32_e32 0, v42
	s_cbranch_execz .LBB2_7506
; %bb.7495:                             ;   in Loop: Header=BB2_7338 Depth=3
	v_bfe_u32 v46, v42, 23, 8
	v_or_b32_e32 v42, 0x800000, v2
	s_delay_alu instid0(VALU_DEP_2) | instskip(SKIP_1) | instid1(VALU_DEP_2)
	v_dual_mov_b32 v43, v3 :: v_dual_sub_nc_u32 v18, 0x71, v46
	v_cmp_gt_u32_e32 vcc_lo, 0x72, v46
	v_cndmask_b32_e32 v18, 0, v18, vcc_lo
	v_cmp_eq_u32_e32 vcc_lo, 0, v46
	s_delay_alu instid0(VALU_DEP_2) | instskip(NEXT) | instid1(VALU_DEP_1)
	v_cndmask_b32_e64 v47, v18, 0x70, vcc_lo
	v_dual_cndmask_b32 v42, v42, v2, vcc_lo :: v_dual_add_nc_u32 v18, 21, v47
	v_add_nc_u32_e32 v44, 20, v47
	s_delay_alu instid0(VALU_DEP_2) | instskip(NEXT) | instid1(VALU_DEP_2)
	v_lshlrev_b64_e64 v[18:19], v18, -1
	v_lshlrev_b64_e64 v[44:45], v44, 1
	s_delay_alu instid0(VALU_DEP_2) | instskip(SKIP_1) | instid1(VALU_DEP_4)
	v_bfi_b32 v18, v18, 0, v42
	v_lshrrev_b64 v[42:43], v47, v[42:43]
	v_bfi_b32 v19, v19, 0, 0
	s_delay_alu instid0(VALU_DEP_1) | instskip(NEXT) | instid1(VALU_DEP_3)
	v_cmp_eq_u64_e64 s13, v[18:19], v[44:45]
	v_mov_b64_e32 v[44:45], v[42:43]
	s_and_saveexec_b32 s76, s13
; %bb.7496:                             ;   in Loop: Header=BB2_7338 Depth=3
	v_bfe_u32 v18, v42, 21, 1
	v_mov_b32_e32 v19, v3
	s_delay_alu instid0(VALU_DEP_1) | instskip(NEXT) | instid1(VALU_DEP_1)
	v_add_nc_u64_e32 v[18:19], v[42:43], v[18:19]
	v_add_nc_u64_e32 v[44:45], -1, v[18:19]
; %bb.7497:                             ;   in Loop: Header=BB2_7338 Depth=3
	s_or_b32 exec_lo, exec_lo, s76
	v_add_nc_u32_e32 v2, 0xffffff81, v46
	s_delay_alu instid0(VALU_DEP_2) | instskip(SKIP_2) | instid1(VALU_DEP_3)
	v_and_b32_e32 v19, 0x1fffff, v44
	v_lshrrev_b32_e32 v18, 23, v42
	s_mov_b32 s13, exec_lo
                                        ; implicit-def: $vgpr44
	v_cndmask_b32_e64 v2, v2, 0xffffff82, vcc_lo
	s_delay_alu instid0(VALU_DEP_1) | instskip(SKIP_1) | instid1(VALU_DEP_2)
	v_add3_u32 v45, v47, v2, v18
	v_add_nc_u32_e32 v2, v19, v42
                                        ; implicit-def: $vgpr42_vgpr43
	v_add_nc_u32_e32 v46, 14, v45
	s_delay_alu instid0(VALU_DEP_1)
	v_cmpx_ne_u32_e32 0, v46
	s_xor_b32 s13, exec_lo, s13
; %bb.7498:                             ;   in Loop: Header=BB2_7338 Depth=3
	s_delay_alu instid0(VALU_DEP_3) | instskip(SKIP_1) | instid1(VALU_DEP_1)
	v_cmp_lt_u64_e32 vcc_lo, 0xffffff, v[2:3]
	v_add_nc_u32_e32 v18, 15, v45
	v_cndmask_b32_e32 v44, v46, v18, vcc_lo
	v_cndmask_b32_e64 v18, 0, 1, vcc_lo
	s_delay_alu instid0(VALU_DEP_1)
	v_lshrrev_b64 v[42:43], v18, v[2:3]
; %bb.7499:                             ;   in Loop: Header=BB2_7338 Depth=3
	s_and_not1_saveexec_b32 s13, s13
; %bb.7500:                             ;   in Loop: Header=BB2_7338 Depth=3
	v_mov_b64_e32 v[42:43], v[2:3]
	v_bfe_u32 v44, v2, 23, 1
; %bb.7501:                             ;   in Loop: Header=BB2_7338 Depth=3
	s_or_b32 exec_lo, exec_lo, s13
	s_delay_alu instid0(VALU_DEP_2) | instskip(NEXT) | instid1(VALU_DEP_2)
	v_lshrrev_b64 v[18:19], 21, v[42:43]
	v_cmp_gt_i32_e32 vcc_lo, 32, v44
	v_cmp_ne_u32_e64 s13, 0, v44
                                        ; implicit-def: $vgpr58
	s_delay_alu instid0(VALU_DEP_3) | instskip(NEXT) | instid1(VALU_DEP_1)
	v_dual_cndmask_b32 v43, 0, v19 :: v_dual_cndmask_b32 v42, 3, v18
	v_cmp_ne_u64_e32 vcc_lo, 0, v[42:43]
	s_or_b32 s13, s13, vcc_lo
	s_delay_alu instid0(SALU_CYCLE_1) | instskip(NEXT) | instid1(SALU_CYCLE_1)
	s_and_saveexec_b32 s76, s13
	s_xor_b32 s13, exec_lo, s76
; %bb.7502:                             ;   in Loop: Header=BB2_7338 Depth=3
	v_min_i32_e32 v2, 31, v44
	s_delay_alu instid0(VALU_DEP_1) | instskip(NEXT) | instid1(VALU_DEP_1)
	v_lshl_or_b32 v2, v2, 2, v17
                                        ; implicit-def: $vgpr17
	v_and_or_b32 v58, v42, 3, v2
; %bb.7503:                             ;   in Loop: Header=BB2_7338 Depth=3
	s_and_not1_saveexec_b32 s13, s13
; %bb.7504:                             ;   in Loop: Header=BB2_7338 Depth=3
	v_mov_b32_e32 v58, v17
; %bb.7505:                             ;   in Loop: Header=BB2_7338 Depth=3
	s_or_b32 exec_lo, exec_lo, s13
.LBB2_7506:                             ;   in Loop: Header=BB2_7338 Depth=3
	s_delay_alu instid0(SALU_CYCLE_1)
	s_or_b32 exec_lo, exec_lo, s75
                                        ; implicit-def: $vgpr17
.LBB2_7507:                             ;   in Loop: Header=BB2_7338 Depth=3
	s_and_not1_saveexec_b32 s13, s15
; %bb.7508:                             ;   in Loop: Header=BB2_7338 Depth=3
	v_or_b32_e32 v58, 0x7b, v17
; %bb.7509:                             ;   in Loop: Header=BB2_7338 Depth=3
	s_or_b32 exec_lo, exec_lo, s13
                                        ; implicit-def: $vgpr42
.LBB2_7510:                             ;   in Loop: Header=BB2_7338 Depth=3
	s_and_not1_saveexec_b32 s13, s14
	s_cbranch_execz .LBB2_7516
; %bb.7511:                             ;   in Loop: Header=BB2_7338 Depth=3
	s_mov_b32 s14, exec_lo
                                        ; implicit-def: $vgpr58
	v_cmpx_ne_u64_e32 0, v[2:3]
	s_xor_b32 s14, exec_lo, s14
; %bb.7512:                             ;   in Loop: Header=BB2_7338 Depth=3
	v_lshrrev_b32_e32 v2, 24, v42
                                        ; implicit-def: $vgpr42
	s_delay_alu instid0(VALU_DEP_1)
	v_or_b32_e32 v58, 0x7f, v2
; %bb.7513:                             ;   in Loop: Header=BB2_7338 Depth=3
	s_and_not1_saveexec_b32 s14, s14
; %bb.7514:                             ;   in Loop: Header=BB2_7338 Depth=3
	v_cmp_lt_i32_e32 vcc_lo, -1, v42
	v_cndmask_b32_e64 v58, -4, 0x7c, vcc_lo
; %bb.7515:                             ;   in Loop: Header=BB2_7338 Depth=3
	s_or_b32 exec_lo, exec_lo, s14
.LBB2_7516:                             ;   in Loop: Header=BB2_7338 Depth=3
	s_delay_alu instid0(SALU_CYCLE_1)
	s_or_b32 exec_lo, exec_lo, s13
	flat_load_i8 v42, v[8:9] offset:160 th:TH_LOAD_NT
	v_mov_b32_e32 v17, 0
	s_mov_b32 s13, exec_lo
	s_wait_loadcnt_dscnt 0x0
	v_cmpx_ne_u16_e32 0, v42
	s_cbranch_execz .LBB2_7526
; %bb.7517:                             ;   in Loop: Header=BB2_7338 Depth=3
	v_bfrev_b32_e32 v17, 1
	s_mov_b32 s14, exec_lo
	v_cmpx_ne_u16_e32 0xff80, v42
	s_cbranch_execz .LBB2_7525
; %bb.7518:                             ;   in Loop: Header=BB2_7338 Depth=3
	v_and_b32_e32 v17, 0x7c, v42
	v_and_b32_e32 v2, 3, v42
	s_delay_alu instid0(VALU_DEP_2) | instskip(SKIP_1) | instid1(SALU_CYCLE_1)
	v_cmp_ne_u32_e32 vcc_lo, 0x7c, v17
                                        ; implicit-def: $vgpr17
	s_and_saveexec_b32 s15, vcc_lo
	s_xor_b32 s15, exec_lo, s15
	s_cbranch_execz .LBB2_7522
; %bb.7519:                             ;   in Loop: Header=BB2_7338 Depth=3
	v_and_b32_e32 v17, 0xff, v42
	s_mov_b32 s75, exec_lo
	s_delay_alu instid0(VALU_DEP_1) | instskip(NEXT) | instid1(VALU_DEP_1)
	v_bfe_u32 v17, v17, 2, 5
	v_cmpx_eq_u32_e32 0, v17
	s_cbranch_execz .LBB2_7521
; %bb.7520:                             ;   in Loop: Header=BB2_7338 Depth=3
	v_clz_i32_u32_e32 v2, v2
	s_delay_alu instid0(VALU_DEP_1) | instskip(SKIP_1) | instid1(VALU_DEP_2)
	v_min_u32_e32 v2, 32, v2
	v_mov_b32_e32 v43, v3
	v_subrev_nc_u32_e32 v17, 29, v2
	s_delay_alu instid0(VALU_DEP_1) | instskip(SKIP_1) | instid1(VALU_DEP_2)
	v_lshlrev_b64_e32 v[18:19], v17, v[42:43]
	v_sub_nc_u32_e32 v17, 30, v2
	v_and_b32_e32 v2, 3, v18
.LBB2_7521:                             ;   in Loop: Header=BB2_7338 Depth=3
	s_or_b32 exec_lo, exec_lo, s75
	v_bfe_i32 v18, v42, 0, 16
                                        ; implicit-def: $vgpr42
	s_delay_alu instid0(VALU_DEP_1) | instskip(NEXT) | instid1(VALU_DEP_1)
	v_and_b32_e32 v18, 0x80000000, v18
	v_lshl_add_u32 v17, v17, 23, v18
	s_delay_alu instid0(VALU_DEP_1) | instskip(NEXT) | instid1(VALU_DEP_1)
	v_lshl_or_b32 v2, v2, 21, v17
	v_add_nc_u32_e32 v17, 0x38000000, v2
                                        ; implicit-def: $vgpr2
.LBB2_7522:                             ;   in Loop: Header=BB2_7338 Depth=3
	s_and_not1_saveexec_b32 s15, s15
; %bb.7523:                             ;   in Loop: Header=BB2_7338 Depth=3
	v_cmp_lt_i16_e32 vcc_lo, -1, v42
	v_cndmask_b32_e32 v17, 0xff800000, v111, vcc_lo
	v_cmp_eq_u32_e32 vcc_lo, 0, v2
	s_delay_alu instid0(VALU_DEP_2)
	v_cndmask_b32_e32 v17, 0x7f800001, v17, vcc_lo
; %bb.7524:                             ;   in Loop: Header=BB2_7338 Depth=3
	s_or_b32 exec_lo, exec_lo, s15
.LBB2_7525:                             ;   in Loop: Header=BB2_7338 Depth=3
	s_delay_alu instid0(SALU_CYCLE_1)
	s_or_b32 exec_lo, exec_lo, s14
.LBB2_7526:                             ;   in Loop: Header=BB2_7338 Depth=3
	s_delay_alu instid0(SALU_CYCLE_1) | instskip(NEXT) | instid1(VALU_DEP_1)
	s_or_b32 exec_lo, exec_lo, s13
	v_dual_mul_f32 v42, s74, v17 :: v_dual_mov_b32 v19, v3
                                        ; implicit-def: $vgpr56
	s_mov_b32 s13, exec_lo
	s_delay_alu instid0(VALU_DEP_1) | instskip(SKIP_1) | instid1(VALU_DEP_2)
	v_and_b32_e32 v18, 0x7f800000, v42
	v_and_b32_e32 v2, 0x7fffff, v42
	v_cmpx_ne_u64_e32 0x7f800000, v[18:19]
	s_xor_b32 s14, exec_lo, s13
	s_cbranch_execz .LBB2_7544
; %bb.7527:                             ;   in Loop: Header=BB2_7338 Depth=3
	v_dual_mov_b32 v19, v3 :: v_dual_lshrrev_b32 v17, 24, v42
	v_and_b32_e32 v18, 0x7fffffff, v42
                                        ; implicit-def: $vgpr56
	s_mov_b32 s13, exec_lo
	s_delay_alu instid0(VALU_DEP_2) | instskip(NEXT) | instid1(VALU_DEP_2)
	v_and_b32_e32 v17, 0x80, v17
	v_cmpx_gt_u64_e32 0x47600001, v[18:19]
	s_xor_b32 s15, exec_lo, s13
	s_cbranch_execz .LBB2_7541
; %bb.7528:                             ;   in Loop: Header=BB2_7338 Depth=3
	v_mov_b32_e32 v56, 0
	s_mov_b32 s75, exec_lo
	v_cmpx_ne_u32_e32 0, v42
	s_cbranch_execz .LBB2_7540
; %bb.7529:                             ;   in Loop: Header=BB2_7338 Depth=3
	v_bfe_u32 v46, v42, 23, 8
	v_or_b32_e32 v42, 0x800000, v2
	s_delay_alu instid0(VALU_DEP_2) | instskip(SKIP_1) | instid1(VALU_DEP_2)
	v_dual_mov_b32 v43, v3 :: v_dual_sub_nc_u32 v18, 0x71, v46
	v_cmp_gt_u32_e32 vcc_lo, 0x72, v46
	v_cndmask_b32_e32 v18, 0, v18, vcc_lo
	v_cmp_eq_u32_e32 vcc_lo, 0, v46
	s_delay_alu instid0(VALU_DEP_2) | instskip(NEXT) | instid1(VALU_DEP_1)
	v_cndmask_b32_e64 v47, v18, 0x70, vcc_lo
	v_dual_cndmask_b32 v42, v42, v2, vcc_lo :: v_dual_add_nc_u32 v18, 21, v47
	v_add_nc_u32_e32 v44, 20, v47
	s_delay_alu instid0(VALU_DEP_2) | instskip(NEXT) | instid1(VALU_DEP_2)
	v_lshlrev_b64_e64 v[18:19], v18, -1
	v_lshlrev_b64_e64 v[44:45], v44, 1
	s_delay_alu instid0(VALU_DEP_2) | instskip(SKIP_1) | instid1(VALU_DEP_4)
	v_bfi_b32 v18, v18, 0, v42
	v_lshrrev_b64 v[42:43], v47, v[42:43]
	v_bfi_b32 v19, v19, 0, 0
	s_delay_alu instid0(VALU_DEP_1) | instskip(NEXT) | instid1(VALU_DEP_3)
	v_cmp_eq_u64_e64 s13, v[18:19], v[44:45]
	v_mov_b64_e32 v[44:45], v[42:43]
	s_and_saveexec_b32 s76, s13
; %bb.7530:                             ;   in Loop: Header=BB2_7338 Depth=3
	v_bfe_u32 v18, v42, 21, 1
	v_mov_b32_e32 v19, v3
	s_delay_alu instid0(VALU_DEP_1) | instskip(NEXT) | instid1(VALU_DEP_1)
	v_add_nc_u64_e32 v[18:19], v[42:43], v[18:19]
	v_add_nc_u64_e32 v[44:45], -1, v[18:19]
; %bb.7531:                             ;   in Loop: Header=BB2_7338 Depth=3
	s_or_b32 exec_lo, exec_lo, s76
	v_add_nc_u32_e32 v2, 0xffffff81, v46
	s_delay_alu instid0(VALU_DEP_2) | instskip(SKIP_2) | instid1(VALU_DEP_3)
	v_and_b32_e32 v19, 0x1fffff, v44
	v_lshrrev_b32_e32 v18, 23, v42
	s_mov_b32 s13, exec_lo
                                        ; implicit-def: $vgpr44
	v_cndmask_b32_e64 v2, v2, 0xffffff82, vcc_lo
	s_delay_alu instid0(VALU_DEP_1) | instskip(SKIP_1) | instid1(VALU_DEP_2)
	v_add3_u32 v45, v47, v2, v18
	v_add_nc_u32_e32 v2, v19, v42
                                        ; implicit-def: $vgpr42_vgpr43
	v_add_nc_u32_e32 v46, 14, v45
	s_delay_alu instid0(VALU_DEP_1)
	v_cmpx_ne_u32_e32 0, v46
	s_xor_b32 s13, exec_lo, s13
; %bb.7532:                             ;   in Loop: Header=BB2_7338 Depth=3
	s_delay_alu instid0(VALU_DEP_3) | instskip(SKIP_1) | instid1(VALU_DEP_1)
	v_cmp_lt_u64_e32 vcc_lo, 0xffffff, v[2:3]
	v_add_nc_u32_e32 v18, 15, v45
	v_cndmask_b32_e32 v44, v46, v18, vcc_lo
	v_cndmask_b32_e64 v18, 0, 1, vcc_lo
	s_delay_alu instid0(VALU_DEP_1)
	v_lshrrev_b64 v[42:43], v18, v[2:3]
; %bb.7533:                             ;   in Loop: Header=BB2_7338 Depth=3
	s_and_not1_saveexec_b32 s13, s13
; %bb.7534:                             ;   in Loop: Header=BB2_7338 Depth=3
	v_mov_b64_e32 v[42:43], v[2:3]
	v_bfe_u32 v44, v2, 23, 1
; %bb.7535:                             ;   in Loop: Header=BB2_7338 Depth=3
	s_or_b32 exec_lo, exec_lo, s13
	s_delay_alu instid0(VALU_DEP_2) | instskip(NEXT) | instid1(VALU_DEP_2)
	v_lshrrev_b64 v[18:19], 21, v[42:43]
	v_cmp_gt_i32_e32 vcc_lo, 32, v44
	v_cmp_ne_u32_e64 s13, 0, v44
                                        ; implicit-def: $vgpr56
	s_delay_alu instid0(VALU_DEP_3) | instskip(NEXT) | instid1(VALU_DEP_1)
	v_dual_cndmask_b32 v43, 0, v19 :: v_dual_cndmask_b32 v42, 3, v18
	v_cmp_ne_u64_e32 vcc_lo, 0, v[42:43]
	s_or_b32 s13, s13, vcc_lo
	s_delay_alu instid0(SALU_CYCLE_1) | instskip(NEXT) | instid1(SALU_CYCLE_1)
	s_and_saveexec_b32 s76, s13
	s_xor_b32 s13, exec_lo, s76
; %bb.7536:                             ;   in Loop: Header=BB2_7338 Depth=3
	v_min_i32_e32 v2, 31, v44
	s_delay_alu instid0(VALU_DEP_1) | instskip(NEXT) | instid1(VALU_DEP_1)
	v_lshl_or_b32 v2, v2, 2, v17
                                        ; implicit-def: $vgpr17
	v_and_or_b32 v56, v42, 3, v2
; %bb.7537:                             ;   in Loop: Header=BB2_7338 Depth=3
	s_and_not1_saveexec_b32 s13, s13
; %bb.7538:                             ;   in Loop: Header=BB2_7338 Depth=3
	v_mov_b32_e32 v56, v17
; %bb.7539:                             ;   in Loop: Header=BB2_7338 Depth=3
	s_or_b32 exec_lo, exec_lo, s13
.LBB2_7540:                             ;   in Loop: Header=BB2_7338 Depth=3
	s_delay_alu instid0(SALU_CYCLE_1)
	s_or_b32 exec_lo, exec_lo, s75
                                        ; implicit-def: $vgpr17
.LBB2_7541:                             ;   in Loop: Header=BB2_7338 Depth=3
	s_and_not1_saveexec_b32 s13, s15
; %bb.7542:                             ;   in Loop: Header=BB2_7338 Depth=3
	v_or_b32_e32 v56, 0x7b, v17
; %bb.7543:                             ;   in Loop: Header=BB2_7338 Depth=3
	s_or_b32 exec_lo, exec_lo, s13
                                        ; implicit-def: $vgpr42
.LBB2_7544:                             ;   in Loop: Header=BB2_7338 Depth=3
	s_and_not1_saveexec_b32 s13, s14
	s_cbranch_execz .LBB2_7550
; %bb.7545:                             ;   in Loop: Header=BB2_7338 Depth=3
	s_mov_b32 s14, exec_lo
                                        ; implicit-def: $vgpr56
	v_cmpx_ne_u64_e32 0, v[2:3]
	s_xor_b32 s14, exec_lo, s14
; %bb.7546:                             ;   in Loop: Header=BB2_7338 Depth=3
	v_lshrrev_b32_e32 v2, 24, v42
                                        ; implicit-def: $vgpr42
	s_delay_alu instid0(VALU_DEP_1)
	v_or_b32_e32 v56, 0x7f, v2
; %bb.7547:                             ;   in Loop: Header=BB2_7338 Depth=3
	s_and_not1_saveexec_b32 s14, s14
; %bb.7548:                             ;   in Loop: Header=BB2_7338 Depth=3
	v_cmp_lt_i32_e32 vcc_lo, -1, v42
	v_cndmask_b32_e64 v56, -4, 0x7c, vcc_lo
; %bb.7549:                             ;   in Loop: Header=BB2_7338 Depth=3
	s_or_b32 exec_lo, exec_lo, s14
.LBB2_7550:                             ;   in Loop: Header=BB2_7338 Depth=3
	s_delay_alu instid0(SALU_CYCLE_1)
	s_or_b32 exec_lo, exec_lo, s13
	flat_load_i8 v42, v[8:9] offset:192 th:TH_LOAD_NT
	v_mov_b32_e32 v17, 0
	s_mov_b32 s13, exec_lo
	s_wait_loadcnt_dscnt 0x0
	v_cmpx_ne_u16_e32 0, v42
	s_cbranch_execz .LBB2_7560
; %bb.7551:                             ;   in Loop: Header=BB2_7338 Depth=3
	v_bfrev_b32_e32 v17, 1
	s_mov_b32 s14, exec_lo
	v_cmpx_ne_u16_e32 0xff80, v42
	s_cbranch_execz .LBB2_7559
; %bb.7552:                             ;   in Loop: Header=BB2_7338 Depth=3
	v_and_b32_e32 v17, 0x7c, v42
	v_and_b32_e32 v2, 3, v42
	s_delay_alu instid0(VALU_DEP_2) | instskip(SKIP_1) | instid1(SALU_CYCLE_1)
	v_cmp_ne_u32_e32 vcc_lo, 0x7c, v17
                                        ; implicit-def: $vgpr17
	s_and_saveexec_b32 s15, vcc_lo
	s_xor_b32 s15, exec_lo, s15
	s_cbranch_execz .LBB2_7556
; %bb.7553:                             ;   in Loop: Header=BB2_7338 Depth=3
	v_and_b32_e32 v17, 0xff, v42
	s_mov_b32 s75, exec_lo
	s_delay_alu instid0(VALU_DEP_1) | instskip(NEXT) | instid1(VALU_DEP_1)
	v_bfe_u32 v17, v17, 2, 5
	v_cmpx_eq_u32_e32 0, v17
	s_cbranch_execz .LBB2_7555
; %bb.7554:                             ;   in Loop: Header=BB2_7338 Depth=3
	v_clz_i32_u32_e32 v2, v2
	s_delay_alu instid0(VALU_DEP_1) | instskip(SKIP_1) | instid1(VALU_DEP_2)
	v_min_u32_e32 v2, 32, v2
	v_mov_b32_e32 v43, v3
	v_subrev_nc_u32_e32 v17, 29, v2
	s_delay_alu instid0(VALU_DEP_1) | instskip(SKIP_1) | instid1(VALU_DEP_2)
	v_lshlrev_b64_e32 v[18:19], v17, v[42:43]
	v_sub_nc_u32_e32 v17, 30, v2
	v_and_b32_e32 v2, 3, v18
.LBB2_7555:                             ;   in Loop: Header=BB2_7338 Depth=3
	s_or_b32 exec_lo, exec_lo, s75
	v_bfe_i32 v18, v42, 0, 16
                                        ; implicit-def: $vgpr42
	s_delay_alu instid0(VALU_DEP_1) | instskip(NEXT) | instid1(VALU_DEP_1)
	v_and_b32_e32 v18, 0x80000000, v18
	v_lshl_add_u32 v17, v17, 23, v18
	s_delay_alu instid0(VALU_DEP_1) | instskip(NEXT) | instid1(VALU_DEP_1)
	v_lshl_or_b32 v2, v2, 21, v17
	v_add_nc_u32_e32 v17, 0x38000000, v2
                                        ; implicit-def: $vgpr2
.LBB2_7556:                             ;   in Loop: Header=BB2_7338 Depth=3
	s_and_not1_saveexec_b32 s15, s15
; %bb.7557:                             ;   in Loop: Header=BB2_7338 Depth=3
	v_cmp_lt_i16_e32 vcc_lo, -1, v42
	v_cndmask_b32_e32 v17, 0xff800000, v111, vcc_lo
	v_cmp_eq_u32_e32 vcc_lo, 0, v2
	s_delay_alu instid0(VALU_DEP_2)
	v_cndmask_b32_e32 v17, 0x7f800001, v17, vcc_lo
; %bb.7558:                             ;   in Loop: Header=BB2_7338 Depth=3
	s_or_b32 exec_lo, exec_lo, s15
.LBB2_7559:                             ;   in Loop: Header=BB2_7338 Depth=3
	s_delay_alu instid0(SALU_CYCLE_1)
	s_or_b32 exec_lo, exec_lo, s14
.LBB2_7560:                             ;   in Loop: Header=BB2_7338 Depth=3
	s_delay_alu instid0(SALU_CYCLE_1) | instskip(NEXT) | instid1(VALU_DEP_1)
	s_or_b32 exec_lo, exec_lo, s13
	v_dual_mul_f32 v42, s74, v17 :: v_dual_mov_b32 v19, v3
                                        ; implicit-def: $vgpr46
	s_mov_b32 s13, exec_lo
	s_delay_alu instid0(VALU_DEP_1) | instskip(SKIP_1) | instid1(VALU_DEP_2)
	v_and_b32_e32 v18, 0x7f800000, v42
	v_and_b32_e32 v2, 0x7fffff, v42
	v_cmpx_ne_u64_e32 0x7f800000, v[18:19]
	s_xor_b32 s14, exec_lo, s13
	s_cbranch_execz .LBB2_7578
; %bb.7561:                             ;   in Loop: Header=BB2_7338 Depth=3
	v_dual_mov_b32 v19, v3 :: v_dual_lshrrev_b32 v17, 24, v42
	v_and_b32_e32 v18, 0x7fffffff, v42
                                        ; implicit-def: $vgpr46
	s_mov_b32 s13, exec_lo
	s_delay_alu instid0(VALU_DEP_2) | instskip(NEXT) | instid1(VALU_DEP_2)
	v_and_b32_e32 v17, 0x80, v17
	v_cmpx_gt_u64_e32 0x47600001, v[18:19]
	s_xor_b32 s15, exec_lo, s13
	s_cbranch_execz .LBB2_7575
; %bb.7562:                             ;   in Loop: Header=BB2_7338 Depth=3
	v_mov_b32_e32 v46, 0
	s_mov_b32 s75, exec_lo
	v_cmpx_ne_u32_e32 0, v42
	s_cbranch_execz .LBB2_7574
; %bb.7563:                             ;   in Loop: Header=BB2_7338 Depth=3
	v_bfe_u32 v46, v42, 23, 8
	v_or_b32_e32 v42, 0x800000, v2
	s_delay_alu instid0(VALU_DEP_2) | instskip(SKIP_1) | instid1(VALU_DEP_2)
	v_dual_mov_b32 v43, v3 :: v_dual_sub_nc_u32 v18, 0x71, v46
	v_cmp_gt_u32_e32 vcc_lo, 0x72, v46
	v_cndmask_b32_e32 v18, 0, v18, vcc_lo
	v_cmp_eq_u32_e32 vcc_lo, 0, v46
	s_delay_alu instid0(VALU_DEP_2) | instskip(NEXT) | instid1(VALU_DEP_1)
	v_cndmask_b32_e64 v47, v18, 0x70, vcc_lo
	v_dual_cndmask_b32 v42, v42, v2, vcc_lo :: v_dual_add_nc_u32 v18, 21, v47
	v_add_nc_u32_e32 v44, 20, v47
	s_delay_alu instid0(VALU_DEP_2) | instskip(NEXT) | instid1(VALU_DEP_2)
	v_lshlrev_b64_e64 v[18:19], v18, -1
	v_lshlrev_b64_e64 v[44:45], v44, 1
	s_delay_alu instid0(VALU_DEP_2) | instskip(SKIP_1) | instid1(VALU_DEP_4)
	v_bfi_b32 v18, v18, 0, v42
	v_lshrrev_b64 v[42:43], v47, v[42:43]
	v_bfi_b32 v19, v19, 0, 0
	s_delay_alu instid0(VALU_DEP_1) | instskip(NEXT) | instid1(VALU_DEP_3)
	v_cmp_eq_u64_e64 s13, v[18:19], v[44:45]
	v_mov_b64_e32 v[44:45], v[42:43]
	s_and_saveexec_b32 s76, s13
; %bb.7564:                             ;   in Loop: Header=BB2_7338 Depth=3
	v_bfe_u32 v18, v42, 21, 1
	v_mov_b32_e32 v19, v3
	s_delay_alu instid0(VALU_DEP_1) | instskip(NEXT) | instid1(VALU_DEP_1)
	v_add_nc_u64_e32 v[18:19], v[42:43], v[18:19]
	v_add_nc_u64_e32 v[44:45], -1, v[18:19]
; %bb.7565:                             ;   in Loop: Header=BB2_7338 Depth=3
	s_or_b32 exec_lo, exec_lo, s76
	v_add_nc_u32_e32 v2, 0xffffff81, v46
	s_delay_alu instid0(VALU_DEP_2) | instskip(SKIP_2) | instid1(VALU_DEP_3)
	v_and_b32_e32 v19, 0x1fffff, v44
	v_lshrrev_b32_e32 v18, 23, v42
	s_mov_b32 s13, exec_lo
                                        ; implicit-def: $vgpr44
	v_cndmask_b32_e64 v2, v2, 0xffffff82, vcc_lo
	s_delay_alu instid0(VALU_DEP_1) | instskip(SKIP_1) | instid1(VALU_DEP_2)
	v_add3_u32 v45, v47, v2, v18
	v_add_nc_u32_e32 v2, v19, v42
                                        ; implicit-def: $vgpr42_vgpr43
	v_add_nc_u32_e32 v46, 14, v45
	s_delay_alu instid0(VALU_DEP_1)
	v_cmpx_ne_u32_e32 0, v46
	s_xor_b32 s13, exec_lo, s13
; %bb.7566:                             ;   in Loop: Header=BB2_7338 Depth=3
	s_delay_alu instid0(VALU_DEP_3) | instskip(SKIP_1) | instid1(VALU_DEP_1)
	v_cmp_lt_u64_e32 vcc_lo, 0xffffff, v[2:3]
	v_add_nc_u32_e32 v18, 15, v45
	v_cndmask_b32_e32 v44, v46, v18, vcc_lo
	v_cndmask_b32_e64 v18, 0, 1, vcc_lo
	s_delay_alu instid0(VALU_DEP_1)
	v_lshrrev_b64 v[42:43], v18, v[2:3]
; %bb.7567:                             ;   in Loop: Header=BB2_7338 Depth=3
	s_and_not1_saveexec_b32 s13, s13
; %bb.7568:                             ;   in Loop: Header=BB2_7338 Depth=3
	v_mov_b64_e32 v[42:43], v[2:3]
	v_bfe_u32 v44, v2, 23, 1
; %bb.7569:                             ;   in Loop: Header=BB2_7338 Depth=3
	s_or_b32 exec_lo, exec_lo, s13
	s_delay_alu instid0(VALU_DEP_2) | instskip(NEXT) | instid1(VALU_DEP_2)
	v_lshrrev_b64 v[18:19], 21, v[42:43]
	v_cmp_gt_i32_e32 vcc_lo, 32, v44
	v_cmp_ne_u32_e64 s13, 0, v44
                                        ; implicit-def: $vgpr46
	s_delay_alu instid0(VALU_DEP_3) | instskip(NEXT) | instid1(VALU_DEP_1)
	v_dual_cndmask_b32 v43, 0, v19 :: v_dual_cndmask_b32 v42, 3, v18
	v_cmp_ne_u64_e32 vcc_lo, 0, v[42:43]
	s_or_b32 s13, s13, vcc_lo
	s_delay_alu instid0(SALU_CYCLE_1) | instskip(NEXT) | instid1(SALU_CYCLE_1)
	s_and_saveexec_b32 s76, s13
	s_xor_b32 s13, exec_lo, s76
; %bb.7570:                             ;   in Loop: Header=BB2_7338 Depth=3
	v_min_i32_e32 v2, 31, v44
	s_delay_alu instid0(VALU_DEP_1) | instskip(NEXT) | instid1(VALU_DEP_1)
	v_lshl_or_b32 v2, v2, 2, v17
                                        ; implicit-def: $vgpr17
	v_and_or_b32 v46, v42, 3, v2
; %bb.7571:                             ;   in Loop: Header=BB2_7338 Depth=3
	s_and_not1_saveexec_b32 s13, s13
; %bb.7572:                             ;   in Loop: Header=BB2_7338 Depth=3
	v_mov_b32_e32 v46, v17
; %bb.7573:                             ;   in Loop: Header=BB2_7338 Depth=3
	s_or_b32 exec_lo, exec_lo, s13
.LBB2_7574:                             ;   in Loop: Header=BB2_7338 Depth=3
	s_delay_alu instid0(SALU_CYCLE_1)
	s_or_b32 exec_lo, exec_lo, s75
                                        ; implicit-def: $vgpr17
.LBB2_7575:                             ;   in Loop: Header=BB2_7338 Depth=3
	s_and_not1_saveexec_b32 s13, s15
; %bb.7576:                             ;   in Loop: Header=BB2_7338 Depth=3
	v_or_b32_e32 v46, 0x7b, v17
; %bb.7577:                             ;   in Loop: Header=BB2_7338 Depth=3
	s_or_b32 exec_lo, exec_lo, s13
                                        ; implicit-def: $vgpr42
.LBB2_7578:                             ;   in Loop: Header=BB2_7338 Depth=3
	s_and_not1_saveexec_b32 s13, s14
	s_cbranch_execz .LBB2_7584
; %bb.7579:                             ;   in Loop: Header=BB2_7338 Depth=3
	s_mov_b32 s14, exec_lo
                                        ; implicit-def: $vgpr46
	v_cmpx_ne_u64_e32 0, v[2:3]
	s_xor_b32 s14, exec_lo, s14
; %bb.7580:                             ;   in Loop: Header=BB2_7338 Depth=3
	v_lshrrev_b32_e32 v2, 24, v42
                                        ; implicit-def: $vgpr42
	s_delay_alu instid0(VALU_DEP_1)
	v_or_b32_e32 v46, 0x7f, v2
; %bb.7581:                             ;   in Loop: Header=BB2_7338 Depth=3
	s_and_not1_saveexec_b32 s14, s14
; %bb.7582:                             ;   in Loop: Header=BB2_7338 Depth=3
	v_cmp_lt_i32_e32 vcc_lo, -1, v42
	v_cndmask_b32_e64 v46, -4, 0x7c, vcc_lo
; %bb.7583:                             ;   in Loop: Header=BB2_7338 Depth=3
	s_or_b32 exec_lo, exec_lo, s14
.LBB2_7584:                             ;   in Loop: Header=BB2_7338 Depth=3
	s_delay_alu instid0(SALU_CYCLE_1)
	s_or_b32 exec_lo, exec_lo, s13
	flat_load_i8 v42, v[8:9] offset:224 th:TH_LOAD_NT
	v_mov_b32_e32 v17, 0
	s_mov_b32 s13, exec_lo
	s_wait_loadcnt_dscnt 0x0
	v_cmpx_ne_u16_e32 0, v42
	s_cbranch_execz .LBB2_7594
; %bb.7585:                             ;   in Loop: Header=BB2_7338 Depth=3
	v_bfrev_b32_e32 v17, 1
	s_mov_b32 s14, exec_lo
	v_cmpx_ne_u16_e32 0xff80, v42
	s_cbranch_execz .LBB2_7593
; %bb.7586:                             ;   in Loop: Header=BB2_7338 Depth=3
	v_and_b32_e32 v17, 0x7c, v42
	v_and_b32_e32 v2, 3, v42
	s_delay_alu instid0(VALU_DEP_2) | instskip(SKIP_1) | instid1(SALU_CYCLE_1)
	v_cmp_ne_u32_e32 vcc_lo, 0x7c, v17
                                        ; implicit-def: $vgpr17
	s_and_saveexec_b32 s15, vcc_lo
	s_xor_b32 s15, exec_lo, s15
	s_cbranch_execz .LBB2_7590
; %bb.7587:                             ;   in Loop: Header=BB2_7338 Depth=3
	v_and_b32_e32 v17, 0xff, v42
	s_mov_b32 s75, exec_lo
	s_delay_alu instid0(VALU_DEP_1) | instskip(NEXT) | instid1(VALU_DEP_1)
	v_bfe_u32 v17, v17, 2, 5
	v_cmpx_eq_u32_e32 0, v17
	s_cbranch_execz .LBB2_7589
; %bb.7588:                             ;   in Loop: Header=BB2_7338 Depth=3
	v_clz_i32_u32_e32 v2, v2
	s_delay_alu instid0(VALU_DEP_1) | instskip(SKIP_1) | instid1(VALU_DEP_2)
	v_min_u32_e32 v2, 32, v2
	v_mov_b32_e32 v43, v3
	v_subrev_nc_u32_e32 v17, 29, v2
	s_delay_alu instid0(VALU_DEP_1) | instskip(SKIP_1) | instid1(VALU_DEP_2)
	v_lshlrev_b64_e32 v[18:19], v17, v[42:43]
	v_sub_nc_u32_e32 v17, 30, v2
	v_and_b32_e32 v2, 3, v18
.LBB2_7589:                             ;   in Loop: Header=BB2_7338 Depth=3
	s_or_b32 exec_lo, exec_lo, s75
	v_bfe_i32 v18, v42, 0, 16
                                        ; implicit-def: $vgpr42
	s_delay_alu instid0(VALU_DEP_1) | instskip(NEXT) | instid1(VALU_DEP_1)
	v_and_b32_e32 v18, 0x80000000, v18
	v_lshl_add_u32 v17, v17, 23, v18
	s_delay_alu instid0(VALU_DEP_1) | instskip(NEXT) | instid1(VALU_DEP_1)
	v_lshl_or_b32 v2, v2, 21, v17
	v_add_nc_u32_e32 v17, 0x38000000, v2
                                        ; implicit-def: $vgpr2
.LBB2_7590:                             ;   in Loop: Header=BB2_7338 Depth=3
	s_and_not1_saveexec_b32 s15, s15
; %bb.7591:                             ;   in Loop: Header=BB2_7338 Depth=3
	v_cmp_lt_i16_e32 vcc_lo, -1, v42
	v_cndmask_b32_e32 v17, 0xff800000, v111, vcc_lo
	v_cmp_eq_u32_e32 vcc_lo, 0, v2
	s_delay_alu instid0(VALU_DEP_2)
	v_cndmask_b32_e32 v17, 0x7f800001, v17, vcc_lo
; %bb.7592:                             ;   in Loop: Header=BB2_7338 Depth=3
	s_or_b32 exec_lo, exec_lo, s15
.LBB2_7593:                             ;   in Loop: Header=BB2_7338 Depth=3
	s_delay_alu instid0(SALU_CYCLE_1)
	s_or_b32 exec_lo, exec_lo, s14
.LBB2_7594:                             ;   in Loop: Header=BB2_7338 Depth=3
	s_delay_alu instid0(SALU_CYCLE_1) | instskip(NEXT) | instid1(VALU_DEP_1)
	s_or_b32 exec_lo, exec_lo, s13
	v_dual_mul_f32 v43, s74, v17 :: v_dual_mov_b32 v19, v3
                                        ; implicit-def: $vgpr42
	s_mov_b32 s13, exec_lo
	s_delay_alu instid0(VALU_DEP_1) | instskip(SKIP_1) | instid1(VALU_DEP_2)
	v_and_b32_e32 v18, 0x7f800000, v43
	v_and_b32_e32 v2, 0x7fffff, v43
	v_cmpx_ne_u64_e32 0x7f800000, v[18:19]
	s_xor_b32 s14, exec_lo, s13
	s_cbranch_execz .LBB2_7612
; %bb.7595:                             ;   in Loop: Header=BB2_7338 Depth=3
	v_dual_mov_b32 v19, v3 :: v_dual_lshrrev_b32 v17, 24, v43
	v_and_b32_e32 v18, 0x7fffffff, v43
                                        ; implicit-def: $vgpr42
	s_mov_b32 s13, exec_lo
	s_delay_alu instid0(VALU_DEP_2) | instskip(NEXT) | instid1(VALU_DEP_2)
	v_and_b32_e32 v17, 0x80, v17
	v_cmpx_gt_u64_e32 0x47600001, v[18:19]
	s_xor_b32 s15, exec_lo, s13
	s_cbranch_execz .LBB2_7609
; %bb.7596:                             ;   in Loop: Header=BB2_7338 Depth=3
	v_mov_b32_e32 v42, 0
	s_mov_b32 s74, exec_lo
	v_cmpx_ne_u32_e32 0, v43
	s_cbranch_execz .LBB2_7608
; %bb.7597:                             ;   in Loop: Header=BB2_7338 Depth=3
	v_bfe_u32 v47, v43, 23, 8
	v_or_b32_e32 v42, 0x800000, v2
	s_delay_alu instid0(VALU_DEP_2) | instskip(SKIP_1) | instid1(VALU_DEP_2)
	v_dual_mov_b32 v43, v3 :: v_dual_sub_nc_u32 v18, 0x71, v47
	v_cmp_gt_u32_e32 vcc_lo, 0x72, v47
	v_cndmask_b32_e32 v18, 0, v18, vcc_lo
	v_cmp_eq_u32_e32 vcc_lo, 0, v47
	s_delay_alu instid0(VALU_DEP_2) | instskip(NEXT) | instid1(VALU_DEP_1)
	v_cndmask_b32_e64 v57, v18, 0x70, vcc_lo
	v_dual_cndmask_b32 v42, v42, v2, vcc_lo :: v_dual_add_nc_u32 v18, 21, v57
	v_add_nc_u32_e32 v44, 20, v57
	s_delay_alu instid0(VALU_DEP_2) | instskip(NEXT) | instid1(VALU_DEP_2)
	v_lshlrev_b64_e64 v[18:19], v18, -1
	v_lshlrev_b64_e64 v[44:45], v44, 1
	s_delay_alu instid0(VALU_DEP_2) | instskip(SKIP_1) | instid1(VALU_DEP_4)
	v_bfi_b32 v18, v18, 0, v42
	v_lshrrev_b64 v[42:43], v57, v[42:43]
	v_bfi_b32 v19, v19, 0, 0
	s_delay_alu instid0(VALU_DEP_1) | instskip(NEXT) | instid1(VALU_DEP_3)
	v_cmp_eq_u64_e64 s13, v[18:19], v[44:45]
	v_mov_b64_e32 v[44:45], v[42:43]
	s_and_saveexec_b32 s75, s13
; %bb.7598:                             ;   in Loop: Header=BB2_7338 Depth=3
	v_bfe_u32 v18, v42, 21, 1
	v_mov_b32_e32 v19, v3
	s_delay_alu instid0(VALU_DEP_1) | instskip(NEXT) | instid1(VALU_DEP_1)
	v_add_nc_u64_e32 v[18:19], v[42:43], v[18:19]
	v_add_nc_u64_e32 v[44:45], -1, v[18:19]
; %bb.7599:                             ;   in Loop: Header=BB2_7338 Depth=3
	s_or_b32 exec_lo, exec_lo, s75
	v_add_nc_u32_e32 v2, 0xffffff81, v47
	s_delay_alu instid0(VALU_DEP_2) | instskip(SKIP_2) | instid1(VALU_DEP_3)
	v_and_b32_e32 v19, 0x1fffff, v44
	v_lshrrev_b32_e32 v18, 23, v42
	s_mov_b32 s13, exec_lo
                                        ; implicit-def: $vgpr47
	v_cndmask_b32_e64 v2, v2, 0xffffff82, vcc_lo
	s_delay_alu instid0(VALU_DEP_1) | instskip(SKIP_1) | instid1(VALU_DEP_2)
	v_add3_u32 v44, v57, v2, v18
	v_add_nc_u32_e32 v2, v19, v42
                                        ; implicit-def: $vgpr42_vgpr43
	v_add_nc_u32_e32 v45, 14, v44
	s_delay_alu instid0(VALU_DEP_1)
	v_cmpx_ne_u32_e32 0, v45
	s_xor_b32 s13, exec_lo, s13
; %bb.7600:                             ;   in Loop: Header=BB2_7338 Depth=3
	s_delay_alu instid0(VALU_DEP_3) | instskip(SKIP_1) | instid1(VALU_DEP_1)
	v_cmp_lt_u64_e32 vcc_lo, 0xffffff, v[2:3]
	v_add_nc_u32_e32 v18, 15, v44
	v_cndmask_b32_e32 v47, v45, v18, vcc_lo
	v_cndmask_b32_e64 v18, 0, 1, vcc_lo
	s_delay_alu instid0(VALU_DEP_1)
	v_lshrrev_b64 v[42:43], v18, v[2:3]
; %bb.7601:                             ;   in Loop: Header=BB2_7338 Depth=3
	s_and_not1_saveexec_b32 s13, s13
; %bb.7602:                             ;   in Loop: Header=BB2_7338 Depth=3
	v_mov_b64_e32 v[42:43], v[2:3]
	v_bfe_u32 v47, v2, 23, 1
; %bb.7603:                             ;   in Loop: Header=BB2_7338 Depth=3
	s_or_b32 exec_lo, exec_lo, s13
	s_delay_alu instid0(VALU_DEP_2) | instskip(NEXT) | instid1(VALU_DEP_2)
	v_lshrrev_b64 v[18:19], 21, v[42:43]
	v_cmp_gt_i32_e32 vcc_lo, 32, v47
	v_cmp_ne_u32_e64 s13, 0, v47
                                        ; implicit-def: $vgpr42
	s_delay_alu instid0(VALU_DEP_3) | instskip(NEXT) | instid1(VALU_DEP_1)
	v_dual_cndmask_b32 v45, 0, v19 :: v_dual_cndmask_b32 v44, 3, v18
	v_cmp_ne_u64_e32 vcc_lo, 0, v[44:45]
	s_or_b32 s13, s13, vcc_lo
	s_delay_alu instid0(SALU_CYCLE_1) | instskip(NEXT) | instid1(SALU_CYCLE_1)
	s_and_saveexec_b32 s75, s13
	s_xor_b32 s13, exec_lo, s75
; %bb.7604:                             ;   in Loop: Header=BB2_7338 Depth=3
	v_min_i32_e32 v2, 31, v47
	s_delay_alu instid0(VALU_DEP_1) | instskip(NEXT) | instid1(VALU_DEP_1)
	v_lshl_or_b32 v2, v2, 2, v17
                                        ; implicit-def: $vgpr17
	v_and_or_b32 v42, v44, 3, v2
; %bb.7605:                             ;   in Loop: Header=BB2_7338 Depth=3
	s_and_not1_saveexec_b32 s13, s13
; %bb.7606:                             ;   in Loop: Header=BB2_7338 Depth=3
	v_mov_b32_e32 v42, v17
; %bb.7607:                             ;   in Loop: Header=BB2_7338 Depth=3
	s_or_b32 exec_lo, exec_lo, s13
.LBB2_7608:                             ;   in Loop: Header=BB2_7338 Depth=3
	s_delay_alu instid0(SALU_CYCLE_1)
	s_or_b32 exec_lo, exec_lo, s74
                                        ; implicit-def: $vgpr17
.LBB2_7609:                             ;   in Loop: Header=BB2_7338 Depth=3
	s_and_not1_saveexec_b32 s13, s15
; %bb.7610:                             ;   in Loop: Header=BB2_7338 Depth=3
	v_or_b32_e32 v42, 0x7b, v17
; %bb.7611:                             ;   in Loop: Header=BB2_7338 Depth=3
	s_or_b32 exec_lo, exec_lo, s13
                                        ; implicit-def: $vgpr43
.LBB2_7612:                             ;   in Loop: Header=BB2_7338 Depth=3
	s_and_not1_saveexec_b32 s13, s14
	s_cbranch_execz .LBB2_7618
; %bb.7613:                             ;   in Loop: Header=BB2_7338 Depth=3
	s_mov_b32 s14, exec_lo
                                        ; implicit-def: $vgpr42
	v_cmpx_ne_u64_e32 0, v[2:3]
	s_xor_b32 s14, exec_lo, s14
; %bb.7614:                             ;   in Loop: Header=BB2_7338 Depth=3
	v_lshrrev_b32_e32 v2, 24, v43
                                        ; implicit-def: $vgpr43
	s_delay_alu instid0(VALU_DEP_1)
	v_or_b32_e32 v42, 0x7f, v2
; %bb.7615:                             ;   in Loop: Header=BB2_7338 Depth=3
	s_and_not1_saveexec_b32 s14, s14
; %bb.7616:                             ;   in Loop: Header=BB2_7338 Depth=3
	v_cmp_lt_i32_e32 vcc_lo, -1, v43
	v_cndmask_b32_e64 v42, -4, 0x7c, vcc_lo
; %bb.7617:                             ;   in Loop: Header=BB2_7338 Depth=3
	s_or_b32 exec_lo, exec_lo, s14
.LBB2_7618:                             ;   in Loop: Header=BB2_7338 Depth=3
	s_delay_alu instid0(SALU_CYCLE_1)
	s_or_b32 exec_lo, exec_lo, s13
	s_clause 0x7
	flat_load_i8 v104, v[10:11] th:TH_LOAD_NT
	flat_load_i8 v94, v[10:11] offset:32 th:TH_LOAD_NT
	flat_load_i8 v92, v[10:11] offset:64 th:TH_LOAD_NT
	;; [unrolled: 1-line block ×7, first 2 shown]
	v_and_b32_e32 v45, 0xff, v76
	v_dual_mov_b32 v2, 0 :: v_dual_mov_b32 v17, 0
	s_mov_b32 s13, exec_lo
	s_wait_xcnt 0x0
	s_delay_alu instid0(VALU_DEP_2)
	v_cmpx_ne_u16_e32 0, v45
	s_cbranch_execz .LBB2_7628
; %bb.7619:                             ;   in Loop: Header=BB2_7338 Depth=3
	v_bfrev_b32_e32 v17, 1
	s_mov_b32 s14, exec_lo
	v_cmpx_ne_u16_e32 0x80, v45
	s_cbranch_execz .LBB2_7627
; %bb.7620:                             ;   in Loop: Header=BB2_7338 Depth=3
	v_and_b32_e32 v17, 0x7c, v76
	v_and_b32_e32 v43, 3, v76
	s_delay_alu instid0(VALU_DEP_2) | instskip(SKIP_1) | instid1(SALU_CYCLE_1)
	v_cmp_ne_u32_e32 vcc_lo, 0x7c, v17
                                        ; implicit-def: $vgpr17
	s_and_saveexec_b32 s15, vcc_lo
	s_xor_b32 s15, exec_lo, s15
	s_cbranch_execz .LBB2_7624
; %bb.7621:                             ;   in Loop: Header=BB2_7338 Depth=3
	v_bfe_u32 v17, v45, 2, 5
	s_mov_b32 s74, exec_lo
	s_delay_alu instid0(VALU_DEP_1)
	v_cmpx_eq_u32_e32 0, v17
	s_cbranch_execz .LBB2_7623
; %bb.7622:                             ;   in Loop: Header=BB2_7338 Depth=3
	v_clz_i32_u32_e32 v17, v43
	s_delay_alu instid0(VALU_DEP_1) | instskip(SKIP_1) | instid1(VALU_DEP_2)
	v_min_u32_e32 v17, 32, v17
	v_mov_b32_e32 v77, v3
	v_subrev_nc_u32_e32 v18, 29, v17
	v_sub_nc_u32_e32 v17, 30, v17
	s_delay_alu instid0(VALU_DEP_2) | instskip(NEXT) | instid1(VALU_DEP_1)
	v_lshlrev_b64_e32 v[18:19], v18, v[76:77]
	v_and_b32_e32 v43, 3, v18
.LBB2_7623:                             ;   in Loop: Header=BB2_7338 Depth=3
	s_or_b32 exec_lo, exec_lo, s74
	v_lshlrev_b32_e32 v18, 24, v76
                                        ; implicit-def: $vgpr76
	s_delay_alu instid0(VALU_DEP_1) | instskip(NEXT) | instid1(VALU_DEP_1)
	v_and_b32_e32 v18, 0x80000000, v18
	v_lshl_add_u32 v17, v17, 23, v18
	s_delay_alu instid0(VALU_DEP_1) | instskip(NEXT) | instid1(VALU_DEP_1)
	v_lshl_or_b32 v17, v43, 21, v17
                                        ; implicit-def: $vgpr43
	v_add_nc_u32_e32 v17, 0x38000000, v17
.LBB2_7624:                             ;   in Loop: Header=BB2_7338 Depth=3
	s_and_not1_saveexec_b32 s15, s15
; %bb.7625:                             ;   in Loop: Header=BB2_7338 Depth=3
	v_bfe_i32 v17, v76, 0, 8
	s_delay_alu instid0(VALU_DEP_1) | instskip(SKIP_2) | instid1(VALU_DEP_2)
	v_cmp_lt_i16_e32 vcc_lo, -1, v17
	v_cndmask_b32_e32 v17, 0xff800000, v111, vcc_lo
	v_cmp_eq_u32_e32 vcc_lo, 0, v43
	v_cndmask_b32_e32 v17, 0x7f800001, v17, vcc_lo
; %bb.7626:                             ;   in Loop: Header=BB2_7338 Depth=3
	s_or_b32 exec_lo, exec_lo, s15
.LBB2_7627:                             ;   in Loop: Header=BB2_7338 Depth=3
	s_delay_alu instid0(SALU_CYCLE_1)
	s_or_b32 exec_lo, exec_lo, s14
.LBB2_7628:                             ;   in Loop: Header=BB2_7338 Depth=3
	s_delay_alu instid0(SALU_CYCLE_1) | instskip(NEXT) | instid1(SALU_CYCLE_1)
	s_or_b32 exec_lo, exec_lo, s13
	s_mov_b32 s13, exec_lo
	s_wait_loadcnt_dscnt 0x707
	v_cmpx_ne_u16_e32 0, v104
	s_cbranch_execz .LBB2_7638
; %bb.7629:                             ;   in Loop: Header=BB2_7338 Depth=3
	v_bfrev_b32_e32 v2, 1
	s_mov_b32 s14, exec_lo
	v_cmpx_ne_u16_e32 0xff80, v104
	s_cbranch_execz .LBB2_7637
; %bb.7630:                             ;   in Loop: Header=BB2_7338 Depth=3
	v_and_b32_e32 v2, 0x7c, v104
	v_and_b32_e32 v43, 3, v104
	s_delay_alu instid0(VALU_DEP_2) | instskip(SKIP_1) | instid1(SALU_CYCLE_1)
	v_cmp_ne_u32_e32 vcc_lo, 0x7c, v2
                                        ; implicit-def: $vgpr2
	s_and_saveexec_b32 s15, vcc_lo
	s_xor_b32 s15, exec_lo, s15
	s_cbranch_execz .LBB2_7634
; %bb.7631:                             ;   in Loop: Header=BB2_7338 Depth=3
	v_and_b32_e32 v2, 0xff, v104
	s_mov_b32 s74, exec_lo
	s_delay_alu instid0(VALU_DEP_1) | instskip(NEXT) | instid1(VALU_DEP_1)
	v_bfe_u32 v2, v2, 2, 5
	v_cmpx_eq_u32_e32 0, v2
	s_cbranch_execz .LBB2_7633
; %bb.7632:                             ;   in Loop: Header=BB2_7338 Depth=3
	v_clz_i32_u32_e32 v2, v43
	s_delay_alu instid0(VALU_DEP_1) | instskip(SKIP_1) | instid1(VALU_DEP_2)
	v_min_u32_e32 v2, 32, v2
	v_mov_b32_e32 v105, v3
	v_subrev_nc_u32_e32 v18, 29, v2
	v_sub_nc_u32_e32 v2, 30, v2
	s_delay_alu instid0(VALU_DEP_2) | instskip(NEXT) | instid1(VALU_DEP_1)
	v_lshlrev_b64_e32 v[18:19], v18, v[104:105]
	v_and_b32_e32 v43, 3, v18
.LBB2_7633:                             ;   in Loop: Header=BB2_7338 Depth=3
	s_or_b32 exec_lo, exec_lo, s74
	v_bfe_i32 v18, v104, 0, 16
                                        ; implicit-def: $vgpr104
	s_delay_alu instid0(VALU_DEP_1) | instskip(NEXT) | instid1(VALU_DEP_1)
	v_and_b32_e32 v18, 0x80000000, v18
	v_lshl_add_u32 v2, v2, 23, v18
	s_delay_alu instid0(VALU_DEP_1) | instskip(NEXT) | instid1(VALU_DEP_1)
	v_lshl_or_b32 v2, v43, 21, v2
                                        ; implicit-def: $vgpr43
	v_add_nc_u32_e32 v2, 0x38000000, v2
.LBB2_7634:                             ;   in Loop: Header=BB2_7338 Depth=3
	s_and_not1_saveexec_b32 s15, s15
; %bb.7635:                             ;   in Loop: Header=BB2_7338 Depth=3
	v_cmp_lt_i16_e32 vcc_lo, -1, v104
	v_cndmask_b32_e32 v2, 0xff800000, v111, vcc_lo
	v_cmp_eq_u32_e32 vcc_lo, 0, v43
	s_delay_alu instid0(VALU_DEP_2)
	v_cndmask_b32_e32 v2, 0x7f800001, v2, vcc_lo
; %bb.7636:                             ;   in Loop: Header=BB2_7338 Depth=3
	s_or_b32 exec_lo, exec_lo, s15
.LBB2_7637:                             ;   in Loop: Header=BB2_7338 Depth=3
	s_delay_alu instid0(SALU_CYCLE_1)
	s_or_b32 exec_lo, exec_lo, s14
.LBB2_7638:                             ;   in Loop: Header=BB2_7338 Depth=3
	s_delay_alu instid0(SALU_CYCLE_1) | instskip(NEXT) | instid1(VALU_DEP_1)
	s_or_b32 exec_lo, exec_lo, s13
	v_dual_add_f32 v45, v17, v2 :: v_dual_mov_b32 v19, v3
                                        ; implicit-def: $vgpr17
	s_mov_b32 s13, exec_lo
	s_delay_alu instid0(VALU_DEP_1) | instskip(SKIP_1) | instid1(VALU_DEP_2)
	v_and_b32_e32 v18, 0x7f800000, v45
	v_and_b32_e32 v2, 0x7fffff, v45
	v_cmpx_ne_u64_e32 0x7f800000, v[18:19]
	s_xor_b32 s14, exec_lo, s13
	s_cbranch_execz .LBB2_7656
; %bb.7639:                             ;   in Loop: Header=BB2_7338 Depth=3
	v_dual_mov_b32 v19, v3 :: v_dual_lshrrev_b32 v17, 24, v45
	v_and_b32_e32 v18, 0x7fffffff, v45
	s_mov_b32 s13, exec_lo
	s_delay_alu instid0(VALU_DEP_2) | instskip(NEXT) | instid1(VALU_DEP_2)
	v_and_b32_e32 v43, 0x80, v17
                                        ; implicit-def: $vgpr17
	v_cmpx_gt_u64_e32 0x47600001, v[18:19]
	s_xor_b32 s15, exec_lo, s13
	s_cbranch_execz .LBB2_7653
; %bb.7640:                             ;   in Loop: Header=BB2_7338 Depth=3
	v_mov_b32_e32 v17, 0
	s_mov_b32 s74, exec_lo
	v_cmpx_ne_u32_e32 0, v45
	s_cbranch_execz .LBB2_7652
; %bb.7641:                             ;   in Loop: Header=BB2_7338 Depth=3
	v_bfe_u32 v17, v45, 23, 8
	v_or_b32_e32 v47, 0x800000, v2
	s_delay_alu instid0(VALU_DEP_2) | instskip(SKIP_1) | instid1(VALU_DEP_2)
	v_dual_mov_b32 v77, v3 :: v_dual_sub_nc_u32 v18, 0x71, v17
	v_cmp_gt_u32_e32 vcc_lo, 0x72, v17
	v_cndmask_b32_e32 v18, 0, v18, vcc_lo
	v_cmp_eq_u32_e32 vcc_lo, 0, v17
	s_delay_alu instid0(VALU_DEP_2) | instskip(NEXT) | instid1(VALU_DEP_1)
	v_cndmask_b32_e64 v45, v18, 0x70, vcc_lo
	v_dual_cndmask_b32 v76, v47, v2, vcc_lo :: v_dual_add_nc_u32 v18, 21, v45
	v_add_nc_u32_e32 v57, 20, v45
	s_delay_alu instid0(VALU_DEP_2) | instskip(NEXT) | instid1(VALU_DEP_2)
	v_lshlrev_b64_e64 v[18:19], v18, -1
	v_lshlrev_b64_e64 v[104:105], v57, 1
	s_delay_alu instid0(VALU_DEP_2) | instskip(SKIP_1) | instid1(VALU_DEP_4)
	v_bfi_b32 v18, v18, 0, v76
	v_lshrrev_b64 v[76:77], v45, v[76:77]
	v_bfi_b32 v19, v19, 0, 0
	s_delay_alu instid0(VALU_DEP_1) | instskip(NEXT) | instid1(VALU_DEP_3)
	v_cmp_eq_u64_e64 s13, v[18:19], v[104:105]
	v_mov_b64_e32 v[104:105], v[76:77]
	s_and_saveexec_b32 s75, s13
; %bb.7642:                             ;   in Loop: Header=BB2_7338 Depth=3
	v_bfe_u32 v18, v76, 21, 1
	v_mov_b32_e32 v19, v3
	s_delay_alu instid0(VALU_DEP_1) | instskip(NEXT) | instid1(VALU_DEP_1)
	v_add_nc_u64_e32 v[18:19], v[76:77], v[18:19]
	v_add_nc_u64_e32 v[104:105], -1, v[18:19]
; %bb.7643:                             ;   in Loop: Header=BB2_7338 Depth=3
	s_or_b32 exec_lo, exec_lo, s75
	v_add_nc_u32_e32 v2, 0xffffff81, v17
	s_delay_alu instid0(VALU_DEP_2) | instskip(SKIP_2) | instid1(VALU_DEP_3)
	v_and_b32_e32 v18, 0x1fffff, v104
	v_lshrrev_b32_e32 v17, 23, v76
	s_mov_b32 s13, exec_lo
	v_cndmask_b32_e64 v2, v2, 0xffffff82, vcc_lo
	s_delay_alu instid0(VALU_DEP_1) | instskip(SKIP_1) | instid1(VALU_DEP_2)
	v_add3_u32 v17, v45, v2, v17
	v_add_nc_u32_e32 v2, v18, v76
                                        ; implicit-def: $vgpr76_vgpr77
                                        ; implicit-def: $vgpr45
	v_add_nc_u32_e32 v47, 14, v17
	s_delay_alu instid0(VALU_DEP_1)
	v_cmpx_ne_u32_e32 0, v47
	s_xor_b32 s13, exec_lo, s13
; %bb.7644:                             ;   in Loop: Header=BB2_7338 Depth=3
	s_delay_alu instid0(VALU_DEP_3) | instskip(SKIP_1) | instid1(VALU_DEP_1)
	v_cmp_lt_u64_e32 vcc_lo, 0xffffff, v[2:3]
	v_add_nc_u32_e32 v17, 15, v17
	v_cndmask_b32_e32 v45, v47, v17, vcc_lo
	v_cndmask_b32_e64 v17, 0, 1, vcc_lo
	s_delay_alu instid0(VALU_DEP_1)
	v_lshrrev_b64 v[76:77], v17, v[2:3]
; %bb.7645:                             ;   in Loop: Header=BB2_7338 Depth=3
	s_and_not1_saveexec_b32 s13, s13
; %bb.7646:                             ;   in Loop: Header=BB2_7338 Depth=3
	v_mov_b64_e32 v[76:77], v[2:3]
	v_bfe_u32 v45, v2, 23, 1
; %bb.7647:                             ;   in Loop: Header=BB2_7338 Depth=3
	s_or_b32 exec_lo, exec_lo, s13
	s_delay_alu instid0(VALU_DEP_2) | instskip(NEXT) | instid1(VALU_DEP_2)
	v_lshrrev_b64 v[18:19], 21, v[76:77]
	v_cmp_gt_i32_e32 vcc_lo, 32, v45
	v_cmp_ne_u32_e64 s13, 0, v45
                                        ; implicit-def: $vgpr17
	s_delay_alu instid0(VALU_DEP_3) | instskip(NEXT) | instid1(VALU_DEP_1)
	v_dual_cndmask_b32 v77, 0, v19 :: v_dual_cndmask_b32 v76, 3, v18
	v_cmp_ne_u64_e32 vcc_lo, 0, v[76:77]
	s_or_b32 s13, s13, vcc_lo
	s_delay_alu instid0(SALU_CYCLE_1) | instskip(NEXT) | instid1(SALU_CYCLE_1)
	s_and_saveexec_b32 s75, s13
	s_xor_b32 s13, exec_lo, s75
; %bb.7648:                             ;   in Loop: Header=BB2_7338 Depth=3
	v_min_i32_e32 v2, 31, v45
	s_delay_alu instid0(VALU_DEP_1) | instskip(NEXT) | instid1(VALU_DEP_1)
	v_lshl_or_b32 v2, v2, 2, v43
                                        ; implicit-def: $vgpr43
	v_and_or_b32 v17, v76, 3, v2
; %bb.7649:                             ;   in Loop: Header=BB2_7338 Depth=3
	s_and_not1_saveexec_b32 s13, s13
; %bb.7650:                             ;   in Loop: Header=BB2_7338 Depth=3
	v_mov_b32_e32 v17, v43
; %bb.7651:                             ;   in Loop: Header=BB2_7338 Depth=3
	s_or_b32 exec_lo, exec_lo, s13
.LBB2_7652:                             ;   in Loop: Header=BB2_7338 Depth=3
	s_delay_alu instid0(SALU_CYCLE_1)
	s_or_b32 exec_lo, exec_lo, s74
                                        ; implicit-def: $vgpr43
.LBB2_7653:                             ;   in Loop: Header=BB2_7338 Depth=3
	s_and_not1_saveexec_b32 s13, s15
; %bb.7654:                             ;   in Loop: Header=BB2_7338 Depth=3
	v_or_b32_e32 v17, 0x7b, v43
; %bb.7655:                             ;   in Loop: Header=BB2_7338 Depth=3
	s_or_b32 exec_lo, exec_lo, s13
                                        ; implicit-def: $vgpr45
.LBB2_7656:                             ;   in Loop: Header=BB2_7338 Depth=3
	s_and_not1_saveexec_b32 s13, s14
	s_cbranch_execz .LBB2_7662
; %bb.7657:                             ;   in Loop: Header=BB2_7338 Depth=3
	s_mov_b32 s14, exec_lo
                                        ; implicit-def: $vgpr17
	v_cmpx_ne_u64_e32 0, v[2:3]
	s_xor_b32 s14, exec_lo, s14
; %bb.7658:                             ;   in Loop: Header=BB2_7338 Depth=3
	v_lshrrev_b32_e32 v2, 24, v45
                                        ; implicit-def: $vgpr45
	s_delay_alu instid0(VALU_DEP_1)
	v_or_b32_e32 v17, 0x7f, v2
; %bb.7659:                             ;   in Loop: Header=BB2_7338 Depth=3
	s_and_not1_saveexec_b32 s14, s14
; %bb.7660:                             ;   in Loop: Header=BB2_7338 Depth=3
	v_cmp_lt_i32_e32 vcc_lo, -1, v45
	v_cndmask_b32_e64 v17, -4, 0x7c, vcc_lo
; %bb.7661:                             ;   in Loop: Header=BB2_7338 Depth=3
	s_or_b32 exec_lo, exec_lo, s14
.LBB2_7662:                             ;   in Loop: Header=BB2_7338 Depth=3
	s_delay_alu instid0(SALU_CYCLE_1) | instskip(SKIP_3) | instid1(VALU_DEP_2)
	s_or_b32 exec_lo, exec_lo, s13
	v_and_b32_e32 v47, 0xff, v74
	v_dual_mov_b32 v2, 0 :: v_dual_mov_b32 v43, 0
	s_mov_b32 s13, exec_lo
	v_cmpx_ne_u16_e32 0, v47
	s_cbranch_execz .LBB2_7672
; %bb.7663:                             ;   in Loop: Header=BB2_7338 Depth=3
	v_bfrev_b32_e32 v43, 1
	s_mov_b32 s14, exec_lo
	v_cmpx_ne_u16_e32 0x80, v47
	s_cbranch_execz .LBB2_7671
; %bb.7664:                             ;   in Loop: Header=BB2_7338 Depth=3
	v_and_b32_e32 v18, 0x7c, v74
	v_and_b32_e32 v45, 3, v74
	s_mov_b32 s15, exec_lo
                                        ; implicit-def: $vgpr43
	s_delay_alu instid0(VALU_DEP_2)
	v_cmpx_ne_u32_e32 0x7c, v18
	s_xor_b32 s15, exec_lo, s15
	s_cbranch_execz .LBB2_7668
; %bb.7665:                             ;   in Loop: Header=BB2_7338 Depth=3
	v_bfe_u32 v43, v47, 2, 5
	s_mov_b32 s74, exec_lo
	s_delay_alu instid0(VALU_DEP_1)
	v_cmpx_eq_u32_e32 0, v43
	s_cbranch_execz .LBB2_7667
; %bb.7666:                             ;   in Loop: Header=BB2_7338 Depth=3
	v_clz_i32_u32_e32 v18, v45
	s_delay_alu instid0(VALU_DEP_1) | instskip(SKIP_1) | instid1(VALU_DEP_2)
	v_min_u32_e32 v43, 32, v18
	v_mov_b32_e32 v75, v3
	v_subrev_nc_u32_e32 v18, 29, v43
	v_sub_nc_u32_e32 v43, 30, v43
	s_delay_alu instid0(VALU_DEP_2) | instskip(NEXT) | instid1(VALU_DEP_1)
	v_lshlrev_b64_e32 v[18:19], v18, v[74:75]
	v_and_b32_e32 v45, 3, v18
.LBB2_7667:                             ;   in Loop: Header=BB2_7338 Depth=3
	s_or_b32 exec_lo, exec_lo, s74
	v_lshlrev_b32_e32 v18, 24, v74
                                        ; implicit-def: $vgpr74
	s_delay_alu instid0(VALU_DEP_1) | instskip(NEXT) | instid1(VALU_DEP_1)
	v_and_b32_e32 v18, 0x80000000, v18
	v_lshl_add_u32 v18, v43, 23, v18
	s_delay_alu instid0(VALU_DEP_1) | instskip(NEXT) | instid1(VALU_DEP_1)
	v_lshl_or_b32 v18, v45, 21, v18
                                        ; implicit-def: $vgpr45
	v_add_nc_u32_e32 v43, 0x38000000, v18
.LBB2_7668:                             ;   in Loop: Header=BB2_7338 Depth=3
	s_and_not1_saveexec_b32 s15, s15
; %bb.7669:                             ;   in Loop: Header=BB2_7338 Depth=3
	v_bfe_i32 v18, v74, 0, 8
	s_delay_alu instid0(VALU_DEP_1) | instskip(SKIP_2) | instid1(VALU_DEP_2)
	v_cmp_lt_i16_e32 vcc_lo, -1, v18
	v_cndmask_b32_e32 v18, 0xff800000, v111, vcc_lo
	v_cmp_eq_u32_e32 vcc_lo, 0, v45
	v_cndmask_b32_e32 v43, 0x7f800001, v18, vcc_lo
; %bb.7670:                             ;   in Loop: Header=BB2_7338 Depth=3
	s_or_b32 exec_lo, exec_lo, s15
.LBB2_7671:                             ;   in Loop: Header=BB2_7338 Depth=3
	s_delay_alu instid0(SALU_CYCLE_1)
	s_or_b32 exec_lo, exec_lo, s14
.LBB2_7672:                             ;   in Loop: Header=BB2_7338 Depth=3
	s_delay_alu instid0(SALU_CYCLE_1) | instskip(NEXT) | instid1(SALU_CYCLE_1)
	s_or_b32 exec_lo, exec_lo, s13
	s_mov_b32 s13, exec_lo
	s_wait_loadcnt_dscnt 0x606
	v_cmpx_ne_u16_e32 0, v94
	s_cbranch_execz .LBB2_7682
; %bb.7673:                             ;   in Loop: Header=BB2_7338 Depth=3
	v_bfrev_b32_e32 v2, 1
	s_mov_b32 s14, exec_lo
	v_cmpx_ne_u16_e32 0xff80, v94
	s_cbranch_execz .LBB2_7681
; %bb.7674:                             ;   in Loop: Header=BB2_7338 Depth=3
	v_and_b32_e32 v2, 0x7c, v94
	v_and_b32_e32 v45, 3, v94
	s_delay_alu instid0(VALU_DEP_2) | instskip(SKIP_1) | instid1(SALU_CYCLE_1)
	v_cmp_ne_u32_e32 vcc_lo, 0x7c, v2
                                        ; implicit-def: $vgpr2
	s_and_saveexec_b32 s15, vcc_lo
	s_xor_b32 s15, exec_lo, s15
	s_cbranch_execz .LBB2_7678
; %bb.7675:                             ;   in Loop: Header=BB2_7338 Depth=3
	v_and_b32_e32 v2, 0xff, v94
	s_mov_b32 s74, exec_lo
	s_delay_alu instid0(VALU_DEP_1) | instskip(NEXT) | instid1(VALU_DEP_1)
	v_bfe_u32 v2, v2, 2, 5
	v_cmpx_eq_u32_e32 0, v2
	s_cbranch_execz .LBB2_7677
; %bb.7676:                             ;   in Loop: Header=BB2_7338 Depth=3
	v_clz_i32_u32_e32 v2, v45
	s_delay_alu instid0(VALU_DEP_1) | instskip(SKIP_1) | instid1(VALU_DEP_2)
	v_min_u32_e32 v2, 32, v2
	v_mov_b32_e32 v95, v3
	v_subrev_nc_u32_e32 v18, 29, v2
	v_sub_nc_u32_e32 v2, 30, v2
	s_delay_alu instid0(VALU_DEP_2) | instskip(NEXT) | instid1(VALU_DEP_1)
	v_lshlrev_b64_e32 v[18:19], v18, v[94:95]
	v_and_b32_e32 v45, 3, v18
.LBB2_7677:                             ;   in Loop: Header=BB2_7338 Depth=3
	s_or_b32 exec_lo, exec_lo, s74
	v_bfe_i32 v18, v94, 0, 16
                                        ; implicit-def: $vgpr94
	s_delay_alu instid0(VALU_DEP_1) | instskip(NEXT) | instid1(VALU_DEP_1)
	v_and_b32_e32 v18, 0x80000000, v18
	v_lshl_add_u32 v2, v2, 23, v18
	s_delay_alu instid0(VALU_DEP_1) | instskip(NEXT) | instid1(VALU_DEP_1)
	v_lshl_or_b32 v2, v45, 21, v2
                                        ; implicit-def: $vgpr45
	v_add_nc_u32_e32 v2, 0x38000000, v2
.LBB2_7678:                             ;   in Loop: Header=BB2_7338 Depth=3
	s_and_not1_saveexec_b32 s15, s15
; %bb.7679:                             ;   in Loop: Header=BB2_7338 Depth=3
	v_cmp_lt_i16_e32 vcc_lo, -1, v94
	v_cndmask_b32_e32 v2, 0xff800000, v111, vcc_lo
	v_cmp_eq_u32_e32 vcc_lo, 0, v45
	s_delay_alu instid0(VALU_DEP_2)
	v_cndmask_b32_e32 v2, 0x7f800001, v2, vcc_lo
; %bb.7680:                             ;   in Loop: Header=BB2_7338 Depth=3
	s_or_b32 exec_lo, exec_lo, s15
.LBB2_7681:                             ;   in Loop: Header=BB2_7338 Depth=3
	s_delay_alu instid0(SALU_CYCLE_1)
	s_or_b32 exec_lo, exec_lo, s14
.LBB2_7682:                             ;   in Loop: Header=BB2_7338 Depth=3
	s_delay_alu instid0(SALU_CYCLE_1) | instskip(NEXT) | instid1(VALU_DEP_1)
	s_or_b32 exec_lo, exec_lo, s13
	v_add_f32_e32 v45, v43, v2
	v_mov_b32_e32 v19, v3
                                        ; implicit-def: $vgpr76
	s_mov_b32 s13, exec_lo
	s_delay_alu instid0(VALU_DEP_2) | instskip(SKIP_1) | instid1(VALU_DEP_2)
	v_and_b32_e32 v18, 0x7f800000, v45
	v_and_b32_e32 v2, 0x7fffff, v45
	v_cmpx_ne_u64_e32 0x7f800000, v[18:19]
	s_xor_b32 s14, exec_lo, s13
	s_cbranch_execz .LBB2_7700
; %bb.7683:                             ;   in Loop: Header=BB2_7338 Depth=3
	v_dual_mov_b32 v19, v3 :: v_dual_lshrrev_b32 v43, 24, v45
	v_and_b32_e32 v18, 0x7fffffff, v45
                                        ; implicit-def: $vgpr76
	s_mov_b32 s13, exec_lo
	s_delay_alu instid0(VALU_DEP_2) | instskip(NEXT) | instid1(VALU_DEP_2)
	v_and_b32_e32 v43, 0x80, v43
	v_cmpx_gt_u64_e32 0x47600001, v[18:19]
	s_xor_b32 s15, exec_lo, s13
	s_cbranch_execz .LBB2_7697
; %bb.7684:                             ;   in Loop: Header=BB2_7338 Depth=3
	v_mov_b32_e32 v76, 0
	s_mov_b32 s74, exec_lo
	v_cmpx_ne_u32_e32 0, v45
	s_cbranch_execz .LBB2_7696
; %bb.7685:                             ;   in Loop: Header=BB2_7338 Depth=3
	v_bfe_u32 v45, v45, 23, 8
	v_or_b32_e32 v57, 0x800000, v2
	s_delay_alu instid0(VALU_DEP_2) | instskip(SKIP_1) | instid1(VALU_DEP_2)
	v_dual_mov_b32 v75, v3 :: v_dual_sub_nc_u32 v18, 0x71, v45
	v_cmp_gt_u32_e32 vcc_lo, 0x72, v45
	v_cndmask_b32_e32 v18, 0, v18, vcc_lo
	v_cmp_eq_u32_e32 vcc_lo, 0, v45
	s_delay_alu instid0(VALU_DEP_2) | instskip(NEXT) | instid1(VALU_DEP_1)
	v_cndmask_b32_e64 v47, v18, 0x70, vcc_lo
	v_dual_cndmask_b32 v74, v57, v2, vcc_lo :: v_dual_add_nc_u32 v18, 21, v47
	v_add_nc_u32_e32 v59, 20, v47
	s_delay_alu instid0(VALU_DEP_2) | instskip(NEXT) | instid1(VALU_DEP_2)
	v_lshlrev_b64_e64 v[18:19], v18, -1
	v_lshlrev_b64_e64 v[76:77], v59, 1
	s_delay_alu instid0(VALU_DEP_2) | instskip(SKIP_1) | instid1(VALU_DEP_4)
	v_bfi_b32 v18, v18, 0, v74
	v_lshrrev_b64 v[74:75], v47, v[74:75]
	v_bfi_b32 v19, v19, 0, 0
	s_delay_alu instid0(VALU_DEP_1) | instskip(NEXT) | instid1(VALU_DEP_3)
	v_cmp_eq_u64_e64 s13, v[18:19], v[76:77]
	v_mov_b64_e32 v[76:77], v[74:75]
	s_and_saveexec_b32 s75, s13
; %bb.7686:                             ;   in Loop: Header=BB2_7338 Depth=3
	v_bfe_u32 v18, v74, 21, 1
	v_mov_b32_e32 v19, v3
	s_delay_alu instid0(VALU_DEP_1) | instskip(NEXT) | instid1(VALU_DEP_1)
	v_add_nc_u64_e32 v[18:19], v[74:75], v[18:19]
	v_add_nc_u64_e32 v[76:77], -1, v[18:19]
; %bb.7687:                             ;   in Loop: Header=BB2_7338 Depth=3
	s_or_b32 exec_lo, exec_lo, s75
	v_add_nc_u32_e32 v2, 0xffffff81, v45
	s_delay_alu instid0(VALU_DEP_2) | instskip(SKIP_2) | instid1(VALU_DEP_3)
	v_and_b32_e32 v19, 0x1fffff, v76
	v_lshrrev_b32_e32 v18, 23, v74
	s_mov_b32 s13, exec_lo
                                        ; implicit-def: $vgpr45
	v_cndmask_b32_e64 v2, v2, 0xffffff82, vcc_lo
	s_delay_alu instid0(VALU_DEP_1) | instskip(SKIP_1) | instid1(VALU_DEP_2)
	v_add3_u32 v47, v47, v2, v18
	v_add_nc_u32_e32 v2, v19, v74
                                        ; implicit-def: $vgpr74_vgpr75
	v_add_nc_u32_e32 v57, 14, v47
	s_delay_alu instid0(VALU_DEP_1)
	v_cmpx_ne_u32_e32 0, v57
	s_xor_b32 s13, exec_lo, s13
; %bb.7688:                             ;   in Loop: Header=BB2_7338 Depth=3
	s_delay_alu instid0(VALU_DEP_3) | instskip(SKIP_1) | instid1(VALU_DEP_1)
	v_cmp_lt_u64_e32 vcc_lo, 0xffffff, v[2:3]
	v_add_nc_u32_e32 v18, 15, v47
	v_cndmask_b32_e32 v45, v57, v18, vcc_lo
	v_cndmask_b32_e64 v18, 0, 1, vcc_lo
	s_delay_alu instid0(VALU_DEP_1)
	v_lshrrev_b64 v[74:75], v18, v[2:3]
; %bb.7689:                             ;   in Loop: Header=BB2_7338 Depth=3
	s_and_not1_saveexec_b32 s13, s13
; %bb.7690:                             ;   in Loop: Header=BB2_7338 Depth=3
	v_mov_b64_e32 v[74:75], v[2:3]
	v_bfe_u32 v45, v2, 23, 1
; %bb.7691:                             ;   in Loop: Header=BB2_7338 Depth=3
	s_or_b32 exec_lo, exec_lo, s13
	s_delay_alu instid0(VALU_DEP_2) | instskip(NEXT) | instid1(VALU_DEP_2)
	v_lshrrev_b64 v[18:19], 21, v[74:75]
	v_cmp_gt_i32_e32 vcc_lo, 32, v45
	v_cmp_ne_u32_e64 s13, 0, v45
                                        ; implicit-def: $vgpr76
	s_delay_alu instid0(VALU_DEP_3) | instskip(NEXT) | instid1(VALU_DEP_1)
	v_dual_cndmask_b32 v75, 0, v19 :: v_dual_cndmask_b32 v74, 3, v18
	v_cmp_ne_u64_e32 vcc_lo, 0, v[74:75]
	s_or_b32 s13, s13, vcc_lo
	s_delay_alu instid0(SALU_CYCLE_1) | instskip(NEXT) | instid1(SALU_CYCLE_1)
	s_and_saveexec_b32 s75, s13
	s_xor_b32 s13, exec_lo, s75
; %bb.7692:                             ;   in Loop: Header=BB2_7338 Depth=3
	v_min_i32_e32 v2, 31, v45
	s_delay_alu instid0(VALU_DEP_1) | instskip(NEXT) | instid1(VALU_DEP_1)
	v_lshl_or_b32 v2, v2, 2, v43
                                        ; implicit-def: $vgpr43
	v_and_or_b32 v76, v74, 3, v2
; %bb.7693:                             ;   in Loop: Header=BB2_7338 Depth=3
	s_and_not1_saveexec_b32 s13, s13
; %bb.7694:                             ;   in Loop: Header=BB2_7338 Depth=3
	v_mov_b32_e32 v76, v43
; %bb.7695:                             ;   in Loop: Header=BB2_7338 Depth=3
	s_or_b32 exec_lo, exec_lo, s13
.LBB2_7696:                             ;   in Loop: Header=BB2_7338 Depth=3
	s_delay_alu instid0(SALU_CYCLE_1)
	s_or_b32 exec_lo, exec_lo, s74
                                        ; implicit-def: $vgpr43
.LBB2_7697:                             ;   in Loop: Header=BB2_7338 Depth=3
	s_and_not1_saveexec_b32 s13, s15
; %bb.7698:                             ;   in Loop: Header=BB2_7338 Depth=3
	v_or_b32_e32 v76, 0x7b, v43
; %bb.7699:                             ;   in Loop: Header=BB2_7338 Depth=3
	s_or_b32 exec_lo, exec_lo, s13
                                        ; implicit-def: $vgpr45
.LBB2_7700:                             ;   in Loop: Header=BB2_7338 Depth=3
	s_and_not1_saveexec_b32 s13, s14
	s_cbranch_execz .LBB2_7706
; %bb.7701:                             ;   in Loop: Header=BB2_7338 Depth=3
	s_mov_b32 s14, exec_lo
                                        ; implicit-def: $vgpr76
	v_cmpx_ne_u64_e32 0, v[2:3]
	s_xor_b32 s14, exec_lo, s14
; %bb.7702:                             ;   in Loop: Header=BB2_7338 Depth=3
	v_lshrrev_b32_e32 v2, 24, v45
                                        ; implicit-def: $vgpr45
	s_delay_alu instid0(VALU_DEP_1)
	v_or_b32_e32 v76, 0x7f, v2
; %bb.7703:                             ;   in Loop: Header=BB2_7338 Depth=3
	s_and_not1_saveexec_b32 s14, s14
; %bb.7704:                             ;   in Loop: Header=BB2_7338 Depth=3
	v_cmp_lt_i32_e32 vcc_lo, -1, v45
	v_cndmask_b32_e64 v76, -4, 0x7c, vcc_lo
; %bb.7705:                             ;   in Loop: Header=BB2_7338 Depth=3
	s_or_b32 exec_lo, exec_lo, s14
.LBB2_7706:                             ;   in Loop: Header=BB2_7338 Depth=3
	s_delay_alu instid0(SALU_CYCLE_1) | instskip(SKIP_3) | instid1(VALU_DEP_2)
	s_or_b32 exec_lo, exec_lo, s13
	v_and_b32_e32 v47, 0xff, v72
	v_dual_mov_b32 v2, 0 :: v_dual_mov_b32 v43, 0
	s_mov_b32 s13, exec_lo
	v_cmpx_ne_u16_e32 0, v47
	s_cbranch_execz .LBB2_7716
; %bb.7707:                             ;   in Loop: Header=BB2_7338 Depth=3
	v_bfrev_b32_e32 v43, 1
	s_mov_b32 s14, exec_lo
	v_cmpx_ne_u16_e32 0x80, v47
	s_cbranch_execz .LBB2_7715
; %bb.7708:                             ;   in Loop: Header=BB2_7338 Depth=3
	v_and_b32_e32 v18, 0x7c, v72
	v_and_b32_e32 v45, 3, v72
	s_mov_b32 s15, exec_lo
                                        ; implicit-def: $vgpr43
	s_delay_alu instid0(VALU_DEP_2)
	v_cmpx_ne_u32_e32 0x7c, v18
	s_xor_b32 s15, exec_lo, s15
	s_cbranch_execz .LBB2_7712
; %bb.7709:                             ;   in Loop: Header=BB2_7338 Depth=3
	v_bfe_u32 v43, v47, 2, 5
	s_mov_b32 s74, exec_lo
	s_delay_alu instid0(VALU_DEP_1)
	v_cmpx_eq_u32_e32 0, v43
	s_cbranch_execz .LBB2_7711
; %bb.7710:                             ;   in Loop: Header=BB2_7338 Depth=3
	v_clz_i32_u32_e32 v18, v45
	s_delay_alu instid0(VALU_DEP_1) | instskip(SKIP_1) | instid1(VALU_DEP_2)
	v_min_u32_e32 v43, 32, v18
	v_mov_b32_e32 v73, v3
	v_subrev_nc_u32_e32 v18, 29, v43
	v_sub_nc_u32_e32 v43, 30, v43
	s_delay_alu instid0(VALU_DEP_2) | instskip(NEXT) | instid1(VALU_DEP_1)
	v_lshlrev_b64_e32 v[18:19], v18, v[72:73]
	v_and_b32_e32 v45, 3, v18
.LBB2_7711:                             ;   in Loop: Header=BB2_7338 Depth=3
	s_or_b32 exec_lo, exec_lo, s74
	v_lshlrev_b32_e32 v18, 24, v72
                                        ; implicit-def: $vgpr72
	s_delay_alu instid0(VALU_DEP_1) | instskip(NEXT) | instid1(VALU_DEP_1)
	v_and_b32_e32 v18, 0x80000000, v18
	v_lshl_add_u32 v18, v43, 23, v18
	s_delay_alu instid0(VALU_DEP_1) | instskip(NEXT) | instid1(VALU_DEP_1)
	v_lshl_or_b32 v18, v45, 21, v18
                                        ; implicit-def: $vgpr45
	v_add_nc_u32_e32 v43, 0x38000000, v18
.LBB2_7712:                             ;   in Loop: Header=BB2_7338 Depth=3
	s_and_not1_saveexec_b32 s15, s15
; %bb.7713:                             ;   in Loop: Header=BB2_7338 Depth=3
	v_bfe_i32 v18, v72, 0, 8
	s_delay_alu instid0(VALU_DEP_1) | instskip(SKIP_2) | instid1(VALU_DEP_2)
	v_cmp_lt_i16_e32 vcc_lo, -1, v18
	v_cndmask_b32_e32 v18, 0xff800000, v111, vcc_lo
	v_cmp_eq_u32_e32 vcc_lo, 0, v45
	v_cndmask_b32_e32 v43, 0x7f800001, v18, vcc_lo
; %bb.7714:                             ;   in Loop: Header=BB2_7338 Depth=3
	s_or_b32 exec_lo, exec_lo, s15
.LBB2_7715:                             ;   in Loop: Header=BB2_7338 Depth=3
	s_delay_alu instid0(SALU_CYCLE_1)
	s_or_b32 exec_lo, exec_lo, s14
.LBB2_7716:                             ;   in Loop: Header=BB2_7338 Depth=3
	s_delay_alu instid0(SALU_CYCLE_1) | instskip(NEXT) | instid1(SALU_CYCLE_1)
	s_or_b32 exec_lo, exec_lo, s13
	s_mov_b32 s13, exec_lo
	s_wait_loadcnt_dscnt 0x505
	v_cmpx_ne_u16_e32 0, v92
	s_cbranch_execz .LBB2_7726
; %bb.7717:                             ;   in Loop: Header=BB2_7338 Depth=3
	v_bfrev_b32_e32 v2, 1
	s_mov_b32 s14, exec_lo
	v_cmpx_ne_u16_e32 0xff80, v92
	s_cbranch_execz .LBB2_7725
; %bb.7718:                             ;   in Loop: Header=BB2_7338 Depth=3
	v_and_b32_e32 v2, 0x7c, v92
	v_and_b32_e32 v45, 3, v92
	s_delay_alu instid0(VALU_DEP_2) | instskip(SKIP_1) | instid1(SALU_CYCLE_1)
	v_cmp_ne_u32_e32 vcc_lo, 0x7c, v2
                                        ; implicit-def: $vgpr2
	s_and_saveexec_b32 s15, vcc_lo
	s_xor_b32 s15, exec_lo, s15
	s_cbranch_execz .LBB2_7722
; %bb.7719:                             ;   in Loop: Header=BB2_7338 Depth=3
	v_and_b32_e32 v2, 0xff, v92
	s_mov_b32 s74, exec_lo
	s_delay_alu instid0(VALU_DEP_1) | instskip(NEXT) | instid1(VALU_DEP_1)
	v_bfe_u32 v2, v2, 2, 5
	v_cmpx_eq_u32_e32 0, v2
	s_cbranch_execz .LBB2_7721
; %bb.7720:                             ;   in Loop: Header=BB2_7338 Depth=3
	v_clz_i32_u32_e32 v2, v45
	s_delay_alu instid0(VALU_DEP_1) | instskip(SKIP_1) | instid1(VALU_DEP_2)
	v_min_u32_e32 v2, 32, v2
	v_mov_b32_e32 v93, v3
	v_subrev_nc_u32_e32 v18, 29, v2
	v_sub_nc_u32_e32 v2, 30, v2
	s_delay_alu instid0(VALU_DEP_2) | instskip(NEXT) | instid1(VALU_DEP_1)
	v_lshlrev_b64_e32 v[18:19], v18, v[92:93]
	v_and_b32_e32 v45, 3, v18
.LBB2_7721:                             ;   in Loop: Header=BB2_7338 Depth=3
	s_or_b32 exec_lo, exec_lo, s74
	v_bfe_i32 v18, v92, 0, 16
                                        ; implicit-def: $vgpr92
	s_delay_alu instid0(VALU_DEP_1) | instskip(NEXT) | instid1(VALU_DEP_1)
	v_and_b32_e32 v18, 0x80000000, v18
	v_lshl_add_u32 v2, v2, 23, v18
	s_delay_alu instid0(VALU_DEP_1) | instskip(NEXT) | instid1(VALU_DEP_1)
	v_lshl_or_b32 v2, v45, 21, v2
                                        ; implicit-def: $vgpr45
	v_add_nc_u32_e32 v2, 0x38000000, v2
.LBB2_7722:                             ;   in Loop: Header=BB2_7338 Depth=3
	s_and_not1_saveexec_b32 s15, s15
; %bb.7723:                             ;   in Loop: Header=BB2_7338 Depth=3
	v_cmp_lt_i16_e32 vcc_lo, -1, v92
	v_cndmask_b32_e32 v2, 0xff800000, v111, vcc_lo
	v_cmp_eq_u32_e32 vcc_lo, 0, v45
	s_delay_alu instid0(VALU_DEP_2)
	v_cndmask_b32_e32 v2, 0x7f800001, v2, vcc_lo
; %bb.7724:                             ;   in Loop: Header=BB2_7338 Depth=3
	s_or_b32 exec_lo, exec_lo, s15
.LBB2_7725:                             ;   in Loop: Header=BB2_7338 Depth=3
	s_delay_alu instid0(SALU_CYCLE_1)
	s_or_b32 exec_lo, exec_lo, s14
.LBB2_7726:                             ;   in Loop: Header=BB2_7338 Depth=3
	s_delay_alu instid0(SALU_CYCLE_1) | instskip(NEXT) | instid1(VALU_DEP_1)
	s_or_b32 exec_lo, exec_lo, s13
	v_add_f32_e32 v45, v43, v2
	v_mov_b32_e32 v19, v3
                                        ; implicit-def: $vgpr74
	s_mov_b32 s13, exec_lo
	s_delay_alu instid0(VALU_DEP_2) | instskip(SKIP_1) | instid1(VALU_DEP_2)
	v_and_b32_e32 v18, 0x7f800000, v45
	v_and_b32_e32 v2, 0x7fffff, v45
	v_cmpx_ne_u64_e32 0x7f800000, v[18:19]
	s_xor_b32 s14, exec_lo, s13
	s_cbranch_execz .LBB2_7744
; %bb.7727:                             ;   in Loop: Header=BB2_7338 Depth=3
	v_dual_mov_b32 v19, v3 :: v_dual_lshrrev_b32 v43, 24, v45
	v_and_b32_e32 v18, 0x7fffffff, v45
                                        ; implicit-def: $vgpr74
	s_mov_b32 s13, exec_lo
	s_delay_alu instid0(VALU_DEP_2) | instskip(NEXT) | instid1(VALU_DEP_2)
	v_and_b32_e32 v43, 0x80, v43
	v_cmpx_gt_u64_e32 0x47600001, v[18:19]
	s_xor_b32 s15, exec_lo, s13
	s_cbranch_execz .LBB2_7741
; %bb.7728:                             ;   in Loop: Header=BB2_7338 Depth=3
	v_mov_b32_e32 v74, 0
	s_mov_b32 s74, exec_lo
	v_cmpx_ne_u32_e32 0, v45
	s_cbranch_execz .LBB2_7740
; %bb.7729:                             ;   in Loop: Header=BB2_7338 Depth=3
	v_bfe_u32 v45, v45, 23, 8
	v_or_b32_e32 v57, 0x800000, v2
	s_delay_alu instid0(VALU_DEP_2) | instskip(SKIP_1) | instid1(VALU_DEP_2)
	v_dual_mov_b32 v73, v3 :: v_dual_sub_nc_u32 v18, 0x71, v45
	v_cmp_gt_u32_e32 vcc_lo, 0x72, v45
	v_cndmask_b32_e32 v18, 0, v18, vcc_lo
	v_cmp_eq_u32_e32 vcc_lo, 0, v45
	s_delay_alu instid0(VALU_DEP_2) | instskip(NEXT) | instid1(VALU_DEP_1)
	v_cndmask_b32_e64 v47, v18, 0x70, vcc_lo
	v_dual_cndmask_b32 v72, v57, v2, vcc_lo :: v_dual_add_nc_u32 v18, 21, v47
	v_add_nc_u32_e32 v59, 20, v47
	s_delay_alu instid0(VALU_DEP_2) | instskip(NEXT) | instid1(VALU_DEP_2)
	v_lshlrev_b64_e64 v[18:19], v18, -1
	v_lshlrev_b64_e64 v[74:75], v59, 1
	s_delay_alu instid0(VALU_DEP_2) | instskip(SKIP_1) | instid1(VALU_DEP_4)
	v_bfi_b32 v18, v18, 0, v72
	v_lshrrev_b64 v[72:73], v47, v[72:73]
	v_bfi_b32 v19, v19, 0, 0
	s_delay_alu instid0(VALU_DEP_1) | instskip(NEXT) | instid1(VALU_DEP_3)
	v_cmp_eq_u64_e64 s13, v[18:19], v[74:75]
	v_mov_b64_e32 v[74:75], v[72:73]
	s_and_saveexec_b32 s75, s13
; %bb.7730:                             ;   in Loop: Header=BB2_7338 Depth=3
	v_bfe_u32 v18, v72, 21, 1
	v_mov_b32_e32 v19, v3
	s_delay_alu instid0(VALU_DEP_1) | instskip(NEXT) | instid1(VALU_DEP_1)
	v_add_nc_u64_e32 v[18:19], v[72:73], v[18:19]
	v_add_nc_u64_e32 v[74:75], -1, v[18:19]
; %bb.7731:                             ;   in Loop: Header=BB2_7338 Depth=3
	s_or_b32 exec_lo, exec_lo, s75
	v_add_nc_u32_e32 v2, 0xffffff81, v45
	s_delay_alu instid0(VALU_DEP_2) | instskip(SKIP_2) | instid1(VALU_DEP_3)
	v_and_b32_e32 v19, 0x1fffff, v74
	v_lshrrev_b32_e32 v18, 23, v72
	s_mov_b32 s13, exec_lo
                                        ; implicit-def: $vgpr45
	v_cndmask_b32_e64 v2, v2, 0xffffff82, vcc_lo
	s_delay_alu instid0(VALU_DEP_1) | instskip(SKIP_1) | instid1(VALU_DEP_2)
	v_add3_u32 v47, v47, v2, v18
	v_add_nc_u32_e32 v2, v19, v72
                                        ; implicit-def: $vgpr72_vgpr73
	v_add_nc_u32_e32 v57, 14, v47
	s_delay_alu instid0(VALU_DEP_1)
	v_cmpx_ne_u32_e32 0, v57
	s_xor_b32 s13, exec_lo, s13
; %bb.7732:                             ;   in Loop: Header=BB2_7338 Depth=3
	s_delay_alu instid0(VALU_DEP_3) | instskip(SKIP_1) | instid1(VALU_DEP_1)
	v_cmp_lt_u64_e32 vcc_lo, 0xffffff, v[2:3]
	v_add_nc_u32_e32 v18, 15, v47
	v_cndmask_b32_e32 v45, v57, v18, vcc_lo
	v_cndmask_b32_e64 v18, 0, 1, vcc_lo
	s_delay_alu instid0(VALU_DEP_1)
	v_lshrrev_b64 v[72:73], v18, v[2:3]
; %bb.7733:                             ;   in Loop: Header=BB2_7338 Depth=3
	s_and_not1_saveexec_b32 s13, s13
; %bb.7734:                             ;   in Loop: Header=BB2_7338 Depth=3
	v_mov_b64_e32 v[72:73], v[2:3]
	v_bfe_u32 v45, v2, 23, 1
; %bb.7735:                             ;   in Loop: Header=BB2_7338 Depth=3
	s_or_b32 exec_lo, exec_lo, s13
	s_delay_alu instid0(VALU_DEP_2) | instskip(NEXT) | instid1(VALU_DEP_2)
	v_lshrrev_b64 v[18:19], 21, v[72:73]
	v_cmp_gt_i32_e32 vcc_lo, 32, v45
	v_cmp_ne_u32_e64 s13, 0, v45
                                        ; implicit-def: $vgpr74
	s_delay_alu instid0(VALU_DEP_3) | instskip(NEXT) | instid1(VALU_DEP_1)
	v_dual_cndmask_b32 v73, 0, v19 :: v_dual_cndmask_b32 v72, 3, v18
	v_cmp_ne_u64_e32 vcc_lo, 0, v[72:73]
	s_or_b32 s13, s13, vcc_lo
	s_delay_alu instid0(SALU_CYCLE_1) | instskip(NEXT) | instid1(SALU_CYCLE_1)
	s_and_saveexec_b32 s75, s13
	s_xor_b32 s13, exec_lo, s75
; %bb.7736:                             ;   in Loop: Header=BB2_7338 Depth=3
	v_min_i32_e32 v2, 31, v45
	s_delay_alu instid0(VALU_DEP_1) | instskip(NEXT) | instid1(VALU_DEP_1)
	v_lshl_or_b32 v2, v2, 2, v43
                                        ; implicit-def: $vgpr43
	v_and_or_b32 v74, v72, 3, v2
; %bb.7737:                             ;   in Loop: Header=BB2_7338 Depth=3
	s_and_not1_saveexec_b32 s13, s13
; %bb.7738:                             ;   in Loop: Header=BB2_7338 Depth=3
	v_mov_b32_e32 v74, v43
; %bb.7739:                             ;   in Loop: Header=BB2_7338 Depth=3
	s_or_b32 exec_lo, exec_lo, s13
.LBB2_7740:                             ;   in Loop: Header=BB2_7338 Depth=3
	s_delay_alu instid0(SALU_CYCLE_1)
	s_or_b32 exec_lo, exec_lo, s74
                                        ; implicit-def: $vgpr43
.LBB2_7741:                             ;   in Loop: Header=BB2_7338 Depth=3
	s_and_not1_saveexec_b32 s13, s15
; %bb.7742:                             ;   in Loop: Header=BB2_7338 Depth=3
	v_or_b32_e32 v74, 0x7b, v43
; %bb.7743:                             ;   in Loop: Header=BB2_7338 Depth=3
	s_or_b32 exec_lo, exec_lo, s13
                                        ; implicit-def: $vgpr45
.LBB2_7744:                             ;   in Loop: Header=BB2_7338 Depth=3
	s_and_not1_saveexec_b32 s13, s14
	s_cbranch_execz .LBB2_7750
; %bb.7745:                             ;   in Loop: Header=BB2_7338 Depth=3
	s_mov_b32 s14, exec_lo
                                        ; implicit-def: $vgpr74
	v_cmpx_ne_u64_e32 0, v[2:3]
	s_xor_b32 s14, exec_lo, s14
; %bb.7746:                             ;   in Loop: Header=BB2_7338 Depth=3
	v_lshrrev_b32_e32 v2, 24, v45
                                        ; implicit-def: $vgpr45
	s_delay_alu instid0(VALU_DEP_1)
	v_or_b32_e32 v74, 0x7f, v2
; %bb.7747:                             ;   in Loop: Header=BB2_7338 Depth=3
	s_and_not1_saveexec_b32 s14, s14
; %bb.7748:                             ;   in Loop: Header=BB2_7338 Depth=3
	v_cmp_lt_i32_e32 vcc_lo, -1, v45
	v_cndmask_b32_e64 v74, -4, 0x7c, vcc_lo
; %bb.7749:                             ;   in Loop: Header=BB2_7338 Depth=3
	s_or_b32 exec_lo, exec_lo, s14
.LBB2_7750:                             ;   in Loop: Header=BB2_7338 Depth=3
	s_delay_alu instid0(SALU_CYCLE_1) | instskip(SKIP_3) | instid1(VALU_DEP_2)
	s_or_b32 exec_lo, exec_lo, s13
	v_and_b32_e32 v47, 0xff, v60
	v_dual_mov_b32 v2, 0 :: v_dual_mov_b32 v43, 0
	s_mov_b32 s13, exec_lo
	v_cmpx_ne_u16_e32 0, v47
	s_cbranch_execz .LBB2_7760
; %bb.7751:                             ;   in Loop: Header=BB2_7338 Depth=3
	v_bfrev_b32_e32 v43, 1
	s_mov_b32 s14, exec_lo
	v_cmpx_ne_u16_e32 0x80, v47
	s_cbranch_execz .LBB2_7759
; %bb.7752:                             ;   in Loop: Header=BB2_7338 Depth=3
	v_and_b32_e32 v18, 0x7c, v60
	v_and_b32_e32 v45, 3, v60
	s_mov_b32 s15, exec_lo
                                        ; implicit-def: $vgpr43
	s_delay_alu instid0(VALU_DEP_2)
	v_cmpx_ne_u32_e32 0x7c, v18
	s_xor_b32 s15, exec_lo, s15
	s_cbranch_execz .LBB2_7756
; %bb.7753:                             ;   in Loop: Header=BB2_7338 Depth=3
	v_bfe_u32 v43, v47, 2, 5
	s_mov_b32 s74, exec_lo
	s_delay_alu instid0(VALU_DEP_1)
	v_cmpx_eq_u32_e32 0, v43
	s_cbranch_execz .LBB2_7755
; %bb.7754:                             ;   in Loop: Header=BB2_7338 Depth=3
	v_clz_i32_u32_e32 v18, v45
	s_delay_alu instid0(VALU_DEP_1) | instskip(SKIP_1) | instid1(VALU_DEP_2)
	v_min_u32_e32 v43, 32, v18
	v_mov_b32_e32 v61, v3
	v_subrev_nc_u32_e32 v18, 29, v43
	v_sub_nc_u32_e32 v43, 30, v43
	s_delay_alu instid0(VALU_DEP_2) | instskip(NEXT) | instid1(VALU_DEP_1)
	v_lshlrev_b64_e32 v[18:19], v18, v[60:61]
	v_and_b32_e32 v45, 3, v18
.LBB2_7755:                             ;   in Loop: Header=BB2_7338 Depth=3
	s_or_b32 exec_lo, exec_lo, s74
	v_lshlrev_b32_e32 v18, 24, v60
                                        ; implicit-def: $vgpr60
	s_delay_alu instid0(VALU_DEP_1) | instskip(NEXT) | instid1(VALU_DEP_1)
	v_and_b32_e32 v18, 0x80000000, v18
	v_lshl_add_u32 v18, v43, 23, v18
	s_delay_alu instid0(VALU_DEP_1) | instskip(NEXT) | instid1(VALU_DEP_1)
	v_lshl_or_b32 v18, v45, 21, v18
                                        ; implicit-def: $vgpr45
	v_add_nc_u32_e32 v43, 0x38000000, v18
.LBB2_7756:                             ;   in Loop: Header=BB2_7338 Depth=3
	s_and_not1_saveexec_b32 s15, s15
; %bb.7757:                             ;   in Loop: Header=BB2_7338 Depth=3
	v_bfe_i32 v18, v60, 0, 8
	s_delay_alu instid0(VALU_DEP_1) | instskip(SKIP_2) | instid1(VALU_DEP_2)
	v_cmp_lt_i16_e32 vcc_lo, -1, v18
	v_cndmask_b32_e32 v18, 0xff800000, v111, vcc_lo
	v_cmp_eq_u32_e32 vcc_lo, 0, v45
	v_cndmask_b32_e32 v43, 0x7f800001, v18, vcc_lo
; %bb.7758:                             ;   in Loop: Header=BB2_7338 Depth=3
	s_or_b32 exec_lo, exec_lo, s15
.LBB2_7759:                             ;   in Loop: Header=BB2_7338 Depth=3
	s_delay_alu instid0(SALU_CYCLE_1)
	s_or_b32 exec_lo, exec_lo, s14
.LBB2_7760:                             ;   in Loop: Header=BB2_7338 Depth=3
	s_delay_alu instid0(SALU_CYCLE_1) | instskip(NEXT) | instid1(SALU_CYCLE_1)
	s_or_b32 exec_lo, exec_lo, s13
	s_mov_b32 s13, exec_lo
	s_wait_loadcnt_dscnt 0x404
	v_cmpx_ne_u16_e32 0, v90
	s_cbranch_execz .LBB2_7770
; %bb.7761:                             ;   in Loop: Header=BB2_7338 Depth=3
	v_bfrev_b32_e32 v2, 1
	s_mov_b32 s14, exec_lo
	v_cmpx_ne_u16_e32 0xff80, v90
	s_cbranch_execz .LBB2_7769
; %bb.7762:                             ;   in Loop: Header=BB2_7338 Depth=3
	v_and_b32_e32 v2, 0x7c, v90
	v_and_b32_e32 v45, 3, v90
	s_delay_alu instid0(VALU_DEP_2) | instskip(SKIP_1) | instid1(SALU_CYCLE_1)
	v_cmp_ne_u32_e32 vcc_lo, 0x7c, v2
                                        ; implicit-def: $vgpr2
	s_and_saveexec_b32 s15, vcc_lo
	s_xor_b32 s15, exec_lo, s15
	s_cbranch_execz .LBB2_7766
; %bb.7763:                             ;   in Loop: Header=BB2_7338 Depth=3
	v_and_b32_e32 v2, 0xff, v90
	s_mov_b32 s74, exec_lo
	s_delay_alu instid0(VALU_DEP_1) | instskip(NEXT) | instid1(VALU_DEP_1)
	v_bfe_u32 v2, v2, 2, 5
	v_cmpx_eq_u32_e32 0, v2
	s_cbranch_execz .LBB2_7765
; %bb.7764:                             ;   in Loop: Header=BB2_7338 Depth=3
	v_clz_i32_u32_e32 v2, v45
	s_delay_alu instid0(VALU_DEP_1) | instskip(SKIP_1) | instid1(VALU_DEP_2)
	v_min_u32_e32 v2, 32, v2
	v_mov_b32_e32 v91, v3
	v_subrev_nc_u32_e32 v18, 29, v2
	v_sub_nc_u32_e32 v2, 30, v2
	s_delay_alu instid0(VALU_DEP_2) | instskip(NEXT) | instid1(VALU_DEP_1)
	v_lshlrev_b64_e32 v[18:19], v18, v[90:91]
	v_and_b32_e32 v45, 3, v18
.LBB2_7765:                             ;   in Loop: Header=BB2_7338 Depth=3
	s_or_b32 exec_lo, exec_lo, s74
	v_bfe_i32 v18, v90, 0, 16
                                        ; implicit-def: $vgpr90
	s_delay_alu instid0(VALU_DEP_1) | instskip(NEXT) | instid1(VALU_DEP_1)
	v_and_b32_e32 v18, 0x80000000, v18
	v_lshl_add_u32 v2, v2, 23, v18
	s_delay_alu instid0(VALU_DEP_1) | instskip(NEXT) | instid1(VALU_DEP_1)
	v_lshl_or_b32 v2, v45, 21, v2
                                        ; implicit-def: $vgpr45
	v_add_nc_u32_e32 v2, 0x38000000, v2
.LBB2_7766:                             ;   in Loop: Header=BB2_7338 Depth=3
	s_and_not1_saveexec_b32 s15, s15
; %bb.7767:                             ;   in Loop: Header=BB2_7338 Depth=3
	v_cmp_lt_i16_e32 vcc_lo, -1, v90
	v_cndmask_b32_e32 v2, 0xff800000, v111, vcc_lo
	v_cmp_eq_u32_e32 vcc_lo, 0, v45
	s_delay_alu instid0(VALU_DEP_2)
	v_cndmask_b32_e32 v2, 0x7f800001, v2, vcc_lo
; %bb.7768:                             ;   in Loop: Header=BB2_7338 Depth=3
	s_or_b32 exec_lo, exec_lo, s15
.LBB2_7769:                             ;   in Loop: Header=BB2_7338 Depth=3
	s_delay_alu instid0(SALU_CYCLE_1)
	s_or_b32 exec_lo, exec_lo, s14
.LBB2_7770:                             ;   in Loop: Header=BB2_7338 Depth=3
	s_delay_alu instid0(SALU_CYCLE_1) | instskip(NEXT) | instid1(VALU_DEP_1)
	s_or_b32 exec_lo, exec_lo, s13
	v_add_f32_e32 v45, v43, v2
	v_mov_b32_e32 v19, v3
                                        ; implicit-def: $vgpr72
	s_mov_b32 s13, exec_lo
	s_delay_alu instid0(VALU_DEP_2) | instskip(SKIP_1) | instid1(VALU_DEP_2)
	v_and_b32_e32 v18, 0x7f800000, v45
	v_and_b32_e32 v2, 0x7fffff, v45
	v_cmpx_ne_u64_e32 0x7f800000, v[18:19]
	s_xor_b32 s14, exec_lo, s13
	s_cbranch_execz .LBB2_7788
; %bb.7771:                             ;   in Loop: Header=BB2_7338 Depth=3
	v_dual_mov_b32 v19, v3 :: v_dual_lshrrev_b32 v43, 24, v45
	v_and_b32_e32 v18, 0x7fffffff, v45
                                        ; implicit-def: $vgpr72
	s_mov_b32 s13, exec_lo
	s_delay_alu instid0(VALU_DEP_2) | instskip(NEXT) | instid1(VALU_DEP_2)
	v_and_b32_e32 v43, 0x80, v43
	v_cmpx_gt_u64_e32 0x47600001, v[18:19]
	s_xor_b32 s15, exec_lo, s13
	s_cbranch_execz .LBB2_7785
; %bb.7772:                             ;   in Loop: Header=BB2_7338 Depth=3
	v_mov_b32_e32 v72, 0
	s_mov_b32 s74, exec_lo
	v_cmpx_ne_u32_e32 0, v45
	s_cbranch_execz .LBB2_7784
; %bb.7773:                             ;   in Loop: Header=BB2_7338 Depth=3
	v_bfe_u32 v45, v45, 23, 8
	v_or_b32_e32 v57, 0x800000, v2
	s_delay_alu instid0(VALU_DEP_2) | instskip(SKIP_1) | instid1(VALU_DEP_2)
	v_dual_mov_b32 v61, v3 :: v_dual_sub_nc_u32 v18, 0x71, v45
	v_cmp_gt_u32_e32 vcc_lo, 0x72, v45
	v_cndmask_b32_e32 v18, 0, v18, vcc_lo
	v_cmp_eq_u32_e32 vcc_lo, 0, v45
	s_delay_alu instid0(VALU_DEP_2) | instskip(NEXT) | instid1(VALU_DEP_1)
	v_cndmask_b32_e64 v47, v18, 0x70, vcc_lo
	v_dual_cndmask_b32 v60, v57, v2, vcc_lo :: v_dual_add_nc_u32 v18, 21, v47
	v_add_nc_u32_e32 v59, 20, v47
	s_delay_alu instid0(VALU_DEP_2) | instskip(NEXT) | instid1(VALU_DEP_2)
	v_lshlrev_b64_e64 v[18:19], v18, -1
	v_lshlrev_b64_e64 v[72:73], v59, 1
	s_delay_alu instid0(VALU_DEP_2) | instskip(SKIP_1) | instid1(VALU_DEP_4)
	v_bfi_b32 v18, v18, 0, v60
	v_lshrrev_b64 v[60:61], v47, v[60:61]
	v_bfi_b32 v19, v19, 0, 0
	s_delay_alu instid0(VALU_DEP_1) | instskip(NEXT) | instid1(VALU_DEP_3)
	v_cmp_eq_u64_e64 s13, v[18:19], v[72:73]
	v_mov_b64_e32 v[72:73], v[60:61]
	s_and_saveexec_b32 s75, s13
; %bb.7774:                             ;   in Loop: Header=BB2_7338 Depth=3
	v_bfe_u32 v18, v60, 21, 1
	v_mov_b32_e32 v19, v3
	s_delay_alu instid0(VALU_DEP_1) | instskip(NEXT) | instid1(VALU_DEP_1)
	v_add_nc_u64_e32 v[18:19], v[60:61], v[18:19]
	v_add_nc_u64_e32 v[72:73], -1, v[18:19]
; %bb.7775:                             ;   in Loop: Header=BB2_7338 Depth=3
	s_or_b32 exec_lo, exec_lo, s75
	v_add_nc_u32_e32 v2, 0xffffff81, v45
	s_delay_alu instid0(VALU_DEP_2) | instskip(SKIP_2) | instid1(VALU_DEP_3)
	v_and_b32_e32 v19, 0x1fffff, v72
	v_lshrrev_b32_e32 v18, 23, v60
	s_mov_b32 s13, exec_lo
                                        ; implicit-def: $vgpr45
	v_cndmask_b32_e64 v2, v2, 0xffffff82, vcc_lo
	s_delay_alu instid0(VALU_DEP_1) | instskip(SKIP_1) | instid1(VALU_DEP_2)
	v_add3_u32 v47, v47, v2, v18
	v_add_nc_u32_e32 v2, v19, v60
                                        ; implicit-def: $vgpr60_vgpr61
	v_add_nc_u32_e32 v57, 14, v47
	s_delay_alu instid0(VALU_DEP_1)
	v_cmpx_ne_u32_e32 0, v57
	s_xor_b32 s13, exec_lo, s13
; %bb.7776:                             ;   in Loop: Header=BB2_7338 Depth=3
	s_delay_alu instid0(VALU_DEP_3) | instskip(SKIP_1) | instid1(VALU_DEP_1)
	v_cmp_lt_u64_e32 vcc_lo, 0xffffff, v[2:3]
	v_add_nc_u32_e32 v18, 15, v47
	v_cndmask_b32_e32 v45, v57, v18, vcc_lo
	v_cndmask_b32_e64 v18, 0, 1, vcc_lo
	s_delay_alu instid0(VALU_DEP_1)
	v_lshrrev_b64 v[60:61], v18, v[2:3]
; %bb.7777:                             ;   in Loop: Header=BB2_7338 Depth=3
	s_and_not1_saveexec_b32 s13, s13
; %bb.7778:                             ;   in Loop: Header=BB2_7338 Depth=3
	v_mov_b64_e32 v[60:61], v[2:3]
	v_bfe_u32 v45, v2, 23, 1
; %bb.7779:                             ;   in Loop: Header=BB2_7338 Depth=3
	s_or_b32 exec_lo, exec_lo, s13
	s_delay_alu instid0(VALU_DEP_2) | instskip(NEXT) | instid1(VALU_DEP_2)
	v_lshrrev_b64 v[18:19], 21, v[60:61]
	v_cmp_gt_i32_e32 vcc_lo, 32, v45
	v_cmp_ne_u32_e64 s13, 0, v45
                                        ; implicit-def: $vgpr72
	s_delay_alu instid0(VALU_DEP_3) | instskip(NEXT) | instid1(VALU_DEP_1)
	v_dual_cndmask_b32 v61, 0, v19 :: v_dual_cndmask_b32 v60, 3, v18
	v_cmp_ne_u64_e32 vcc_lo, 0, v[60:61]
	s_or_b32 s13, s13, vcc_lo
	s_delay_alu instid0(SALU_CYCLE_1) | instskip(NEXT) | instid1(SALU_CYCLE_1)
	s_and_saveexec_b32 s75, s13
	s_xor_b32 s13, exec_lo, s75
; %bb.7780:                             ;   in Loop: Header=BB2_7338 Depth=3
	v_min_i32_e32 v2, 31, v45
	s_delay_alu instid0(VALU_DEP_1) | instskip(NEXT) | instid1(VALU_DEP_1)
	v_lshl_or_b32 v2, v2, 2, v43
                                        ; implicit-def: $vgpr43
	v_and_or_b32 v72, v60, 3, v2
; %bb.7781:                             ;   in Loop: Header=BB2_7338 Depth=3
	s_and_not1_saveexec_b32 s13, s13
; %bb.7782:                             ;   in Loop: Header=BB2_7338 Depth=3
	v_mov_b32_e32 v72, v43
; %bb.7783:                             ;   in Loop: Header=BB2_7338 Depth=3
	s_or_b32 exec_lo, exec_lo, s13
.LBB2_7784:                             ;   in Loop: Header=BB2_7338 Depth=3
	s_delay_alu instid0(SALU_CYCLE_1)
	s_or_b32 exec_lo, exec_lo, s74
                                        ; implicit-def: $vgpr43
.LBB2_7785:                             ;   in Loop: Header=BB2_7338 Depth=3
	s_and_not1_saveexec_b32 s13, s15
; %bb.7786:                             ;   in Loop: Header=BB2_7338 Depth=3
	v_or_b32_e32 v72, 0x7b, v43
; %bb.7787:                             ;   in Loop: Header=BB2_7338 Depth=3
	s_or_b32 exec_lo, exec_lo, s13
                                        ; implicit-def: $vgpr45
.LBB2_7788:                             ;   in Loop: Header=BB2_7338 Depth=3
	s_and_not1_saveexec_b32 s13, s14
	s_cbranch_execz .LBB2_7794
; %bb.7789:                             ;   in Loop: Header=BB2_7338 Depth=3
	s_mov_b32 s14, exec_lo
                                        ; implicit-def: $vgpr72
	v_cmpx_ne_u64_e32 0, v[2:3]
	s_xor_b32 s14, exec_lo, s14
; %bb.7790:                             ;   in Loop: Header=BB2_7338 Depth=3
	v_lshrrev_b32_e32 v2, 24, v45
                                        ; implicit-def: $vgpr45
	s_delay_alu instid0(VALU_DEP_1)
	v_or_b32_e32 v72, 0x7f, v2
; %bb.7791:                             ;   in Loop: Header=BB2_7338 Depth=3
	s_and_not1_saveexec_b32 s14, s14
; %bb.7792:                             ;   in Loop: Header=BB2_7338 Depth=3
	v_cmp_lt_i32_e32 vcc_lo, -1, v45
	v_cndmask_b32_e64 v72, -4, 0x7c, vcc_lo
; %bb.7793:                             ;   in Loop: Header=BB2_7338 Depth=3
	s_or_b32 exec_lo, exec_lo, s14
.LBB2_7794:                             ;   in Loop: Header=BB2_7338 Depth=3
	s_delay_alu instid0(SALU_CYCLE_1) | instskip(SKIP_3) | instid1(VALU_DEP_2)
	s_or_b32 exec_lo, exec_lo, s13
	v_and_b32_e32 v47, 0xff, v58
	v_dual_mov_b32 v2, 0 :: v_dual_mov_b32 v43, 0
	s_mov_b32 s13, exec_lo
	v_cmpx_ne_u16_e32 0, v47
	s_cbranch_execz .LBB2_7804
; %bb.7795:                             ;   in Loop: Header=BB2_7338 Depth=3
	v_bfrev_b32_e32 v43, 1
	s_mov_b32 s14, exec_lo
	v_cmpx_ne_u16_e32 0x80, v47
	s_cbranch_execz .LBB2_7803
; %bb.7796:                             ;   in Loop: Header=BB2_7338 Depth=3
	v_and_b32_e32 v18, 0x7c, v58
	v_and_b32_e32 v45, 3, v58
	s_mov_b32 s15, exec_lo
                                        ; implicit-def: $vgpr43
	s_delay_alu instid0(VALU_DEP_2)
	v_cmpx_ne_u32_e32 0x7c, v18
	s_xor_b32 s15, exec_lo, s15
	s_cbranch_execz .LBB2_7800
; %bb.7797:                             ;   in Loop: Header=BB2_7338 Depth=3
	v_bfe_u32 v43, v47, 2, 5
	s_mov_b32 s74, exec_lo
	s_delay_alu instid0(VALU_DEP_1)
	v_cmpx_eq_u32_e32 0, v43
	s_cbranch_execz .LBB2_7799
; %bb.7798:                             ;   in Loop: Header=BB2_7338 Depth=3
	v_clz_i32_u32_e32 v18, v45
	s_delay_alu instid0(VALU_DEP_1) | instskip(SKIP_1) | instid1(VALU_DEP_2)
	v_min_u32_e32 v43, 32, v18
	v_mov_b32_e32 v59, v3
	v_subrev_nc_u32_e32 v18, 29, v43
	v_sub_nc_u32_e32 v43, 30, v43
	s_delay_alu instid0(VALU_DEP_2) | instskip(NEXT) | instid1(VALU_DEP_1)
	v_lshlrev_b64_e32 v[18:19], v18, v[58:59]
	v_and_b32_e32 v45, 3, v18
.LBB2_7799:                             ;   in Loop: Header=BB2_7338 Depth=3
	s_or_b32 exec_lo, exec_lo, s74
	v_lshlrev_b32_e32 v18, 24, v58
                                        ; implicit-def: $vgpr58
	s_delay_alu instid0(VALU_DEP_1) | instskip(NEXT) | instid1(VALU_DEP_1)
	v_and_b32_e32 v18, 0x80000000, v18
	v_lshl_add_u32 v18, v43, 23, v18
	s_delay_alu instid0(VALU_DEP_1) | instskip(NEXT) | instid1(VALU_DEP_1)
	v_lshl_or_b32 v18, v45, 21, v18
                                        ; implicit-def: $vgpr45
	v_add_nc_u32_e32 v43, 0x38000000, v18
.LBB2_7800:                             ;   in Loop: Header=BB2_7338 Depth=3
	s_and_not1_saveexec_b32 s15, s15
; %bb.7801:                             ;   in Loop: Header=BB2_7338 Depth=3
	v_bfe_i32 v18, v58, 0, 8
	s_delay_alu instid0(VALU_DEP_1) | instskip(SKIP_2) | instid1(VALU_DEP_2)
	v_cmp_lt_i16_e32 vcc_lo, -1, v18
	v_cndmask_b32_e32 v18, 0xff800000, v111, vcc_lo
	v_cmp_eq_u32_e32 vcc_lo, 0, v45
	v_cndmask_b32_e32 v43, 0x7f800001, v18, vcc_lo
; %bb.7802:                             ;   in Loop: Header=BB2_7338 Depth=3
	s_or_b32 exec_lo, exec_lo, s15
.LBB2_7803:                             ;   in Loop: Header=BB2_7338 Depth=3
	s_delay_alu instid0(SALU_CYCLE_1)
	s_or_b32 exec_lo, exec_lo, s14
.LBB2_7804:                             ;   in Loop: Header=BB2_7338 Depth=3
	s_delay_alu instid0(SALU_CYCLE_1) | instskip(NEXT) | instid1(SALU_CYCLE_1)
	s_or_b32 exec_lo, exec_lo, s13
	s_mov_b32 s13, exec_lo
	s_wait_loadcnt_dscnt 0x303
	v_cmpx_ne_u16_e32 0, v88
	s_cbranch_execz .LBB2_7814
; %bb.7805:                             ;   in Loop: Header=BB2_7338 Depth=3
	v_bfrev_b32_e32 v2, 1
	s_mov_b32 s14, exec_lo
	v_cmpx_ne_u16_e32 0xff80, v88
	s_cbranch_execz .LBB2_7813
; %bb.7806:                             ;   in Loop: Header=BB2_7338 Depth=3
	v_and_b32_e32 v2, 0x7c, v88
	v_and_b32_e32 v45, 3, v88
	s_delay_alu instid0(VALU_DEP_2) | instskip(SKIP_1) | instid1(SALU_CYCLE_1)
	v_cmp_ne_u32_e32 vcc_lo, 0x7c, v2
                                        ; implicit-def: $vgpr2
	s_and_saveexec_b32 s15, vcc_lo
	s_xor_b32 s15, exec_lo, s15
	s_cbranch_execz .LBB2_7810
; %bb.7807:                             ;   in Loop: Header=BB2_7338 Depth=3
	v_and_b32_e32 v2, 0xff, v88
	s_mov_b32 s74, exec_lo
	s_delay_alu instid0(VALU_DEP_1) | instskip(NEXT) | instid1(VALU_DEP_1)
	v_bfe_u32 v2, v2, 2, 5
	v_cmpx_eq_u32_e32 0, v2
	s_cbranch_execz .LBB2_7809
; %bb.7808:                             ;   in Loop: Header=BB2_7338 Depth=3
	v_clz_i32_u32_e32 v2, v45
	s_delay_alu instid0(VALU_DEP_1) | instskip(SKIP_1) | instid1(VALU_DEP_2)
	v_min_u32_e32 v2, 32, v2
	v_mov_b32_e32 v89, v3
	v_subrev_nc_u32_e32 v18, 29, v2
	v_sub_nc_u32_e32 v2, 30, v2
	s_delay_alu instid0(VALU_DEP_2) | instskip(NEXT) | instid1(VALU_DEP_1)
	v_lshlrev_b64_e32 v[18:19], v18, v[88:89]
	v_and_b32_e32 v45, 3, v18
.LBB2_7809:                             ;   in Loop: Header=BB2_7338 Depth=3
	s_or_b32 exec_lo, exec_lo, s74
	v_bfe_i32 v18, v88, 0, 16
                                        ; implicit-def: $vgpr88
	s_delay_alu instid0(VALU_DEP_1) | instskip(NEXT) | instid1(VALU_DEP_1)
	v_and_b32_e32 v18, 0x80000000, v18
	v_lshl_add_u32 v2, v2, 23, v18
	s_delay_alu instid0(VALU_DEP_1) | instskip(NEXT) | instid1(VALU_DEP_1)
	v_lshl_or_b32 v2, v45, 21, v2
                                        ; implicit-def: $vgpr45
	v_add_nc_u32_e32 v2, 0x38000000, v2
.LBB2_7810:                             ;   in Loop: Header=BB2_7338 Depth=3
	s_and_not1_saveexec_b32 s15, s15
; %bb.7811:                             ;   in Loop: Header=BB2_7338 Depth=3
	v_cmp_lt_i16_e32 vcc_lo, -1, v88
	v_cndmask_b32_e32 v2, 0xff800000, v111, vcc_lo
	v_cmp_eq_u32_e32 vcc_lo, 0, v45
	s_delay_alu instid0(VALU_DEP_2)
	v_cndmask_b32_e32 v2, 0x7f800001, v2, vcc_lo
; %bb.7812:                             ;   in Loop: Header=BB2_7338 Depth=3
	s_or_b32 exec_lo, exec_lo, s15
.LBB2_7813:                             ;   in Loop: Header=BB2_7338 Depth=3
	s_delay_alu instid0(SALU_CYCLE_1)
	s_or_b32 exec_lo, exec_lo, s14
.LBB2_7814:                             ;   in Loop: Header=BB2_7338 Depth=3
	s_delay_alu instid0(SALU_CYCLE_1) | instskip(NEXT) | instid1(VALU_DEP_1)
	s_or_b32 exec_lo, exec_lo, s13
	v_add_f32_e32 v45, v43, v2
	v_mov_b32_e32 v19, v3
                                        ; implicit-def: $vgpr60
	s_mov_b32 s13, exec_lo
	s_delay_alu instid0(VALU_DEP_2) | instskip(SKIP_1) | instid1(VALU_DEP_2)
	v_and_b32_e32 v18, 0x7f800000, v45
	v_and_b32_e32 v2, 0x7fffff, v45
	v_cmpx_ne_u64_e32 0x7f800000, v[18:19]
	s_xor_b32 s14, exec_lo, s13
	s_cbranch_execz .LBB2_7832
; %bb.7815:                             ;   in Loop: Header=BB2_7338 Depth=3
	v_dual_mov_b32 v19, v3 :: v_dual_lshrrev_b32 v43, 24, v45
	v_and_b32_e32 v18, 0x7fffffff, v45
                                        ; implicit-def: $vgpr60
	s_mov_b32 s13, exec_lo
	s_delay_alu instid0(VALU_DEP_2) | instskip(NEXT) | instid1(VALU_DEP_2)
	v_and_b32_e32 v43, 0x80, v43
	v_cmpx_gt_u64_e32 0x47600001, v[18:19]
	s_xor_b32 s15, exec_lo, s13
	s_cbranch_execz .LBB2_7829
; %bb.7816:                             ;   in Loop: Header=BB2_7338 Depth=3
	v_mov_b32_e32 v60, 0
	s_mov_b32 s74, exec_lo
	v_cmpx_ne_u32_e32 0, v45
	s_cbranch_execz .LBB2_7828
; %bb.7817:                             ;   in Loop: Header=BB2_7338 Depth=3
	v_bfe_u32 v45, v45, 23, 8
	v_or_b32_e32 v57, 0x800000, v2
	s_delay_alu instid0(VALU_DEP_2) | instskip(SKIP_1) | instid1(VALU_DEP_2)
	v_dual_mov_b32 v59, v3 :: v_dual_sub_nc_u32 v18, 0x71, v45
	v_cmp_gt_u32_e32 vcc_lo, 0x72, v45
	v_cndmask_b32_e32 v18, 0, v18, vcc_lo
	v_cmp_eq_u32_e32 vcc_lo, 0, v45
	s_delay_alu instid0(VALU_DEP_2) | instskip(NEXT) | instid1(VALU_DEP_1)
	v_cndmask_b32_e64 v47, v18, 0x70, vcc_lo
	v_dual_cndmask_b32 v58, v57, v2, vcc_lo :: v_dual_add_nc_u32 v18, 21, v47
	v_add_nc_u32_e32 v60, 20, v47
	s_delay_alu instid0(VALU_DEP_2) | instskip(NEXT) | instid1(VALU_DEP_2)
	v_lshlrev_b64_e64 v[18:19], v18, -1
	v_lshlrev_b64_e64 v[60:61], v60, 1
	s_delay_alu instid0(VALU_DEP_2) | instskip(SKIP_1) | instid1(VALU_DEP_4)
	v_bfi_b32 v18, v18, 0, v58
	v_lshrrev_b64 v[58:59], v47, v[58:59]
	v_bfi_b32 v19, v19, 0, 0
	s_delay_alu instid0(VALU_DEP_1) | instskip(NEXT) | instid1(VALU_DEP_3)
	v_cmp_eq_u64_e64 s13, v[18:19], v[60:61]
	v_mov_b64_e32 v[60:61], v[58:59]
	s_and_saveexec_b32 s75, s13
; %bb.7818:                             ;   in Loop: Header=BB2_7338 Depth=3
	v_bfe_u32 v18, v58, 21, 1
	v_mov_b32_e32 v19, v3
	s_delay_alu instid0(VALU_DEP_1) | instskip(NEXT) | instid1(VALU_DEP_1)
	v_add_nc_u64_e32 v[18:19], v[58:59], v[18:19]
	v_add_nc_u64_e32 v[60:61], -1, v[18:19]
; %bb.7819:                             ;   in Loop: Header=BB2_7338 Depth=3
	s_or_b32 exec_lo, exec_lo, s75
	v_add_nc_u32_e32 v2, 0xffffff81, v45
	s_delay_alu instid0(VALU_DEP_2) | instskip(SKIP_2) | instid1(VALU_DEP_3)
	v_and_b32_e32 v19, 0x1fffff, v60
	v_lshrrev_b32_e32 v18, 23, v58
	s_mov_b32 s13, exec_lo
                                        ; implicit-def: $vgpr45
	v_cndmask_b32_e64 v2, v2, 0xffffff82, vcc_lo
	s_delay_alu instid0(VALU_DEP_1) | instskip(SKIP_1) | instid1(VALU_DEP_2)
	v_add3_u32 v47, v47, v2, v18
	v_add_nc_u32_e32 v2, v19, v58
                                        ; implicit-def: $vgpr58_vgpr59
	v_add_nc_u32_e32 v57, 14, v47
	s_delay_alu instid0(VALU_DEP_1)
	v_cmpx_ne_u32_e32 0, v57
	s_xor_b32 s13, exec_lo, s13
; %bb.7820:                             ;   in Loop: Header=BB2_7338 Depth=3
	s_delay_alu instid0(VALU_DEP_3) | instskip(SKIP_1) | instid1(VALU_DEP_1)
	v_cmp_lt_u64_e32 vcc_lo, 0xffffff, v[2:3]
	v_add_nc_u32_e32 v18, 15, v47
	v_cndmask_b32_e32 v45, v57, v18, vcc_lo
	v_cndmask_b32_e64 v18, 0, 1, vcc_lo
	s_delay_alu instid0(VALU_DEP_1)
	v_lshrrev_b64 v[58:59], v18, v[2:3]
; %bb.7821:                             ;   in Loop: Header=BB2_7338 Depth=3
	s_and_not1_saveexec_b32 s13, s13
; %bb.7822:                             ;   in Loop: Header=BB2_7338 Depth=3
	v_mov_b64_e32 v[58:59], v[2:3]
	v_bfe_u32 v45, v2, 23, 1
; %bb.7823:                             ;   in Loop: Header=BB2_7338 Depth=3
	s_or_b32 exec_lo, exec_lo, s13
	s_delay_alu instid0(VALU_DEP_2) | instskip(NEXT) | instid1(VALU_DEP_2)
	v_lshrrev_b64 v[18:19], 21, v[58:59]
	v_cmp_gt_i32_e32 vcc_lo, 32, v45
	v_cmp_ne_u32_e64 s13, 0, v45
                                        ; implicit-def: $vgpr60
	s_delay_alu instid0(VALU_DEP_3) | instskip(NEXT) | instid1(VALU_DEP_1)
	v_dual_cndmask_b32 v59, 0, v19 :: v_dual_cndmask_b32 v58, 3, v18
	v_cmp_ne_u64_e32 vcc_lo, 0, v[58:59]
	s_or_b32 s13, s13, vcc_lo
	s_delay_alu instid0(SALU_CYCLE_1) | instskip(NEXT) | instid1(SALU_CYCLE_1)
	s_and_saveexec_b32 s75, s13
	s_xor_b32 s13, exec_lo, s75
; %bb.7824:                             ;   in Loop: Header=BB2_7338 Depth=3
	v_min_i32_e32 v2, 31, v45
	s_delay_alu instid0(VALU_DEP_1) | instskip(NEXT) | instid1(VALU_DEP_1)
	v_lshl_or_b32 v2, v2, 2, v43
                                        ; implicit-def: $vgpr43
	v_and_or_b32 v60, v58, 3, v2
; %bb.7825:                             ;   in Loop: Header=BB2_7338 Depth=3
	s_and_not1_saveexec_b32 s13, s13
; %bb.7826:                             ;   in Loop: Header=BB2_7338 Depth=3
	v_mov_b32_e32 v60, v43
; %bb.7827:                             ;   in Loop: Header=BB2_7338 Depth=3
	s_or_b32 exec_lo, exec_lo, s13
.LBB2_7828:                             ;   in Loop: Header=BB2_7338 Depth=3
	s_delay_alu instid0(SALU_CYCLE_1)
	s_or_b32 exec_lo, exec_lo, s74
                                        ; implicit-def: $vgpr43
.LBB2_7829:                             ;   in Loop: Header=BB2_7338 Depth=3
	s_and_not1_saveexec_b32 s13, s15
; %bb.7830:                             ;   in Loop: Header=BB2_7338 Depth=3
	v_or_b32_e32 v60, 0x7b, v43
; %bb.7831:                             ;   in Loop: Header=BB2_7338 Depth=3
	s_or_b32 exec_lo, exec_lo, s13
                                        ; implicit-def: $vgpr45
.LBB2_7832:                             ;   in Loop: Header=BB2_7338 Depth=3
	s_and_not1_saveexec_b32 s13, s14
	s_cbranch_execz .LBB2_7838
; %bb.7833:                             ;   in Loop: Header=BB2_7338 Depth=3
	s_mov_b32 s14, exec_lo
                                        ; implicit-def: $vgpr60
	v_cmpx_ne_u64_e32 0, v[2:3]
	s_xor_b32 s14, exec_lo, s14
; %bb.7834:                             ;   in Loop: Header=BB2_7338 Depth=3
	v_lshrrev_b32_e32 v2, 24, v45
                                        ; implicit-def: $vgpr45
	s_delay_alu instid0(VALU_DEP_1)
	v_or_b32_e32 v60, 0x7f, v2
; %bb.7835:                             ;   in Loop: Header=BB2_7338 Depth=3
	s_and_not1_saveexec_b32 s14, s14
; %bb.7836:                             ;   in Loop: Header=BB2_7338 Depth=3
	v_cmp_lt_i32_e32 vcc_lo, -1, v45
	v_cndmask_b32_e64 v60, -4, 0x7c, vcc_lo
; %bb.7837:                             ;   in Loop: Header=BB2_7338 Depth=3
	s_or_b32 exec_lo, exec_lo, s14
.LBB2_7838:                             ;   in Loop: Header=BB2_7338 Depth=3
	s_delay_alu instid0(SALU_CYCLE_1) | instskip(SKIP_3) | instid1(VALU_DEP_2)
	s_or_b32 exec_lo, exec_lo, s13
	v_and_b32_e32 v47, 0xff, v56
	v_dual_mov_b32 v2, 0 :: v_dual_mov_b32 v43, 0
	s_mov_b32 s13, exec_lo
	v_cmpx_ne_u16_e32 0, v47
	s_cbranch_execz .LBB2_7848
; %bb.7839:                             ;   in Loop: Header=BB2_7338 Depth=3
	v_bfrev_b32_e32 v43, 1
	s_mov_b32 s14, exec_lo
	v_cmpx_ne_u16_e32 0x80, v47
	s_cbranch_execz .LBB2_7847
; %bb.7840:                             ;   in Loop: Header=BB2_7338 Depth=3
	v_and_b32_e32 v18, 0x7c, v56
	v_and_b32_e32 v45, 3, v56
	s_mov_b32 s15, exec_lo
                                        ; implicit-def: $vgpr43
	s_delay_alu instid0(VALU_DEP_2)
	v_cmpx_ne_u32_e32 0x7c, v18
	s_xor_b32 s15, exec_lo, s15
	s_cbranch_execz .LBB2_7844
; %bb.7841:                             ;   in Loop: Header=BB2_7338 Depth=3
	v_bfe_u32 v43, v47, 2, 5
	s_mov_b32 s74, exec_lo
	s_delay_alu instid0(VALU_DEP_1)
	v_cmpx_eq_u32_e32 0, v43
	s_cbranch_execz .LBB2_7843
; %bb.7842:                             ;   in Loop: Header=BB2_7338 Depth=3
	v_clz_i32_u32_e32 v18, v45
	s_delay_alu instid0(VALU_DEP_1) | instskip(SKIP_1) | instid1(VALU_DEP_2)
	v_min_u32_e32 v43, 32, v18
	v_mov_b32_e32 v57, v3
	v_subrev_nc_u32_e32 v18, 29, v43
	v_sub_nc_u32_e32 v43, 30, v43
	s_delay_alu instid0(VALU_DEP_2) | instskip(NEXT) | instid1(VALU_DEP_1)
	v_lshlrev_b64_e32 v[18:19], v18, v[56:57]
	v_and_b32_e32 v45, 3, v18
.LBB2_7843:                             ;   in Loop: Header=BB2_7338 Depth=3
	s_or_b32 exec_lo, exec_lo, s74
	v_lshlrev_b32_e32 v18, 24, v56
                                        ; implicit-def: $vgpr56
	s_delay_alu instid0(VALU_DEP_1) | instskip(NEXT) | instid1(VALU_DEP_1)
	v_and_b32_e32 v18, 0x80000000, v18
	v_lshl_add_u32 v18, v43, 23, v18
	s_delay_alu instid0(VALU_DEP_1) | instskip(NEXT) | instid1(VALU_DEP_1)
	v_lshl_or_b32 v18, v45, 21, v18
                                        ; implicit-def: $vgpr45
	v_add_nc_u32_e32 v43, 0x38000000, v18
.LBB2_7844:                             ;   in Loop: Header=BB2_7338 Depth=3
	s_and_not1_saveexec_b32 s15, s15
; %bb.7845:                             ;   in Loop: Header=BB2_7338 Depth=3
	v_bfe_i32 v18, v56, 0, 8
	s_delay_alu instid0(VALU_DEP_1) | instskip(SKIP_2) | instid1(VALU_DEP_2)
	v_cmp_lt_i16_e32 vcc_lo, -1, v18
	v_cndmask_b32_e32 v18, 0xff800000, v111, vcc_lo
	v_cmp_eq_u32_e32 vcc_lo, 0, v45
	v_cndmask_b32_e32 v43, 0x7f800001, v18, vcc_lo
; %bb.7846:                             ;   in Loop: Header=BB2_7338 Depth=3
	s_or_b32 exec_lo, exec_lo, s15
.LBB2_7847:                             ;   in Loop: Header=BB2_7338 Depth=3
	s_delay_alu instid0(SALU_CYCLE_1)
	s_or_b32 exec_lo, exec_lo, s14
.LBB2_7848:                             ;   in Loop: Header=BB2_7338 Depth=3
	s_delay_alu instid0(SALU_CYCLE_1) | instskip(NEXT) | instid1(SALU_CYCLE_1)
	s_or_b32 exec_lo, exec_lo, s13
	s_mov_b32 s13, exec_lo
	s_wait_loadcnt_dscnt 0x202
	v_cmpx_ne_u16_e32 0, v78
	s_cbranch_execz .LBB2_7858
; %bb.7849:                             ;   in Loop: Header=BB2_7338 Depth=3
	v_bfrev_b32_e32 v2, 1
	s_mov_b32 s14, exec_lo
	v_cmpx_ne_u16_e32 0xff80, v78
	s_cbranch_execz .LBB2_7857
; %bb.7850:                             ;   in Loop: Header=BB2_7338 Depth=3
	v_and_b32_e32 v2, 0x7c, v78
	v_and_b32_e32 v45, 3, v78
	s_delay_alu instid0(VALU_DEP_2) | instskip(SKIP_1) | instid1(SALU_CYCLE_1)
	v_cmp_ne_u32_e32 vcc_lo, 0x7c, v2
                                        ; implicit-def: $vgpr2
	s_and_saveexec_b32 s15, vcc_lo
	s_xor_b32 s15, exec_lo, s15
	s_cbranch_execz .LBB2_7854
; %bb.7851:                             ;   in Loop: Header=BB2_7338 Depth=3
	v_and_b32_e32 v2, 0xff, v78
	s_mov_b32 s74, exec_lo
	s_delay_alu instid0(VALU_DEP_1) | instskip(NEXT) | instid1(VALU_DEP_1)
	v_bfe_u32 v2, v2, 2, 5
	v_cmpx_eq_u32_e32 0, v2
	s_cbranch_execz .LBB2_7853
; %bb.7852:                             ;   in Loop: Header=BB2_7338 Depth=3
	v_clz_i32_u32_e32 v2, v45
	s_delay_alu instid0(VALU_DEP_1) | instskip(SKIP_1) | instid1(VALU_DEP_2)
	v_min_u32_e32 v2, 32, v2
	v_mov_b32_e32 v79, v3
	v_subrev_nc_u32_e32 v18, 29, v2
	v_sub_nc_u32_e32 v2, 30, v2
	s_delay_alu instid0(VALU_DEP_2) | instskip(NEXT) | instid1(VALU_DEP_1)
	v_lshlrev_b64_e32 v[18:19], v18, v[78:79]
	v_and_b32_e32 v45, 3, v18
.LBB2_7853:                             ;   in Loop: Header=BB2_7338 Depth=3
	s_or_b32 exec_lo, exec_lo, s74
	v_bfe_i32 v18, v78, 0, 16
                                        ; implicit-def: $vgpr78
	s_delay_alu instid0(VALU_DEP_1) | instskip(NEXT) | instid1(VALU_DEP_1)
	v_and_b32_e32 v18, 0x80000000, v18
	v_lshl_add_u32 v2, v2, 23, v18
	s_delay_alu instid0(VALU_DEP_1) | instskip(NEXT) | instid1(VALU_DEP_1)
	v_lshl_or_b32 v2, v45, 21, v2
                                        ; implicit-def: $vgpr45
	v_add_nc_u32_e32 v2, 0x38000000, v2
.LBB2_7854:                             ;   in Loop: Header=BB2_7338 Depth=3
	s_and_not1_saveexec_b32 s15, s15
; %bb.7855:                             ;   in Loop: Header=BB2_7338 Depth=3
	v_cmp_lt_i16_e32 vcc_lo, -1, v78
	v_cndmask_b32_e32 v2, 0xff800000, v111, vcc_lo
	v_cmp_eq_u32_e32 vcc_lo, 0, v45
	s_delay_alu instid0(VALU_DEP_2)
	v_cndmask_b32_e32 v2, 0x7f800001, v2, vcc_lo
; %bb.7856:                             ;   in Loop: Header=BB2_7338 Depth=3
	s_or_b32 exec_lo, exec_lo, s15
.LBB2_7857:                             ;   in Loop: Header=BB2_7338 Depth=3
	s_delay_alu instid0(SALU_CYCLE_1)
	s_or_b32 exec_lo, exec_lo, s14
.LBB2_7858:                             ;   in Loop: Header=BB2_7338 Depth=3
	s_delay_alu instid0(SALU_CYCLE_1) | instskip(NEXT) | instid1(VALU_DEP_1)
	s_or_b32 exec_lo, exec_lo, s13
	v_add_f32_e32 v45, v43, v2
	v_mov_b32_e32 v19, v3
                                        ; implicit-def: $vgpr58
	s_mov_b32 s13, exec_lo
	s_delay_alu instid0(VALU_DEP_2) | instskip(SKIP_1) | instid1(VALU_DEP_2)
	v_and_b32_e32 v18, 0x7f800000, v45
	v_and_b32_e32 v2, 0x7fffff, v45
	v_cmpx_ne_u64_e32 0x7f800000, v[18:19]
	s_xor_b32 s14, exec_lo, s13
	s_cbranch_execz .LBB2_7876
; %bb.7859:                             ;   in Loop: Header=BB2_7338 Depth=3
	v_dual_mov_b32 v19, v3 :: v_dual_lshrrev_b32 v43, 24, v45
	v_and_b32_e32 v18, 0x7fffffff, v45
                                        ; implicit-def: $vgpr58
	s_mov_b32 s13, exec_lo
	s_delay_alu instid0(VALU_DEP_2) | instskip(NEXT) | instid1(VALU_DEP_2)
	v_and_b32_e32 v43, 0x80, v43
	v_cmpx_gt_u64_e32 0x47600001, v[18:19]
	s_xor_b32 s15, exec_lo, s13
	s_cbranch_execz .LBB2_7873
; %bb.7860:                             ;   in Loop: Header=BB2_7338 Depth=3
	v_mov_b32_e32 v58, 0
	s_mov_b32 s74, exec_lo
	v_cmpx_ne_u32_e32 0, v45
	s_cbranch_execz .LBB2_7872
; %bb.7861:                             ;   in Loop: Header=BB2_7338 Depth=3
	v_bfe_u32 v45, v45, 23, 8
	v_or_b32_e32 v56, 0x800000, v2
	s_delay_alu instid0(VALU_DEP_2) | instskip(SKIP_1) | instid1(VALU_DEP_2)
	v_dual_mov_b32 v57, v3 :: v_dual_sub_nc_u32 v18, 0x71, v45
	v_cmp_gt_u32_e32 vcc_lo, 0x72, v45
	v_cndmask_b32_e32 v18, 0, v18, vcc_lo
	v_cmp_eq_u32_e32 vcc_lo, 0, v45
	s_delay_alu instid0(VALU_DEP_2) | instskip(NEXT) | instid1(VALU_DEP_1)
	v_cndmask_b32_e64 v47, v18, 0x70, vcc_lo
	v_dual_cndmask_b32 v56, v56, v2, vcc_lo :: v_dual_add_nc_u32 v18, 21, v47
	v_add_nc_u32_e32 v58, 20, v47
	s_delay_alu instid0(VALU_DEP_2) | instskip(NEXT) | instid1(VALU_DEP_2)
	v_lshlrev_b64_e64 v[18:19], v18, -1
	v_lshlrev_b64_e64 v[58:59], v58, 1
	s_delay_alu instid0(VALU_DEP_2) | instskip(SKIP_1) | instid1(VALU_DEP_4)
	v_bfi_b32 v18, v18, 0, v56
	v_lshrrev_b64 v[56:57], v47, v[56:57]
	v_bfi_b32 v19, v19, 0, 0
	s_delay_alu instid0(VALU_DEP_1) | instskip(NEXT) | instid1(VALU_DEP_3)
	v_cmp_eq_u64_e64 s13, v[18:19], v[58:59]
	v_mov_b64_e32 v[58:59], v[56:57]
	s_and_saveexec_b32 s75, s13
; %bb.7862:                             ;   in Loop: Header=BB2_7338 Depth=3
	v_bfe_u32 v18, v56, 21, 1
	v_mov_b32_e32 v19, v3
	s_delay_alu instid0(VALU_DEP_1) | instskip(NEXT) | instid1(VALU_DEP_1)
	v_add_nc_u64_e32 v[18:19], v[56:57], v[18:19]
	v_add_nc_u64_e32 v[58:59], -1, v[18:19]
; %bb.7863:                             ;   in Loop: Header=BB2_7338 Depth=3
	s_or_b32 exec_lo, exec_lo, s75
	v_add_nc_u32_e32 v2, 0xffffff81, v45
	s_delay_alu instid0(VALU_DEP_2) | instskip(SKIP_2) | instid1(VALU_DEP_3)
	v_and_b32_e32 v19, 0x1fffff, v58
	v_lshrrev_b32_e32 v18, 23, v56
	s_mov_b32 s13, exec_lo
                                        ; implicit-def: $vgpr45
	v_cndmask_b32_e64 v2, v2, 0xffffff82, vcc_lo
	s_delay_alu instid0(VALU_DEP_1) | instskip(SKIP_1) | instid1(VALU_DEP_2)
	v_add3_u32 v47, v47, v2, v18
	v_add_nc_u32_e32 v2, v19, v56
                                        ; implicit-def: $vgpr56_vgpr57
	v_add_nc_u32_e32 v58, 14, v47
	s_delay_alu instid0(VALU_DEP_1)
	v_cmpx_ne_u32_e32 0, v58
	s_xor_b32 s13, exec_lo, s13
; %bb.7864:                             ;   in Loop: Header=BB2_7338 Depth=3
	s_delay_alu instid0(VALU_DEP_3) | instskip(SKIP_1) | instid1(VALU_DEP_1)
	v_cmp_lt_u64_e32 vcc_lo, 0xffffff, v[2:3]
	v_add_nc_u32_e32 v18, 15, v47
	v_cndmask_b32_e32 v45, v58, v18, vcc_lo
	v_cndmask_b32_e64 v18, 0, 1, vcc_lo
	s_delay_alu instid0(VALU_DEP_1)
	v_lshrrev_b64 v[56:57], v18, v[2:3]
; %bb.7865:                             ;   in Loop: Header=BB2_7338 Depth=3
	s_and_not1_saveexec_b32 s13, s13
; %bb.7866:                             ;   in Loop: Header=BB2_7338 Depth=3
	v_mov_b64_e32 v[56:57], v[2:3]
	v_bfe_u32 v45, v2, 23, 1
; %bb.7867:                             ;   in Loop: Header=BB2_7338 Depth=3
	s_or_b32 exec_lo, exec_lo, s13
	s_delay_alu instid0(VALU_DEP_2) | instskip(NEXT) | instid1(VALU_DEP_2)
	v_lshrrev_b64 v[18:19], 21, v[56:57]
	v_cmp_gt_i32_e32 vcc_lo, 32, v45
	v_cmp_ne_u32_e64 s13, 0, v45
                                        ; implicit-def: $vgpr58
	s_delay_alu instid0(VALU_DEP_3) | instskip(NEXT) | instid1(VALU_DEP_1)
	v_dual_cndmask_b32 v57, 0, v19 :: v_dual_cndmask_b32 v56, 3, v18
	v_cmp_ne_u64_e32 vcc_lo, 0, v[56:57]
	s_or_b32 s13, s13, vcc_lo
	s_delay_alu instid0(SALU_CYCLE_1) | instskip(NEXT) | instid1(SALU_CYCLE_1)
	s_and_saveexec_b32 s75, s13
	s_xor_b32 s13, exec_lo, s75
; %bb.7868:                             ;   in Loop: Header=BB2_7338 Depth=3
	v_min_i32_e32 v2, 31, v45
	s_delay_alu instid0(VALU_DEP_1) | instskip(NEXT) | instid1(VALU_DEP_1)
	v_lshl_or_b32 v2, v2, 2, v43
                                        ; implicit-def: $vgpr43
	v_and_or_b32 v58, v56, 3, v2
; %bb.7869:                             ;   in Loop: Header=BB2_7338 Depth=3
	s_and_not1_saveexec_b32 s13, s13
; %bb.7870:                             ;   in Loop: Header=BB2_7338 Depth=3
	v_mov_b32_e32 v58, v43
; %bb.7871:                             ;   in Loop: Header=BB2_7338 Depth=3
	s_or_b32 exec_lo, exec_lo, s13
.LBB2_7872:                             ;   in Loop: Header=BB2_7338 Depth=3
	s_delay_alu instid0(SALU_CYCLE_1)
	s_or_b32 exec_lo, exec_lo, s74
                                        ; implicit-def: $vgpr43
.LBB2_7873:                             ;   in Loop: Header=BB2_7338 Depth=3
	s_and_not1_saveexec_b32 s13, s15
; %bb.7874:                             ;   in Loop: Header=BB2_7338 Depth=3
	v_or_b32_e32 v58, 0x7b, v43
; %bb.7875:                             ;   in Loop: Header=BB2_7338 Depth=3
	s_or_b32 exec_lo, exec_lo, s13
                                        ; implicit-def: $vgpr45
.LBB2_7876:                             ;   in Loop: Header=BB2_7338 Depth=3
	s_and_not1_saveexec_b32 s13, s14
	s_cbranch_execz .LBB2_7882
; %bb.7877:                             ;   in Loop: Header=BB2_7338 Depth=3
	s_mov_b32 s14, exec_lo
                                        ; implicit-def: $vgpr58
	v_cmpx_ne_u64_e32 0, v[2:3]
	s_xor_b32 s14, exec_lo, s14
; %bb.7878:                             ;   in Loop: Header=BB2_7338 Depth=3
	v_lshrrev_b32_e32 v2, 24, v45
                                        ; implicit-def: $vgpr45
	s_delay_alu instid0(VALU_DEP_1)
	v_or_b32_e32 v58, 0x7f, v2
; %bb.7879:                             ;   in Loop: Header=BB2_7338 Depth=3
	s_and_not1_saveexec_b32 s14, s14
; %bb.7880:                             ;   in Loop: Header=BB2_7338 Depth=3
	v_cmp_lt_i32_e32 vcc_lo, -1, v45
	v_cndmask_b32_e64 v58, -4, 0x7c, vcc_lo
; %bb.7881:                             ;   in Loop: Header=BB2_7338 Depth=3
	s_or_b32 exec_lo, exec_lo, s14
.LBB2_7882:                             ;   in Loop: Header=BB2_7338 Depth=3
	s_delay_alu instid0(SALU_CYCLE_1) | instskip(SKIP_3) | instid1(VALU_DEP_2)
	s_or_b32 exec_lo, exec_lo, s13
	v_and_b32_e32 v47, 0xff, v46
	v_dual_mov_b32 v2, 0 :: v_dual_mov_b32 v43, 0
	s_mov_b32 s13, exec_lo
	v_cmpx_ne_u16_e32 0, v47
	s_cbranch_execz .LBB2_7892
; %bb.7883:                             ;   in Loop: Header=BB2_7338 Depth=3
	v_bfrev_b32_e32 v43, 1
	s_mov_b32 s14, exec_lo
	v_cmpx_ne_u16_e32 0x80, v47
	s_cbranch_execz .LBB2_7891
; %bb.7884:                             ;   in Loop: Header=BB2_7338 Depth=3
	v_and_b32_e32 v18, 0x7c, v46
	v_and_b32_e32 v45, 3, v46
	s_mov_b32 s15, exec_lo
                                        ; implicit-def: $vgpr43
	s_delay_alu instid0(VALU_DEP_2)
	v_cmpx_ne_u32_e32 0x7c, v18
	s_xor_b32 s15, exec_lo, s15
	s_cbranch_execz .LBB2_7888
; %bb.7885:                             ;   in Loop: Header=BB2_7338 Depth=3
	v_bfe_u32 v43, v47, 2, 5
	s_mov_b32 s74, exec_lo
	s_delay_alu instid0(VALU_DEP_1)
	v_cmpx_eq_u32_e32 0, v43
	s_cbranch_execz .LBB2_7887
; %bb.7886:                             ;   in Loop: Header=BB2_7338 Depth=3
	v_clz_i32_u32_e32 v18, v45
	s_delay_alu instid0(VALU_DEP_1) | instskip(SKIP_1) | instid1(VALU_DEP_2)
	v_min_u32_e32 v43, 32, v18
	v_mov_b32_e32 v47, v3
	v_subrev_nc_u32_e32 v18, 29, v43
	v_sub_nc_u32_e32 v43, 30, v43
	s_delay_alu instid0(VALU_DEP_2) | instskip(NEXT) | instid1(VALU_DEP_1)
	v_lshlrev_b64_e32 v[18:19], v18, v[46:47]
	v_and_b32_e32 v45, 3, v18
.LBB2_7887:                             ;   in Loop: Header=BB2_7338 Depth=3
	s_or_b32 exec_lo, exec_lo, s74
	v_lshlrev_b32_e32 v18, 24, v46
                                        ; implicit-def: $vgpr46
	s_delay_alu instid0(VALU_DEP_1) | instskip(NEXT) | instid1(VALU_DEP_1)
	v_and_b32_e32 v18, 0x80000000, v18
	v_lshl_add_u32 v18, v43, 23, v18
	s_delay_alu instid0(VALU_DEP_1) | instskip(NEXT) | instid1(VALU_DEP_1)
	v_lshl_or_b32 v18, v45, 21, v18
                                        ; implicit-def: $vgpr45
	v_add_nc_u32_e32 v43, 0x38000000, v18
.LBB2_7888:                             ;   in Loop: Header=BB2_7338 Depth=3
	s_and_not1_saveexec_b32 s15, s15
; %bb.7889:                             ;   in Loop: Header=BB2_7338 Depth=3
	v_bfe_i32 v18, v46, 0, 8
	s_delay_alu instid0(VALU_DEP_1) | instskip(SKIP_2) | instid1(VALU_DEP_2)
	v_cmp_lt_i16_e32 vcc_lo, -1, v18
	v_cndmask_b32_e32 v18, 0xff800000, v111, vcc_lo
	v_cmp_eq_u32_e32 vcc_lo, 0, v45
	v_cndmask_b32_e32 v43, 0x7f800001, v18, vcc_lo
; %bb.7890:                             ;   in Loop: Header=BB2_7338 Depth=3
	s_or_b32 exec_lo, exec_lo, s15
.LBB2_7891:                             ;   in Loop: Header=BB2_7338 Depth=3
	s_delay_alu instid0(SALU_CYCLE_1)
	s_or_b32 exec_lo, exec_lo, s14
.LBB2_7892:                             ;   in Loop: Header=BB2_7338 Depth=3
	s_delay_alu instid0(SALU_CYCLE_1) | instskip(NEXT) | instid1(SALU_CYCLE_1)
	s_or_b32 exec_lo, exec_lo, s13
	s_mov_b32 s13, exec_lo
	s_wait_loadcnt_dscnt 0x101
	v_cmpx_ne_u16_e32 0, v62
	s_cbranch_execz .LBB2_7902
; %bb.7893:                             ;   in Loop: Header=BB2_7338 Depth=3
	v_bfrev_b32_e32 v2, 1
	s_mov_b32 s14, exec_lo
	v_cmpx_ne_u16_e32 0xff80, v62
	s_cbranch_execz .LBB2_7901
; %bb.7894:                             ;   in Loop: Header=BB2_7338 Depth=3
	v_and_b32_e32 v2, 0x7c, v62
	v_and_b32_e32 v45, 3, v62
	s_delay_alu instid0(VALU_DEP_2) | instskip(SKIP_1) | instid1(SALU_CYCLE_1)
	v_cmp_ne_u32_e32 vcc_lo, 0x7c, v2
                                        ; implicit-def: $vgpr2
	s_and_saveexec_b32 s15, vcc_lo
	s_xor_b32 s15, exec_lo, s15
	s_cbranch_execz .LBB2_7898
; %bb.7895:                             ;   in Loop: Header=BB2_7338 Depth=3
	v_and_b32_e32 v2, 0xff, v62
	s_mov_b32 s74, exec_lo
	s_delay_alu instid0(VALU_DEP_1) | instskip(NEXT) | instid1(VALU_DEP_1)
	v_bfe_u32 v2, v2, 2, 5
	v_cmpx_eq_u32_e32 0, v2
	s_cbranch_execz .LBB2_7897
; %bb.7896:                             ;   in Loop: Header=BB2_7338 Depth=3
	v_clz_i32_u32_e32 v2, v45
	s_delay_alu instid0(VALU_DEP_1) | instskip(SKIP_1) | instid1(VALU_DEP_2)
	v_min_u32_e32 v2, 32, v2
	v_mov_b32_e32 v63, v3
	v_subrev_nc_u32_e32 v18, 29, v2
	v_sub_nc_u32_e32 v2, 30, v2
	s_delay_alu instid0(VALU_DEP_2) | instskip(NEXT) | instid1(VALU_DEP_1)
	v_lshlrev_b64_e32 v[18:19], v18, v[62:63]
	v_and_b32_e32 v45, 3, v18
.LBB2_7897:                             ;   in Loop: Header=BB2_7338 Depth=3
	s_or_b32 exec_lo, exec_lo, s74
	v_bfe_i32 v18, v62, 0, 16
                                        ; implicit-def: $vgpr62
	s_delay_alu instid0(VALU_DEP_1) | instskip(NEXT) | instid1(VALU_DEP_1)
	v_and_b32_e32 v18, 0x80000000, v18
	v_lshl_add_u32 v2, v2, 23, v18
	s_delay_alu instid0(VALU_DEP_1) | instskip(NEXT) | instid1(VALU_DEP_1)
	v_lshl_or_b32 v2, v45, 21, v2
                                        ; implicit-def: $vgpr45
	v_add_nc_u32_e32 v2, 0x38000000, v2
.LBB2_7898:                             ;   in Loop: Header=BB2_7338 Depth=3
	s_and_not1_saveexec_b32 s15, s15
; %bb.7899:                             ;   in Loop: Header=BB2_7338 Depth=3
	v_cmp_lt_i16_e32 vcc_lo, -1, v62
	v_cndmask_b32_e32 v2, 0xff800000, v111, vcc_lo
	v_cmp_eq_u32_e32 vcc_lo, 0, v45
	s_delay_alu instid0(VALU_DEP_2)
	v_cndmask_b32_e32 v2, 0x7f800001, v2, vcc_lo
; %bb.7900:                             ;   in Loop: Header=BB2_7338 Depth=3
	s_or_b32 exec_lo, exec_lo, s15
.LBB2_7901:                             ;   in Loop: Header=BB2_7338 Depth=3
	s_delay_alu instid0(SALU_CYCLE_1)
	s_or_b32 exec_lo, exec_lo, s14
.LBB2_7902:                             ;   in Loop: Header=BB2_7338 Depth=3
	s_delay_alu instid0(SALU_CYCLE_1) | instskip(NEXT) | instid1(VALU_DEP_1)
	s_or_b32 exec_lo, exec_lo, s13
	v_add_f32_e32 v45, v43, v2
	v_mov_b32_e32 v19, v3
                                        ; implicit-def: $vgpr47
	s_mov_b32 s13, exec_lo
	s_delay_alu instid0(VALU_DEP_2) | instskip(SKIP_1) | instid1(VALU_DEP_2)
	v_and_b32_e32 v18, 0x7f800000, v45
	v_and_b32_e32 v2, 0x7fffff, v45
	v_cmpx_ne_u64_e32 0x7f800000, v[18:19]
	s_xor_b32 s14, exec_lo, s13
	s_cbranch_execz .LBB2_7920
; %bb.7903:                             ;   in Loop: Header=BB2_7338 Depth=3
	v_dual_mov_b32 v19, v3 :: v_dual_lshrrev_b32 v43, 24, v45
	v_and_b32_e32 v18, 0x7fffffff, v45
                                        ; implicit-def: $vgpr47
	s_mov_b32 s13, exec_lo
	s_delay_alu instid0(VALU_DEP_2) | instskip(NEXT) | instid1(VALU_DEP_2)
	v_and_b32_e32 v43, 0x80, v43
	v_cmpx_gt_u64_e32 0x47600001, v[18:19]
	s_xor_b32 s15, exec_lo, s13
	s_cbranch_execz .LBB2_7917
; %bb.7904:                             ;   in Loop: Header=BB2_7338 Depth=3
	v_mov_b32_e32 v47, 0
	s_mov_b32 s74, exec_lo
	v_cmpx_ne_u32_e32 0, v45
	s_cbranch_execz .LBB2_7916
; %bb.7905:                             ;   in Loop: Header=BB2_7338 Depth=3
	v_bfe_u32 v45, v45, 23, 8
	v_or_b32_e32 v46, 0x800000, v2
	s_delay_alu instid0(VALU_DEP_2) | instskip(SKIP_1) | instid1(VALU_DEP_2)
	v_dual_mov_b32 v47, v3 :: v_dual_sub_nc_u32 v18, 0x71, v45
	v_cmp_gt_u32_e32 vcc_lo, 0x72, v45
	v_cndmask_b32_e32 v18, 0, v18, vcc_lo
	v_cmp_eq_u32_e32 vcc_lo, 0, v45
	s_delay_alu instid0(VALU_DEP_2) | instskip(NEXT) | instid1(VALU_DEP_1)
	v_cndmask_b32_e64 v59, v18, 0x70, vcc_lo
	v_dual_cndmask_b32 v46, v46, v2, vcc_lo :: v_dual_add_nc_u32 v18, 21, v59
	v_add_nc_u32_e32 v56, 20, v59
	s_delay_alu instid0(VALU_DEP_2) | instskip(NEXT) | instid1(VALU_DEP_2)
	v_lshlrev_b64_e64 v[18:19], v18, -1
	v_lshlrev_b64_e64 v[56:57], v56, 1
	s_delay_alu instid0(VALU_DEP_2) | instskip(SKIP_1) | instid1(VALU_DEP_4)
	v_bfi_b32 v18, v18, 0, v46
	v_lshrrev_b64 v[46:47], v59, v[46:47]
	v_bfi_b32 v19, v19, 0, 0
	s_delay_alu instid0(VALU_DEP_1) | instskip(NEXT) | instid1(VALU_DEP_3)
	v_cmp_eq_u64_e64 s13, v[18:19], v[56:57]
	v_mov_b64_e32 v[56:57], v[46:47]
	s_and_saveexec_b32 s75, s13
; %bb.7906:                             ;   in Loop: Header=BB2_7338 Depth=3
	v_bfe_u32 v18, v46, 21, 1
	v_mov_b32_e32 v19, v3
	s_delay_alu instid0(VALU_DEP_1) | instskip(NEXT) | instid1(VALU_DEP_1)
	v_add_nc_u64_e32 v[18:19], v[46:47], v[18:19]
	v_add_nc_u64_e32 v[56:57], -1, v[18:19]
; %bb.7907:                             ;   in Loop: Header=BB2_7338 Depth=3
	s_or_b32 exec_lo, exec_lo, s75
	v_add_nc_u32_e32 v2, 0xffffff81, v45
	s_delay_alu instid0(VALU_DEP_2) | instskip(SKIP_2) | instid1(VALU_DEP_3)
	v_and_b32_e32 v19, 0x1fffff, v56
	v_lshrrev_b32_e32 v18, 23, v46
	s_mov_b32 s13, exec_lo
                                        ; implicit-def: $vgpr45
	v_cndmask_b32_e64 v2, v2, 0xffffff82, vcc_lo
	s_delay_alu instid0(VALU_DEP_1) | instskip(SKIP_1) | instid1(VALU_DEP_2)
	v_add3_u32 v56, v59, v2, v18
	v_add_nc_u32_e32 v2, v19, v46
                                        ; implicit-def: $vgpr46_vgpr47
	v_add_nc_u32_e32 v57, 14, v56
	s_delay_alu instid0(VALU_DEP_1)
	v_cmpx_ne_u32_e32 0, v57
	s_xor_b32 s13, exec_lo, s13
; %bb.7908:                             ;   in Loop: Header=BB2_7338 Depth=3
	s_delay_alu instid0(VALU_DEP_3) | instskip(SKIP_1) | instid1(VALU_DEP_1)
	v_cmp_lt_u64_e32 vcc_lo, 0xffffff, v[2:3]
	v_add_nc_u32_e32 v18, 15, v56
	v_cndmask_b32_e32 v45, v57, v18, vcc_lo
	v_cndmask_b32_e64 v18, 0, 1, vcc_lo
	s_delay_alu instid0(VALU_DEP_1)
	v_lshrrev_b64 v[46:47], v18, v[2:3]
; %bb.7909:                             ;   in Loop: Header=BB2_7338 Depth=3
	s_and_not1_saveexec_b32 s13, s13
; %bb.7910:                             ;   in Loop: Header=BB2_7338 Depth=3
	v_mov_b64_e32 v[46:47], v[2:3]
	v_bfe_u32 v45, v2, 23, 1
; %bb.7911:                             ;   in Loop: Header=BB2_7338 Depth=3
	s_or_b32 exec_lo, exec_lo, s13
	s_delay_alu instid0(VALU_DEP_2) | instskip(NEXT) | instid1(VALU_DEP_2)
	v_lshrrev_b64 v[18:19], 21, v[46:47]
	v_cmp_gt_i32_e32 vcc_lo, 32, v45
	v_cmp_ne_u32_e64 s13, 0, v45
	s_delay_alu instid0(VALU_DEP_3) | instskip(NEXT) | instid1(VALU_DEP_1)
	v_dual_cndmask_b32 v47, 0, v19 :: v_dual_cndmask_b32 v46, 3, v18
	v_cmp_ne_u64_e32 vcc_lo, 0, v[46:47]
                                        ; implicit-def: $vgpr47
	s_or_b32 s13, s13, vcc_lo
	s_delay_alu instid0(SALU_CYCLE_1) | instskip(NEXT) | instid1(SALU_CYCLE_1)
	s_and_saveexec_b32 s75, s13
	s_xor_b32 s13, exec_lo, s75
; %bb.7912:                             ;   in Loop: Header=BB2_7338 Depth=3
	v_min_i32_e32 v2, 31, v45
	s_delay_alu instid0(VALU_DEP_1) | instskip(NEXT) | instid1(VALU_DEP_1)
	v_lshl_or_b32 v2, v2, 2, v43
                                        ; implicit-def: $vgpr43
	v_and_or_b32 v47, v46, 3, v2
; %bb.7913:                             ;   in Loop: Header=BB2_7338 Depth=3
	s_and_not1_saveexec_b32 s13, s13
; %bb.7914:                             ;   in Loop: Header=BB2_7338 Depth=3
	v_mov_b32_e32 v47, v43
; %bb.7915:                             ;   in Loop: Header=BB2_7338 Depth=3
	s_or_b32 exec_lo, exec_lo, s13
.LBB2_7916:                             ;   in Loop: Header=BB2_7338 Depth=3
	s_delay_alu instid0(SALU_CYCLE_1)
	s_or_b32 exec_lo, exec_lo, s74
                                        ; implicit-def: $vgpr43
.LBB2_7917:                             ;   in Loop: Header=BB2_7338 Depth=3
	s_and_not1_saveexec_b32 s13, s15
; %bb.7918:                             ;   in Loop: Header=BB2_7338 Depth=3
	v_or_b32_e32 v47, 0x7b, v43
; %bb.7919:                             ;   in Loop: Header=BB2_7338 Depth=3
	s_or_b32 exec_lo, exec_lo, s13
                                        ; implicit-def: $vgpr45
.LBB2_7920:                             ;   in Loop: Header=BB2_7338 Depth=3
	s_and_not1_saveexec_b32 s13, s14
	s_cbranch_execz .LBB2_7926
; %bb.7921:                             ;   in Loop: Header=BB2_7338 Depth=3
	s_mov_b32 s14, exec_lo
                                        ; implicit-def: $vgpr47
	v_cmpx_ne_u64_e32 0, v[2:3]
	s_xor_b32 s14, exec_lo, s14
; %bb.7922:                             ;   in Loop: Header=BB2_7338 Depth=3
	v_lshrrev_b32_e32 v2, 24, v45
                                        ; implicit-def: $vgpr45
	s_delay_alu instid0(VALU_DEP_1)
	v_or_b32_e32 v47, 0x7f, v2
; %bb.7923:                             ;   in Loop: Header=BB2_7338 Depth=3
	s_and_not1_saveexec_b32 s14, s14
; %bb.7924:                             ;   in Loop: Header=BB2_7338 Depth=3
	v_cmp_lt_i32_e32 vcc_lo, -1, v45
	v_cndmask_b32_e64 v47, -4, 0x7c, vcc_lo
; %bb.7925:                             ;   in Loop: Header=BB2_7338 Depth=3
	s_or_b32 exec_lo, exec_lo, s14
.LBB2_7926:                             ;   in Loop: Header=BB2_7338 Depth=3
	s_delay_alu instid0(SALU_CYCLE_1) | instskip(SKIP_3) | instid1(VALU_DEP_2)
	s_or_b32 exec_lo, exec_lo, s13
	v_and_b32_e32 v46, 0xff, v42
	v_dual_mov_b32 v2, 0 :: v_dual_mov_b32 v43, 0
	s_mov_b32 s13, exec_lo
	v_cmpx_ne_u16_e32 0, v46
	s_cbranch_execz .LBB2_7936
; %bb.7927:                             ;   in Loop: Header=BB2_7338 Depth=3
	v_bfrev_b32_e32 v43, 1
	s_mov_b32 s14, exec_lo
	v_cmpx_ne_u16_e32 0x80, v46
	s_cbranch_execz .LBB2_7935
; %bb.7928:                             ;   in Loop: Header=BB2_7338 Depth=3
	v_and_b32_e32 v18, 0x7c, v42
	v_and_b32_e32 v45, 3, v42
	s_mov_b32 s15, exec_lo
                                        ; implicit-def: $vgpr43
	s_delay_alu instid0(VALU_DEP_2)
	v_cmpx_ne_u32_e32 0x7c, v18
	s_xor_b32 s15, exec_lo, s15
	s_cbranch_execz .LBB2_7932
; %bb.7929:                             ;   in Loop: Header=BB2_7338 Depth=3
	v_bfe_u32 v43, v46, 2, 5
	s_mov_b32 s74, exec_lo
	s_delay_alu instid0(VALU_DEP_1)
	v_cmpx_eq_u32_e32 0, v43
; %bb.7930:                             ;   in Loop: Header=BB2_7338 Depth=3
	v_clz_i32_u32_e32 v18, v45
	v_mov_b32_e32 v43, v3
	s_delay_alu instid0(VALU_DEP_2) | instskip(NEXT) | instid1(VALU_DEP_1)
	v_min_u32_e32 v45, 32, v18
	v_subrev_nc_u32_e32 v18, 29, v45
	s_delay_alu instid0(VALU_DEP_1) | instskip(NEXT) | instid1(VALU_DEP_1)
	v_lshlrev_b64_e32 v[18:19], v18, v[42:43]
	v_dual_sub_nc_u32 v43, 30, v45 :: v_dual_bitop2_b32 v45, 3, v18 bitop3:0x40
; %bb.7931:                             ;   in Loop: Header=BB2_7338 Depth=3
	s_or_b32 exec_lo, exec_lo, s74
	v_lshlrev_b32_e32 v18, 24, v42
                                        ; implicit-def: $vgpr42
	s_delay_alu instid0(VALU_DEP_1) | instskip(NEXT) | instid1(VALU_DEP_1)
	v_and_b32_e32 v18, 0x80000000, v18
	v_lshl_add_u32 v18, v43, 23, v18
	s_delay_alu instid0(VALU_DEP_1) | instskip(NEXT) | instid1(VALU_DEP_1)
	v_lshl_or_b32 v18, v45, 21, v18
                                        ; implicit-def: $vgpr45
	v_add_nc_u32_e32 v43, 0x38000000, v18
.LBB2_7932:                             ;   in Loop: Header=BB2_7338 Depth=3
	s_and_not1_saveexec_b32 s15, s15
; %bb.7933:                             ;   in Loop: Header=BB2_7338 Depth=3
	v_bfe_i32 v18, v42, 0, 8
	s_delay_alu instid0(VALU_DEP_1) | instskip(SKIP_2) | instid1(VALU_DEP_2)
	v_cmp_lt_i16_e32 vcc_lo, -1, v18
	v_cndmask_b32_e32 v18, 0xff800000, v111, vcc_lo
	v_cmp_eq_u32_e32 vcc_lo, 0, v45
	v_cndmask_b32_e32 v43, 0x7f800001, v18, vcc_lo
; %bb.7934:                             ;   in Loop: Header=BB2_7338 Depth=3
	s_or_b32 exec_lo, exec_lo, s15
.LBB2_7935:                             ;   in Loop: Header=BB2_7338 Depth=3
	s_delay_alu instid0(SALU_CYCLE_1)
	s_or_b32 exec_lo, exec_lo, s14
.LBB2_7936:                             ;   in Loop: Header=BB2_7338 Depth=3
	s_delay_alu instid0(SALU_CYCLE_1) | instskip(NEXT) | instid1(SALU_CYCLE_1)
	s_or_b32 exec_lo, exec_lo, s13
	s_mov_b32 s13, exec_lo
	s_wait_loadcnt_dscnt 0x0
	v_cmpx_ne_u16_e32 0, v44
	s_cbranch_execz .LBB2_7946
; %bb.7937:                             ;   in Loop: Header=BB2_7338 Depth=3
	v_bfrev_b32_e32 v2, 1
	s_mov_b32 s14, exec_lo
	v_cmpx_ne_u16_e32 0xff80, v44
	s_cbranch_execz .LBB2_7945
; %bb.7938:                             ;   in Loop: Header=BB2_7338 Depth=3
	v_and_b32_e32 v2, 0x7c, v44
	v_and_b32_e32 v42, 3, v44
	s_delay_alu instid0(VALU_DEP_2) | instskip(SKIP_1) | instid1(SALU_CYCLE_1)
	v_cmp_ne_u32_e32 vcc_lo, 0x7c, v2
                                        ; implicit-def: $vgpr2
	s_and_saveexec_b32 s15, vcc_lo
	s_xor_b32 s15, exec_lo, s15
	s_cbranch_execz .LBB2_7942
; %bb.7939:                             ;   in Loop: Header=BB2_7338 Depth=3
	v_and_b32_e32 v2, 0xff, v44
	s_mov_b32 s74, exec_lo
	s_delay_alu instid0(VALU_DEP_1) | instskip(NEXT) | instid1(VALU_DEP_1)
	v_bfe_u32 v2, v2, 2, 5
	v_cmpx_eq_u32_e32 0, v2
	s_cbranch_execz .LBB2_7941
; %bb.7940:                             ;   in Loop: Header=BB2_7338 Depth=3
	v_clz_i32_u32_e32 v2, v42
	s_delay_alu instid0(VALU_DEP_1) | instskip(SKIP_1) | instid1(VALU_DEP_2)
	v_min_u32_e32 v2, 32, v2
	v_mov_b32_e32 v45, v3
	v_subrev_nc_u32_e32 v18, 29, v2
	v_sub_nc_u32_e32 v2, 30, v2
	s_delay_alu instid0(VALU_DEP_2) | instskip(NEXT) | instid1(VALU_DEP_1)
	v_lshlrev_b64_e32 v[18:19], v18, v[44:45]
	v_and_b32_e32 v42, 3, v18
.LBB2_7941:                             ;   in Loop: Header=BB2_7338 Depth=3
	s_or_b32 exec_lo, exec_lo, s74
	v_bfe_i32 v18, v44, 0, 16
                                        ; implicit-def: $vgpr44
	s_delay_alu instid0(VALU_DEP_1) | instskip(NEXT) | instid1(VALU_DEP_1)
	v_and_b32_e32 v18, 0x80000000, v18
	v_lshl_add_u32 v2, v2, 23, v18
	s_delay_alu instid0(VALU_DEP_1) | instskip(NEXT) | instid1(VALU_DEP_1)
	v_lshl_or_b32 v2, v42, 21, v2
                                        ; implicit-def: $vgpr42
	v_add_nc_u32_e32 v2, 0x38000000, v2
.LBB2_7942:                             ;   in Loop: Header=BB2_7338 Depth=3
	s_and_not1_saveexec_b32 s15, s15
; %bb.7943:                             ;   in Loop: Header=BB2_7338 Depth=3
	v_cmp_lt_i16_e32 vcc_lo, -1, v44
	v_cndmask_b32_e32 v2, 0xff800000, v111, vcc_lo
	v_cmp_eq_u32_e32 vcc_lo, 0, v42
	s_delay_alu instid0(VALU_DEP_2)
	v_cndmask_b32_e32 v2, 0x7f800001, v2, vcc_lo
; %bb.7944:                             ;   in Loop: Header=BB2_7338 Depth=3
	s_or_b32 exec_lo, exec_lo, s15
.LBB2_7945:                             ;   in Loop: Header=BB2_7338 Depth=3
	s_delay_alu instid0(SALU_CYCLE_1)
	s_or_b32 exec_lo, exec_lo, s14
.LBB2_7946:                             ;   in Loop: Header=BB2_7338 Depth=3
	s_delay_alu instid0(SALU_CYCLE_1) | instskip(NEXT) | instid1(VALU_DEP_1)
	s_or_b32 exec_lo, exec_lo, s13
	v_add_f32_e32 v42, v43, v2
	v_mov_b32_e32 v19, v3
                                        ; implicit-def: $vgpr43
	s_mov_b32 s13, exec_lo
	s_delay_alu instid0(VALU_DEP_2) | instskip(SKIP_1) | instid1(VALU_DEP_2)
	v_and_b32_e32 v18, 0x7f800000, v42
	v_and_b32_e32 v2, 0x7fffff, v42
	v_cmpx_ne_u64_e32 0x7f800000, v[18:19]
	s_xor_b32 s14, exec_lo, s13
	s_cbranch_execz .LBB2_7964
; %bb.7947:                             ;   in Loop: Header=BB2_7338 Depth=3
	v_dual_mov_b32 v19, v3 :: v_dual_lshrrev_b32 v43, 24, v42
	v_and_b32_e32 v18, 0x7fffffff, v42
	s_mov_b32 s13, exec_lo
	s_delay_alu instid0(VALU_DEP_2) | instskip(NEXT) | instid1(VALU_DEP_2)
	v_and_b32_e32 v46, 0x80, v43
                                        ; implicit-def: $vgpr43
	v_cmpx_gt_u64_e32 0x47600001, v[18:19]
	s_xor_b32 s15, exec_lo, s13
	s_cbranch_execz .LBB2_7961
; %bb.7948:                             ;   in Loop: Header=BB2_7338 Depth=3
	v_mov_b32_e32 v43, 0
	s_mov_b32 s74, exec_lo
	v_cmpx_ne_u32_e32 0, v42
	s_cbranch_execz .LBB2_7960
; %bb.7949:                             ;   in Loop: Header=BB2_7338 Depth=3
	v_bfe_u32 v56, v42, 23, 8
	v_or_b32_e32 v42, 0x800000, v2
	s_delay_alu instid0(VALU_DEP_2) | instskip(SKIP_1) | instid1(VALU_DEP_2)
	v_dual_mov_b32 v43, v3 :: v_dual_sub_nc_u32 v18, 0x71, v56
	v_cmp_gt_u32_e32 vcc_lo, 0x72, v56
	v_cndmask_b32_e32 v18, 0, v18, vcc_lo
	v_cmp_eq_u32_e32 vcc_lo, 0, v56
	s_delay_alu instid0(VALU_DEP_2) | instskip(NEXT) | instid1(VALU_DEP_1)
	v_cndmask_b32_e64 v57, v18, 0x70, vcc_lo
	v_dual_cndmask_b32 v42, v42, v2, vcc_lo :: v_dual_add_nc_u32 v18, 21, v57
	v_add_nc_u32_e32 v44, 20, v57
	s_delay_alu instid0(VALU_DEP_2) | instskip(NEXT) | instid1(VALU_DEP_2)
	v_lshlrev_b64_e64 v[18:19], v18, -1
	v_lshlrev_b64_e64 v[44:45], v44, 1
	s_delay_alu instid0(VALU_DEP_2) | instskip(SKIP_1) | instid1(VALU_DEP_4)
	v_bfi_b32 v18, v18, 0, v42
	v_lshrrev_b64 v[42:43], v57, v[42:43]
	v_bfi_b32 v19, v19, 0, 0
	s_delay_alu instid0(VALU_DEP_1) | instskip(NEXT) | instid1(VALU_DEP_3)
	v_cmp_eq_u64_e64 s13, v[18:19], v[44:45]
	v_mov_b64_e32 v[44:45], v[42:43]
	s_and_saveexec_b32 s75, s13
; %bb.7950:                             ;   in Loop: Header=BB2_7338 Depth=3
	v_bfe_u32 v18, v42, 21, 1
	v_mov_b32_e32 v19, v3
	s_delay_alu instid0(VALU_DEP_1) | instskip(NEXT) | instid1(VALU_DEP_1)
	v_add_nc_u64_e32 v[18:19], v[42:43], v[18:19]
	v_add_nc_u64_e32 v[44:45], -1, v[18:19]
; %bb.7951:                             ;   in Loop: Header=BB2_7338 Depth=3
	s_or_b32 exec_lo, exec_lo, s75
	v_add_nc_u32_e32 v2, 0xffffff81, v56
	s_delay_alu instid0(VALU_DEP_2) | instskip(SKIP_2) | instid1(VALU_DEP_3)
	v_and_b32_e32 v19, 0x1fffff, v44
	v_lshrrev_b32_e32 v18, 23, v42
	s_mov_b32 s13, exec_lo
                                        ; implicit-def: $vgpr44
	v_cndmask_b32_e64 v2, v2, 0xffffff82, vcc_lo
	s_delay_alu instid0(VALU_DEP_1) | instskip(SKIP_1) | instid1(VALU_DEP_2)
	v_add3_u32 v45, v57, v2, v18
	v_add_nc_u32_e32 v2, v19, v42
                                        ; implicit-def: $vgpr42_vgpr43
	v_add_nc_u32_e32 v56, 14, v45
	s_delay_alu instid0(VALU_DEP_1)
	v_cmpx_ne_u32_e32 0, v56
	s_xor_b32 s13, exec_lo, s13
; %bb.7952:                             ;   in Loop: Header=BB2_7338 Depth=3
	s_delay_alu instid0(VALU_DEP_3) | instskip(SKIP_1) | instid1(VALU_DEP_1)
	v_cmp_lt_u64_e32 vcc_lo, 0xffffff, v[2:3]
	v_add_nc_u32_e32 v18, 15, v45
	v_cndmask_b32_e32 v44, v56, v18, vcc_lo
	v_cndmask_b32_e64 v18, 0, 1, vcc_lo
	s_delay_alu instid0(VALU_DEP_1)
	v_lshrrev_b64 v[42:43], v18, v[2:3]
; %bb.7953:                             ;   in Loop: Header=BB2_7338 Depth=3
	s_and_not1_saveexec_b32 s13, s13
; %bb.7954:                             ;   in Loop: Header=BB2_7338 Depth=3
	v_mov_b64_e32 v[42:43], v[2:3]
	v_bfe_u32 v44, v2, 23, 1
; %bb.7955:                             ;   in Loop: Header=BB2_7338 Depth=3
	s_or_b32 exec_lo, exec_lo, s13
	s_delay_alu instid0(VALU_DEP_2) | instskip(NEXT) | instid1(VALU_DEP_2)
	v_lshrrev_b64 v[18:19], 21, v[42:43]
	v_cmp_gt_i32_e32 vcc_lo, 32, v44
	v_cmp_ne_u32_e64 s13, 0, v44
	s_delay_alu instid0(VALU_DEP_3) | instskip(NEXT) | instid1(VALU_DEP_1)
	v_dual_cndmask_b32 v43, 0, v19 :: v_dual_cndmask_b32 v42, 3, v18
	v_cmp_ne_u64_e32 vcc_lo, 0, v[42:43]
                                        ; implicit-def: $vgpr43
	s_or_b32 s13, s13, vcc_lo
	s_delay_alu instid0(SALU_CYCLE_1) | instskip(NEXT) | instid1(SALU_CYCLE_1)
	s_and_saveexec_b32 s75, s13
	s_xor_b32 s13, exec_lo, s75
; %bb.7956:                             ;   in Loop: Header=BB2_7338 Depth=3
	v_min_i32_e32 v2, 31, v44
	s_delay_alu instid0(VALU_DEP_1) | instskip(NEXT) | instid1(VALU_DEP_1)
	v_lshl_or_b32 v2, v2, 2, v46
                                        ; implicit-def: $vgpr46
	v_and_or_b32 v43, v42, 3, v2
; %bb.7957:                             ;   in Loop: Header=BB2_7338 Depth=3
	s_and_not1_saveexec_b32 s13, s13
; %bb.7958:                             ;   in Loop: Header=BB2_7338 Depth=3
	v_mov_b32_e32 v43, v46
; %bb.7959:                             ;   in Loop: Header=BB2_7338 Depth=3
	s_or_b32 exec_lo, exec_lo, s13
.LBB2_7960:                             ;   in Loop: Header=BB2_7338 Depth=3
	s_delay_alu instid0(SALU_CYCLE_1)
	s_or_b32 exec_lo, exec_lo, s74
                                        ; implicit-def: $vgpr46
.LBB2_7961:                             ;   in Loop: Header=BB2_7338 Depth=3
	s_and_not1_saveexec_b32 s13, s15
; %bb.7962:                             ;   in Loop: Header=BB2_7338 Depth=3
	v_or_b32_e32 v43, 0x7b, v46
; %bb.7963:                             ;   in Loop: Header=BB2_7338 Depth=3
	s_or_b32 exec_lo, exec_lo, s13
                                        ; implicit-def: $vgpr42
.LBB2_7964:                             ;   in Loop: Header=BB2_7338 Depth=3
	s_and_not1_saveexec_b32 s13, s14
	s_cbranch_execz .LBB2_7337
; %bb.7965:                             ;   in Loop: Header=BB2_7338 Depth=3
	s_mov_b32 s14, exec_lo
                                        ; implicit-def: $vgpr43
	v_cmpx_ne_u64_e32 0, v[2:3]
	s_xor_b32 s14, exec_lo, s14
; %bb.7966:                             ;   in Loop: Header=BB2_7338 Depth=3
	v_lshrrev_b32_e32 v2, 24, v42
                                        ; implicit-def: $vgpr42
	s_delay_alu instid0(VALU_DEP_1)
	v_or_b32_e32 v43, 0x7f, v2
; %bb.7967:                             ;   in Loop: Header=BB2_7338 Depth=3
	s_and_not1_saveexec_b32 s14, s14
	s_cbranch_execz .LBB2_7336
; %bb.7968:                             ;   in Loop: Header=BB2_7338 Depth=3
	v_cmp_lt_i32_e32 vcc_lo, -1, v42
	v_cndmask_b32_e64 v43, -4, 0x7c, vcc_lo
	s_branch .LBB2_7336
.LBB2_7969:                             ;   in Loop: Header=BB2_5115 Depth=2
	s_or_b32 exec_lo, exec_lo, s43
.LBB2_7970:                             ;   in Loop: Header=BB2_5115 Depth=2
	s_delay_alu instid0(SALU_CYCLE_1) | instskip(SKIP_1) | instid1(VALU_DEP_1)
	s_or_b32 exec_lo, exec_lo, s42
	v_lshlrev_b32_e32 v2, 8, v16
	v_cmp_ne_u32_e32 vcc_lo, v124, v2
	s_and_b32 exec_lo, exec_lo, vcc_lo
	s_cbranch_execz .LBB2_8062
; %bb.7971:                             ;   in Loop: Header=BB2_5115 Depth=2
	v_dual_lshlrev_b32 v8, 5, v103 :: v_dual_lshlrev_b32 v9, 5, v126
	s_delay_alu instid0(VALU_DEP_1) | instskip(NEXT) | instid1(VALU_DEP_1)
	v_sub_nc_u32_e32 v8, v125, v8
	v_sub_nc_u32_e32 v8, v8, v9
	s_delay_alu instid0(VALU_DEP_1) | instskip(NEXT) | instid1(VALU_DEP_1)
	v_add_nc_u32_e32 v2, v2, v8
	v_sub_nc_u32_e32 v16, v124, v2
	s_delay_alu instid0(VALU_DEP_1)
	v_cmp_lt_i32_e32 vcc_lo, 0, v16
	s_and_b32 exec_lo, exec_lo, vcc_lo
	s_cbranch_execz .LBB2_8062
; %bb.7972:                             ;   in Loop: Header=BB2_5115 Depth=2
	s_trap 2
	ds_load_b128 v[8:11], v0
	v_add_nc_u32_e32 v18, v2, v30
	s_mov_b32 s74, 0
	s_delay_alu instid0(VALU_DEP_1) | instskip(SKIP_1) | instid1(VALU_DEP_1)
	v_ashrrev_i32_e32 v19, 31, v18
	s_wait_dscnt 0x0
	v_add_nc_u64_e32 v[8:9], v[8:9], v[18:19]
	v_add_nc_u64_e32 v[10:11], v[10:11], v[18:19]
	s_delay_alu instid0(VALU_DEP_2) | instskip(NEXT) | instid1(VALU_DEP_2)
	v_mov_b64_e32 v[118:119], v[8:9]
	v_mov_b64_e32 v[40:41], v[10:11]
.LBB2_7973:                             ;   Parent Loop BB2_47 Depth=1
                                        ;     Parent Loop BB2_5115 Depth=2
                                        ; =>    This Loop Header: Depth=3
                                        ;         Child Loop BB2_8060 Depth 4
	s_trap 2
	ds_load_b64 v[18:19], v0
	s_mov_b32 s13, 0
	s_wait_dscnt 0x0
	v_and_b32_e32 v2, 0xff, v18
	v_readfirstlane_b32 s14, v18
	v_readfirstlane_b32 s15, v19
	s_delay_alu instid0(VALU_DEP_3)
	v_cmp_eq_u32_e32 vcc_lo, 0, v2
	s_cbranch_vccnz .LBB2_7981
; %bb.7974:                             ;   in Loop: Header=BB2_7973 Depth=3
	s_bfe_i32 s43, s14, 0x80000
	s_delay_alu instid0(SALU_CYCLE_1) | instskip(NEXT) | instid1(SALU_CYCLE_1)
	s_and_b32 s13, 0xffff, s43
	s_cmp_eq_u32 s13, 0xff80
	s_brev_b32 s13, 1
	s_cbranch_scc1 .LBB2_7981
; %bb.7975:                             ;   in Loop: Header=BB2_7973 Depth=3
	s_and_b32 s13, s14, 0x7c
	s_and_b32 s42, s14, 3
	s_mov_b32 s75, -1
	s_cmp_lg_u32 s13, 0x7c
	s_sext_i32_i16 s43, s43
                                        ; implicit-def: $sgpr13
	s_cbranch_scc0 .LBB2_7979
; %bb.7976:                             ;   in Loop: Header=BB2_7973 Depth=3
	s_bfe_u32 s13, s14, 0x50002
	s_mov_b32 s75, s42
	s_cmp_lg_u32 s13, 0
	s_cbranch_scc1 .LBB2_7978
; %bb.7977:                             ;   in Loop: Header=BB2_7973 Depth=3
	s_clz_i32_u32 s13, s42
	s_delay_alu instid0(SALU_CYCLE_1) | instskip(NEXT) | instid1(SALU_CYCLE_1)
	s_min_u32 s13, s13, 32
	s_sub_co_i32 s75, s13, 29
	s_sub_co_i32 s13, 30, s13
	s_lshl_b64 s[14:15], s[14:15], s75
	s_delay_alu instid0(SALU_CYCLE_1)
	s_and_b32 s75, s14, 3
.LBB2_7978:                             ;   in Loop: Header=BB2_7973 Depth=3
	s_and_b32 s14, s43, 0x80000000
	s_lshl_b32 s13, s13, 23
	s_lshl_b32 s15, s75, 21
	s_add_co_i32 s13, s13, s14
	s_mov_b32 s75, 0
	s_or_b32 s13, s13, s15
	s_delay_alu instid0(SALU_CYCLE_1)
	s_add_co_i32 s13, s13, 0x38000000
.LBB2_7979:                             ;   in Loop: Header=BB2_7973 Depth=3
	s_and_b32 vcc_lo, exec_lo, s75
	s_cbranch_vccz .LBB2_7981
; %bb.7980:                             ;   in Loop: Header=BB2_7973 Depth=3
	s_cmp_gt_i32 s43, -1
	s_cselect_b32 s13, s47, 0xff800000
	s_cmp_eq_u32 s42, 0
	s_cselect_b32 s13, s13, 0x7f800001
.LBB2_7981:                             ;   in Loop: Header=BB2_7973 Depth=3
	flat_load_i8 v42, v[118:119] th:TH_LOAD_NT
	v_mov_b32_e32 v17, 0
	s_mov_b32 s14, exec_lo
	s_wait_loadcnt_dscnt 0x0
	v_cmpx_ne_u16_e32 0, v42
	s_cbranch_execz .LBB2_7991
; %bb.7982:                             ;   in Loop: Header=BB2_7973 Depth=3
	v_bfrev_b32_e32 v17, 1
	s_mov_b32 s15, exec_lo
	v_cmpx_ne_u16_e32 0xff80, v42
	s_cbranch_execz .LBB2_7990
; %bb.7983:                             ;   in Loop: Header=BB2_7973 Depth=3
	v_and_b32_e32 v17, 0x7c, v42
	v_and_b32_e32 v2, 3, v42
	s_delay_alu instid0(VALU_DEP_2) | instskip(SKIP_1) | instid1(SALU_CYCLE_1)
	v_cmp_ne_u32_e32 vcc_lo, 0x7c, v17
                                        ; implicit-def: $vgpr17
	s_and_saveexec_b32 s42, vcc_lo
	s_xor_b32 s42, exec_lo, s42
	s_cbranch_execz .LBB2_7987
; %bb.7984:                             ;   in Loop: Header=BB2_7973 Depth=3
	v_and_b32_e32 v17, 0xff, v42
	s_mov_b32 s43, exec_lo
	s_delay_alu instid0(VALU_DEP_1) | instskip(NEXT) | instid1(VALU_DEP_1)
	v_bfe_u32 v17, v17, 2, 5
	v_cmpx_eq_u32_e32 0, v17
	s_cbranch_execz .LBB2_7986
; %bb.7985:                             ;   in Loop: Header=BB2_7973 Depth=3
	v_clz_i32_u32_e32 v2, v2
	s_delay_alu instid0(VALU_DEP_1) | instskip(SKIP_1) | instid1(VALU_DEP_2)
	v_min_u32_e32 v2, 32, v2
	v_mov_b32_e32 v43, v3
	v_subrev_nc_u32_e32 v17, 29, v2
	s_delay_alu instid0(VALU_DEP_1) | instskip(SKIP_1) | instid1(VALU_DEP_2)
	v_lshlrev_b64_e32 v[18:19], v17, v[42:43]
	v_sub_nc_u32_e32 v17, 30, v2
	v_and_b32_e32 v2, 3, v18
.LBB2_7986:                             ;   in Loop: Header=BB2_7973 Depth=3
	s_or_b32 exec_lo, exec_lo, s43
	v_bfe_i32 v18, v42, 0, 16
                                        ; implicit-def: $vgpr42
	s_delay_alu instid0(VALU_DEP_1) | instskip(NEXT) | instid1(VALU_DEP_1)
	v_and_b32_e32 v18, 0x80000000, v18
	v_lshl_add_u32 v17, v17, 23, v18
	s_delay_alu instid0(VALU_DEP_1) | instskip(NEXT) | instid1(VALU_DEP_1)
	v_lshl_or_b32 v2, v2, 21, v17
	v_add_nc_u32_e32 v17, 0x38000000, v2
                                        ; implicit-def: $vgpr2
.LBB2_7987:                             ;   in Loop: Header=BB2_7973 Depth=3
	s_and_not1_saveexec_b32 s42, s42
; %bb.7988:                             ;   in Loop: Header=BB2_7973 Depth=3
	v_cmp_lt_i16_e32 vcc_lo, -1, v42
	v_cndmask_b32_e32 v17, 0xff800000, v111, vcc_lo
	v_cmp_eq_u32_e32 vcc_lo, 0, v2
	s_delay_alu instid0(VALU_DEP_2)
	v_cndmask_b32_e32 v17, 0x7f800001, v17, vcc_lo
; %bb.7989:                             ;   in Loop: Header=BB2_7973 Depth=3
	s_or_b32 exec_lo, exec_lo, s42
.LBB2_7990:                             ;   in Loop: Header=BB2_7973 Depth=3
	s_delay_alu instid0(SALU_CYCLE_1)
	s_or_b32 exec_lo, exec_lo, s15
.LBB2_7991:                             ;   in Loop: Header=BB2_7973 Depth=3
	s_delay_alu instid0(SALU_CYCLE_1) | instskip(NEXT) | instid1(VALU_DEP_1)
	s_or_b32 exec_lo, exec_lo, s14
	v_dual_mul_f32 v30, s13, v17 :: v_dual_mov_b32 v19, v3
                                        ; implicit-def: $vgpr42
	s_mov_b32 s13, exec_lo
	s_delay_alu instid0(VALU_DEP_1) | instskip(SKIP_1) | instid1(VALU_DEP_2)
	v_and_b32_e32 v18, 0x7f800000, v30
	v_and_b32_e32 v2, 0x7fffff, v30
	v_cmpx_ne_u64_e32 0x7f800000, v[18:19]
	s_xor_b32 s14, exec_lo, s13
	s_cbranch_execz .LBB2_8009
; %bb.7992:                             ;   in Loop: Header=BB2_7973 Depth=3
	v_dual_mov_b32 v19, v3 :: v_dual_lshrrev_b32 v17, 24, v30
	v_and_b32_e32 v18, 0x7fffffff, v30
                                        ; implicit-def: $vgpr42
	s_mov_b32 s13, exec_lo
	s_delay_alu instid0(VALU_DEP_2) | instskip(NEXT) | instid1(VALU_DEP_2)
	v_and_b32_e32 v17, 0x80, v17
	v_cmpx_gt_u64_e32 0x47600001, v[18:19]
	s_xor_b32 s15, exec_lo, s13
	s_cbranch_execz .LBB2_8006
; %bb.7993:                             ;   in Loop: Header=BB2_7973 Depth=3
	v_mov_b32_e32 v42, 0
	s_mov_b32 s42, exec_lo
	v_cmpx_ne_u32_e32 0, v30
	s_cbranch_execz .LBB2_8005
; %bb.7994:                             ;   in Loop: Header=BB2_7973 Depth=3
	v_bfe_u32 v30, v30, 23, 8
	v_or_b32_e32 v42, 0x800000, v2
	s_delay_alu instid0(VALU_DEP_2) | instskip(SKIP_1) | instid1(VALU_DEP_2)
	v_dual_mov_b32 v43, v3 :: v_dual_sub_nc_u32 v18, 0x71, v30
	v_cmp_gt_u32_e32 vcc_lo, 0x72, v30
	v_cndmask_b32_e32 v18, 0, v18, vcc_lo
	v_cmp_eq_u32_e32 vcc_lo, 0, v30
	s_delay_alu instid0(VALU_DEP_2) | instskip(NEXT) | instid1(VALU_DEP_1)
	v_cndmask_b32_e64 v103, v18, 0x70, vcc_lo
	v_dual_cndmask_b32 v42, v42, v2, vcc_lo :: v_dual_add_nc_u32 v18, 21, v103
	v_add_nc_u32_e32 v44, 20, v103
	s_delay_alu instid0(VALU_DEP_2) | instskip(NEXT) | instid1(VALU_DEP_2)
	v_lshlrev_b64_e64 v[18:19], v18, -1
	v_lshlrev_b64_e64 v[44:45], v44, 1
	s_delay_alu instid0(VALU_DEP_2) | instskip(SKIP_1) | instid1(VALU_DEP_4)
	v_bfi_b32 v18, v18, 0, v42
	v_lshrrev_b64 v[42:43], v103, v[42:43]
	v_bfi_b32 v19, v19, 0, 0
	s_delay_alu instid0(VALU_DEP_1) | instskip(NEXT) | instid1(VALU_DEP_3)
	v_cmp_eq_u64_e64 s13, v[18:19], v[44:45]
	v_mov_b64_e32 v[44:45], v[42:43]
	s_and_saveexec_b32 s43, s13
; %bb.7995:                             ;   in Loop: Header=BB2_7973 Depth=3
	v_bfe_u32 v18, v42, 21, 1
	v_mov_b32_e32 v19, v3
	s_delay_alu instid0(VALU_DEP_1) | instskip(NEXT) | instid1(VALU_DEP_1)
	v_add_nc_u64_e32 v[18:19], v[42:43], v[18:19]
	v_add_nc_u64_e32 v[44:45], -1, v[18:19]
; %bb.7996:                             ;   in Loop: Header=BB2_7973 Depth=3
	s_or_b32 exec_lo, exec_lo, s43
	v_add_nc_u32_e32 v2, 0xffffff81, v30
	s_delay_alu instid0(VALU_DEP_2) | instskip(SKIP_2) | instid1(VALU_DEP_3)
	v_and_b32_e32 v19, 0x1fffff, v44
	v_lshrrev_b32_e32 v18, 23, v42
	s_mov_b32 s13, exec_lo
                                        ; implicit-def: $vgpr30
	v_cndmask_b32_e64 v2, v2, 0xffffff82, vcc_lo
	s_delay_alu instid0(VALU_DEP_1) | instskip(SKIP_1) | instid1(VALU_DEP_2)
	v_add3_u32 v103, v103, v2, v18
	v_add_nc_u32_e32 v2, v19, v42
                                        ; implicit-def: $vgpr42_vgpr43
	v_add_nc_u32_e32 v44, 14, v103
	s_delay_alu instid0(VALU_DEP_1)
	v_cmpx_ne_u32_e32 0, v44
	s_xor_b32 s13, exec_lo, s13
; %bb.7997:                             ;   in Loop: Header=BB2_7973 Depth=3
	s_delay_alu instid0(VALU_DEP_3) | instskip(SKIP_1) | instid1(VALU_DEP_1)
	v_cmp_lt_u64_e32 vcc_lo, 0xffffff, v[2:3]
	v_add_nc_u32_e32 v18, 15, v103
	v_cndmask_b32_e32 v30, v44, v18, vcc_lo
	v_cndmask_b32_e64 v18, 0, 1, vcc_lo
	s_delay_alu instid0(VALU_DEP_1)
	v_lshrrev_b64 v[42:43], v18, v[2:3]
; %bb.7998:                             ;   in Loop: Header=BB2_7973 Depth=3
	s_and_not1_saveexec_b32 s13, s13
; %bb.7999:                             ;   in Loop: Header=BB2_7973 Depth=3
	v_mov_b64_e32 v[42:43], v[2:3]
	v_bfe_u32 v30, v2, 23, 1
; %bb.8000:                             ;   in Loop: Header=BB2_7973 Depth=3
	s_or_b32 exec_lo, exec_lo, s13
	s_delay_alu instid0(VALU_DEP_2) | instskip(NEXT) | instid1(VALU_DEP_2)
	v_lshrrev_b64 v[18:19], 21, v[42:43]
	v_cmp_gt_i32_e32 vcc_lo, 32, v30
	v_cmp_ne_u32_e64 s13, 0, v30
                                        ; implicit-def: $vgpr42
	s_delay_alu instid0(VALU_DEP_3) | instskip(NEXT) | instid1(VALU_DEP_1)
	v_dual_cndmask_b32 v45, 0, v19 :: v_dual_cndmask_b32 v44, 3, v18
	v_cmp_ne_u64_e32 vcc_lo, 0, v[44:45]
	s_or_b32 s13, s13, vcc_lo
	s_delay_alu instid0(SALU_CYCLE_1) | instskip(NEXT) | instid1(SALU_CYCLE_1)
	s_and_saveexec_b32 s43, s13
	s_xor_b32 s13, exec_lo, s43
; %bb.8001:                             ;   in Loop: Header=BB2_7973 Depth=3
	v_min_i32_e32 v2, 31, v30
	s_delay_alu instid0(VALU_DEP_1) | instskip(NEXT) | instid1(VALU_DEP_1)
	v_lshl_or_b32 v2, v2, 2, v17
                                        ; implicit-def: $vgpr17
	v_and_or_b32 v42, v44, 3, v2
; %bb.8002:                             ;   in Loop: Header=BB2_7973 Depth=3
	s_and_not1_saveexec_b32 s13, s13
; %bb.8003:                             ;   in Loop: Header=BB2_7973 Depth=3
	v_mov_b32_e32 v42, v17
; %bb.8004:                             ;   in Loop: Header=BB2_7973 Depth=3
	s_or_b32 exec_lo, exec_lo, s13
.LBB2_8005:                             ;   in Loop: Header=BB2_7973 Depth=3
	s_delay_alu instid0(SALU_CYCLE_1)
	s_or_b32 exec_lo, exec_lo, s42
                                        ; implicit-def: $vgpr17
.LBB2_8006:                             ;   in Loop: Header=BB2_7973 Depth=3
	s_and_not1_saveexec_b32 s13, s15
; %bb.8007:                             ;   in Loop: Header=BB2_7973 Depth=3
	v_or_b32_e32 v42, 0x7b, v17
; %bb.8008:                             ;   in Loop: Header=BB2_7973 Depth=3
	s_or_b32 exec_lo, exec_lo, s13
                                        ; implicit-def: $vgpr30
.LBB2_8009:                             ;   in Loop: Header=BB2_7973 Depth=3
	s_and_not1_saveexec_b32 s13, s14
	s_cbranch_execz .LBB2_8015
; %bb.8010:                             ;   in Loop: Header=BB2_7973 Depth=3
	s_mov_b32 s14, exec_lo
                                        ; implicit-def: $vgpr42
	v_cmpx_ne_u64_e32 0, v[2:3]
	s_xor_b32 s14, exec_lo, s14
; %bb.8011:                             ;   in Loop: Header=BB2_7973 Depth=3
	v_lshrrev_b32_e32 v2, 24, v30
                                        ; implicit-def: $vgpr30
	s_delay_alu instid0(VALU_DEP_1)
	v_or_b32_e32 v42, 0x7f, v2
; %bb.8012:                             ;   in Loop: Header=BB2_7973 Depth=3
	s_and_not1_saveexec_b32 s14, s14
; %bb.8013:                             ;   in Loop: Header=BB2_7973 Depth=3
	v_cmp_lt_i32_e32 vcc_lo, -1, v30
	v_cndmask_b32_e64 v42, -4, 0x7c, vcc_lo
; %bb.8014:                             ;   in Loop: Header=BB2_7973 Depth=3
	s_or_b32 exec_lo, exec_lo, s14
.LBB2_8015:                             ;   in Loop: Header=BB2_7973 Depth=3
	s_delay_alu instid0(SALU_CYCLE_1)
	s_or_b32 exec_lo, exec_lo, s13
	flat_load_i8 v44, v[40:41] th:TH_LOAD_NT
	v_and_b32_e32 v103, 0xff, v42
	v_dual_mov_b32 v2, 0 :: v_dual_mov_b32 v17, 0
	s_mov_b32 s13, exec_lo
	s_wait_xcnt 0x0
	s_delay_alu instid0(VALU_DEP_2)
	v_cmpx_ne_u16_e32 0, v103
	s_cbranch_execz .LBB2_8025
; %bb.8016:                             ;   in Loop: Header=BB2_7973 Depth=3
	v_bfrev_b32_e32 v17, 1
	s_mov_b32 s14, exec_lo
	v_cmpx_ne_u16_e32 0x80, v103
	s_cbranch_execz .LBB2_8024
; %bb.8017:                             ;   in Loop: Header=BB2_7973 Depth=3
	v_and_b32_e32 v17, 0x7c, v42
	v_and_b32_e32 v30, 3, v42
	s_delay_alu instid0(VALU_DEP_2) | instskip(SKIP_1) | instid1(SALU_CYCLE_1)
	v_cmp_ne_u32_e32 vcc_lo, 0x7c, v17
                                        ; implicit-def: $vgpr17
	s_and_saveexec_b32 s15, vcc_lo
	s_xor_b32 s15, exec_lo, s15
	s_cbranch_execz .LBB2_8021
; %bb.8018:                             ;   in Loop: Header=BB2_7973 Depth=3
	v_bfe_u32 v17, v103, 2, 5
	s_mov_b32 s42, exec_lo
	s_delay_alu instid0(VALU_DEP_1)
	v_cmpx_eq_u32_e32 0, v17
	s_cbranch_execz .LBB2_8020
; %bb.8019:                             ;   in Loop: Header=BB2_7973 Depth=3
	v_clz_i32_u32_e32 v17, v30
	s_delay_alu instid0(VALU_DEP_1) | instskip(SKIP_1) | instid1(VALU_DEP_2)
	v_min_u32_e32 v17, 32, v17
	v_mov_b32_e32 v43, v3
	v_subrev_nc_u32_e32 v18, 29, v17
	v_sub_nc_u32_e32 v17, 30, v17
	s_delay_alu instid0(VALU_DEP_2) | instskip(NEXT) | instid1(VALU_DEP_1)
	v_lshlrev_b64_e32 v[18:19], v18, v[42:43]
	v_and_b32_e32 v30, 3, v18
.LBB2_8020:                             ;   in Loop: Header=BB2_7973 Depth=3
	s_or_b32 exec_lo, exec_lo, s42
	v_lshlrev_b32_e32 v18, 24, v42
                                        ; implicit-def: $vgpr42
	s_delay_alu instid0(VALU_DEP_1) | instskip(NEXT) | instid1(VALU_DEP_1)
	v_and_b32_e32 v18, 0x80000000, v18
	v_lshl_add_u32 v17, v17, 23, v18
	s_delay_alu instid0(VALU_DEP_1) | instskip(NEXT) | instid1(VALU_DEP_1)
	v_lshl_or_b32 v17, v30, 21, v17
                                        ; implicit-def: $vgpr30
	v_add_nc_u32_e32 v17, 0x38000000, v17
.LBB2_8021:                             ;   in Loop: Header=BB2_7973 Depth=3
	s_and_not1_saveexec_b32 s15, s15
; %bb.8022:                             ;   in Loop: Header=BB2_7973 Depth=3
	v_bfe_i32 v17, v42, 0, 8
	s_delay_alu instid0(VALU_DEP_1) | instskip(SKIP_2) | instid1(VALU_DEP_2)
	v_cmp_lt_i16_e32 vcc_lo, -1, v17
	v_cndmask_b32_e32 v17, 0xff800000, v111, vcc_lo
	v_cmp_eq_u32_e32 vcc_lo, 0, v30
	v_cndmask_b32_e32 v17, 0x7f800001, v17, vcc_lo
; %bb.8023:                             ;   in Loop: Header=BB2_7973 Depth=3
	s_or_b32 exec_lo, exec_lo, s15
.LBB2_8024:                             ;   in Loop: Header=BB2_7973 Depth=3
	s_delay_alu instid0(SALU_CYCLE_1)
	s_or_b32 exec_lo, exec_lo, s14
.LBB2_8025:                             ;   in Loop: Header=BB2_7973 Depth=3
	s_delay_alu instid0(SALU_CYCLE_1) | instskip(NEXT) | instid1(SALU_CYCLE_1)
	s_or_b32 exec_lo, exec_lo, s13
	s_mov_b32 s13, exec_lo
	s_wait_loadcnt_dscnt 0x0
	v_cmpx_ne_u16_e32 0, v44
	s_cbranch_execz .LBB2_8035
; %bb.8026:                             ;   in Loop: Header=BB2_7973 Depth=3
	v_bfrev_b32_e32 v2, 1
	s_mov_b32 s14, exec_lo
	v_cmpx_ne_u16_e32 0xff80, v44
	s_cbranch_execz .LBB2_8034
; %bb.8027:                             ;   in Loop: Header=BB2_7973 Depth=3
	v_and_b32_e32 v2, 0x7c, v44
	v_and_b32_e32 v30, 3, v44
	s_delay_alu instid0(VALU_DEP_2) | instskip(SKIP_1) | instid1(SALU_CYCLE_1)
	v_cmp_ne_u32_e32 vcc_lo, 0x7c, v2
                                        ; implicit-def: $vgpr2
	s_and_saveexec_b32 s15, vcc_lo
	s_xor_b32 s15, exec_lo, s15
	s_cbranch_execz .LBB2_8031
; %bb.8028:                             ;   in Loop: Header=BB2_7973 Depth=3
	v_and_b32_e32 v2, 0xff, v44
	s_mov_b32 s42, exec_lo
	s_delay_alu instid0(VALU_DEP_1) | instskip(NEXT) | instid1(VALU_DEP_1)
	v_bfe_u32 v2, v2, 2, 5
	v_cmpx_eq_u32_e32 0, v2
	s_cbranch_execz .LBB2_8030
; %bb.8029:                             ;   in Loop: Header=BB2_7973 Depth=3
	v_clz_i32_u32_e32 v2, v30
	s_delay_alu instid0(VALU_DEP_1) | instskip(SKIP_1) | instid1(VALU_DEP_2)
	v_min_u32_e32 v2, 32, v2
	v_mov_b32_e32 v45, v3
	v_subrev_nc_u32_e32 v18, 29, v2
	v_sub_nc_u32_e32 v2, 30, v2
	s_delay_alu instid0(VALU_DEP_2) | instskip(NEXT) | instid1(VALU_DEP_1)
	v_lshlrev_b64_e32 v[18:19], v18, v[44:45]
	v_and_b32_e32 v30, 3, v18
.LBB2_8030:                             ;   in Loop: Header=BB2_7973 Depth=3
	s_or_b32 exec_lo, exec_lo, s42
	v_bfe_i32 v18, v44, 0, 16
                                        ; implicit-def: $vgpr44
	s_delay_alu instid0(VALU_DEP_1) | instskip(NEXT) | instid1(VALU_DEP_1)
	v_and_b32_e32 v18, 0x80000000, v18
	v_lshl_add_u32 v2, v2, 23, v18
	s_delay_alu instid0(VALU_DEP_1) | instskip(NEXT) | instid1(VALU_DEP_1)
	v_lshl_or_b32 v2, v30, 21, v2
                                        ; implicit-def: $vgpr30
	v_add_nc_u32_e32 v2, 0x38000000, v2
.LBB2_8031:                             ;   in Loop: Header=BB2_7973 Depth=3
	s_and_not1_saveexec_b32 s15, s15
; %bb.8032:                             ;   in Loop: Header=BB2_7973 Depth=3
	v_cmp_lt_i16_e32 vcc_lo, -1, v44
	v_cndmask_b32_e32 v2, 0xff800000, v111, vcc_lo
	v_cmp_eq_u32_e32 vcc_lo, 0, v30
	s_delay_alu instid0(VALU_DEP_2)
	v_cndmask_b32_e32 v2, 0x7f800001, v2, vcc_lo
; %bb.8033:                             ;   in Loop: Header=BB2_7973 Depth=3
	s_or_b32 exec_lo, exec_lo, s15
.LBB2_8034:                             ;   in Loop: Header=BB2_7973 Depth=3
	s_delay_alu instid0(SALU_CYCLE_1)
	s_or_b32 exec_lo, exec_lo, s14
.LBB2_8035:                             ;   in Loop: Header=BB2_7973 Depth=3
	s_delay_alu instid0(SALU_CYCLE_1) | instskip(NEXT) | instid1(VALU_DEP_1)
	s_or_b32 exec_lo, exec_lo, s13
	v_dual_add_f32 v103, v17, v2 :: v_dual_mov_b32 v19, v3
                                        ; implicit-def: $vgpr17
	s_mov_b32 s13, exec_lo
	s_delay_alu instid0(VALU_DEP_1) | instskip(SKIP_1) | instid1(VALU_DEP_2)
	v_and_b32_e32 v18, 0x7f800000, v103
	v_and_b32_e32 v2, 0x7fffff, v103
	v_cmpx_ne_u64_e32 0x7f800000, v[18:19]
	s_xor_b32 s14, exec_lo, s13
	s_cbranch_execz .LBB2_8053
; %bb.8036:                             ;   in Loop: Header=BB2_7973 Depth=3
	v_dual_mov_b32 v19, v3 :: v_dual_lshrrev_b32 v17, 24, v103
	v_and_b32_e32 v18, 0x7fffffff, v103
	s_mov_b32 s13, exec_lo
	s_delay_alu instid0(VALU_DEP_2) | instskip(NEXT) | instid1(VALU_DEP_2)
	v_and_b32_e32 v30, 0x80, v17
                                        ; implicit-def: $vgpr17
	v_cmpx_gt_u64_e32 0x47600001, v[18:19]
	s_xor_b32 s15, exec_lo, s13
	s_cbranch_execz .LBB2_8050
; %bb.8037:                             ;   in Loop: Header=BB2_7973 Depth=3
	v_mov_b32_e32 v17, 0
	s_mov_b32 s42, exec_lo
	v_cmpx_ne_u32_e32 0, v103
	s_cbranch_execz .LBB2_8049
; %bb.8038:                             ;   in Loop: Header=BB2_7973 Depth=3
	v_bfe_u32 v17, v103, 23, 8
	v_or_b32_e32 v42, 0x800000, v2
	s_delay_alu instid0(VALU_DEP_2) | instskip(SKIP_1) | instid1(VALU_DEP_2)
	v_dual_mov_b32 v43, v3 :: v_dual_sub_nc_u32 v18, 0x71, v17
	v_cmp_gt_u32_e32 vcc_lo, 0x72, v17
	v_cndmask_b32_e32 v18, 0, v18, vcc_lo
	v_cmp_eq_u32_e32 vcc_lo, 0, v17
	s_delay_alu instid0(VALU_DEP_2) | instskip(NEXT) | instid1(VALU_DEP_1)
	v_cndmask_b32_e64 v103, v18, 0x70, vcc_lo
	v_dual_cndmask_b32 v42, v42, v2, vcc_lo :: v_dual_add_nc_u32 v18, 21, v103
	v_add_nc_u32_e32 v44, 20, v103
	s_delay_alu instid0(VALU_DEP_2) | instskip(NEXT) | instid1(VALU_DEP_2)
	v_lshlrev_b64_e64 v[18:19], v18, -1
	v_lshlrev_b64_e64 v[44:45], v44, 1
	s_delay_alu instid0(VALU_DEP_2) | instskip(SKIP_1) | instid1(VALU_DEP_4)
	v_bfi_b32 v18, v18, 0, v42
	v_lshrrev_b64 v[42:43], v103, v[42:43]
	v_bfi_b32 v19, v19, 0, 0
	s_delay_alu instid0(VALU_DEP_1) | instskip(NEXT) | instid1(VALU_DEP_3)
	v_cmp_eq_u64_e64 s13, v[18:19], v[44:45]
	v_mov_b64_e32 v[44:45], v[42:43]
	s_and_saveexec_b32 s43, s13
; %bb.8039:                             ;   in Loop: Header=BB2_7973 Depth=3
	v_bfe_u32 v18, v42, 21, 1
	v_mov_b32_e32 v19, v3
	s_delay_alu instid0(VALU_DEP_1) | instskip(NEXT) | instid1(VALU_DEP_1)
	v_add_nc_u64_e32 v[18:19], v[42:43], v[18:19]
	v_add_nc_u64_e32 v[44:45], -1, v[18:19]
; %bb.8040:                             ;   in Loop: Header=BB2_7973 Depth=3
	s_or_b32 exec_lo, exec_lo, s43
	v_add_nc_u32_e32 v2, 0xffffff81, v17
	s_delay_alu instid0(VALU_DEP_2) | instskip(SKIP_2) | instid1(VALU_DEP_3)
	v_and_b32_e32 v18, 0x1fffff, v44
	v_lshrrev_b32_e32 v17, 23, v42
	s_mov_b32 s13, exec_lo
	v_cndmask_b32_e64 v2, v2, 0xffffff82, vcc_lo
	s_delay_alu instid0(VALU_DEP_1) | instskip(SKIP_1) | instid1(VALU_DEP_2)
	v_add3_u32 v17, v103, v2, v17
	v_add_nc_u32_e32 v2, v18, v42
                                        ; implicit-def: $vgpr42_vgpr43
                                        ; implicit-def: $vgpr103
	v_add_nc_u32_e32 v44, 14, v17
	s_delay_alu instid0(VALU_DEP_1)
	v_cmpx_ne_u32_e32 0, v44
	s_xor_b32 s13, exec_lo, s13
; %bb.8041:                             ;   in Loop: Header=BB2_7973 Depth=3
	s_delay_alu instid0(VALU_DEP_3) | instskip(SKIP_1) | instid1(VALU_DEP_1)
	v_cmp_lt_u64_e32 vcc_lo, 0xffffff, v[2:3]
	v_add_nc_u32_e32 v17, 15, v17
	v_cndmask_b32_e32 v103, v44, v17, vcc_lo
	v_cndmask_b32_e64 v17, 0, 1, vcc_lo
	s_delay_alu instid0(VALU_DEP_1)
	v_lshrrev_b64 v[42:43], v17, v[2:3]
; %bb.8042:                             ;   in Loop: Header=BB2_7973 Depth=3
	s_and_not1_saveexec_b32 s13, s13
; %bb.8043:                             ;   in Loop: Header=BB2_7973 Depth=3
	v_mov_b64_e32 v[42:43], v[2:3]
	v_bfe_u32 v103, v2, 23, 1
; %bb.8044:                             ;   in Loop: Header=BB2_7973 Depth=3
	s_or_b32 exec_lo, exec_lo, s13
	s_delay_alu instid0(VALU_DEP_2) | instskip(NEXT) | instid1(VALU_DEP_2)
	v_lshrrev_b64 v[18:19], 21, v[42:43]
	v_cmp_gt_i32_e32 vcc_lo, 32, v103
	v_cmp_ne_u32_e64 s13, 0, v103
                                        ; implicit-def: $vgpr17
	s_delay_alu instid0(VALU_DEP_3) | instskip(NEXT) | instid1(VALU_DEP_1)
	v_dual_cndmask_b32 v43, 0, v19 :: v_dual_cndmask_b32 v42, 3, v18
	v_cmp_ne_u64_e32 vcc_lo, 0, v[42:43]
	s_or_b32 s13, s13, vcc_lo
	s_delay_alu instid0(SALU_CYCLE_1) | instskip(NEXT) | instid1(SALU_CYCLE_1)
	s_and_saveexec_b32 s43, s13
	s_xor_b32 s13, exec_lo, s43
; %bb.8045:                             ;   in Loop: Header=BB2_7973 Depth=3
	v_min_i32_e32 v2, 31, v103
	s_delay_alu instid0(VALU_DEP_1) | instskip(NEXT) | instid1(VALU_DEP_1)
	v_lshl_or_b32 v2, v2, 2, v30
                                        ; implicit-def: $vgpr30
	v_and_or_b32 v17, v42, 3, v2
; %bb.8046:                             ;   in Loop: Header=BB2_7973 Depth=3
	s_and_not1_saveexec_b32 s13, s13
; %bb.8047:                             ;   in Loop: Header=BB2_7973 Depth=3
	v_mov_b32_e32 v17, v30
; %bb.8048:                             ;   in Loop: Header=BB2_7973 Depth=3
	s_or_b32 exec_lo, exec_lo, s13
.LBB2_8049:                             ;   in Loop: Header=BB2_7973 Depth=3
	s_delay_alu instid0(SALU_CYCLE_1)
	s_or_b32 exec_lo, exec_lo, s42
                                        ; implicit-def: $vgpr30
.LBB2_8050:                             ;   in Loop: Header=BB2_7973 Depth=3
	s_and_not1_saveexec_b32 s13, s15
; %bb.8051:                             ;   in Loop: Header=BB2_7973 Depth=3
	v_or_b32_e32 v17, 0x7b, v30
; %bb.8052:                             ;   in Loop: Header=BB2_7973 Depth=3
	s_or_b32 exec_lo, exec_lo, s13
                                        ; implicit-def: $vgpr103
.LBB2_8053:                             ;   in Loop: Header=BB2_7973 Depth=3
	s_and_not1_saveexec_b32 s13, s14
	s_cbranch_execz .LBB2_8059
; %bb.8054:                             ;   in Loop: Header=BB2_7973 Depth=3
	s_mov_b32 s14, exec_lo
                                        ; implicit-def: $vgpr17
	v_cmpx_ne_u64_e32 0, v[2:3]
	s_xor_b32 s14, exec_lo, s14
; %bb.8055:                             ;   in Loop: Header=BB2_7973 Depth=3
	v_lshrrev_b32_e32 v2, 24, v103
                                        ; implicit-def: $vgpr103
	s_delay_alu instid0(VALU_DEP_1)
	v_or_b32_e32 v17, 0x7f, v2
; %bb.8056:                             ;   in Loop: Header=BB2_7973 Depth=3
	s_and_not1_saveexec_b32 s14, s14
; %bb.8057:                             ;   in Loop: Header=BB2_7973 Depth=3
	v_cmp_lt_i32_e32 vcc_lo, -1, v103
	v_cndmask_b32_e64 v17, -4, 0x7c, vcc_lo
; %bb.8058:                             ;   in Loop: Header=BB2_7973 Depth=3
	s_or_b32 exec_lo, exec_lo, s14
.LBB2_8059:                             ;   in Loop: Header=BB2_7973 Depth=3
	s_delay_alu instid0(SALU_CYCLE_1)
	s_or_b32 exec_lo, exec_lo, s13
	s_mov_b64 s[42:43], 0
	s_mov_b32 s15, -1
.LBB2_8060:                             ;   Parent Loop BB2_47 Depth=1
                                        ;     Parent Loop BB2_5115 Depth=2
                                        ;       Parent Loop BB2_7973 Depth=3
                                        ; =>      This Inner Loop Header: Depth=4
	s_cmp_eq_u32 s42, 1
	s_cselect_b32 vcc_lo, -1, 0
	s_cmp_eq_u32 s42, 0
	s_wait_xcnt 0x0
	v_dual_cndmask_b32 v19, v9, v11 :: v_dual_cndmask_b32 v18, v8, v10
	s_cselect_b32 s13, -1, 0
	s_and_b32 s14, exec_lo, s15
	s_mov_b64 s[42:43], 1
	s_mov_b32 s15, 0
	v_add_nc_u64_e32 v[42:43], 32, v[18:19]
	flat_store_b8 v[18:19], v17 th:TH_STORE_NT
	v_dual_cndmask_b32 v11, v11, v43 :: v_dual_cndmask_b32 v10, v10, v42
	v_dual_cndmask_b32 v9, v9, v43, s13 :: v_dual_cndmask_b32 v8, v8, v42, s13
	s_mov_b32 vcc_lo, s14
	s_cbranch_vccnz .LBB2_8060
; %bb.8061:                             ;   in Loop: Header=BB2_7973 Depth=3
	v_sub_nc_u32_e32 v16, v16, v34
	v_add_nc_u64_e32 v[118:119], v[118:119], v[80:81]
	v_add_nc_u64_e32 v[40:41], v[40:41], v[80:81]
	;; [unrolled: 1-line block ×4, first 2 shown]
	v_cmp_gt_i32_e32 vcc_lo, 1, v16
	s_or_b32 s74, vcc_lo, s74
	s_wait_xcnt 0x0
	s_and_not1_b32 exec_lo, exec_lo, s74
	s_cbranch_execnz .LBB2_7973
.LBB2_8062:                             ;   in Loop: Header=BB2_5115 Depth=2
	s_or_b32 exec_lo, exec_lo, s73
	s_mov_b32 s13, 0
.LBB2_8063:                             ;   in Loop: Header=BB2_5115 Depth=2
	s_delay_alu instid0(SALU_CYCLE_1)
	s_and_b32 vcc_lo, exec_lo, s13
	s_cbranch_vccz .LBB2_10936
; %bb.8064:                             ;   in Loop: Header=BB2_5115 Depth=2
	s_mov_b32 s13, -1
	s_and_saveexec_b32 s14, s11
	s_cbranch_execz .LBB2_8066
; %bb.8065:                             ;   in Loop: Header=BB2_5115 Depth=2
	ds_load_b32 v2, v0 offset:720
	s_wait_dscnt 0x0
	v_and_b32_e32 v2, 15, v2
	s_delay_alu instid0(VALU_DEP_1)
	v_cmp_eq_u32_e32 vcc_lo, 0, v2
	s_or_not1_b32 s13, vcc_lo, exec_lo
.LBB2_8066:                             ;   in Loop: Header=BB2_5115 Depth=2
	s_or_b32 exec_lo, exec_lo, s14
	s_and_saveexec_b32 s14, s7
	s_cbranch_execz .LBB2_8068
; %bb.8067:                             ;   in Loop: Header=BB2_5115 Depth=2
	ds_load_b32 v2, v0 offset:784
	s_wait_dscnt 0x0
	v_and_b32_e32 v2, 15, v2
	s_delay_alu instid0(VALU_DEP_1) | instskip(SKIP_3) | instid1(SALU_CYCLE_1)
	v_cmp_eq_u32_e32 vcc_lo, 0, v2
	s_and_b32 s15, s13, vcc_lo
	s_and_not1_b32 s13, s13, exec_lo
	s_and_b32 s15, s15, exec_lo
	s_or_b32 s13, s13, s15
.LBB2_8068:                             ;   in Loop: Header=BB2_5115 Depth=2
	s_or_b32 exec_lo, exec_lo, s14
	s_xor_b32 s13, s13, -1
	v_dual_mov_b32 v30, 0 :: v_dual_mov_b32 v92, v101
	v_cndmask_b32_e64 v2, 0, 1, s13
	v_mov_b32_e32 v93, v0
	s_mov_b32 s14, -1
	s_delay_alu instid0(VALU_DEP_2)
	v_cmp_ne_u32_e32 vcc_lo, 0, v2
	s_cbranch_vccz .LBB2_8070
; %bb.8069:                             ;   in Loop: Header=BB2_5115 Depth=2
	s_and_saveexec_b32 s42, s14
	s_cbranch_execnz .LBB2_10209
	s_branch .LBB2_10935
.LBB2_8070:                             ;   in Loop: Header=BB2_5115 Depth=2
	v_ashrrev_i32_e32 v2, 31, v101
	s_mov_b32 s15, exec_lo
	v_sub_nc_u32_e32 v103, v101, v38
	s_delay_alu instid0(VALU_DEP_2) | instskip(NEXT) | instid1(VALU_DEP_1)
	v_lshrrev_b32_e32 v2, 23, v2
	v_add_nc_u32_e32 v2, v101, v2
	s_delay_alu instid0(VALU_DEP_1) | instskip(SKIP_1) | instid1(VALU_DEP_1)
	v_and_b32_e32 v58, 0xfffffe00, v2
	v_ashrrev_i32_e32 v2, 9, v2
	v_dual_sub_nc_u32 v61, v101, v58 :: v_dual_sub_nc_u32 v2, v2, v109
	s_delay_alu instid0(VALU_DEP_1) | instskip(NEXT) | instid1(VALU_DEP_1)
	v_cmp_lt_i32_e64 s13, 15, v61
	v_add_co_ci_u32_e64 v59, null, 0, v2, s13
	v_cmpx_lt_i32_e32 15, v103
	s_cbranch_execz .LBB2_9138
; %bb.8071:                             ;   in Loop: Header=BB2_5115 Depth=2
	s_trap 2
	ds_load_b64 v[8:9], v0
	v_add_nc_u64_e32 v[118:119], v[114:115], v[38:39]
	v_add_nc_u64_e32 v[40:41], v[116:117], v[38:39]
	s_wait_dscnt 0x0
	v_readfirstlane_b32 s42, v8
	v_readfirstlane_b32 s43, v9
	v_add_nc_u64_e32 v[42:43], v[8:9], v[38:39]
	s_and_b32 s73, s42, 3
	s_bfe_i32 s14, s42, 0x80000
	s_clz_i32_u32 s76, s73
	s_bfe_u32 s74, s42, 0x50002
	s_min_u32 s76, s76, 32
	s_and_b32 s75, s42, 0x7c
	s_sub_co_i32 s79, s76, 29
	s_lshl_b32 s77, s42, 24
	s_sext_i32_i8 s78, s42
	s_lshl_b64 s[42:43], s[42:43], s79
	s_and_b32 s77, s77, 0x80000000
	s_sub_co_i32 s43, 30, s76
	s_and_b32 s42, s42, 3
	s_cmp_gt_i32 s78, -1
	s_cselect_b32 s76, s47, 0xff800000
	s_cmp_eq_u32 s73, 0
	s_cselect_b32 s76, s76, 0x7f800001
	s_cmp_eq_u32 s74, 0
	s_cselect_b32 s43, s43, s74
	s_cselect_b32 s42, s42, s73
	s_lshl_b32 s43, s43, 23
	s_lshl_b32 s42, s42, 21
	s_add_co_i32 s43, s43, s77
	s_delay_alu instid0(SALU_CYCLE_1) | instskip(NEXT) | instid1(SALU_CYCLE_1)
	s_or_b32 s42, s43, s42
	s_add_co_i32 s43, s42, 0x38000000
	s_cmp_eq_u32 s75, 0x7c
	s_mov_b32 s42, 0
	s_cselect_b32 s43, s76, s43
	s_and_b32 s73, s14, 0xff
	s_branch .LBB2_8074
.LBB2_8072:                             ;   in Loop: Header=BB2_8074 Depth=3
	s_or_b32 exec_lo, exec_lo, s74
.LBB2_8073:                             ;   in Loop: Header=BB2_8074 Depth=3
	s_delay_alu instid0(SALU_CYCLE_1)
	s_or_b32 exec_lo, exec_lo, s14
	v_lshl_or_b32 v2, v57, 8, v56
	v_dual_lshlrev_b32 v9, 16, v79 :: v_dual_lshlrev_b32 v10, 24, v30
	v_lshl_or_b32 v11, v60, 8, v16
	v_dual_lshlrev_b32 v16, 16, v72 :: v_dual_lshlrev_b32 v18, 24, v75
	;; [unrolled: 2-line block ×3, first 2 shown]
	v_lshlrev_b32_e32 v47, 24, v8
	v_lshlrev_b32_e32 v44, 16, v44
	v_lshl_or_b32 v17, v46, 8, v17
	v_or3_b32 v9, v2, v9, v10
	v_or3_b32 v8, v11, v16, v18
	;; [unrolled: 1-line block ×3, first 2 shown]
	v_sub_nc_u32_e32 v103, v103, v52
	v_or3_b32 v11, v17, v44, v47
	v_add_nc_u64_e32 v[118:119], v[118:119], v[52:53]
	v_add_nc_u64_e32 v[42:43], v[42:43], v[52:53]
	v_sub_nc_u32_e32 v59, v59, v32
	v_cmp_gt_i32_e32 vcc_lo, 16, v103
	global_store_b128 v[40:41], v[8:11], off th:TH_STORE_NT
	s_wait_xcnt 0x0
	v_add_nc_u64_e32 v[40:41], v[40:41], v[52:53]
	s_or_b32 s42, vcc_lo, s42
	s_delay_alu instid0(SALU_CYCLE_1)
	s_and_not1_b32 exec_lo, exec_lo, s42
	s_cbranch_execz .LBB2_9137
.LBB2_8074:                             ;   Parent Loop BB2_47 Depth=1
                                        ;     Parent Loop BB2_5115 Depth=2
                                        ; =>    This Inner Loop Header: Depth=3
	s_cmp_lt_i32 s73, 0x80
	s_cbranch_scc1 .LBB2_8078
; %bb.8075:                             ;   in Loop: Header=BB2_8074 Depth=3
	s_and_b32 s14, 0xffff, s73
	s_delay_alu instid0(SALU_CYCLE_1)
	s_cmp_eq_u32 s14, 0x80
	s_mov_b32 s14, -1
	s_cbranch_scc0 .LBB2_8077
; %bb.8076:                             ;   in Loop: Header=BB2_8074 Depth=3
	s_mov_b32 s14, 0
.LBB2_8077:                             ;   in Loop: Header=BB2_8074 Depth=3
	s_brev_b32 s74, 1
	s_branch .LBB2_8080
.LBB2_8078:                             ;   in Loop: Header=BB2_8074 Depth=3
	s_mov_b32 s14, 0
	s_brev_b32 s74, 1
	s_cbranch_execz .LBB2_8080
; %bb.8079:                             ;   in Loop: Header=BB2_8074 Depth=3
	s_and_b32 s14, 0xffff, s73
	s_mov_b32 s74, 0
	s_cmp_lg_u32 s14, 0
	s_cselect_b32 s14, -1, 0
.LBB2_8080:                             ;   in Loop: Header=BB2_8074 Depth=3
	s_delay_alu instid0(SALU_CYCLE_1)
	s_and_not1_b32 vcc_lo, exec_lo, s14
	s_cbranch_vccnz .LBB2_8082
; %bb.8081:                             ;   in Loop: Header=BB2_8074 Depth=3
	s_mov_b32 s74, s43
.LBB2_8082:                             ;   in Loop: Header=BB2_8074 Depth=3
	global_load_b128 v[8:11], v[118:119], off th:TH_LOAD_NT
	s_wait_loadcnt 0x0
	v_and_b32_e32 v2, 0xff, v8
	s_delay_alu instid0(VALU_DEP_1)
	v_cmp_ne_u16_e32 vcc_lo, 0, v2
	v_mov_b32_e32 v2, 0
	s_wait_xcnt 0x0
	s_and_saveexec_b32 s14, vcc_lo
	s_cbranch_execz .LBB2_8092
; %bb.8083:                             ;   in Loop: Header=BB2_8074 Depth=3
	v_bfe_i32 v17, v8, 0, 8
	v_bfrev_b32_e32 v2, 1
	s_mov_b32 s75, exec_lo
	s_delay_alu instid0(VALU_DEP_2)
	v_cmpx_ne_u16_e32 0xff80, v17
	s_cbranch_execz .LBB2_8091
; %bb.8084:                             ;   in Loop: Header=BB2_8074 Depth=3
	v_and_b32_e32 v2, 0x7c, v8
	v_and_b32_e32 v16, 3, v8
	s_delay_alu instid0(VALU_DEP_2) | instskip(SKIP_1) | instid1(SALU_CYCLE_1)
	v_cmp_ne_u32_e32 vcc_lo, 0x7c, v2
                                        ; implicit-def: $vgpr2
	s_and_saveexec_b32 s76, vcc_lo
	s_xor_b32 s76, exec_lo, s76
	s_cbranch_execz .LBB2_8088
; %bb.8085:                             ;   in Loop: Header=BB2_8074 Depth=3
	v_bfe_u32 v2, v8, 2, 5
	s_mov_b32 s77, exec_lo
	s_delay_alu instid0(VALU_DEP_1)
	v_cmpx_eq_u32_e32 0, v2
; %bb.8086:                             ;   in Loop: Header=BB2_8074 Depth=3
	v_clz_i32_u32_e32 v2, v16
	s_delay_alu instid0(VALU_DEP_1) | instskip(NEXT) | instid1(VALU_DEP_1)
	v_min_u32_e32 v2, 32, v2
	v_subrev_nc_u32_e32 v16, 29, v2
	s_delay_alu instid0(VALU_DEP_1) | instskip(NEXT) | instid1(VALU_DEP_1)
	v_lshlrev_b64_e32 v[16:17], v16, v[8:9]
	v_dual_sub_nc_u32 v2, 30, v2 :: v_dual_bitop2_b32 v16, 3, v16 bitop3:0x40
; %bb.8087:                             ;   in Loop: Header=BB2_8074 Depth=3
	s_or_b32 exec_lo, exec_lo, s77
	v_lshlrev_b32_e32 v17, 24, v8
	s_delay_alu instid0(VALU_DEP_1) | instskip(NEXT) | instid1(VALU_DEP_1)
	v_and_b32_e32 v17, 0x80000000, v17
	v_lshl_add_u32 v2, v2, 23, v17
                                        ; implicit-def: $vgpr17
	s_delay_alu instid0(VALU_DEP_1) | instskip(NEXT) | instid1(VALU_DEP_1)
	v_lshl_or_b32 v2, v16, 21, v2
                                        ; implicit-def: $vgpr16
	v_add_nc_u32_e32 v2, 0x38000000, v2
.LBB2_8088:                             ;   in Loop: Header=BB2_8074 Depth=3
	s_and_not1_saveexec_b32 s76, s76
; %bb.8089:                             ;   in Loop: Header=BB2_8074 Depth=3
	v_cmp_lt_i16_e32 vcc_lo, -1, v17
	v_cndmask_b32_e32 v2, 0xff800000, v111, vcc_lo
	v_cmp_eq_u32_e32 vcc_lo, 0, v16
	s_delay_alu instid0(VALU_DEP_2)
	v_cndmask_b32_e32 v2, 0x7f800001, v2, vcc_lo
; %bb.8090:                             ;   in Loop: Header=BB2_8074 Depth=3
	s_or_b32 exec_lo, exec_lo, s76
.LBB2_8091:                             ;   in Loop: Header=BB2_8074 Depth=3
	s_delay_alu instid0(SALU_CYCLE_1)
	s_or_b32 exec_lo, exec_lo, s75
.LBB2_8092:                             ;   in Loop: Header=BB2_8074 Depth=3
	s_delay_alu instid0(SALU_CYCLE_1) | instskip(NEXT) | instid1(VALU_DEP_1)
	s_or_b32 exec_lo, exec_lo, s14
	v_dual_mul_f32 v30, s74, v2 :: v_dual_mov_b32 v17, v3
	s_delay_alu instid0(VALU_DEP_1) | instskip(SKIP_1) | instid1(VALU_DEP_2)
	v_and_b32_e32 v16, 0x7f800000, v30
	v_and_b32_e32 v2, 0x7fffff, v30
	v_cmp_ne_u64_e32 vcc_lo, 0x7f800000, v[16:17]
	v_lshrrev_b32_e32 v17, 24, v30
                                        ; implicit-def: $vgpr16
	s_and_saveexec_b32 s14, vcc_lo
	s_delay_alu instid0(SALU_CYCLE_1)
	s_xor_b32 s75, exec_lo, s14
	s_cbranch_execz .LBB2_8106
; %bb.8093:                             ;   in Loop: Header=BB2_8074 Depth=3
	v_and_b32_e32 v18, 0x7fffffff, v30
	v_mov_b32_e32 v19, v3
	v_and_b32_e32 v17, 0x80, v17
                                        ; implicit-def: $vgpr16
	s_mov_b32 s14, exec_lo
	s_delay_alu instid0(VALU_DEP_2)
	v_cmpx_gt_u64_e32 0x47600001, v[18:19]
	s_xor_b32 s76, exec_lo, s14
	s_cbranch_execz .LBB2_8103
; %bb.8094:                             ;   in Loop: Header=BB2_8074 Depth=3
	v_mov_b32_e32 v16, 0
	s_mov_b32 s77, exec_lo
	v_cmpx_ne_u32_e32 0, v30
	s_cbranch_execz .LBB2_8102
; %bb.8095:                             ;   in Loop: Header=BB2_8074 Depth=3
	v_bfe_u32 v16, v30, 23, 8
	v_or_b32_e32 v44, 0x800000, v2
	s_delay_alu instid0(VALU_DEP_2) | instskip(SKIP_1) | instid1(VALU_DEP_2)
	v_dual_mov_b32 v45, v3 :: v_dual_sub_nc_u32 v18, 0x71, v16
	v_cmp_gt_u32_e32 vcc_lo, 0x72, v16
	v_cndmask_b32_e32 v18, 0, v18, vcc_lo
	v_cmp_eq_u32_e32 vcc_lo, 0, v16
	s_delay_alu instid0(VALU_DEP_2) | instskip(SKIP_1) | instid1(VALU_DEP_2)
	v_cndmask_b32_e64 v30, v18, 0x70, vcc_lo
	v_cndmask_b32_e32 v44, v44, v2, vcc_lo
	v_dual_add_nc_u32 v18, 21, v30 :: v_dual_add_nc_u32 v46, 20, v30
	s_delay_alu instid0(VALU_DEP_1) | instskip(NEXT) | instid1(VALU_DEP_2)
	v_lshlrev_b64_e64 v[18:19], v18, -1
	v_lshlrev_b64_e64 v[46:47], v46, 1
	s_delay_alu instid0(VALU_DEP_2) | instskip(SKIP_1) | instid1(VALU_DEP_4)
	v_bfi_b32 v18, v18, 0, v44
	v_lshrrev_b64 v[44:45], v30, v[44:45]
	v_bfi_b32 v19, v19, 0, 0
	s_delay_alu instid0(VALU_DEP_1) | instskip(NEXT) | instid1(VALU_DEP_3)
	v_cmp_eq_u64_e64 s14, v[18:19], v[46:47]
	v_mov_b64_e32 v[46:47], v[44:45]
	s_and_saveexec_b32 s78, s14
; %bb.8096:                             ;   in Loop: Header=BB2_8074 Depth=3
	v_bfe_u32 v18, v44, 21, 1
	v_mov_b32_e32 v19, v3
	s_delay_alu instid0(VALU_DEP_1) | instskip(NEXT) | instid1(VALU_DEP_1)
	v_add_nc_u64_e32 v[18:19], v[44:45], v[18:19]
	v_add_nc_u64_e32 v[46:47], -1, v[18:19]
; %bb.8097:                             ;   in Loop: Header=BB2_8074 Depth=3
	s_or_b32 exec_lo, exec_lo, s78
	v_add_nc_u32_e32 v2, 0xffffff81, v16
	v_lshrrev_b32_e32 v16, 23, v44
	s_mov_b32 s14, exec_lo
	s_delay_alu instid0(VALU_DEP_2) | instskip(NEXT) | instid1(VALU_DEP_1)
	v_cndmask_b32_e64 v2, v2, 0xffffff82, vcc_lo
	v_add3_u32 v30, v30, v2, v16
	v_and_b32_e32 v2, 0x1fffff, v46
                                        ; implicit-def: $vgpr16
	s_delay_alu instid0(VALU_DEP_1) | instskip(NEXT) | instid1(VALU_DEP_1)
	v_dual_add_nc_u32 v46, 14, v30 :: v_dual_add_nc_u32 v2, v2, v44
                                        ; implicit-def: $vgpr44_vgpr45
	v_cmpx_ne_u32_e32 0, v46
	s_xor_b32 s14, exec_lo, s14
; %bb.8098:                             ;   in Loop: Header=BB2_8074 Depth=3
	s_delay_alu instid0(VALU_DEP_2) | instskip(SKIP_2) | instid1(VALU_DEP_2)
	v_cmp_lt_u64_e32 vcc_lo, 0xffffff, v[2:3]
	v_add_nc_u32_e32 v16, 15, v30
	v_cndmask_b32_e64 v18, 0, 1, vcc_lo
	v_cndmask_b32_e32 v16, v46, v16, vcc_lo
	s_delay_alu instid0(VALU_DEP_2)
	v_lshrrev_b64 v[44:45], v18, v[2:3]
; %bb.8099:                             ;   in Loop: Header=BB2_8074 Depth=3
	s_and_not1_saveexec_b32 s14, s14
; %bb.8100:                             ;   in Loop: Header=BB2_8074 Depth=3
	v_mov_b64_e32 v[44:45], v[2:3]
	v_bfe_u32 v16, v2, 23, 1
; %bb.8101:                             ;   in Loop: Header=BB2_8074 Depth=3
	s_or_b32 exec_lo, exec_lo, s14
	s_delay_alu instid0(VALU_DEP_2) | instskip(NEXT) | instid1(VALU_DEP_2)
	v_lshrrev_b64 v[18:19], 21, v[44:45]
	v_cmp_gt_i32_e32 vcc_lo, 32, v16
	v_min_i32_e32 v2, 31, v16
	v_cmp_eq_u32_e64 s14, 0, v16
	s_delay_alu instid0(VALU_DEP_2) | instskip(SKIP_1) | instid1(VALU_DEP_2)
	v_dual_cndmask_b32 v19, 0, v19 :: v_dual_lshlrev_b32 v2, 2, v2
	v_cndmask_b32_e32 v18, 3, v18, vcc_lo
	v_and_b32_e32 v2, 0xfc, v2
	s_delay_alu instid0(VALU_DEP_2) | instskip(NEXT) | instid1(VALU_DEP_2)
	v_cmp_eq_u64_e32 vcc_lo, 0, v[18:19]
	v_and_or_b32 v2, v18, 3, v2
	s_and_b32 s14, s14, vcc_lo
	s_delay_alu instid0(VALU_DEP_1) | instid1(SALU_CYCLE_1)
	v_cndmask_b32_e64 v2, v2, 0, s14
	s_delay_alu instid0(VALU_DEP_1)
	v_or_b32_e32 v16, v2, v17
.LBB2_8102:                             ;   in Loop: Header=BB2_8074 Depth=3
	s_or_b32 exec_lo, exec_lo, s77
                                        ; implicit-def: $vgpr17
.LBB2_8103:                             ;   in Loop: Header=BB2_8074 Depth=3
	s_and_not1_saveexec_b32 s14, s76
; %bb.8104:                             ;   in Loop: Header=BB2_8074 Depth=3
	v_or_b32_e32 v16, 0x7b, v17
; %bb.8105:                             ;   in Loop: Header=BB2_8074 Depth=3
	s_or_b32 exec_lo, exec_lo, s14
                                        ; implicit-def: $vgpr30
                                        ; implicit-def: $vgpr17
.LBB2_8106:                             ;   in Loop: Header=BB2_8074 Depth=3
	s_and_not1_saveexec_b32 s14, s75
	s_cbranch_execz .LBB2_8112
; %bb.8107:                             ;   in Loop: Header=BB2_8074 Depth=3
	s_mov_b32 s75, exec_lo
                                        ; implicit-def: $vgpr16
	v_cmpx_ne_u64_e32 0, v[2:3]
	s_xor_b32 s75, exec_lo, s75
; %bb.8108:                             ;   in Loop: Header=BB2_8074 Depth=3
	v_or_b32_e32 v16, 0x7f, v17
                                        ; implicit-def: $vgpr30
; %bb.8109:                             ;   in Loop: Header=BB2_8074 Depth=3
	s_and_not1_saveexec_b32 s75, s75
; %bb.8110:                             ;   in Loop: Header=BB2_8074 Depth=3
	v_cmp_lt_i32_e32 vcc_lo, -1, v30
	v_cndmask_b32_e32 v16, 0xfc, v120, vcc_lo
; %bb.8111:                             ;   in Loop: Header=BB2_8074 Depth=3
	s_or_b32 exec_lo, exec_lo, s75
.LBB2_8112:                             ;   in Loop: Header=BB2_8074 Depth=3
	s_delay_alu instid0(SALU_CYCLE_1) | instskip(SKIP_3) | instid1(VALU_DEP_2)
	s_or_b32 exec_lo, exec_lo, s14
	v_lshrrev_b16 v44, 8, v8
	v_mov_b32_e32 v17, 0
	s_mov_b32 s14, exec_lo
	v_cmpx_ne_u16_e32 0, v44
	s_cbranch_execz .LBB2_8122
; %bb.8113:                             ;   in Loop: Header=BB2_8074 Depth=3
	v_bfrev_b32_e32 v17, 1
	s_mov_b32 s75, exec_lo
	v_cmpx_ne_u16_e32 0x80, v44
	s_cbranch_execz .LBB2_8121
; %bb.8114:                             ;   in Loop: Header=BB2_8074 Depth=3
	v_and_b32_e32 v30, 0xffff, v44
	s_delay_alu instid0(VALU_DEP_1) | instskip(SKIP_1) | instid1(VALU_DEP_2)
	v_and_b32_e32 v17, 0x7c, v30
	v_and_b32_e32 v2, 3, v30
	v_cmp_ne_u32_e32 vcc_lo, 0x7c, v17
                                        ; implicit-def: $vgpr17
	s_and_saveexec_b32 s76, vcc_lo
	s_delay_alu instid0(SALU_CYCLE_1)
	s_xor_b32 s76, exec_lo, s76
	s_cbranch_execz .LBB2_8118
; %bb.8115:                             ;   in Loop: Header=BB2_8074 Depth=3
	v_bfe_u32 v17, v30, 2, 5
	s_mov_b32 s77, exec_lo
	s_delay_alu instid0(VALU_DEP_1)
	v_cmpx_eq_u32_e32 0, v17
	s_cbranch_execz .LBB2_8117
; %bb.8116:                             ;   in Loop: Header=BB2_8074 Depth=3
	v_clz_i32_u32_e32 v2, v2
	s_delay_alu instid0(VALU_DEP_1) | instskip(SKIP_1) | instid1(VALU_DEP_2)
	v_min_u32_e32 v2, 32, v2
	v_mov_b32_e32 v45, v3
	v_subrev_nc_u32_e32 v17, 29, v2
	s_delay_alu instid0(VALU_DEP_1) | instskip(SKIP_1) | instid1(VALU_DEP_2)
	v_lshlrev_b64_e32 v[18:19], v17, v[44:45]
	v_sub_nc_u32_e32 v17, 30, v2
	v_and_b32_e32 v2, 3, v18
.LBB2_8117:                             ;   in Loop: Header=BB2_8074 Depth=3
	s_or_b32 exec_lo, exec_lo, s77
	v_lshlrev_b32_e32 v18, 16, v8
	s_delay_alu instid0(VALU_DEP_1) | instskip(NEXT) | instid1(VALU_DEP_1)
	v_and_b32_e32 v18, 0x80000000, v18
	v_lshl_add_u32 v17, v17, 23, v18
	s_delay_alu instid0(VALU_DEP_1) | instskip(NEXT) | instid1(VALU_DEP_1)
	v_lshl_or_b32 v2, v2, 21, v17
	v_add_nc_u32_e32 v17, 0x38000000, v2
                                        ; implicit-def: $vgpr2
.LBB2_8118:                             ;   in Loop: Header=BB2_8074 Depth=3
	s_and_not1_saveexec_b32 s76, s76
; %bb.8119:                             ;   in Loop: Header=BB2_8074 Depth=3
	v_cmp_lt_i16_e32 vcc_lo, -1, v8
	v_cndmask_b32_e32 v17, 0xff800000, v111, vcc_lo
	v_cmp_eq_u32_e32 vcc_lo, 0, v2
	s_delay_alu instid0(VALU_DEP_2)
	v_cndmask_b32_e32 v17, 0x7f800001, v17, vcc_lo
; %bb.8120:                             ;   in Loop: Header=BB2_8074 Depth=3
	s_or_b32 exec_lo, exec_lo, s76
.LBB2_8121:                             ;   in Loop: Header=BB2_8074 Depth=3
	s_delay_alu instid0(SALU_CYCLE_1)
	s_or_b32 exec_lo, exec_lo, s75
.LBB2_8122:                             ;   in Loop: Header=BB2_8074 Depth=3
	s_delay_alu instid0(SALU_CYCLE_1) | instskip(NEXT) | instid1(VALU_DEP_1)
	s_or_b32 exec_lo, exec_lo, s14
	v_dual_mul_f32 v44, s74, v17 :: v_dual_mov_b32 v19, v3
                                        ; implicit-def: $vgpr30
	s_mov_b32 s14, exec_lo
	s_delay_alu instid0(VALU_DEP_1) | instskip(SKIP_2) | instid1(VALU_DEP_3)
	v_and_b32_e32 v18, 0x7f800000, v44
	v_and_b32_e32 v2, 0x7fffff, v44
	v_lshrrev_b32_e32 v17, 24, v44
	v_cmpx_ne_u64_e32 0x7f800000, v[18:19]
	s_xor_b32 s75, exec_lo, s14
	s_cbranch_execz .LBB2_8136
; %bb.8123:                             ;   in Loop: Header=BB2_8074 Depth=3
	v_and_b32_e32 v18, 0x7fffffff, v44
	v_mov_b32_e32 v19, v3
	v_and_b32_e32 v17, 0x80, v17
                                        ; implicit-def: $vgpr30
	s_mov_b32 s14, exec_lo
	s_delay_alu instid0(VALU_DEP_2)
	v_cmpx_gt_u64_e32 0x47600001, v[18:19]
	s_xor_b32 s76, exec_lo, s14
	s_cbranch_execz .LBB2_8133
; %bb.8124:                             ;   in Loop: Header=BB2_8074 Depth=3
	v_mov_b32_e32 v30, 0
	s_mov_b32 s77, exec_lo
	v_cmpx_ne_u32_e32 0, v44
	s_cbranch_execz .LBB2_8132
; %bb.8125:                             ;   in Loop: Header=BB2_8074 Depth=3
	v_bfe_u32 v30, v44, 23, 8
	v_or_b32_e32 v44, 0x800000, v2
	s_delay_alu instid0(VALU_DEP_2) | instskip(SKIP_1) | instid1(VALU_DEP_2)
	v_dual_mov_b32 v45, v3 :: v_dual_sub_nc_u32 v18, 0x71, v30
	v_cmp_gt_u32_e32 vcc_lo, 0x72, v30
	v_cndmask_b32_e32 v18, 0, v18, vcc_lo
	v_cmp_eq_u32_e32 vcc_lo, 0, v30
	s_delay_alu instid0(VALU_DEP_2) | instskip(NEXT) | instid1(VALU_DEP_1)
	v_cndmask_b32_e64 v56, v18, 0x70, vcc_lo
	v_dual_cndmask_b32 v44, v44, v2, vcc_lo :: v_dual_add_nc_u32 v18, 21, v56
	v_add_nc_u32_e32 v46, 20, v56
	s_delay_alu instid0(VALU_DEP_2) | instskip(NEXT) | instid1(VALU_DEP_2)
	v_lshlrev_b64_e64 v[18:19], v18, -1
	v_lshlrev_b64_e64 v[46:47], v46, 1
	s_delay_alu instid0(VALU_DEP_2) | instskip(SKIP_1) | instid1(VALU_DEP_4)
	v_bfi_b32 v18, v18, 0, v44
	v_lshrrev_b64 v[44:45], v56, v[44:45]
	v_bfi_b32 v19, v19, 0, 0
	s_delay_alu instid0(VALU_DEP_1) | instskip(NEXT) | instid1(VALU_DEP_3)
	v_cmp_eq_u64_e64 s14, v[18:19], v[46:47]
	v_mov_b64_e32 v[46:47], v[44:45]
	s_and_saveexec_b32 s78, s14
; %bb.8126:                             ;   in Loop: Header=BB2_8074 Depth=3
	v_bfe_u32 v18, v44, 21, 1
	v_mov_b32_e32 v19, v3
	s_delay_alu instid0(VALU_DEP_1) | instskip(NEXT) | instid1(VALU_DEP_1)
	v_add_nc_u64_e32 v[18:19], v[44:45], v[18:19]
	v_add_nc_u64_e32 v[46:47], -1, v[18:19]
; %bb.8127:                             ;   in Loop: Header=BB2_8074 Depth=3
	s_or_b32 exec_lo, exec_lo, s78
	v_add_nc_u32_e32 v2, 0xffffff81, v30
	v_lshrrev_b32_e32 v18, 23, v44
	s_mov_b32 s14, exec_lo
                                        ; implicit-def: $vgpr30
	s_delay_alu instid0(VALU_DEP_2) | instskip(NEXT) | instid1(VALU_DEP_1)
	v_cndmask_b32_e64 v2, v2, 0xffffff82, vcc_lo
	v_add3_u32 v47, v56, v2, v18
	v_and_b32_e32 v2, 0x1fffff, v46
	s_delay_alu instid0(VALU_DEP_1) | instskip(NEXT) | instid1(VALU_DEP_1)
	v_dual_add_nc_u32 v46, 14, v47 :: v_dual_add_nc_u32 v2, v2, v44
                                        ; implicit-def: $vgpr44_vgpr45
	v_cmpx_ne_u32_e32 0, v46
	s_xor_b32 s14, exec_lo, s14
; %bb.8128:                             ;   in Loop: Header=BB2_8074 Depth=3
	s_delay_alu instid0(VALU_DEP_2) | instskip(SKIP_1) | instid1(VALU_DEP_1)
	v_cmp_lt_u64_e32 vcc_lo, 0xffffff, v[2:3]
	v_add_nc_u32_e32 v18, 15, v47
	v_cndmask_b32_e32 v30, v46, v18, vcc_lo
	v_cndmask_b32_e64 v18, 0, 1, vcc_lo
	s_delay_alu instid0(VALU_DEP_1)
	v_lshrrev_b64 v[44:45], v18, v[2:3]
; %bb.8129:                             ;   in Loop: Header=BB2_8074 Depth=3
	s_and_not1_saveexec_b32 s14, s14
; %bb.8130:                             ;   in Loop: Header=BB2_8074 Depth=3
	v_mov_b64_e32 v[44:45], v[2:3]
	v_bfe_u32 v30, v2, 23, 1
; %bb.8131:                             ;   in Loop: Header=BB2_8074 Depth=3
	s_or_b32 exec_lo, exec_lo, s14
	s_delay_alu instid0(VALU_DEP_2) | instskip(NEXT) | instid1(VALU_DEP_2)
	v_lshrrev_b64 v[18:19], 21, v[44:45]
	v_cmp_gt_i32_e32 vcc_lo, 32, v30
	v_min_i32_e32 v2, 31, v30
	v_cmp_eq_u32_e64 s14, 0, v30
	s_delay_alu instid0(VALU_DEP_2) | instskip(SKIP_1) | instid1(VALU_DEP_2)
	v_dual_cndmask_b32 v19, 0, v19 :: v_dual_lshlrev_b32 v2, 2, v2
	v_cndmask_b32_e32 v18, 3, v18, vcc_lo
	v_and_b32_e32 v2, 0xfc, v2
	s_delay_alu instid0(VALU_DEP_2) | instskip(NEXT) | instid1(VALU_DEP_2)
	v_cmp_eq_u64_e32 vcc_lo, 0, v[18:19]
	v_and_or_b32 v2, v18, 3, v2
	s_and_b32 s14, s14, vcc_lo
	s_delay_alu instid0(VALU_DEP_1) | instid1(SALU_CYCLE_1)
	v_cndmask_b32_e64 v2, v2, 0, s14
	s_delay_alu instid0(VALU_DEP_1)
	v_or_b32_e32 v30, v2, v17
.LBB2_8132:                             ;   in Loop: Header=BB2_8074 Depth=3
	s_or_b32 exec_lo, exec_lo, s77
                                        ; implicit-def: $vgpr17
.LBB2_8133:                             ;   in Loop: Header=BB2_8074 Depth=3
	s_and_not1_saveexec_b32 s14, s76
; %bb.8134:                             ;   in Loop: Header=BB2_8074 Depth=3
	v_or_b32_e32 v30, 0x7b, v17
; %bb.8135:                             ;   in Loop: Header=BB2_8074 Depth=3
	s_or_b32 exec_lo, exec_lo, s14
                                        ; implicit-def: $vgpr44
                                        ; implicit-def: $vgpr17
.LBB2_8136:                             ;   in Loop: Header=BB2_8074 Depth=3
	s_and_not1_saveexec_b32 s14, s75
	s_cbranch_execz .LBB2_8142
; %bb.8137:                             ;   in Loop: Header=BB2_8074 Depth=3
	s_mov_b32 s75, exec_lo
                                        ; implicit-def: $vgpr30
	v_cmpx_ne_u64_e32 0, v[2:3]
	s_xor_b32 s75, exec_lo, s75
; %bb.8138:                             ;   in Loop: Header=BB2_8074 Depth=3
	v_or_b32_e32 v30, 0x7f, v17
                                        ; implicit-def: $vgpr44
; %bb.8139:                             ;   in Loop: Header=BB2_8074 Depth=3
	s_and_not1_saveexec_b32 s75, s75
; %bb.8140:                             ;   in Loop: Header=BB2_8074 Depth=3
	v_cmp_lt_i32_e32 vcc_lo, -1, v44
	v_cndmask_b32_e32 v30, 0xfc, v120, vcc_lo
; %bb.8141:                             ;   in Loop: Header=BB2_8074 Depth=3
	s_or_b32 exec_lo, exec_lo, s75
.LBB2_8142:                             ;   in Loop: Header=BB2_8074 Depth=3
	s_delay_alu instid0(SALU_CYCLE_1) | instskip(SKIP_2) | instid1(VALU_DEP_1)
	s_or_b32 exec_lo, exec_lo, s14
	v_dual_mov_b32 v17, 0 :: v_dual_lshrrev_b32 v2, 16, v8
	s_mov_b32 s14, exec_lo
	v_and_b32_e32 v44, 0xff, v2
	s_delay_alu instid0(VALU_DEP_1)
	v_cmpx_ne_u16_e32 0, v44
	s_cbranch_execz .LBB2_8152
; %bb.8143:                             ;   in Loop: Header=BB2_8074 Depth=3
	v_bfrev_b32_e32 v17, 1
	s_mov_b32 s75, exec_lo
	v_cmpx_ne_u16_e32 0x80, v44
	s_cbranch_execz .LBB2_8151
; %bb.8144:                             ;   in Loop: Header=BB2_8074 Depth=3
	v_and_b32_e32 v17, 0x7c0000, v8
	v_bfe_u32 v44, v8, 16, 2
	s_delay_alu instid0(VALU_DEP_2) | instskip(SKIP_1) | instid1(SALU_CYCLE_1)
	v_cmp_ne_u32_e32 vcc_lo, 0x7c0000, v17
                                        ; implicit-def: $vgpr17
	s_and_saveexec_b32 s76, vcc_lo
	s_xor_b32 s76, exec_lo, s76
	s_cbranch_execz .LBB2_8148
; %bb.8145:                             ;   in Loop: Header=BB2_8074 Depth=3
	v_bfe_u32 v17, v8, 18, 5
	s_mov_b32 s77, exec_lo
	s_delay_alu instid0(VALU_DEP_1)
	v_cmpx_eq_u32_e32 0, v17
; %bb.8146:                             ;   in Loop: Header=BB2_8074 Depth=3
	v_clz_i32_u32_e32 v17, v44
	s_delay_alu instid0(VALU_DEP_1) | instskip(NEXT) | instid1(VALU_DEP_1)
	v_min_u32_e32 v17, 32, v17
	v_subrev_nc_u32_e32 v18, 29, v17
	s_delay_alu instid0(VALU_DEP_1) | instskip(NEXT) | instid1(VALU_DEP_1)
	v_lshlrev_b64_e32 v[18:19], v18, v[2:3]
	v_dual_sub_nc_u32 v17, 30, v17 :: v_dual_bitop2_b32 v44, 3, v18 bitop3:0x40
; %bb.8147:                             ;   in Loop: Header=BB2_8074 Depth=3
	s_or_b32 exec_lo, exec_lo, s77
	v_lshlrev_b32_e32 v2, 24, v2
	s_delay_alu instid0(VALU_DEP_1) | instskip(NEXT) | instid1(VALU_DEP_1)
	v_and_b32_e32 v2, 0x80000000, v2
	v_lshl_add_u32 v2, v17, 23, v2
	s_delay_alu instid0(VALU_DEP_1) | instskip(NEXT) | instid1(VALU_DEP_1)
	v_lshl_or_b32 v2, v44, 21, v2
                                        ; implicit-def: $vgpr44
	v_add_nc_u32_e32 v17, 0x38000000, v2
                                        ; implicit-def: $vgpr2
.LBB2_8148:                             ;   in Loop: Header=BB2_8074 Depth=3
	s_and_not1_saveexec_b32 s76, s76
; %bb.8149:                             ;   in Loop: Header=BB2_8074 Depth=3
	v_bfe_i32 v2, v2, 0, 8
	s_delay_alu instid0(VALU_DEP_1) | instskip(SKIP_2) | instid1(VALU_DEP_2)
	v_cmp_lt_i16_e32 vcc_lo, -1, v2
	v_cndmask_b32_e32 v2, 0xff800000, v111, vcc_lo
	v_cmp_eq_u32_e32 vcc_lo, 0, v44
	v_cndmask_b32_e32 v17, 0x7f800001, v2, vcc_lo
; %bb.8150:                             ;   in Loop: Header=BB2_8074 Depth=3
	s_or_b32 exec_lo, exec_lo, s76
.LBB2_8151:                             ;   in Loop: Header=BB2_8074 Depth=3
	s_delay_alu instid0(SALU_CYCLE_1)
	s_or_b32 exec_lo, exec_lo, s75
.LBB2_8152:                             ;   in Loop: Header=BB2_8074 Depth=3
	s_delay_alu instid0(SALU_CYCLE_1) | instskip(NEXT) | instid1(VALU_DEP_1)
	s_or_b32 exec_lo, exec_lo, s14
	v_dual_mul_f32 v44, s74, v17 :: v_dual_mov_b32 v19, v3
                                        ; implicit-def: $vgpr60
	s_mov_b32 s14, exec_lo
	s_delay_alu instid0(VALU_DEP_1) | instskip(SKIP_2) | instid1(VALU_DEP_3)
	v_and_b32_e32 v18, 0x7f800000, v44
	v_and_b32_e32 v2, 0x7fffff, v44
	v_lshrrev_b32_e32 v17, 24, v44
	v_cmpx_ne_u64_e32 0x7f800000, v[18:19]
	s_xor_b32 s75, exec_lo, s14
	s_cbranch_execz .LBB2_8166
; %bb.8153:                             ;   in Loop: Header=BB2_8074 Depth=3
	v_and_b32_e32 v18, 0x7fffffff, v44
	v_mov_b32_e32 v19, v3
	v_and_b32_e32 v17, 0x80, v17
                                        ; implicit-def: $vgpr60
	s_mov_b32 s14, exec_lo
	s_delay_alu instid0(VALU_DEP_2)
	v_cmpx_gt_u64_e32 0x47600001, v[18:19]
	s_xor_b32 s76, exec_lo, s14
	s_cbranch_execz .LBB2_8163
; %bb.8154:                             ;   in Loop: Header=BB2_8074 Depth=3
	v_mov_b32_e32 v60, 0
	s_mov_b32 s77, exec_lo
	v_cmpx_ne_u32_e32 0, v44
	s_cbranch_execz .LBB2_8162
; %bb.8155:                             ;   in Loop: Header=BB2_8074 Depth=3
	v_bfe_u32 v56, v44, 23, 8
	v_or_b32_e32 v44, 0x800000, v2
	s_delay_alu instid0(VALU_DEP_2) | instskip(SKIP_1) | instid1(VALU_DEP_2)
	v_dual_mov_b32 v45, v3 :: v_dual_sub_nc_u32 v18, 0x71, v56
	v_cmp_gt_u32_e32 vcc_lo, 0x72, v56
	v_cndmask_b32_e32 v18, 0, v18, vcc_lo
	v_cmp_eq_u32_e32 vcc_lo, 0, v56
	s_delay_alu instid0(VALU_DEP_2) | instskip(NEXT) | instid1(VALU_DEP_1)
	v_cndmask_b32_e64 v57, v18, 0x70, vcc_lo
	v_dual_cndmask_b32 v44, v44, v2, vcc_lo :: v_dual_add_nc_u32 v18, 21, v57
	v_add_nc_u32_e32 v46, 20, v57
	s_delay_alu instid0(VALU_DEP_2) | instskip(NEXT) | instid1(VALU_DEP_2)
	v_lshlrev_b64_e64 v[18:19], v18, -1
	v_lshlrev_b64_e64 v[46:47], v46, 1
	s_delay_alu instid0(VALU_DEP_2) | instskip(SKIP_1) | instid1(VALU_DEP_4)
	v_bfi_b32 v18, v18, 0, v44
	v_lshrrev_b64 v[44:45], v57, v[44:45]
	v_bfi_b32 v19, v19, 0, 0
	s_delay_alu instid0(VALU_DEP_1) | instskip(NEXT) | instid1(VALU_DEP_3)
	v_cmp_eq_u64_e64 s14, v[18:19], v[46:47]
	v_mov_b64_e32 v[46:47], v[44:45]
	s_and_saveexec_b32 s78, s14
; %bb.8156:                             ;   in Loop: Header=BB2_8074 Depth=3
	v_bfe_u32 v18, v44, 21, 1
	v_mov_b32_e32 v19, v3
	s_delay_alu instid0(VALU_DEP_1) | instskip(NEXT) | instid1(VALU_DEP_1)
	v_add_nc_u64_e32 v[18:19], v[44:45], v[18:19]
	v_add_nc_u64_e32 v[46:47], -1, v[18:19]
; %bb.8157:                             ;   in Loop: Header=BB2_8074 Depth=3
	s_or_b32 exec_lo, exec_lo, s78
	v_add_nc_u32_e32 v2, 0xffffff81, v56
	v_lshrrev_b32_e32 v18, 23, v44
	s_mov_b32 s14, exec_lo
	s_delay_alu instid0(VALU_DEP_2) | instskip(NEXT) | instid1(VALU_DEP_1)
	v_cndmask_b32_e64 v2, v2, 0xffffff82, vcc_lo
	v_add3_u32 v47, v57, v2, v18
	v_and_b32_e32 v2, 0x1fffff, v46
                                        ; implicit-def: $vgpr46
	s_delay_alu instid0(VALU_DEP_1) | instskip(NEXT) | instid1(VALU_DEP_1)
	v_dual_add_nc_u32 v56, 14, v47 :: v_dual_add_nc_u32 v2, v2, v44
                                        ; implicit-def: $vgpr44_vgpr45
	v_cmpx_ne_u32_e32 0, v56
	s_xor_b32 s14, exec_lo, s14
; %bb.8158:                             ;   in Loop: Header=BB2_8074 Depth=3
	s_delay_alu instid0(VALU_DEP_2) | instskip(SKIP_1) | instid1(VALU_DEP_1)
	v_cmp_lt_u64_e32 vcc_lo, 0xffffff, v[2:3]
	v_add_nc_u32_e32 v18, 15, v47
	v_cndmask_b32_e32 v46, v56, v18, vcc_lo
	v_cndmask_b32_e64 v18, 0, 1, vcc_lo
	s_delay_alu instid0(VALU_DEP_1)
	v_lshrrev_b64 v[44:45], v18, v[2:3]
; %bb.8159:                             ;   in Loop: Header=BB2_8074 Depth=3
	s_and_not1_saveexec_b32 s14, s14
; %bb.8160:                             ;   in Loop: Header=BB2_8074 Depth=3
	v_mov_b64_e32 v[44:45], v[2:3]
	v_bfe_u32 v46, v2, 23, 1
; %bb.8161:                             ;   in Loop: Header=BB2_8074 Depth=3
	s_or_b32 exec_lo, exec_lo, s14
	s_delay_alu instid0(VALU_DEP_2) | instskip(NEXT) | instid1(VALU_DEP_2)
	v_lshrrev_b64 v[18:19], 21, v[44:45]
	v_cmp_gt_i32_e32 vcc_lo, 32, v46
	v_min_i32_e32 v2, 31, v46
	v_cmp_eq_u32_e64 s14, 0, v46
	s_delay_alu instid0(VALU_DEP_2) | instskip(SKIP_1) | instid1(VALU_DEP_2)
	v_dual_cndmask_b32 v19, 0, v19 :: v_dual_lshlrev_b32 v2, 2, v2
	v_cndmask_b32_e32 v18, 3, v18, vcc_lo
	v_and_b32_e32 v2, 0xfc, v2
	s_delay_alu instid0(VALU_DEP_2) | instskip(NEXT) | instid1(VALU_DEP_2)
	v_cmp_eq_u64_e32 vcc_lo, 0, v[18:19]
	v_and_or_b32 v2, v18, 3, v2
	s_and_b32 s14, s14, vcc_lo
	s_delay_alu instid0(VALU_DEP_1) | instid1(SALU_CYCLE_1)
	v_cndmask_b32_e64 v2, v2, 0, s14
	s_delay_alu instid0(VALU_DEP_1)
	v_or_b32_e32 v60, v2, v17
.LBB2_8162:                             ;   in Loop: Header=BB2_8074 Depth=3
	s_or_b32 exec_lo, exec_lo, s77
                                        ; implicit-def: $vgpr17
.LBB2_8163:                             ;   in Loop: Header=BB2_8074 Depth=3
	s_and_not1_saveexec_b32 s14, s76
; %bb.8164:                             ;   in Loop: Header=BB2_8074 Depth=3
	v_or_b32_e32 v60, 0x7b, v17
; %bb.8165:                             ;   in Loop: Header=BB2_8074 Depth=3
	s_or_b32 exec_lo, exec_lo, s14
                                        ; implicit-def: $vgpr44
                                        ; implicit-def: $vgpr17
.LBB2_8166:                             ;   in Loop: Header=BB2_8074 Depth=3
	s_and_not1_saveexec_b32 s14, s75
	s_cbranch_execz .LBB2_8172
; %bb.8167:                             ;   in Loop: Header=BB2_8074 Depth=3
	s_mov_b32 s75, exec_lo
                                        ; implicit-def: $vgpr60
	v_cmpx_ne_u64_e32 0, v[2:3]
	s_xor_b32 s75, exec_lo, s75
; %bb.8168:                             ;   in Loop: Header=BB2_8074 Depth=3
	v_or_b32_e32 v60, 0x7f, v17
                                        ; implicit-def: $vgpr44
; %bb.8169:                             ;   in Loop: Header=BB2_8074 Depth=3
	s_and_not1_saveexec_b32 s75, s75
; %bb.8170:                             ;   in Loop: Header=BB2_8074 Depth=3
	v_cmp_lt_i32_e32 vcc_lo, -1, v44
	v_cndmask_b32_e32 v60, 0xfc, v120, vcc_lo
; %bb.8171:                             ;   in Loop: Header=BB2_8074 Depth=3
	s_or_b32 exec_lo, exec_lo, s75
.LBB2_8172:                             ;   in Loop: Header=BB2_8074 Depth=3
	s_delay_alu instid0(SALU_CYCLE_1)
	s_or_b32 exec_lo, exec_lo, s14
	v_mov_b32_e32 v17, 0
	s_mov_b32 s14, exec_lo
	v_cmpx_lt_u32_e32 0xffffff, v8
	s_cbranch_execz .LBB2_8182
; %bb.8173:                             ;   in Loop: Header=BB2_8074 Depth=3
	v_lshrrev_b32_e32 v2, 24, v8
	v_bfrev_b32_e32 v17, 1
	s_mov_b32 s75, exec_lo
	s_delay_alu instid0(VALU_DEP_2)
	v_cmpx_ne_u32_e32 0x80, v2
	s_cbranch_execz .LBB2_8181
; %bb.8174:                             ;   in Loop: Header=BB2_8074 Depth=3
	v_and_b32_e32 v17, 0x7c000000, v8
	v_bfe_u32 v44, v8, 24, 2
	s_delay_alu instid0(VALU_DEP_2) | instskip(SKIP_1) | instid1(SALU_CYCLE_1)
	v_cmp_ne_u32_e32 vcc_lo, 0x7c000000, v17
                                        ; implicit-def: $vgpr17
	s_and_saveexec_b32 s76, vcc_lo
	s_xor_b32 s76, exec_lo, s76
	s_cbranch_execz .LBB2_8178
; %bb.8175:                             ;   in Loop: Header=BB2_8074 Depth=3
	v_bfe_u32 v17, v8, 26, 5
	s_mov_b32 s77, exec_lo
	s_delay_alu instid0(VALU_DEP_1)
	v_cmpx_eq_u32_e32 0, v17
; %bb.8176:                             ;   in Loop: Header=BB2_8074 Depth=3
	v_clz_i32_u32_e32 v17, v44
	s_delay_alu instid0(VALU_DEP_1) | instskip(NEXT) | instid1(VALU_DEP_1)
	v_min_u32_e32 v17, 32, v17
	v_subrev_nc_u32_e32 v18, 29, v17
	s_delay_alu instid0(VALU_DEP_1) | instskip(NEXT) | instid1(VALU_DEP_1)
	v_lshlrev_b64_e32 v[18:19], v18, v[2:3]
	v_dual_sub_nc_u32 v17, 30, v17 :: v_dual_bitop2_b32 v44, 3, v18 bitop3:0x40
; %bb.8177:                             ;   in Loop: Header=BB2_8074 Depth=3
	s_or_b32 exec_lo, exec_lo, s77
	v_and_b32_e32 v2, 0x80000000, v8
	s_delay_alu instid0(VALU_DEP_1) | instskip(NEXT) | instid1(VALU_DEP_1)
	v_lshl_add_u32 v2, v17, 23, v2
	v_lshl_or_b32 v2, v44, 21, v2
                                        ; implicit-def: $vgpr44
	s_delay_alu instid0(VALU_DEP_1)
	v_add_nc_u32_e32 v17, 0x38000000, v2
.LBB2_8178:                             ;   in Loop: Header=BB2_8074 Depth=3
	s_and_not1_saveexec_b32 s76, s76
; %bb.8179:                             ;   in Loop: Header=BB2_8074 Depth=3
	v_cmp_lt_i32_e32 vcc_lo, -1, v8
	v_cndmask_b32_e32 v2, 0xff800000, v111, vcc_lo
	v_cmp_eq_u32_e32 vcc_lo, 0, v44
	s_delay_alu instid0(VALU_DEP_2)
	v_cndmask_b32_e32 v17, 0x7f800001, v2, vcc_lo
; %bb.8180:                             ;   in Loop: Header=BB2_8074 Depth=3
	s_or_b32 exec_lo, exec_lo, s76
.LBB2_8181:                             ;   in Loop: Header=BB2_8074 Depth=3
	s_delay_alu instid0(SALU_CYCLE_1)
	s_or_b32 exec_lo, exec_lo, s75
.LBB2_8182:                             ;   in Loop: Header=BB2_8074 Depth=3
	s_delay_alu instid0(SALU_CYCLE_1) | instskip(NEXT) | instid1(VALU_DEP_1)
	s_or_b32 exec_lo, exec_lo, s14
	v_dual_mul_f32 v44, s74, v17 :: v_dual_mov_b32 v19, v3
                                        ; implicit-def: $vgpr72
	s_mov_b32 s14, exec_lo
	s_delay_alu instid0(VALU_DEP_1) | instskip(SKIP_2) | instid1(VALU_DEP_3)
	v_and_b32_e32 v18, 0x7f800000, v44
	v_and_b32_e32 v2, 0x7fffff, v44
	v_lshrrev_b32_e32 v17, 24, v44
	v_cmpx_ne_u64_e32 0x7f800000, v[18:19]
	s_xor_b32 s75, exec_lo, s14
	s_cbranch_execz .LBB2_8196
; %bb.8183:                             ;   in Loop: Header=BB2_8074 Depth=3
	v_and_b32_e32 v18, 0x7fffffff, v44
	v_mov_b32_e32 v19, v3
	v_and_b32_e32 v17, 0x80, v17
                                        ; implicit-def: $vgpr72
	s_mov_b32 s14, exec_lo
	s_delay_alu instid0(VALU_DEP_2)
	v_cmpx_gt_u64_e32 0x47600001, v[18:19]
	s_xor_b32 s76, exec_lo, s14
	s_cbranch_execz .LBB2_8193
; %bb.8184:                             ;   in Loop: Header=BB2_8074 Depth=3
	v_mov_b32_e32 v72, 0
	s_mov_b32 s77, exec_lo
	v_cmpx_ne_u32_e32 0, v44
	s_cbranch_execz .LBB2_8192
; %bb.8185:                             ;   in Loop: Header=BB2_8074 Depth=3
	v_bfe_u32 v56, v44, 23, 8
	v_or_b32_e32 v44, 0x800000, v2
	s_delay_alu instid0(VALU_DEP_2) | instskip(SKIP_1) | instid1(VALU_DEP_2)
	v_dual_mov_b32 v45, v3 :: v_dual_sub_nc_u32 v18, 0x71, v56
	v_cmp_gt_u32_e32 vcc_lo, 0x72, v56
	v_cndmask_b32_e32 v18, 0, v18, vcc_lo
	v_cmp_eq_u32_e32 vcc_lo, 0, v56
	s_delay_alu instid0(VALU_DEP_2) | instskip(NEXT) | instid1(VALU_DEP_1)
	v_cndmask_b32_e64 v57, v18, 0x70, vcc_lo
	v_dual_cndmask_b32 v44, v44, v2, vcc_lo :: v_dual_add_nc_u32 v18, 21, v57
	v_add_nc_u32_e32 v46, 20, v57
	s_delay_alu instid0(VALU_DEP_2) | instskip(NEXT) | instid1(VALU_DEP_2)
	v_lshlrev_b64_e64 v[18:19], v18, -1
	v_lshlrev_b64_e64 v[46:47], v46, 1
	s_delay_alu instid0(VALU_DEP_2) | instskip(SKIP_1) | instid1(VALU_DEP_4)
	v_bfi_b32 v18, v18, 0, v44
	v_lshrrev_b64 v[44:45], v57, v[44:45]
	v_bfi_b32 v19, v19, 0, 0
	s_delay_alu instid0(VALU_DEP_1) | instskip(NEXT) | instid1(VALU_DEP_3)
	v_cmp_eq_u64_e64 s14, v[18:19], v[46:47]
	v_mov_b64_e32 v[46:47], v[44:45]
	s_and_saveexec_b32 s78, s14
; %bb.8186:                             ;   in Loop: Header=BB2_8074 Depth=3
	v_bfe_u32 v18, v44, 21, 1
	v_mov_b32_e32 v19, v3
	s_delay_alu instid0(VALU_DEP_1) | instskip(NEXT) | instid1(VALU_DEP_1)
	v_add_nc_u64_e32 v[18:19], v[44:45], v[18:19]
	v_add_nc_u64_e32 v[46:47], -1, v[18:19]
; %bb.8187:                             ;   in Loop: Header=BB2_8074 Depth=3
	s_or_b32 exec_lo, exec_lo, s78
	v_add_nc_u32_e32 v2, 0xffffff81, v56
	v_lshrrev_b32_e32 v18, 23, v44
	s_mov_b32 s14, exec_lo
	s_delay_alu instid0(VALU_DEP_2) | instskip(NEXT) | instid1(VALU_DEP_1)
	v_cndmask_b32_e64 v2, v2, 0xffffff82, vcc_lo
	v_add3_u32 v47, v57, v2, v18
	v_and_b32_e32 v2, 0x1fffff, v46
                                        ; implicit-def: $vgpr46
	s_delay_alu instid0(VALU_DEP_1) | instskip(NEXT) | instid1(VALU_DEP_1)
	v_dual_add_nc_u32 v56, 14, v47 :: v_dual_add_nc_u32 v2, v2, v44
                                        ; implicit-def: $vgpr44_vgpr45
	v_cmpx_ne_u32_e32 0, v56
	s_xor_b32 s14, exec_lo, s14
; %bb.8188:                             ;   in Loop: Header=BB2_8074 Depth=3
	s_delay_alu instid0(VALU_DEP_2) | instskip(SKIP_1) | instid1(VALU_DEP_1)
	v_cmp_lt_u64_e32 vcc_lo, 0xffffff, v[2:3]
	v_add_nc_u32_e32 v18, 15, v47
	v_cndmask_b32_e32 v46, v56, v18, vcc_lo
	v_cndmask_b32_e64 v18, 0, 1, vcc_lo
	s_delay_alu instid0(VALU_DEP_1)
	v_lshrrev_b64 v[44:45], v18, v[2:3]
; %bb.8189:                             ;   in Loop: Header=BB2_8074 Depth=3
	s_and_not1_saveexec_b32 s14, s14
; %bb.8190:                             ;   in Loop: Header=BB2_8074 Depth=3
	v_mov_b64_e32 v[44:45], v[2:3]
	v_bfe_u32 v46, v2, 23, 1
; %bb.8191:                             ;   in Loop: Header=BB2_8074 Depth=3
	s_or_b32 exec_lo, exec_lo, s14
	s_delay_alu instid0(VALU_DEP_2) | instskip(NEXT) | instid1(VALU_DEP_2)
	v_lshrrev_b64 v[18:19], 21, v[44:45]
	v_cmp_gt_i32_e32 vcc_lo, 32, v46
	v_min_i32_e32 v2, 31, v46
	v_cmp_eq_u32_e64 s14, 0, v46
	s_delay_alu instid0(VALU_DEP_2) | instskip(SKIP_1) | instid1(VALU_DEP_2)
	v_dual_cndmask_b32 v19, 0, v19 :: v_dual_lshlrev_b32 v2, 2, v2
	v_cndmask_b32_e32 v18, 3, v18, vcc_lo
	v_and_b32_e32 v2, 0xfc, v2
	s_delay_alu instid0(VALU_DEP_2) | instskip(NEXT) | instid1(VALU_DEP_2)
	v_cmp_eq_u64_e32 vcc_lo, 0, v[18:19]
	v_and_or_b32 v2, v18, 3, v2
	s_and_b32 s14, s14, vcc_lo
	s_delay_alu instid0(VALU_DEP_1) | instid1(SALU_CYCLE_1)
	v_cndmask_b32_e64 v2, v2, 0, s14
	s_delay_alu instid0(VALU_DEP_1)
	v_or_b32_e32 v72, v2, v17
.LBB2_8192:                             ;   in Loop: Header=BB2_8074 Depth=3
	s_or_b32 exec_lo, exec_lo, s77
                                        ; implicit-def: $vgpr17
.LBB2_8193:                             ;   in Loop: Header=BB2_8074 Depth=3
	s_and_not1_saveexec_b32 s14, s76
; %bb.8194:                             ;   in Loop: Header=BB2_8074 Depth=3
	v_or_b32_e32 v72, 0x7b, v17
; %bb.8195:                             ;   in Loop: Header=BB2_8074 Depth=3
	s_or_b32 exec_lo, exec_lo, s14
                                        ; implicit-def: $vgpr44
                                        ; implicit-def: $vgpr17
.LBB2_8196:                             ;   in Loop: Header=BB2_8074 Depth=3
	s_and_not1_saveexec_b32 s14, s75
	s_cbranch_execz .LBB2_8202
; %bb.8197:                             ;   in Loop: Header=BB2_8074 Depth=3
	s_mov_b32 s75, exec_lo
                                        ; implicit-def: $vgpr72
	v_cmpx_ne_u64_e32 0, v[2:3]
	s_xor_b32 s75, exec_lo, s75
; %bb.8198:                             ;   in Loop: Header=BB2_8074 Depth=3
	v_or_b32_e32 v72, 0x7f, v17
                                        ; implicit-def: $vgpr44
; %bb.8199:                             ;   in Loop: Header=BB2_8074 Depth=3
	s_and_not1_saveexec_b32 s75, s75
; %bb.8200:                             ;   in Loop: Header=BB2_8074 Depth=3
	v_cmp_lt_i32_e32 vcc_lo, -1, v44
	v_cndmask_b32_e32 v72, 0xfc, v120, vcc_lo
; %bb.8201:                             ;   in Loop: Header=BB2_8074 Depth=3
	s_or_b32 exec_lo, exec_lo, s75
.LBB2_8202:                             ;   in Loop: Header=BB2_8074 Depth=3
	s_delay_alu instid0(SALU_CYCLE_1) | instskip(SKIP_3) | instid1(VALU_DEP_2)
	s_or_b32 exec_lo, exec_lo, s14
	v_and_b32_e32 v44, 0xff, v9
	v_dual_mov_b32 v2, v9 :: v_dual_mov_b32 v17, 0
	s_mov_b32 s14, exec_lo
	v_cmpx_ne_u16_e32 0, v44
	s_cbranch_execz .LBB2_8212
; %bb.8203:                             ;   in Loop: Header=BB2_8074 Depth=3
	v_bfrev_b32_e32 v17, 1
	s_mov_b32 s75, exec_lo
	v_cmpx_ne_u16_e32 0x80, v44
	s_cbranch_execz .LBB2_8211
; %bb.8204:                             ;   in Loop: Header=BB2_8074 Depth=3
	v_and_b32_e32 v17, 0x7c, v9
	v_and_b32_e32 v44, 3, v9
	s_delay_alu instid0(VALU_DEP_2) | instskip(SKIP_1) | instid1(SALU_CYCLE_1)
	v_cmp_ne_u32_e32 vcc_lo, 0x7c, v17
                                        ; implicit-def: $vgpr17
	s_and_saveexec_b32 s76, vcc_lo
	s_xor_b32 s76, exec_lo, s76
	s_cbranch_execz .LBB2_8208
; %bb.8205:                             ;   in Loop: Header=BB2_8074 Depth=3
	v_bfe_u32 v17, v9, 2, 5
	s_mov_b32 s77, exec_lo
	s_delay_alu instid0(VALU_DEP_1)
	v_cmpx_eq_u32_e32 0, v17
; %bb.8206:                             ;   in Loop: Header=BB2_8074 Depth=3
	v_clz_i32_u32_e32 v17, v44
	s_delay_alu instid0(VALU_DEP_1) | instskip(NEXT) | instid1(VALU_DEP_1)
	v_min_u32_e32 v17, 32, v17
	v_subrev_nc_u32_e32 v18, 29, v17
	s_delay_alu instid0(VALU_DEP_1) | instskip(NEXT) | instid1(VALU_DEP_1)
	v_lshlrev_b64_e32 v[18:19], v18, v[2:3]
	v_dual_sub_nc_u32 v17, 30, v17 :: v_dual_bitop2_b32 v44, 3, v18 bitop3:0x40
; %bb.8207:                             ;   in Loop: Header=BB2_8074 Depth=3
	s_or_b32 exec_lo, exec_lo, s77
	v_lshlrev_b32_e32 v18, 24, v9
	s_delay_alu instid0(VALU_DEP_1) | instskip(NEXT) | instid1(VALU_DEP_1)
	v_and_b32_e32 v18, 0x80000000, v18
	v_lshl_add_u32 v17, v17, 23, v18
	s_delay_alu instid0(VALU_DEP_1) | instskip(NEXT) | instid1(VALU_DEP_1)
	v_lshl_or_b32 v17, v44, 21, v17
                                        ; implicit-def: $vgpr44
	v_add_nc_u32_e32 v17, 0x38000000, v17
.LBB2_8208:                             ;   in Loop: Header=BB2_8074 Depth=3
	s_and_not1_saveexec_b32 s76, s76
; %bb.8209:                             ;   in Loop: Header=BB2_8074 Depth=3
	v_bfe_i32 v17, v9, 0, 8
	s_delay_alu instid0(VALU_DEP_1) | instskip(SKIP_2) | instid1(VALU_DEP_2)
	v_cmp_lt_i16_e32 vcc_lo, -1, v17
	v_cndmask_b32_e32 v17, 0xff800000, v111, vcc_lo
	v_cmp_eq_u32_e32 vcc_lo, 0, v44
	v_cndmask_b32_e32 v17, 0x7f800001, v17, vcc_lo
; %bb.8210:                             ;   in Loop: Header=BB2_8074 Depth=3
	s_or_b32 exec_lo, exec_lo, s76
.LBB2_8211:                             ;   in Loop: Header=BB2_8074 Depth=3
	s_delay_alu instid0(SALU_CYCLE_1)
	s_or_b32 exec_lo, exec_lo, s75
.LBB2_8212:                             ;   in Loop: Header=BB2_8074 Depth=3
	s_delay_alu instid0(SALU_CYCLE_1) | instskip(NEXT) | instid1(VALU_DEP_1)
	s_or_b32 exec_lo, exec_lo, s14
	v_dual_mul_f32 v46, s74, v17 :: v_dual_mov_b32 v19, v3
	v_mov_b32_e32 v45, v3
                                        ; implicit-def: $vgpr56
	s_mov_b32 s14, exec_lo
	s_delay_alu instid0(VALU_DEP_2) | instskip(SKIP_2) | instid1(VALU_DEP_3)
	v_and_b32_e32 v18, 0x7f800000, v46
	v_and_b32_e32 v44, 0x7fffff, v46
	v_lshrrev_b32_e32 v17, 24, v46
	v_cmpx_ne_u64_e32 0x7f800000, v[18:19]
	s_xor_b32 s75, exec_lo, s14
	s_cbranch_execz .LBB2_8226
; %bb.8213:                             ;   in Loop: Header=BB2_8074 Depth=3
	v_and_b32_e32 v18, 0x7fffffff, v46
	v_mov_b32_e32 v19, v3
	v_and_b32_e32 v17, 0x80, v17
                                        ; implicit-def: $vgpr56
	s_mov_b32 s14, exec_lo
	s_delay_alu instid0(VALU_DEP_2)
	v_cmpx_gt_u64_e32 0x47600001, v[18:19]
	s_xor_b32 s76, exec_lo, s14
	s_cbranch_execz .LBB2_8223
; %bb.8214:                             ;   in Loop: Header=BB2_8074 Depth=3
	v_mov_b32_e32 v56, 0
	s_mov_b32 s77, exec_lo
	v_cmpx_ne_u32_e32 0, v46
	s_cbranch_execz .LBB2_8222
; %bb.8215:                             ;   in Loop: Header=BB2_8074 Depth=3
	v_bfe_u32 v56, v46, 23, 8
	v_or_b32_e32 v46, 0x800000, v44
	s_delay_alu instid0(VALU_DEP_2) | instskip(SKIP_1) | instid1(VALU_DEP_2)
	v_sub_nc_u32_e32 v18, 0x71, v56
	v_cmp_gt_u32_e32 vcc_lo, 0x72, v56
	v_cndmask_b32_e32 v18, 0, v18, vcc_lo
	v_cmp_eq_u32_e32 vcc_lo, 0, v56
	s_delay_alu instid0(VALU_DEP_2) | instskip(NEXT) | instid1(VALU_DEP_1)
	v_cndmask_b32_e64 v57, v18, 0x70, vcc_lo
	v_dual_cndmask_b32 v44, v46, v44, vcc_lo :: v_dual_add_nc_u32 v18, 21, v57
	v_add_nc_u32_e32 v47, 20, v57
	s_delay_alu instid0(VALU_DEP_2) | instskip(NEXT) | instid1(VALU_DEP_2)
	v_lshlrev_b64_e64 v[18:19], v18, -1
	v_lshlrev_b64_e64 v[46:47], v47, 1
	s_delay_alu instid0(VALU_DEP_2) | instskip(SKIP_1) | instid1(VALU_DEP_4)
	v_bfi_b32 v18, v18, 0, v44
	v_lshrrev_b64 v[44:45], v57, v[44:45]
	v_bfi_b32 v19, v19, 0, 0
	s_delay_alu instid0(VALU_DEP_1) | instskip(NEXT) | instid1(VALU_DEP_3)
	v_cmp_eq_u64_e64 s14, v[18:19], v[46:47]
	v_mov_b64_e32 v[46:47], v[44:45]
	s_and_saveexec_b32 s78, s14
; %bb.8216:                             ;   in Loop: Header=BB2_8074 Depth=3
	v_bfe_u32 v18, v44, 21, 1
	v_mov_b32_e32 v19, v3
	s_delay_alu instid0(VALU_DEP_1) | instskip(NEXT) | instid1(VALU_DEP_1)
	v_add_nc_u64_e32 v[18:19], v[44:45], v[18:19]
	v_add_nc_u64_e32 v[46:47], -1, v[18:19]
; %bb.8217:                             ;   in Loop: Header=BB2_8074 Depth=3
	s_or_b32 exec_lo, exec_lo, s78
	v_dual_mov_b32 v45, v3 :: v_dual_add_nc_u32 v18, 0xffffff81, v56
	v_lshrrev_b32_e32 v19, 23, v44
	s_mov_b32 s14, exec_lo
	s_delay_alu instid0(VALU_DEP_2) | instskip(NEXT) | instid1(VALU_DEP_1)
	v_cndmask_b32_e64 v18, v18, 0xffffff82, vcc_lo
	v_add3_u32 v47, v57, v18, v19
	v_and_b32_e32 v18, 0x1fffff, v46
                                        ; implicit-def: $vgpr46
	s_delay_alu instid0(VALU_DEP_1) | instskip(NEXT) | instid1(VALU_DEP_1)
	v_dual_add_nc_u32 v56, 14, v47 :: v_dual_add_nc_u32 v44, v18, v44
	v_cmpx_ne_u32_e32 0, v56
	s_xor_b32 s14, exec_lo, s14
; %bb.8218:                             ;   in Loop: Header=BB2_8074 Depth=3
	s_delay_alu instid0(VALU_DEP_2) | instskip(SKIP_1) | instid1(VALU_DEP_1)
	v_cmp_lt_u64_e32 vcc_lo, 0xffffff, v[44:45]
	v_add_nc_u32_e32 v18, 15, v47
	v_cndmask_b32_e32 v46, v56, v18, vcc_lo
	v_cndmask_b32_e64 v18, 0, 1, vcc_lo
	s_delay_alu instid0(VALU_DEP_1)
	v_lshrrev_b64 v[44:45], v18, v[44:45]
; %bb.8219:                             ;   in Loop: Header=BB2_8074 Depth=3
	s_and_not1_saveexec_b32 s14, s14
; %bb.8220:                             ;   in Loop: Header=BB2_8074 Depth=3
	s_delay_alu instid0(VALU_DEP_1)
	v_bfe_u32 v46, v44, 23, 1
; %bb.8221:                             ;   in Loop: Header=BB2_8074 Depth=3
	s_or_b32 exec_lo, exec_lo, s14
	s_delay_alu instid0(VALU_DEP_2) | instskip(NEXT) | instid1(VALU_DEP_2)
	v_lshrrev_b64 v[18:19], 21, v[44:45]
	v_cmp_gt_i32_e32 vcc_lo, 32, v46
	v_min_i32_e32 v44, 31, v46
	v_cmp_eq_u32_e64 s14, 0, v46
	s_delay_alu instid0(VALU_DEP_2) | instskip(SKIP_1) | instid1(VALU_DEP_2)
	v_dual_cndmask_b32 v19, 0, v19 :: v_dual_lshlrev_b32 v44, 2, v44
	v_cndmask_b32_e32 v18, 3, v18, vcc_lo
	v_and_b32_e32 v44, 0xfc, v44
	s_delay_alu instid0(VALU_DEP_2) | instskip(NEXT) | instid1(VALU_DEP_2)
	v_cmp_eq_u64_e32 vcc_lo, 0, v[18:19]
	v_and_or_b32 v18, v18, 3, v44
	s_and_b32 s14, s14, vcc_lo
	s_delay_alu instid0(VALU_DEP_1) | instid1(SALU_CYCLE_1)
	v_cndmask_b32_e64 v18, v18, 0, s14
	s_delay_alu instid0(VALU_DEP_1)
	v_or_b32_e32 v56, v18, v17
.LBB2_8222:                             ;   in Loop: Header=BB2_8074 Depth=3
	s_or_b32 exec_lo, exec_lo, s77
                                        ; implicit-def: $vgpr17
.LBB2_8223:                             ;   in Loop: Header=BB2_8074 Depth=3
	s_and_not1_saveexec_b32 s14, s76
; %bb.8224:                             ;   in Loop: Header=BB2_8074 Depth=3
	v_or_b32_e32 v56, 0x7b, v17
; %bb.8225:                             ;   in Loop: Header=BB2_8074 Depth=3
	s_or_b32 exec_lo, exec_lo, s14
                                        ; implicit-def: $vgpr46
                                        ; implicit-def: $vgpr44_vgpr45
                                        ; implicit-def: $vgpr17
.LBB2_8226:                             ;   in Loop: Header=BB2_8074 Depth=3
	s_and_not1_saveexec_b32 s14, s75
	s_cbranch_execz .LBB2_8232
; %bb.8227:                             ;   in Loop: Header=BB2_8074 Depth=3
	s_mov_b32 s75, exec_lo
                                        ; implicit-def: $vgpr56
	v_cmpx_ne_u64_e32 0, v[44:45]
	s_xor_b32 s75, exec_lo, s75
; %bb.8228:                             ;   in Loop: Header=BB2_8074 Depth=3
	v_or_b32_e32 v56, 0x7f, v17
                                        ; implicit-def: $vgpr46
; %bb.8229:                             ;   in Loop: Header=BB2_8074 Depth=3
	s_and_not1_saveexec_b32 s75, s75
; %bb.8230:                             ;   in Loop: Header=BB2_8074 Depth=3
	v_cmp_lt_i32_e32 vcc_lo, -1, v46
	v_cndmask_b32_e32 v56, 0xfc, v120, vcc_lo
; %bb.8231:                             ;   in Loop: Header=BB2_8074 Depth=3
	s_or_b32 exec_lo, exec_lo, s75
.LBB2_8232:                             ;   in Loop: Header=BB2_8074 Depth=3
	s_delay_alu instid0(SALU_CYCLE_1) | instskip(SKIP_3) | instid1(VALU_DEP_2)
	s_or_b32 exec_lo, exec_lo, s14
	v_lshrrev_b16 v44, 8, v2
	v_mov_b32_e32 v45, 0
	s_mov_b32 s14, exec_lo
	v_cmpx_ne_u16_e32 0, v44
	s_cbranch_execz .LBB2_8242
; %bb.8233:                             ;   in Loop: Header=BB2_8074 Depth=3
	v_bfrev_b32_e32 v45, 1
	s_mov_b32 s75, exec_lo
	v_cmpx_ne_u16_e32 0x80, v44
	s_cbranch_execz .LBB2_8241
; %bb.8234:                             ;   in Loop: Header=BB2_8074 Depth=3
	v_and_b32_e32 v46, 0xffff, v44
	s_mov_b32 s76, exec_lo
                                        ; implicit-def: $vgpr45
	s_delay_alu instid0(VALU_DEP_1) | instskip(SKIP_1) | instid1(VALU_DEP_2)
	v_and_b32_e32 v18, 0x7c, v46
	v_and_b32_e32 v17, 3, v46
	v_cmpx_ne_u32_e32 0x7c, v18
	s_xor_b32 s76, exec_lo, s76
	s_cbranch_execz .LBB2_8238
; %bb.8235:                             ;   in Loop: Header=BB2_8074 Depth=3
	v_bfe_u32 v45, v46, 2, 5
	s_mov_b32 s77, exec_lo
	s_delay_alu instid0(VALU_DEP_1)
	v_cmpx_eq_u32_e32 0, v45
; %bb.8236:                             ;   in Loop: Header=BB2_8074 Depth=3
	v_clz_i32_u32_e32 v17, v17
	v_mov_b32_e32 v45, v3
	s_delay_alu instid0(VALU_DEP_2) | instskip(NEXT) | instid1(VALU_DEP_1)
	v_min_u32_e32 v17, 32, v17
	v_subrev_nc_u32_e32 v18, 29, v17
	s_delay_alu instid0(VALU_DEP_1) | instskip(NEXT) | instid1(VALU_DEP_1)
	v_lshlrev_b64_e32 v[18:19], v18, v[44:45]
	v_dual_sub_nc_u32 v45, 30, v17 :: v_dual_bitop2_b32 v17, 3, v18 bitop3:0x40
; %bb.8237:                             ;   in Loop: Header=BB2_8074 Depth=3
	s_or_b32 exec_lo, exec_lo, s77
	v_lshlrev_b32_e32 v2, 16, v2
	s_delay_alu instid0(VALU_DEP_1) | instskip(NEXT) | instid1(VALU_DEP_1)
	v_and_b32_e32 v2, 0x80000000, v2
	v_lshl_add_u32 v2, v45, 23, v2
	s_delay_alu instid0(VALU_DEP_1) | instskip(NEXT) | instid1(VALU_DEP_1)
	v_lshl_or_b32 v2, v17, 21, v2
                                        ; implicit-def: $vgpr17
	v_add_nc_u32_e32 v45, 0x38000000, v2
.LBB2_8238:                             ;   in Loop: Header=BB2_8074 Depth=3
	s_and_not1_saveexec_b32 s76, s76
; %bb.8239:                             ;   in Loop: Header=BB2_8074 Depth=3
	v_cmp_lt_i16_e32 vcc_lo, -1, v2
	v_cndmask_b32_e32 v2, 0xff800000, v111, vcc_lo
	v_cmp_eq_u32_e32 vcc_lo, 0, v17
	s_delay_alu instid0(VALU_DEP_2)
	v_cndmask_b32_e32 v45, 0x7f800001, v2, vcc_lo
; %bb.8240:                             ;   in Loop: Header=BB2_8074 Depth=3
	s_or_b32 exec_lo, exec_lo, s76
.LBB2_8241:                             ;   in Loop: Header=BB2_8074 Depth=3
	s_delay_alu instid0(SALU_CYCLE_1)
	s_or_b32 exec_lo, exec_lo, s75
.LBB2_8242:                             ;   in Loop: Header=BB2_8074 Depth=3
	s_delay_alu instid0(SALU_CYCLE_1) | instskip(NEXT) | instid1(VALU_DEP_1)
	s_or_b32 exec_lo, exec_lo, s14
	v_dual_mul_f32 v44, s74, v45 :: v_dual_mov_b32 v19, v3
                                        ; implicit-def: $vgpr57
	s_mov_b32 s14, exec_lo
	s_delay_alu instid0(VALU_DEP_1) | instskip(SKIP_2) | instid1(VALU_DEP_3)
	v_and_b32_e32 v18, 0x7f800000, v44
	v_and_b32_e32 v2, 0x7fffff, v44
	v_lshrrev_b32_e32 v17, 24, v44
	v_cmpx_ne_u64_e32 0x7f800000, v[18:19]
	s_xor_b32 s75, exec_lo, s14
	s_cbranch_execz .LBB2_8256
; %bb.8243:                             ;   in Loop: Header=BB2_8074 Depth=3
	v_and_b32_e32 v18, 0x7fffffff, v44
	v_mov_b32_e32 v19, v3
	v_and_b32_e32 v17, 0x80, v17
                                        ; implicit-def: $vgpr57
	s_mov_b32 s14, exec_lo
	s_delay_alu instid0(VALU_DEP_2)
	v_cmpx_gt_u64_e32 0x47600001, v[18:19]
	s_xor_b32 s76, exec_lo, s14
	s_cbranch_execz .LBB2_8253
; %bb.8244:                             ;   in Loop: Header=BB2_8074 Depth=3
	v_mov_b32_e32 v57, 0
	s_mov_b32 s77, exec_lo
	v_cmpx_ne_u32_e32 0, v44
	s_cbranch_execz .LBB2_8252
; %bb.8245:                             ;   in Loop: Header=BB2_8074 Depth=3
	v_bfe_u32 v57, v44, 23, 8
	v_or_b32_e32 v44, 0x800000, v2
	s_delay_alu instid0(VALU_DEP_2) | instskip(SKIP_1) | instid1(VALU_DEP_2)
	v_dual_mov_b32 v45, v3 :: v_dual_sub_nc_u32 v18, 0x71, v57
	v_cmp_gt_u32_e32 vcc_lo, 0x72, v57
	v_cndmask_b32_e32 v18, 0, v18, vcc_lo
	v_cmp_eq_u32_e32 vcc_lo, 0, v57
	s_delay_alu instid0(VALU_DEP_2) | instskip(SKIP_1) | instid1(VALU_DEP_2)
	v_cndmask_b32_e64 v62, v18, 0x70, vcc_lo
	v_cndmask_b32_e32 v44, v44, v2, vcc_lo
	v_dual_add_nc_u32 v18, 21, v62 :: v_dual_add_nc_u32 v46, 20, v62
	s_delay_alu instid0(VALU_DEP_1) | instskip(NEXT) | instid1(VALU_DEP_2)
	v_lshlrev_b64_e64 v[18:19], v18, -1
	v_lshlrev_b64_e64 v[46:47], v46, 1
	s_delay_alu instid0(VALU_DEP_2) | instskip(SKIP_1) | instid1(VALU_DEP_4)
	v_bfi_b32 v18, v18, 0, v44
	v_lshrrev_b64 v[44:45], v62, v[44:45]
	v_bfi_b32 v19, v19, 0, 0
	s_delay_alu instid0(VALU_DEP_1) | instskip(NEXT) | instid1(VALU_DEP_3)
	v_cmp_eq_u64_e64 s14, v[18:19], v[46:47]
	v_mov_b64_e32 v[46:47], v[44:45]
	s_and_saveexec_b32 s78, s14
; %bb.8246:                             ;   in Loop: Header=BB2_8074 Depth=3
	v_bfe_u32 v18, v44, 21, 1
	v_mov_b32_e32 v19, v3
	s_delay_alu instid0(VALU_DEP_1) | instskip(NEXT) | instid1(VALU_DEP_1)
	v_add_nc_u64_e32 v[18:19], v[44:45], v[18:19]
	v_add_nc_u64_e32 v[46:47], -1, v[18:19]
; %bb.8247:                             ;   in Loop: Header=BB2_8074 Depth=3
	s_or_b32 exec_lo, exec_lo, s78
	v_add_nc_u32_e32 v2, 0xffffff81, v57
	v_lshrrev_b32_e32 v18, 23, v44
	s_mov_b32 s14, exec_lo
	s_delay_alu instid0(VALU_DEP_2) | instskip(NEXT) | instid1(VALU_DEP_1)
	v_cndmask_b32_e64 v2, v2, 0xffffff82, vcc_lo
	v_add3_u32 v47, v62, v2, v18
	v_and_b32_e32 v2, 0x1fffff, v46
                                        ; implicit-def: $vgpr46
	s_delay_alu instid0(VALU_DEP_1) | instskip(NEXT) | instid1(VALU_DEP_1)
	v_dual_add_nc_u32 v57, 14, v47 :: v_dual_add_nc_u32 v2, v2, v44
                                        ; implicit-def: $vgpr44_vgpr45
	v_cmpx_ne_u32_e32 0, v57
	s_xor_b32 s14, exec_lo, s14
; %bb.8248:                             ;   in Loop: Header=BB2_8074 Depth=3
	s_delay_alu instid0(VALU_DEP_2) | instskip(SKIP_1) | instid1(VALU_DEP_1)
	v_cmp_lt_u64_e32 vcc_lo, 0xffffff, v[2:3]
	v_add_nc_u32_e32 v18, 15, v47
	v_cndmask_b32_e32 v46, v57, v18, vcc_lo
	v_cndmask_b32_e64 v18, 0, 1, vcc_lo
	s_delay_alu instid0(VALU_DEP_1)
	v_lshrrev_b64 v[44:45], v18, v[2:3]
; %bb.8249:                             ;   in Loop: Header=BB2_8074 Depth=3
	s_and_not1_saveexec_b32 s14, s14
; %bb.8250:                             ;   in Loop: Header=BB2_8074 Depth=3
	v_mov_b64_e32 v[44:45], v[2:3]
	v_bfe_u32 v46, v2, 23, 1
; %bb.8251:                             ;   in Loop: Header=BB2_8074 Depth=3
	s_or_b32 exec_lo, exec_lo, s14
	s_delay_alu instid0(VALU_DEP_2) | instskip(NEXT) | instid1(VALU_DEP_2)
	v_lshrrev_b64 v[18:19], 21, v[44:45]
	v_cmp_gt_i32_e32 vcc_lo, 32, v46
	v_min_i32_e32 v2, 31, v46
	v_cmp_eq_u32_e64 s14, 0, v46
	s_delay_alu instid0(VALU_DEP_2) | instskip(SKIP_1) | instid1(VALU_DEP_2)
	v_dual_cndmask_b32 v19, 0, v19 :: v_dual_lshlrev_b32 v2, 2, v2
	v_cndmask_b32_e32 v18, 3, v18, vcc_lo
	v_and_b32_e32 v2, 0xfc, v2
	s_delay_alu instid0(VALU_DEP_2) | instskip(NEXT) | instid1(VALU_DEP_2)
	v_cmp_eq_u64_e32 vcc_lo, 0, v[18:19]
	v_and_or_b32 v2, v18, 3, v2
	s_and_b32 s14, s14, vcc_lo
	s_delay_alu instid0(VALU_DEP_1) | instid1(SALU_CYCLE_1)
	v_cndmask_b32_e64 v2, v2, 0, s14
	s_delay_alu instid0(VALU_DEP_1)
	v_or_b32_e32 v57, v2, v17
.LBB2_8252:                             ;   in Loop: Header=BB2_8074 Depth=3
	s_or_b32 exec_lo, exec_lo, s77
                                        ; implicit-def: $vgpr17
.LBB2_8253:                             ;   in Loop: Header=BB2_8074 Depth=3
	s_and_not1_saveexec_b32 s14, s76
; %bb.8254:                             ;   in Loop: Header=BB2_8074 Depth=3
	v_or_b32_e32 v57, 0x7b, v17
; %bb.8255:                             ;   in Loop: Header=BB2_8074 Depth=3
	s_or_b32 exec_lo, exec_lo, s14
                                        ; implicit-def: $vgpr44
                                        ; implicit-def: $vgpr17
.LBB2_8256:                             ;   in Loop: Header=BB2_8074 Depth=3
	s_and_not1_saveexec_b32 s14, s75
	s_cbranch_execz .LBB2_8262
; %bb.8257:                             ;   in Loop: Header=BB2_8074 Depth=3
	s_mov_b32 s75, exec_lo
                                        ; implicit-def: $vgpr57
	v_cmpx_ne_u64_e32 0, v[2:3]
	s_xor_b32 s75, exec_lo, s75
; %bb.8258:                             ;   in Loop: Header=BB2_8074 Depth=3
	v_or_b32_e32 v57, 0x7f, v17
                                        ; implicit-def: $vgpr44
; %bb.8259:                             ;   in Loop: Header=BB2_8074 Depth=3
	s_and_not1_saveexec_b32 s75, s75
; %bb.8260:                             ;   in Loop: Header=BB2_8074 Depth=3
	v_cmp_lt_i32_e32 vcc_lo, -1, v44
	v_cndmask_b32_e32 v57, 0xfc, v120, vcc_lo
; %bb.8261:                             ;   in Loop: Header=BB2_8074 Depth=3
	s_or_b32 exec_lo, exec_lo, s75
.LBB2_8262:                             ;   in Loop: Header=BB2_8074 Depth=3
	s_delay_alu instid0(SALU_CYCLE_1) | instskip(SKIP_2) | instid1(VALU_DEP_1)
	s_or_b32 exec_lo, exec_lo, s14
	v_dual_mov_b32 v17, 0 :: v_dual_lshrrev_b32 v2, 16, v9
	s_mov_b32 s14, exec_lo
	v_and_b32_e32 v44, 0xff, v2
	s_delay_alu instid0(VALU_DEP_1)
	v_cmpx_ne_u16_e32 0, v44
	s_cbranch_execz .LBB2_8272
; %bb.8263:                             ;   in Loop: Header=BB2_8074 Depth=3
	v_bfrev_b32_e32 v17, 1
	s_mov_b32 s75, exec_lo
	v_cmpx_ne_u16_e32 0x80, v44
	s_cbranch_execz .LBB2_8271
; %bb.8264:                             ;   in Loop: Header=BB2_8074 Depth=3
	v_and_b32_e32 v17, 0x7c0000, v9
	v_bfe_u32 v44, v9, 16, 2
	s_delay_alu instid0(VALU_DEP_2) | instskip(SKIP_1) | instid1(SALU_CYCLE_1)
	v_cmp_ne_u32_e32 vcc_lo, 0x7c0000, v17
                                        ; implicit-def: $vgpr17
	s_and_saveexec_b32 s76, vcc_lo
	s_xor_b32 s76, exec_lo, s76
	s_cbranch_execz .LBB2_8268
; %bb.8265:                             ;   in Loop: Header=BB2_8074 Depth=3
	v_bfe_u32 v17, v9, 18, 5
	s_mov_b32 s77, exec_lo
	s_delay_alu instid0(VALU_DEP_1)
	v_cmpx_eq_u32_e32 0, v17
; %bb.8266:                             ;   in Loop: Header=BB2_8074 Depth=3
	v_clz_i32_u32_e32 v17, v44
	s_delay_alu instid0(VALU_DEP_1) | instskip(NEXT) | instid1(VALU_DEP_1)
	v_min_u32_e32 v17, 32, v17
	v_subrev_nc_u32_e32 v18, 29, v17
	s_delay_alu instid0(VALU_DEP_1) | instskip(NEXT) | instid1(VALU_DEP_1)
	v_lshlrev_b64_e32 v[18:19], v18, v[2:3]
	v_dual_sub_nc_u32 v17, 30, v17 :: v_dual_bitop2_b32 v44, 3, v18 bitop3:0x40
; %bb.8267:                             ;   in Loop: Header=BB2_8074 Depth=3
	s_or_b32 exec_lo, exec_lo, s77
	v_lshlrev_b32_e32 v2, 24, v2
	s_delay_alu instid0(VALU_DEP_1) | instskip(NEXT) | instid1(VALU_DEP_1)
	v_and_b32_e32 v2, 0x80000000, v2
	v_lshl_add_u32 v2, v17, 23, v2
	s_delay_alu instid0(VALU_DEP_1) | instskip(NEXT) | instid1(VALU_DEP_1)
	v_lshl_or_b32 v2, v44, 21, v2
                                        ; implicit-def: $vgpr44
	v_add_nc_u32_e32 v17, 0x38000000, v2
                                        ; implicit-def: $vgpr2
.LBB2_8268:                             ;   in Loop: Header=BB2_8074 Depth=3
	s_and_not1_saveexec_b32 s76, s76
; %bb.8269:                             ;   in Loop: Header=BB2_8074 Depth=3
	v_bfe_i32 v2, v2, 0, 8
	s_delay_alu instid0(VALU_DEP_1) | instskip(SKIP_2) | instid1(VALU_DEP_2)
	v_cmp_lt_i16_e32 vcc_lo, -1, v2
	v_cndmask_b32_e32 v2, 0xff800000, v111, vcc_lo
	v_cmp_eq_u32_e32 vcc_lo, 0, v44
	v_cndmask_b32_e32 v17, 0x7f800001, v2, vcc_lo
; %bb.8270:                             ;   in Loop: Header=BB2_8074 Depth=3
	s_or_b32 exec_lo, exec_lo, s76
.LBB2_8271:                             ;   in Loop: Header=BB2_8074 Depth=3
	s_delay_alu instid0(SALU_CYCLE_1)
	s_or_b32 exec_lo, exec_lo, s75
.LBB2_8272:                             ;   in Loop: Header=BB2_8074 Depth=3
	s_delay_alu instid0(SALU_CYCLE_1) | instskip(NEXT) | instid1(VALU_DEP_1)
	s_or_b32 exec_lo, exec_lo, s14
	v_dual_mul_f32 v44, s74, v17 :: v_dual_mov_b32 v19, v3
                                        ; implicit-def: $vgpr79
	s_mov_b32 s14, exec_lo
	s_delay_alu instid0(VALU_DEP_1) | instskip(SKIP_2) | instid1(VALU_DEP_3)
	v_and_b32_e32 v18, 0x7f800000, v44
	v_and_b32_e32 v2, 0x7fffff, v44
	v_lshrrev_b32_e32 v17, 24, v44
	v_cmpx_ne_u64_e32 0x7f800000, v[18:19]
	s_xor_b32 s75, exec_lo, s14
	s_cbranch_execz .LBB2_8286
; %bb.8273:                             ;   in Loop: Header=BB2_8074 Depth=3
	v_and_b32_e32 v18, 0x7fffffff, v44
	v_mov_b32_e32 v19, v3
	v_and_b32_e32 v17, 0x80, v17
                                        ; implicit-def: $vgpr79
	s_mov_b32 s14, exec_lo
	s_delay_alu instid0(VALU_DEP_2)
	v_cmpx_gt_u64_e32 0x47600001, v[18:19]
	s_xor_b32 s76, exec_lo, s14
	s_cbranch_execz .LBB2_8283
; %bb.8274:                             ;   in Loop: Header=BB2_8074 Depth=3
	v_mov_b32_e32 v79, 0
	s_mov_b32 s77, exec_lo
	v_cmpx_ne_u32_e32 0, v44
	s_cbranch_execz .LBB2_8282
; %bb.8275:                             ;   in Loop: Header=BB2_8074 Depth=3
	v_bfe_u32 v62, v44, 23, 8
	v_or_b32_e32 v44, 0x800000, v2
	s_delay_alu instid0(VALU_DEP_2) | instskip(SKIP_1) | instid1(VALU_DEP_2)
	v_dual_mov_b32 v45, v3 :: v_dual_sub_nc_u32 v18, 0x71, v62
	v_cmp_gt_u32_e32 vcc_lo, 0x72, v62
	v_cndmask_b32_e32 v18, 0, v18, vcc_lo
	v_cmp_eq_u32_e32 vcc_lo, 0, v62
	s_delay_alu instid0(VALU_DEP_2) | instskip(NEXT) | instid1(VALU_DEP_1)
	v_cndmask_b32_e64 v63, v18, 0x70, vcc_lo
	v_dual_cndmask_b32 v44, v44, v2, vcc_lo :: v_dual_add_nc_u32 v18, 21, v63
	v_add_nc_u32_e32 v46, 20, v63
	s_delay_alu instid0(VALU_DEP_2) | instskip(NEXT) | instid1(VALU_DEP_2)
	v_lshlrev_b64_e64 v[18:19], v18, -1
	v_lshlrev_b64_e64 v[46:47], v46, 1
	s_delay_alu instid0(VALU_DEP_2) | instskip(SKIP_1) | instid1(VALU_DEP_4)
	v_bfi_b32 v18, v18, 0, v44
	v_lshrrev_b64 v[44:45], v63, v[44:45]
	v_bfi_b32 v19, v19, 0, 0
	s_delay_alu instid0(VALU_DEP_1) | instskip(NEXT) | instid1(VALU_DEP_3)
	v_cmp_eq_u64_e64 s14, v[18:19], v[46:47]
	v_mov_b64_e32 v[46:47], v[44:45]
	s_and_saveexec_b32 s78, s14
; %bb.8276:                             ;   in Loop: Header=BB2_8074 Depth=3
	v_bfe_u32 v18, v44, 21, 1
	v_mov_b32_e32 v19, v3
	s_delay_alu instid0(VALU_DEP_1) | instskip(NEXT) | instid1(VALU_DEP_1)
	v_add_nc_u64_e32 v[18:19], v[44:45], v[18:19]
	v_add_nc_u64_e32 v[46:47], -1, v[18:19]
; %bb.8277:                             ;   in Loop: Header=BB2_8074 Depth=3
	s_or_b32 exec_lo, exec_lo, s78
	v_add_nc_u32_e32 v2, 0xffffff81, v62
	v_lshrrev_b32_e32 v18, 23, v44
	s_mov_b32 s14, exec_lo
	s_delay_alu instid0(VALU_DEP_2) | instskip(NEXT) | instid1(VALU_DEP_1)
	v_cndmask_b32_e64 v2, v2, 0xffffff82, vcc_lo
	v_add3_u32 v47, v63, v2, v18
	v_and_b32_e32 v2, 0x1fffff, v46
                                        ; implicit-def: $vgpr46
	s_delay_alu instid0(VALU_DEP_1) | instskip(NEXT) | instid1(VALU_DEP_1)
	v_dual_add_nc_u32 v62, 14, v47 :: v_dual_add_nc_u32 v2, v2, v44
                                        ; implicit-def: $vgpr44_vgpr45
	v_cmpx_ne_u32_e32 0, v62
	s_xor_b32 s14, exec_lo, s14
; %bb.8278:                             ;   in Loop: Header=BB2_8074 Depth=3
	s_delay_alu instid0(VALU_DEP_2) | instskip(SKIP_1) | instid1(VALU_DEP_1)
	v_cmp_lt_u64_e32 vcc_lo, 0xffffff, v[2:3]
	v_add_nc_u32_e32 v18, 15, v47
	v_cndmask_b32_e32 v46, v62, v18, vcc_lo
	v_cndmask_b32_e64 v18, 0, 1, vcc_lo
	s_delay_alu instid0(VALU_DEP_1)
	v_lshrrev_b64 v[44:45], v18, v[2:3]
; %bb.8279:                             ;   in Loop: Header=BB2_8074 Depth=3
	s_and_not1_saveexec_b32 s14, s14
; %bb.8280:                             ;   in Loop: Header=BB2_8074 Depth=3
	v_mov_b64_e32 v[44:45], v[2:3]
	v_bfe_u32 v46, v2, 23, 1
; %bb.8281:                             ;   in Loop: Header=BB2_8074 Depth=3
	s_or_b32 exec_lo, exec_lo, s14
	s_delay_alu instid0(VALU_DEP_2) | instskip(NEXT) | instid1(VALU_DEP_2)
	v_lshrrev_b64 v[18:19], 21, v[44:45]
	v_cmp_gt_i32_e32 vcc_lo, 32, v46
	v_min_i32_e32 v2, 31, v46
	v_cmp_eq_u32_e64 s14, 0, v46
	s_delay_alu instid0(VALU_DEP_2) | instskip(SKIP_1) | instid1(VALU_DEP_2)
	v_dual_cndmask_b32 v19, 0, v19 :: v_dual_lshlrev_b32 v2, 2, v2
	v_cndmask_b32_e32 v18, 3, v18, vcc_lo
	v_and_b32_e32 v2, 0xfc, v2
	s_delay_alu instid0(VALU_DEP_2) | instskip(NEXT) | instid1(VALU_DEP_2)
	v_cmp_eq_u64_e32 vcc_lo, 0, v[18:19]
	v_and_or_b32 v2, v18, 3, v2
	s_and_b32 s14, s14, vcc_lo
	s_delay_alu instid0(VALU_DEP_1) | instid1(SALU_CYCLE_1)
	v_cndmask_b32_e64 v2, v2, 0, s14
	s_delay_alu instid0(VALU_DEP_1)
	v_or_b32_e32 v79, v2, v17
.LBB2_8282:                             ;   in Loop: Header=BB2_8074 Depth=3
	s_or_b32 exec_lo, exec_lo, s77
                                        ; implicit-def: $vgpr17
.LBB2_8283:                             ;   in Loop: Header=BB2_8074 Depth=3
	s_and_not1_saveexec_b32 s14, s76
; %bb.8284:                             ;   in Loop: Header=BB2_8074 Depth=3
	v_or_b32_e32 v79, 0x7b, v17
; %bb.8285:                             ;   in Loop: Header=BB2_8074 Depth=3
	s_or_b32 exec_lo, exec_lo, s14
                                        ; implicit-def: $vgpr44
                                        ; implicit-def: $vgpr17
.LBB2_8286:                             ;   in Loop: Header=BB2_8074 Depth=3
	s_and_not1_saveexec_b32 s14, s75
	s_cbranch_execz .LBB2_8292
; %bb.8287:                             ;   in Loop: Header=BB2_8074 Depth=3
	s_mov_b32 s75, exec_lo
                                        ; implicit-def: $vgpr79
	v_cmpx_ne_u64_e32 0, v[2:3]
	s_xor_b32 s75, exec_lo, s75
; %bb.8288:                             ;   in Loop: Header=BB2_8074 Depth=3
	v_or_b32_e32 v79, 0x7f, v17
                                        ; implicit-def: $vgpr44
; %bb.8289:                             ;   in Loop: Header=BB2_8074 Depth=3
	s_and_not1_saveexec_b32 s75, s75
; %bb.8290:                             ;   in Loop: Header=BB2_8074 Depth=3
	v_cmp_lt_i32_e32 vcc_lo, -1, v44
	v_cndmask_b32_e32 v79, 0xfc, v120, vcc_lo
; %bb.8291:                             ;   in Loop: Header=BB2_8074 Depth=3
	s_or_b32 exec_lo, exec_lo, s75
.LBB2_8292:                             ;   in Loop: Header=BB2_8074 Depth=3
	s_delay_alu instid0(SALU_CYCLE_1)
	s_or_b32 exec_lo, exec_lo, s14
	v_mov_b32_e32 v17, 0
	s_mov_b32 s14, exec_lo
	v_cmpx_lt_u64_e64 s[22:23], v[8:9]
	s_cbranch_execz .LBB2_8302
; %bb.8293:                             ;   in Loop: Header=BB2_8074 Depth=3
	v_lshrrev_b32_e32 v2, 24, v9
	v_bfrev_b32_e32 v17, 1
	s_mov_b32 s75, exec_lo
	s_delay_alu instid0(VALU_DEP_2)
	v_cmpx_ne_u32_e32 0x80, v2
	s_cbranch_execz .LBB2_8301
; %bb.8294:                             ;   in Loop: Header=BB2_8074 Depth=3
	v_and_b32_e32 v17, 0x7c000000, v9
	v_bfe_u32 v44, v9, 24, 2
	s_delay_alu instid0(VALU_DEP_2) | instskip(SKIP_1) | instid1(SALU_CYCLE_1)
	v_cmp_ne_u32_e32 vcc_lo, 0x7c000000, v17
                                        ; implicit-def: $vgpr17
	s_and_saveexec_b32 s76, vcc_lo
	s_xor_b32 s76, exec_lo, s76
	s_cbranch_execz .LBB2_8298
; %bb.8295:                             ;   in Loop: Header=BB2_8074 Depth=3
	v_bfe_u32 v17, v9, 26, 5
	s_mov_b32 s77, exec_lo
	s_delay_alu instid0(VALU_DEP_1)
	v_cmpx_eq_u32_e32 0, v17
; %bb.8296:                             ;   in Loop: Header=BB2_8074 Depth=3
	v_clz_i32_u32_e32 v17, v44
	s_delay_alu instid0(VALU_DEP_1) | instskip(NEXT) | instid1(VALU_DEP_1)
	v_min_u32_e32 v17, 32, v17
	v_subrev_nc_u32_e32 v18, 29, v17
	s_delay_alu instid0(VALU_DEP_1) | instskip(NEXT) | instid1(VALU_DEP_1)
	v_lshlrev_b64_e32 v[18:19], v18, v[2:3]
	v_dual_sub_nc_u32 v17, 30, v17 :: v_dual_bitop2_b32 v44, 3, v18 bitop3:0x40
; %bb.8297:                             ;   in Loop: Header=BB2_8074 Depth=3
	s_or_b32 exec_lo, exec_lo, s77
	v_and_b32_e32 v2, 0x80000000, v9
	s_delay_alu instid0(VALU_DEP_1) | instskip(NEXT) | instid1(VALU_DEP_1)
	v_lshl_add_u32 v2, v17, 23, v2
	v_lshl_or_b32 v2, v44, 21, v2
                                        ; implicit-def: $vgpr44
	s_delay_alu instid0(VALU_DEP_1)
	v_add_nc_u32_e32 v17, 0x38000000, v2
.LBB2_8298:                             ;   in Loop: Header=BB2_8074 Depth=3
	s_and_not1_saveexec_b32 s76, s76
; %bb.8299:                             ;   in Loop: Header=BB2_8074 Depth=3
	v_cmp_lt_i64_e32 vcc_lo, -1, v[8:9]
	v_cndmask_b32_e32 v2, 0xff800000, v111, vcc_lo
	v_cmp_eq_u32_e32 vcc_lo, 0, v44
	s_delay_alu instid0(VALU_DEP_2)
	v_cndmask_b32_e32 v17, 0x7f800001, v2, vcc_lo
; %bb.8300:                             ;   in Loop: Header=BB2_8074 Depth=3
	s_or_b32 exec_lo, exec_lo, s76
.LBB2_8301:                             ;   in Loop: Header=BB2_8074 Depth=3
	s_delay_alu instid0(SALU_CYCLE_1)
	s_or_b32 exec_lo, exec_lo, s75
.LBB2_8302:                             ;   in Loop: Header=BB2_8074 Depth=3
	s_delay_alu instid0(SALU_CYCLE_1) | instskip(NEXT) | instid1(VALU_DEP_1)
	s_or_b32 exec_lo, exec_lo, s14
	v_dual_mul_f32 v8, s74, v17 :: v_dual_mov_b32 v19, v3
                                        ; implicit-def: $vgpr88
	s_mov_b32 s14, exec_lo
	s_delay_alu instid0(VALU_DEP_1) | instskip(SKIP_2) | instid1(VALU_DEP_3)
	v_and_b32_e32 v18, 0x7f800000, v8
	v_and_b32_e32 v2, 0x7fffff, v8
	v_lshrrev_b32_e32 v9, 24, v8
	v_cmpx_ne_u64_e32 0x7f800000, v[18:19]
	s_xor_b32 s75, exec_lo, s14
	s_cbranch_execz .LBB2_8316
; %bb.8303:                             ;   in Loop: Header=BB2_8074 Depth=3
	v_and_b32_e32 v18, 0x7fffffff, v8
	v_mov_b32_e32 v19, v3
	v_and_b32_e32 v17, 0x80, v9
                                        ; implicit-def: $vgpr88
	s_mov_b32 s14, exec_lo
	s_delay_alu instid0(VALU_DEP_2)
	v_cmpx_gt_u64_e32 0x47600001, v[18:19]
	s_xor_b32 s76, exec_lo, s14
	s_cbranch_execz .LBB2_8313
; %bb.8304:                             ;   in Loop: Header=BB2_8074 Depth=3
	v_mov_b32_e32 v88, 0
	s_mov_b32 s77, exec_lo
	v_cmpx_ne_u32_e32 0, v8
	s_cbranch_execz .LBB2_8312
; %bb.8305:                             ;   in Loop: Header=BB2_8074 Depth=3
	v_bfe_u32 v46, v8, 23, 8
	v_or_b32_e32 v18, 0x800000, v2
	s_delay_alu instid0(VALU_DEP_2) | instskip(SKIP_1) | instid1(VALU_DEP_2)
	v_dual_mov_b32 v19, v3 :: v_dual_sub_nc_u32 v8, 0x71, v46
	v_cmp_gt_u32_e32 vcc_lo, 0x72, v46
	v_cndmask_b32_e32 v8, 0, v8, vcc_lo
	v_cmp_eq_u32_e32 vcc_lo, 0, v46
	s_delay_alu instid0(VALU_DEP_2) | instskip(NEXT) | instid1(VALU_DEP_1)
	v_cndmask_b32_e64 v47, v8, 0x70, vcc_lo
	v_dual_cndmask_b32 v18, v18, v2, vcc_lo :: v_dual_add_nc_u32 v8, 21, v47
	v_add_nc_u32_e32 v44, 20, v47
	s_delay_alu instid0(VALU_DEP_2) | instskip(NEXT) | instid1(VALU_DEP_2)
	v_lshlrev_b64_e64 v[8:9], v8, -1
	v_lshlrev_b64_e64 v[44:45], v44, 1
	s_delay_alu instid0(VALU_DEP_2) | instskip(NEXT) | instid1(VALU_DEP_3)
	v_bfi_b32 v63, v9, 0, 0
	v_bfi_b32 v62, v8, 0, v18
	v_lshrrev_b64 v[8:9], v47, v[18:19]
	s_delay_alu instid0(VALU_DEP_2) | instskip(NEXT) | instid1(VALU_DEP_2)
	v_cmp_eq_u64_e64 s14, v[62:63], v[44:45]
	v_mov_b64_e32 v[44:45], v[8:9]
	s_and_saveexec_b32 s78, s14
; %bb.8306:                             ;   in Loop: Header=BB2_8074 Depth=3
	v_bfe_u32 v18, v8, 21, 1
	v_mov_b32_e32 v19, v3
	s_delay_alu instid0(VALU_DEP_1) | instskip(NEXT) | instid1(VALU_DEP_1)
	v_add_nc_u64_e32 v[18:19], v[8:9], v[18:19]
	v_add_nc_u64_e32 v[44:45], -1, v[18:19]
; %bb.8307:                             ;   in Loop: Header=BB2_8074 Depth=3
	s_or_b32 exec_lo, exec_lo, s78
	v_add_nc_u32_e32 v2, 0xffffff81, v46
	v_lshrrev_b32_e32 v9, 23, v8
	s_mov_b32 s14, exec_lo
	s_delay_alu instid0(VALU_DEP_2) | instskip(NEXT) | instid1(VALU_DEP_1)
	v_cndmask_b32_e64 v2, v2, 0xffffff82, vcc_lo
	v_add3_u32 v45, v47, v2, v9
	v_and_b32_e32 v2, 0x1fffff, v44
                                        ; implicit-def: $vgpr44
	s_delay_alu instid0(VALU_DEP_1) | instskip(NEXT) | instid1(VALU_DEP_1)
	v_dual_add_nc_u32 v46, 14, v45 :: v_dual_add_nc_u32 v2, v2, v8
                                        ; implicit-def: $vgpr8_vgpr9
	v_cmpx_ne_u32_e32 0, v46
	s_xor_b32 s14, exec_lo, s14
; %bb.8308:                             ;   in Loop: Header=BB2_8074 Depth=3
	s_delay_alu instid0(VALU_DEP_2) | instskip(SKIP_1) | instid1(VALU_DEP_1)
	v_cmp_lt_u64_e32 vcc_lo, 0xffffff, v[2:3]
	v_add_nc_u32_e32 v8, 15, v45
	v_cndmask_b32_e32 v44, v46, v8, vcc_lo
	v_cndmask_b32_e64 v8, 0, 1, vcc_lo
	s_delay_alu instid0(VALU_DEP_1)
	v_lshrrev_b64 v[8:9], v8, v[2:3]
; %bb.8309:                             ;   in Loop: Header=BB2_8074 Depth=3
	s_and_not1_saveexec_b32 s14, s14
; %bb.8310:                             ;   in Loop: Header=BB2_8074 Depth=3
	v_mov_b64_e32 v[8:9], v[2:3]
	v_bfe_u32 v44, v2, 23, 1
; %bb.8311:                             ;   in Loop: Header=BB2_8074 Depth=3
	s_or_b32 exec_lo, exec_lo, s14
	s_delay_alu instid0(VALU_DEP_2) | instskip(NEXT) | instid1(VALU_DEP_2)
	v_lshrrev_b64 v[8:9], 21, v[8:9]
	v_cmp_gt_i32_e32 vcc_lo, 32, v44
	v_min_i32_e32 v2, 31, v44
	v_cmp_eq_u32_e64 s14, 0, v44
	s_delay_alu instid0(VALU_DEP_2) | instskip(SKIP_1) | instid1(VALU_DEP_2)
	v_dual_cndmask_b32 v9, 0, v9 :: v_dual_lshlrev_b32 v2, 2, v2
	v_cndmask_b32_e32 v8, 3, v8, vcc_lo
	v_and_b32_e32 v2, 0xfc, v2
	s_delay_alu instid0(VALU_DEP_2) | instskip(NEXT) | instid1(VALU_DEP_2)
	v_cmp_eq_u64_e32 vcc_lo, 0, v[8:9]
	v_and_or_b32 v2, v8, 3, v2
	s_and_b32 s14, s14, vcc_lo
	s_delay_alu instid0(VALU_DEP_1) | instid1(SALU_CYCLE_1)
	v_cndmask_b32_e64 v2, v2, 0, s14
	s_delay_alu instid0(VALU_DEP_1)
	v_or_b32_e32 v88, v2, v17
.LBB2_8312:                             ;   in Loop: Header=BB2_8074 Depth=3
	s_or_b32 exec_lo, exec_lo, s77
                                        ; implicit-def: $vgpr17
.LBB2_8313:                             ;   in Loop: Header=BB2_8074 Depth=3
	s_and_not1_saveexec_b32 s14, s76
; %bb.8314:                             ;   in Loop: Header=BB2_8074 Depth=3
	v_or_b32_e32 v88, 0x7b, v17
; %bb.8315:                             ;   in Loop: Header=BB2_8074 Depth=3
	s_or_b32 exec_lo, exec_lo, s14
                                        ; implicit-def: $vgpr8
                                        ; implicit-def: $vgpr9
.LBB2_8316:                             ;   in Loop: Header=BB2_8074 Depth=3
	s_and_not1_saveexec_b32 s14, s75
	s_cbranch_execz .LBB2_8322
; %bb.8317:                             ;   in Loop: Header=BB2_8074 Depth=3
	s_mov_b32 s75, exec_lo
                                        ; implicit-def: $vgpr88
	v_cmpx_ne_u64_e32 0, v[2:3]
	s_xor_b32 s75, exec_lo, s75
; %bb.8318:                             ;   in Loop: Header=BB2_8074 Depth=3
	v_or_b32_e32 v88, 0x7f, v9
                                        ; implicit-def: $vgpr8
; %bb.8319:                             ;   in Loop: Header=BB2_8074 Depth=3
	s_and_not1_saveexec_b32 s75, s75
; %bb.8320:                             ;   in Loop: Header=BB2_8074 Depth=3
	v_cmp_lt_i32_e32 vcc_lo, -1, v8
	v_cndmask_b32_e32 v88, 0xfc, v120, vcc_lo
; %bb.8321:                             ;   in Loop: Header=BB2_8074 Depth=3
	s_or_b32 exec_lo, exec_lo, s75
.LBB2_8322:                             ;   in Loop: Header=BB2_8074 Depth=3
	s_delay_alu instid0(SALU_CYCLE_1) | instskip(SKIP_1) | instid1(VALU_DEP_1)
	s_or_b32 exec_lo, exec_lo, s14
	v_and_b32_e32 v2, 0xff, v10
	v_cmp_ne_u16_e32 vcc_lo, 0, v2
	v_mov_b32_e32 v2, 0
	s_and_saveexec_b32 s14, vcc_lo
	s_cbranch_execz .LBB2_8332
; %bb.8323:                             ;   in Loop: Header=BB2_8074 Depth=3
	v_bfe_i32 v9, v10, 0, 8
	v_bfrev_b32_e32 v2, 1
	s_mov_b32 s75, exec_lo
	s_delay_alu instid0(VALU_DEP_2)
	v_cmpx_ne_u16_e32 0xff80, v9
	s_cbranch_execz .LBB2_8331
; %bb.8324:                             ;   in Loop: Header=BB2_8074 Depth=3
	v_and_b32_e32 v2, 0x7c, v10
	v_and_b32_e32 v8, 3, v10
	s_delay_alu instid0(VALU_DEP_2) | instskip(SKIP_1) | instid1(SALU_CYCLE_1)
	v_cmp_ne_u32_e32 vcc_lo, 0x7c, v2
                                        ; implicit-def: $vgpr2
	s_and_saveexec_b32 s76, vcc_lo
	s_xor_b32 s76, exec_lo, s76
	s_cbranch_execz .LBB2_8328
; %bb.8325:                             ;   in Loop: Header=BB2_8074 Depth=3
	v_bfe_u32 v2, v10, 2, 5
	s_mov_b32 s77, exec_lo
	s_delay_alu instid0(VALU_DEP_1)
	v_cmpx_eq_u32_e32 0, v2
; %bb.8326:                             ;   in Loop: Header=BB2_8074 Depth=3
	v_clz_i32_u32_e32 v2, v8
	s_delay_alu instid0(VALU_DEP_1) | instskip(NEXT) | instid1(VALU_DEP_1)
	v_min_u32_e32 v2, 32, v2
	v_subrev_nc_u32_e32 v8, 29, v2
	s_delay_alu instid0(VALU_DEP_1) | instskip(NEXT) | instid1(VALU_DEP_1)
	v_lshlrev_b64_e32 v[8:9], v8, v[10:11]
	v_dual_sub_nc_u32 v2, 30, v2 :: v_dual_bitop2_b32 v8, 3, v8 bitop3:0x40
; %bb.8327:                             ;   in Loop: Header=BB2_8074 Depth=3
	s_or_b32 exec_lo, exec_lo, s77
	v_lshlrev_b32_e32 v9, 24, v10
	s_delay_alu instid0(VALU_DEP_1) | instskip(NEXT) | instid1(VALU_DEP_1)
	v_and_b32_e32 v9, 0x80000000, v9
	v_lshl_add_u32 v2, v2, 23, v9
                                        ; implicit-def: $vgpr9
	s_delay_alu instid0(VALU_DEP_1) | instskip(NEXT) | instid1(VALU_DEP_1)
	v_lshl_or_b32 v2, v8, 21, v2
                                        ; implicit-def: $vgpr8
	v_add_nc_u32_e32 v2, 0x38000000, v2
.LBB2_8328:                             ;   in Loop: Header=BB2_8074 Depth=3
	s_and_not1_saveexec_b32 s76, s76
; %bb.8329:                             ;   in Loop: Header=BB2_8074 Depth=3
	v_cmp_lt_i16_e32 vcc_lo, -1, v9
	v_cndmask_b32_e32 v2, 0xff800000, v111, vcc_lo
	v_cmp_eq_u32_e32 vcc_lo, 0, v8
	s_delay_alu instid0(VALU_DEP_2)
	v_cndmask_b32_e32 v2, 0x7f800001, v2, vcc_lo
; %bb.8330:                             ;   in Loop: Header=BB2_8074 Depth=3
	s_or_b32 exec_lo, exec_lo, s76
.LBB2_8331:                             ;   in Loop: Header=BB2_8074 Depth=3
	s_delay_alu instid0(SALU_CYCLE_1)
	s_or_b32 exec_lo, exec_lo, s75
.LBB2_8332:                             ;   in Loop: Header=BB2_8074 Depth=3
	s_delay_alu instid0(SALU_CYCLE_1) | instskip(NEXT) | instid1(VALU_DEP_1)
	s_or_b32 exec_lo, exec_lo, s14
	v_dual_mul_f32 v8, s74, v2 :: v_dual_mov_b32 v19, v3
                                        ; implicit-def: $vgpr62
	s_mov_b32 s14, exec_lo
	s_delay_alu instid0(VALU_DEP_1) | instskip(SKIP_2) | instid1(VALU_DEP_3)
	v_and_b32_e32 v18, 0x7f800000, v8
	v_and_b32_e32 v2, 0x7fffff, v8
	v_lshrrev_b32_e32 v9, 24, v8
	v_cmpx_ne_u64_e32 0x7f800000, v[18:19]
	s_xor_b32 s75, exec_lo, s14
	s_cbranch_execz .LBB2_8346
; %bb.8333:                             ;   in Loop: Header=BB2_8074 Depth=3
	v_and_b32_e32 v18, 0x7fffffff, v8
	v_mov_b32_e32 v19, v3
	v_and_b32_e32 v17, 0x80, v9
                                        ; implicit-def: $vgpr62
	s_mov_b32 s14, exec_lo
	s_delay_alu instid0(VALU_DEP_2)
	v_cmpx_gt_u64_e32 0x47600001, v[18:19]
	s_xor_b32 s76, exec_lo, s14
	s_cbranch_execz .LBB2_8343
; %bb.8334:                             ;   in Loop: Header=BB2_8074 Depth=3
	v_mov_b32_e32 v62, 0
	s_mov_b32 s77, exec_lo
	v_cmpx_ne_u32_e32 0, v8
	s_cbranch_execz .LBB2_8342
; %bb.8335:                             ;   in Loop: Header=BB2_8074 Depth=3
	v_bfe_u32 v46, v8, 23, 8
	v_or_b32_e32 v18, 0x800000, v2
	s_delay_alu instid0(VALU_DEP_2) | instskip(SKIP_1) | instid1(VALU_DEP_2)
	v_dual_mov_b32 v19, v3 :: v_dual_sub_nc_u32 v8, 0x71, v46
	v_cmp_gt_u32_e32 vcc_lo, 0x72, v46
	v_cndmask_b32_e32 v8, 0, v8, vcc_lo
	v_cmp_eq_u32_e32 vcc_lo, 0, v46
	s_delay_alu instid0(VALU_DEP_2) | instskip(NEXT) | instid1(VALU_DEP_1)
	v_cndmask_b32_e64 v47, v8, 0x70, vcc_lo
	v_dual_cndmask_b32 v18, v18, v2, vcc_lo :: v_dual_add_nc_u32 v8, 21, v47
	v_add_nc_u32_e32 v44, 20, v47
	s_delay_alu instid0(VALU_DEP_2) | instskip(NEXT) | instid1(VALU_DEP_2)
	v_lshlrev_b64_e64 v[8:9], v8, -1
	v_lshlrev_b64_e64 v[44:45], v44, 1
	s_delay_alu instid0(VALU_DEP_2) | instskip(NEXT) | instid1(VALU_DEP_3)
	v_bfi_b32 v63, v9, 0, 0
	v_bfi_b32 v62, v8, 0, v18
	v_lshrrev_b64 v[8:9], v47, v[18:19]
	s_delay_alu instid0(VALU_DEP_2) | instskip(NEXT) | instid1(VALU_DEP_2)
	v_cmp_eq_u64_e64 s14, v[62:63], v[44:45]
	v_mov_b64_e32 v[44:45], v[8:9]
	s_and_saveexec_b32 s78, s14
; %bb.8336:                             ;   in Loop: Header=BB2_8074 Depth=3
	v_bfe_u32 v18, v8, 21, 1
	v_mov_b32_e32 v19, v3
	s_delay_alu instid0(VALU_DEP_1) | instskip(NEXT) | instid1(VALU_DEP_1)
	v_add_nc_u64_e32 v[18:19], v[8:9], v[18:19]
	v_add_nc_u64_e32 v[44:45], -1, v[18:19]
; %bb.8337:                             ;   in Loop: Header=BB2_8074 Depth=3
	s_or_b32 exec_lo, exec_lo, s78
	v_add_nc_u32_e32 v2, 0xffffff81, v46
	v_lshrrev_b32_e32 v9, 23, v8
	s_mov_b32 s14, exec_lo
	s_delay_alu instid0(VALU_DEP_2) | instskip(NEXT) | instid1(VALU_DEP_1)
	v_cndmask_b32_e64 v2, v2, 0xffffff82, vcc_lo
	v_add3_u32 v45, v47, v2, v9
	v_and_b32_e32 v2, 0x1fffff, v44
                                        ; implicit-def: $vgpr44
	s_delay_alu instid0(VALU_DEP_1) | instskip(NEXT) | instid1(VALU_DEP_1)
	v_dual_add_nc_u32 v46, 14, v45 :: v_dual_add_nc_u32 v2, v2, v8
                                        ; implicit-def: $vgpr8_vgpr9
	v_cmpx_ne_u32_e32 0, v46
	s_xor_b32 s14, exec_lo, s14
; %bb.8338:                             ;   in Loop: Header=BB2_8074 Depth=3
	s_delay_alu instid0(VALU_DEP_2) | instskip(SKIP_1) | instid1(VALU_DEP_1)
	v_cmp_lt_u64_e32 vcc_lo, 0xffffff, v[2:3]
	v_add_nc_u32_e32 v8, 15, v45
	v_cndmask_b32_e32 v44, v46, v8, vcc_lo
	v_cndmask_b32_e64 v8, 0, 1, vcc_lo
	s_delay_alu instid0(VALU_DEP_1)
	v_lshrrev_b64 v[8:9], v8, v[2:3]
; %bb.8339:                             ;   in Loop: Header=BB2_8074 Depth=3
	s_and_not1_saveexec_b32 s14, s14
; %bb.8340:                             ;   in Loop: Header=BB2_8074 Depth=3
	v_mov_b64_e32 v[8:9], v[2:3]
	v_bfe_u32 v44, v2, 23, 1
; %bb.8341:                             ;   in Loop: Header=BB2_8074 Depth=3
	s_or_b32 exec_lo, exec_lo, s14
	s_delay_alu instid0(VALU_DEP_2) | instskip(NEXT) | instid1(VALU_DEP_2)
	v_lshrrev_b64 v[8:9], 21, v[8:9]
	v_cmp_gt_i32_e32 vcc_lo, 32, v44
	v_min_i32_e32 v2, 31, v44
	v_cmp_eq_u32_e64 s14, 0, v44
	s_delay_alu instid0(VALU_DEP_2) | instskip(SKIP_1) | instid1(VALU_DEP_2)
	v_dual_cndmask_b32 v9, 0, v9 :: v_dual_lshlrev_b32 v2, 2, v2
	v_cndmask_b32_e32 v8, 3, v8, vcc_lo
	v_and_b32_e32 v2, 0xfc, v2
	s_delay_alu instid0(VALU_DEP_2) | instskip(NEXT) | instid1(VALU_DEP_2)
	v_cmp_eq_u64_e32 vcc_lo, 0, v[8:9]
	v_and_or_b32 v2, v8, 3, v2
	s_and_b32 s14, s14, vcc_lo
	s_delay_alu instid0(VALU_DEP_1) | instid1(SALU_CYCLE_1)
	v_cndmask_b32_e64 v2, v2, 0, s14
	s_delay_alu instid0(VALU_DEP_1)
	v_or_b32_e32 v62, v2, v17
.LBB2_8342:                             ;   in Loop: Header=BB2_8074 Depth=3
	s_or_b32 exec_lo, exec_lo, s77
                                        ; implicit-def: $vgpr17
.LBB2_8343:                             ;   in Loop: Header=BB2_8074 Depth=3
	s_and_not1_saveexec_b32 s14, s76
; %bb.8344:                             ;   in Loop: Header=BB2_8074 Depth=3
	v_or_b32_e32 v62, 0x7b, v17
; %bb.8345:                             ;   in Loop: Header=BB2_8074 Depth=3
	s_or_b32 exec_lo, exec_lo, s14
                                        ; implicit-def: $vgpr8
                                        ; implicit-def: $vgpr9
.LBB2_8346:                             ;   in Loop: Header=BB2_8074 Depth=3
	s_and_not1_saveexec_b32 s14, s75
	s_cbranch_execz .LBB2_8352
; %bb.8347:                             ;   in Loop: Header=BB2_8074 Depth=3
	s_mov_b32 s75, exec_lo
                                        ; implicit-def: $vgpr62
	v_cmpx_ne_u64_e32 0, v[2:3]
	s_xor_b32 s75, exec_lo, s75
; %bb.8348:                             ;   in Loop: Header=BB2_8074 Depth=3
	v_or_b32_e32 v62, 0x7f, v9
                                        ; implicit-def: $vgpr8
; %bb.8349:                             ;   in Loop: Header=BB2_8074 Depth=3
	s_and_not1_saveexec_b32 s75, s75
; %bb.8350:                             ;   in Loop: Header=BB2_8074 Depth=3
	v_cmp_lt_i32_e32 vcc_lo, -1, v8
	v_cndmask_b32_e32 v62, 0xfc, v120, vcc_lo
; %bb.8351:                             ;   in Loop: Header=BB2_8074 Depth=3
	s_or_b32 exec_lo, exec_lo, s75
.LBB2_8352:                             ;   in Loop: Header=BB2_8074 Depth=3
	s_delay_alu instid0(SALU_CYCLE_1) | instskip(SKIP_3) | instid1(VALU_DEP_2)
	s_or_b32 exec_lo, exec_lo, s14
	v_lshrrev_b16 v8, 8, v10
	v_mov_b32_e32 v9, 0
	s_mov_b32 s14, exec_lo
	v_cmpx_ne_u16_e32 0, v8
	s_cbranch_execz .LBB2_8362
; %bb.8353:                             ;   in Loop: Header=BB2_8074 Depth=3
	v_bfrev_b32_e32 v9, 1
	s_mov_b32 s75, exec_lo
	v_cmpx_ne_u16_e32 0x80, v8
	s_cbranch_execz .LBB2_8361
; %bb.8354:                             ;   in Loop: Header=BB2_8074 Depth=3
	v_and_b32_e32 v17, 0xffff, v8
	s_delay_alu instid0(VALU_DEP_1) | instskip(SKIP_1) | instid1(VALU_DEP_2)
	v_and_b32_e32 v9, 0x7c, v17
	v_and_b32_e32 v2, 3, v17
	v_cmp_ne_u32_e32 vcc_lo, 0x7c, v9
                                        ; implicit-def: $vgpr9
	s_and_saveexec_b32 s76, vcc_lo
	s_delay_alu instid0(SALU_CYCLE_1)
	s_xor_b32 s76, exec_lo, s76
	s_cbranch_execz .LBB2_8358
; %bb.8355:                             ;   in Loop: Header=BB2_8074 Depth=3
	v_bfe_u32 v9, v17, 2, 5
	s_mov_b32 s77, exec_lo
	s_delay_alu instid0(VALU_DEP_1)
	v_cmpx_eq_u32_e32 0, v9
; %bb.8356:                             ;   in Loop: Header=BB2_8074 Depth=3
	v_clz_i32_u32_e32 v2, v2
	v_mov_b32_e32 v9, v3
	s_delay_alu instid0(VALU_DEP_2) | instskip(NEXT) | instid1(VALU_DEP_1)
	v_min_u32_e32 v2, 32, v2
	v_subrev_nc_u32_e32 v17, 29, v2
	s_delay_alu instid0(VALU_DEP_1) | instskip(NEXT) | instid1(VALU_DEP_1)
	v_lshlrev_b64_e32 v[8:9], v17, v[8:9]
	v_dual_sub_nc_u32 v9, 30, v2 :: v_dual_bitop2_b32 v2, 3, v8 bitop3:0x40
; %bb.8357:                             ;   in Loop: Header=BB2_8074 Depth=3
	s_or_b32 exec_lo, exec_lo, s77
	v_lshlrev_b32_e32 v8, 16, v10
	s_delay_alu instid0(VALU_DEP_1) | instskip(NEXT) | instid1(VALU_DEP_1)
	v_and_b32_e32 v8, 0x80000000, v8
	v_lshl_add_u32 v8, v9, 23, v8
	s_delay_alu instid0(VALU_DEP_1) | instskip(NEXT) | instid1(VALU_DEP_1)
	v_lshl_or_b32 v2, v2, 21, v8
	v_add_nc_u32_e32 v9, 0x38000000, v2
                                        ; implicit-def: $vgpr2
.LBB2_8358:                             ;   in Loop: Header=BB2_8074 Depth=3
	s_and_not1_saveexec_b32 s76, s76
; %bb.8359:                             ;   in Loop: Header=BB2_8074 Depth=3
	v_cmp_lt_i16_e32 vcc_lo, -1, v10
	v_cndmask_b32_e32 v8, 0xff800000, v111, vcc_lo
	v_cmp_eq_u32_e32 vcc_lo, 0, v2
	s_delay_alu instid0(VALU_DEP_2)
	v_cndmask_b32_e32 v9, 0x7f800001, v8, vcc_lo
; %bb.8360:                             ;   in Loop: Header=BB2_8074 Depth=3
	s_or_b32 exec_lo, exec_lo, s76
.LBB2_8361:                             ;   in Loop: Header=BB2_8074 Depth=3
	s_delay_alu instid0(SALU_CYCLE_1)
	s_or_b32 exec_lo, exec_lo, s75
.LBB2_8362:                             ;   in Loop: Header=BB2_8074 Depth=3
	s_delay_alu instid0(SALU_CYCLE_1) | instskip(NEXT) | instid1(VALU_DEP_1)
	s_or_b32 exec_lo, exec_lo, s14
	v_dual_mul_f32 v8, s74, v9 :: v_dual_mov_b32 v19, v3
                                        ; implicit-def: $vgpr74
	s_mov_b32 s14, exec_lo
	s_delay_alu instid0(VALU_DEP_1) | instskip(SKIP_2) | instid1(VALU_DEP_3)
	v_and_b32_e32 v18, 0x7f800000, v8
	v_and_b32_e32 v2, 0x7fffff, v8
	v_lshrrev_b32_e32 v9, 24, v8
	v_cmpx_ne_u64_e32 0x7f800000, v[18:19]
	s_xor_b32 s75, exec_lo, s14
	s_cbranch_execz .LBB2_8376
; %bb.8363:                             ;   in Loop: Header=BB2_8074 Depth=3
	v_and_b32_e32 v18, 0x7fffffff, v8
	v_mov_b32_e32 v19, v3
	v_and_b32_e32 v17, 0x80, v9
                                        ; implicit-def: $vgpr74
	s_mov_b32 s14, exec_lo
	s_delay_alu instid0(VALU_DEP_2)
	v_cmpx_gt_u64_e32 0x47600001, v[18:19]
	s_xor_b32 s76, exec_lo, s14
	s_cbranch_execz .LBB2_8373
; %bb.8364:                             ;   in Loop: Header=BB2_8074 Depth=3
	v_mov_b32_e32 v74, 0
	s_mov_b32 s77, exec_lo
	v_cmpx_ne_u32_e32 0, v8
	s_cbranch_execz .LBB2_8372
; %bb.8365:                             ;   in Loop: Header=BB2_8074 Depth=3
	v_bfe_u32 v46, v8, 23, 8
	v_or_b32_e32 v18, 0x800000, v2
	s_delay_alu instid0(VALU_DEP_2) | instskip(SKIP_1) | instid1(VALU_DEP_2)
	v_dual_mov_b32 v19, v3 :: v_dual_sub_nc_u32 v8, 0x71, v46
	v_cmp_gt_u32_e32 vcc_lo, 0x72, v46
	v_cndmask_b32_e32 v8, 0, v8, vcc_lo
	v_cmp_eq_u32_e32 vcc_lo, 0, v46
	s_delay_alu instid0(VALU_DEP_2) | instskip(NEXT) | instid1(VALU_DEP_1)
	v_cndmask_b32_e64 v47, v8, 0x70, vcc_lo
	v_dual_cndmask_b32 v18, v18, v2, vcc_lo :: v_dual_add_nc_u32 v8, 21, v47
	v_add_nc_u32_e32 v44, 20, v47
	s_delay_alu instid0(VALU_DEP_2) | instskip(NEXT) | instid1(VALU_DEP_2)
	v_lshlrev_b64_e64 v[8:9], v8, -1
	v_lshlrev_b64_e64 v[44:45], v44, 1
	s_delay_alu instid0(VALU_DEP_2) | instskip(NEXT) | instid1(VALU_DEP_3)
	v_bfi_b32 v75, v9, 0, 0
	v_bfi_b32 v74, v8, 0, v18
	v_lshrrev_b64 v[8:9], v47, v[18:19]
	s_delay_alu instid0(VALU_DEP_2) | instskip(NEXT) | instid1(VALU_DEP_2)
	v_cmp_eq_u64_e64 s14, v[74:75], v[44:45]
	v_mov_b64_e32 v[44:45], v[8:9]
	s_and_saveexec_b32 s78, s14
; %bb.8366:                             ;   in Loop: Header=BB2_8074 Depth=3
	v_bfe_u32 v18, v8, 21, 1
	v_mov_b32_e32 v19, v3
	s_delay_alu instid0(VALU_DEP_1) | instskip(NEXT) | instid1(VALU_DEP_1)
	v_add_nc_u64_e32 v[18:19], v[8:9], v[18:19]
	v_add_nc_u64_e32 v[44:45], -1, v[18:19]
; %bb.8367:                             ;   in Loop: Header=BB2_8074 Depth=3
	s_or_b32 exec_lo, exec_lo, s78
	v_add_nc_u32_e32 v2, 0xffffff81, v46
	v_lshrrev_b32_e32 v9, 23, v8
	s_mov_b32 s14, exec_lo
	s_delay_alu instid0(VALU_DEP_2) | instskip(NEXT) | instid1(VALU_DEP_1)
	v_cndmask_b32_e64 v2, v2, 0xffffff82, vcc_lo
	v_add3_u32 v45, v47, v2, v9
	v_and_b32_e32 v2, 0x1fffff, v44
                                        ; implicit-def: $vgpr44
	s_delay_alu instid0(VALU_DEP_1) | instskip(NEXT) | instid1(VALU_DEP_1)
	v_dual_add_nc_u32 v46, 14, v45 :: v_dual_add_nc_u32 v2, v2, v8
                                        ; implicit-def: $vgpr8_vgpr9
	v_cmpx_ne_u32_e32 0, v46
	s_xor_b32 s14, exec_lo, s14
; %bb.8368:                             ;   in Loop: Header=BB2_8074 Depth=3
	s_delay_alu instid0(VALU_DEP_2) | instskip(SKIP_1) | instid1(VALU_DEP_1)
	v_cmp_lt_u64_e32 vcc_lo, 0xffffff, v[2:3]
	v_add_nc_u32_e32 v8, 15, v45
	v_cndmask_b32_e32 v44, v46, v8, vcc_lo
	v_cndmask_b32_e64 v8, 0, 1, vcc_lo
	s_delay_alu instid0(VALU_DEP_1)
	v_lshrrev_b64 v[8:9], v8, v[2:3]
; %bb.8369:                             ;   in Loop: Header=BB2_8074 Depth=3
	s_and_not1_saveexec_b32 s14, s14
; %bb.8370:                             ;   in Loop: Header=BB2_8074 Depth=3
	v_mov_b64_e32 v[8:9], v[2:3]
	v_bfe_u32 v44, v2, 23, 1
; %bb.8371:                             ;   in Loop: Header=BB2_8074 Depth=3
	s_or_b32 exec_lo, exec_lo, s14
	s_delay_alu instid0(VALU_DEP_2) | instskip(NEXT) | instid1(VALU_DEP_2)
	v_lshrrev_b64 v[8:9], 21, v[8:9]
	v_cmp_gt_i32_e32 vcc_lo, 32, v44
	v_min_i32_e32 v2, 31, v44
	v_cmp_eq_u32_e64 s14, 0, v44
	s_delay_alu instid0(VALU_DEP_2) | instskip(SKIP_1) | instid1(VALU_DEP_2)
	v_dual_cndmask_b32 v9, 0, v9 :: v_dual_lshlrev_b32 v2, 2, v2
	v_cndmask_b32_e32 v8, 3, v8, vcc_lo
	v_and_b32_e32 v2, 0xfc, v2
	s_delay_alu instid0(VALU_DEP_2) | instskip(NEXT) | instid1(VALU_DEP_2)
	v_cmp_eq_u64_e32 vcc_lo, 0, v[8:9]
	v_and_or_b32 v2, v8, 3, v2
	s_and_b32 s14, s14, vcc_lo
	s_delay_alu instid0(VALU_DEP_1) | instid1(SALU_CYCLE_1)
	v_cndmask_b32_e64 v2, v2, 0, s14
	s_delay_alu instid0(VALU_DEP_1)
	v_or_b32_e32 v74, v2, v17
.LBB2_8372:                             ;   in Loop: Header=BB2_8074 Depth=3
	s_or_b32 exec_lo, exec_lo, s77
                                        ; implicit-def: $vgpr17
.LBB2_8373:                             ;   in Loop: Header=BB2_8074 Depth=3
	s_and_not1_saveexec_b32 s14, s76
; %bb.8374:                             ;   in Loop: Header=BB2_8074 Depth=3
	v_or_b32_e32 v74, 0x7b, v17
; %bb.8375:                             ;   in Loop: Header=BB2_8074 Depth=3
	s_or_b32 exec_lo, exec_lo, s14
                                        ; implicit-def: $vgpr8
                                        ; implicit-def: $vgpr9
.LBB2_8376:                             ;   in Loop: Header=BB2_8074 Depth=3
	s_and_not1_saveexec_b32 s14, s75
	s_cbranch_execz .LBB2_8382
; %bb.8377:                             ;   in Loop: Header=BB2_8074 Depth=3
	s_mov_b32 s75, exec_lo
                                        ; implicit-def: $vgpr74
	v_cmpx_ne_u64_e32 0, v[2:3]
	s_xor_b32 s75, exec_lo, s75
; %bb.8378:                             ;   in Loop: Header=BB2_8074 Depth=3
	v_or_b32_e32 v74, 0x7f, v9
                                        ; implicit-def: $vgpr8
; %bb.8379:                             ;   in Loop: Header=BB2_8074 Depth=3
	s_and_not1_saveexec_b32 s75, s75
; %bb.8380:                             ;   in Loop: Header=BB2_8074 Depth=3
	v_cmp_lt_i32_e32 vcc_lo, -1, v8
	v_cndmask_b32_e32 v74, 0xfc, v120, vcc_lo
; %bb.8381:                             ;   in Loop: Header=BB2_8074 Depth=3
	s_or_b32 exec_lo, exec_lo, s75
.LBB2_8382:                             ;   in Loop: Header=BB2_8074 Depth=3
	s_delay_alu instid0(SALU_CYCLE_1) | instskip(SKIP_2) | instid1(VALU_DEP_1)
	s_or_b32 exec_lo, exec_lo, s14
	v_dual_lshrrev_b32 v2, 16, v10 :: v_dual_mov_b32 v8, 0
	s_mov_b32 s14, exec_lo
	v_and_b32_e32 v9, 0xff, v2
	s_delay_alu instid0(VALU_DEP_1)
	v_cmpx_ne_u16_e32 0, v9
	s_cbranch_execz .LBB2_8392
; %bb.8383:                             ;   in Loop: Header=BB2_8074 Depth=3
	v_bfrev_b32_e32 v8, 1
	s_mov_b32 s75, exec_lo
	v_cmpx_ne_u16_e32 0x80, v9
	s_cbranch_execz .LBB2_8391
; %bb.8384:                             ;   in Loop: Header=BB2_8074 Depth=3
	v_and_b32_e32 v8, 0x7c0000, v10
	v_bfe_u32 v9, v10, 16, 2
	s_delay_alu instid0(VALU_DEP_2) | instskip(SKIP_1) | instid1(SALU_CYCLE_1)
	v_cmp_ne_u32_e32 vcc_lo, 0x7c0000, v8
                                        ; implicit-def: $vgpr8
	s_and_saveexec_b32 s76, vcc_lo
	s_xor_b32 s76, exec_lo, s76
	s_cbranch_execz .LBB2_8388
; %bb.8385:                             ;   in Loop: Header=BB2_8074 Depth=3
	v_bfe_u32 v8, v10, 18, 5
	s_mov_b32 s77, exec_lo
	s_delay_alu instid0(VALU_DEP_1)
	v_cmpx_eq_u32_e32 0, v8
; %bb.8386:                             ;   in Loop: Header=BB2_8074 Depth=3
	v_clz_i32_u32_e32 v8, v9
	s_delay_alu instid0(VALU_DEP_1) | instskip(NEXT) | instid1(VALU_DEP_1)
	v_min_u32_e32 v8, 32, v8
	v_subrev_nc_u32_e32 v9, 29, v8
	s_delay_alu instid0(VALU_DEP_1) | instskip(NEXT) | instid1(VALU_DEP_1)
	v_lshlrev_b64_e32 v[18:19], v9, v[2:3]
	v_dual_sub_nc_u32 v8, 30, v8 :: v_dual_bitop2_b32 v9, 3, v18 bitop3:0x40
; %bb.8387:                             ;   in Loop: Header=BB2_8074 Depth=3
	s_or_b32 exec_lo, exec_lo, s77
	v_lshlrev_b32_e32 v2, 24, v2
	s_delay_alu instid0(VALU_DEP_1) | instskip(NEXT) | instid1(VALU_DEP_1)
	v_and_b32_e32 v2, 0x80000000, v2
	v_lshl_add_u32 v2, v8, 23, v2
	s_delay_alu instid0(VALU_DEP_1) | instskip(NEXT) | instid1(VALU_DEP_1)
	v_lshl_or_b32 v2, v9, 21, v2
                                        ; implicit-def: $vgpr9
	v_add_nc_u32_e32 v8, 0x38000000, v2
                                        ; implicit-def: $vgpr2
.LBB2_8388:                             ;   in Loop: Header=BB2_8074 Depth=3
	s_and_not1_saveexec_b32 s76, s76
; %bb.8389:                             ;   in Loop: Header=BB2_8074 Depth=3
	v_bfe_i32 v2, v2, 0, 8
	s_delay_alu instid0(VALU_DEP_1) | instskip(SKIP_2) | instid1(VALU_DEP_2)
	v_cmp_lt_i16_e32 vcc_lo, -1, v2
	v_cndmask_b32_e32 v2, 0xff800000, v111, vcc_lo
	v_cmp_eq_u32_e32 vcc_lo, 0, v9
	v_cndmask_b32_e32 v8, 0x7f800001, v2, vcc_lo
; %bb.8390:                             ;   in Loop: Header=BB2_8074 Depth=3
	s_or_b32 exec_lo, exec_lo, s76
.LBB2_8391:                             ;   in Loop: Header=BB2_8074 Depth=3
	s_delay_alu instid0(SALU_CYCLE_1)
	s_or_b32 exec_lo, exec_lo, s75
.LBB2_8392:                             ;   in Loop: Header=BB2_8074 Depth=3
	s_delay_alu instid0(SALU_CYCLE_1) | instskip(NEXT) | instid1(VALU_DEP_1)
	s_or_b32 exec_lo, exec_lo, s14
	v_dual_mul_f32 v8, s74, v8 :: v_dual_mov_b32 v19, v3
                                        ; implicit-def: $vgpr77
	s_mov_b32 s14, exec_lo
	s_delay_alu instid0(VALU_DEP_1) | instskip(SKIP_2) | instid1(VALU_DEP_3)
	v_and_b32_e32 v18, 0x7f800000, v8
	v_and_b32_e32 v2, 0x7fffff, v8
	v_lshrrev_b32_e32 v9, 24, v8
	v_cmpx_ne_u64_e32 0x7f800000, v[18:19]
	s_xor_b32 s75, exec_lo, s14
	s_cbranch_execz .LBB2_8406
; %bb.8393:                             ;   in Loop: Header=BB2_8074 Depth=3
	v_and_b32_e32 v18, 0x7fffffff, v8
	v_mov_b32_e32 v19, v3
	v_and_b32_e32 v17, 0x80, v9
                                        ; implicit-def: $vgpr77
	s_mov_b32 s14, exec_lo
	s_delay_alu instid0(VALU_DEP_2)
	v_cmpx_gt_u64_e32 0x47600001, v[18:19]
	s_xor_b32 s76, exec_lo, s14
	s_cbranch_execz .LBB2_8403
; %bb.8394:                             ;   in Loop: Header=BB2_8074 Depth=3
	v_mov_b32_e32 v77, 0
	s_mov_b32 s77, exec_lo
	v_cmpx_ne_u32_e32 0, v8
	s_cbranch_execz .LBB2_8402
; %bb.8395:                             ;   in Loop: Header=BB2_8074 Depth=3
	v_bfe_u32 v46, v8, 23, 8
	v_or_b32_e32 v18, 0x800000, v2
	s_delay_alu instid0(VALU_DEP_2) | instskip(SKIP_1) | instid1(VALU_DEP_2)
	v_dual_mov_b32 v19, v3 :: v_dual_sub_nc_u32 v8, 0x71, v46
	v_cmp_gt_u32_e32 vcc_lo, 0x72, v46
	v_cndmask_b32_e32 v8, 0, v8, vcc_lo
	v_cmp_eq_u32_e32 vcc_lo, 0, v46
	s_delay_alu instid0(VALU_DEP_2) | instskip(NEXT) | instid1(VALU_DEP_1)
	v_cndmask_b32_e64 v47, v8, 0x70, vcc_lo
	v_dual_cndmask_b32 v18, v18, v2, vcc_lo :: v_dual_add_nc_u32 v8, 21, v47
	v_add_nc_u32_e32 v44, 20, v47
	s_delay_alu instid0(VALU_DEP_2) | instskip(NEXT) | instid1(VALU_DEP_2)
	v_lshlrev_b64_e64 v[8:9], v8, -1
	v_lshlrev_b64_e64 v[44:45], v44, 1
	s_delay_alu instid0(VALU_DEP_2) | instskip(NEXT) | instid1(VALU_DEP_3)
	v_bfi_b32 v77, v9, 0, 0
	v_bfi_b32 v76, v8, 0, v18
	v_lshrrev_b64 v[8:9], v47, v[18:19]
	s_delay_alu instid0(VALU_DEP_2) | instskip(NEXT) | instid1(VALU_DEP_2)
	v_cmp_eq_u64_e64 s14, v[76:77], v[44:45]
	v_mov_b64_e32 v[44:45], v[8:9]
	s_and_saveexec_b32 s78, s14
; %bb.8396:                             ;   in Loop: Header=BB2_8074 Depth=3
	v_bfe_u32 v18, v8, 21, 1
	v_mov_b32_e32 v19, v3
	s_delay_alu instid0(VALU_DEP_1) | instskip(NEXT) | instid1(VALU_DEP_1)
	v_add_nc_u64_e32 v[18:19], v[8:9], v[18:19]
	v_add_nc_u64_e32 v[44:45], -1, v[18:19]
; %bb.8397:                             ;   in Loop: Header=BB2_8074 Depth=3
	s_or_b32 exec_lo, exec_lo, s78
	v_add_nc_u32_e32 v2, 0xffffff81, v46
	v_lshrrev_b32_e32 v9, 23, v8
	s_mov_b32 s14, exec_lo
	s_delay_alu instid0(VALU_DEP_2) | instskip(NEXT) | instid1(VALU_DEP_1)
	v_cndmask_b32_e64 v2, v2, 0xffffff82, vcc_lo
	v_add3_u32 v45, v47, v2, v9
	v_and_b32_e32 v2, 0x1fffff, v44
                                        ; implicit-def: $vgpr44
	s_delay_alu instid0(VALU_DEP_1) | instskip(NEXT) | instid1(VALU_DEP_1)
	v_dual_add_nc_u32 v46, 14, v45 :: v_dual_add_nc_u32 v2, v2, v8
                                        ; implicit-def: $vgpr8_vgpr9
	v_cmpx_ne_u32_e32 0, v46
	s_xor_b32 s14, exec_lo, s14
; %bb.8398:                             ;   in Loop: Header=BB2_8074 Depth=3
	s_delay_alu instid0(VALU_DEP_2) | instskip(SKIP_1) | instid1(VALU_DEP_1)
	v_cmp_lt_u64_e32 vcc_lo, 0xffffff, v[2:3]
	v_add_nc_u32_e32 v8, 15, v45
	v_cndmask_b32_e32 v44, v46, v8, vcc_lo
	v_cndmask_b32_e64 v8, 0, 1, vcc_lo
	s_delay_alu instid0(VALU_DEP_1)
	v_lshrrev_b64 v[8:9], v8, v[2:3]
; %bb.8399:                             ;   in Loop: Header=BB2_8074 Depth=3
	s_and_not1_saveexec_b32 s14, s14
; %bb.8400:                             ;   in Loop: Header=BB2_8074 Depth=3
	v_mov_b64_e32 v[8:9], v[2:3]
	v_bfe_u32 v44, v2, 23, 1
; %bb.8401:                             ;   in Loop: Header=BB2_8074 Depth=3
	s_or_b32 exec_lo, exec_lo, s14
	s_delay_alu instid0(VALU_DEP_2) | instskip(NEXT) | instid1(VALU_DEP_2)
	v_lshrrev_b64 v[8:9], 21, v[8:9]
	v_cmp_gt_i32_e32 vcc_lo, 32, v44
	v_min_i32_e32 v2, 31, v44
	v_cmp_eq_u32_e64 s14, 0, v44
	s_delay_alu instid0(VALU_DEP_2) | instskip(SKIP_1) | instid1(VALU_DEP_2)
	v_dual_cndmask_b32 v9, 0, v9 :: v_dual_lshlrev_b32 v2, 2, v2
	v_cndmask_b32_e32 v8, 3, v8, vcc_lo
	v_and_b32_e32 v2, 0xfc, v2
	s_delay_alu instid0(VALU_DEP_2) | instskip(NEXT) | instid1(VALU_DEP_2)
	v_cmp_eq_u64_e32 vcc_lo, 0, v[8:9]
	v_and_or_b32 v2, v8, 3, v2
	s_and_b32 s14, s14, vcc_lo
	s_delay_alu instid0(VALU_DEP_1) | instid1(SALU_CYCLE_1)
	v_cndmask_b32_e64 v2, v2, 0, s14
	s_delay_alu instid0(VALU_DEP_1)
	v_or_b32_e32 v77, v2, v17
.LBB2_8402:                             ;   in Loop: Header=BB2_8074 Depth=3
	s_or_b32 exec_lo, exec_lo, s77
                                        ; implicit-def: $vgpr17
.LBB2_8403:                             ;   in Loop: Header=BB2_8074 Depth=3
	s_and_not1_saveexec_b32 s14, s76
; %bb.8404:                             ;   in Loop: Header=BB2_8074 Depth=3
	v_or_b32_e32 v77, 0x7b, v17
; %bb.8405:                             ;   in Loop: Header=BB2_8074 Depth=3
	s_or_b32 exec_lo, exec_lo, s14
                                        ; implicit-def: $vgpr8
                                        ; implicit-def: $vgpr9
.LBB2_8406:                             ;   in Loop: Header=BB2_8074 Depth=3
	s_and_not1_saveexec_b32 s14, s75
	s_cbranch_execz .LBB2_8412
; %bb.8407:                             ;   in Loop: Header=BB2_8074 Depth=3
	s_mov_b32 s75, exec_lo
                                        ; implicit-def: $vgpr77
	v_cmpx_ne_u64_e32 0, v[2:3]
	s_xor_b32 s75, exec_lo, s75
; %bb.8408:                             ;   in Loop: Header=BB2_8074 Depth=3
	v_or_b32_e32 v77, 0x7f, v9
                                        ; implicit-def: $vgpr8
; %bb.8409:                             ;   in Loop: Header=BB2_8074 Depth=3
	s_and_not1_saveexec_b32 s75, s75
; %bb.8410:                             ;   in Loop: Header=BB2_8074 Depth=3
	v_cmp_lt_i32_e32 vcc_lo, -1, v8
	v_cndmask_b32_e32 v77, 0xfc, v120, vcc_lo
; %bb.8411:                             ;   in Loop: Header=BB2_8074 Depth=3
	s_or_b32 exec_lo, exec_lo, s75
.LBB2_8412:                             ;   in Loop: Header=BB2_8074 Depth=3
	s_delay_alu instid0(SALU_CYCLE_1)
	s_or_b32 exec_lo, exec_lo, s14
	v_mov_b32_e32 v8, 0
	s_mov_b32 s14, exec_lo
	v_cmpx_lt_u32_e32 0xffffff, v10
	s_cbranch_execz .LBB2_8422
; %bb.8413:                             ;   in Loop: Header=BB2_8074 Depth=3
	v_lshrrev_b32_e32 v2, 24, v10
	v_bfrev_b32_e32 v8, 1
	s_mov_b32 s75, exec_lo
	s_delay_alu instid0(VALU_DEP_2)
	v_cmpx_ne_u32_e32 0x80, v2
	s_cbranch_execz .LBB2_8421
; %bb.8414:                             ;   in Loop: Header=BB2_8074 Depth=3
	v_and_b32_e32 v8, 0x7c000000, v10
	v_bfe_u32 v9, v10, 24, 2
	s_delay_alu instid0(VALU_DEP_2) | instskip(SKIP_1) | instid1(SALU_CYCLE_1)
	v_cmp_ne_u32_e32 vcc_lo, 0x7c000000, v8
                                        ; implicit-def: $vgpr8
	s_and_saveexec_b32 s76, vcc_lo
	s_xor_b32 s76, exec_lo, s76
	s_cbranch_execz .LBB2_8418
; %bb.8415:                             ;   in Loop: Header=BB2_8074 Depth=3
	v_bfe_u32 v8, v10, 26, 5
	s_mov_b32 s77, exec_lo
	s_delay_alu instid0(VALU_DEP_1)
	v_cmpx_eq_u32_e32 0, v8
; %bb.8416:                             ;   in Loop: Header=BB2_8074 Depth=3
	v_clz_i32_u32_e32 v8, v9
	s_delay_alu instid0(VALU_DEP_1) | instskip(NEXT) | instid1(VALU_DEP_1)
	v_min_u32_e32 v8, 32, v8
	v_subrev_nc_u32_e32 v9, 29, v8
	s_delay_alu instid0(VALU_DEP_1) | instskip(NEXT) | instid1(VALU_DEP_1)
	v_lshlrev_b64_e32 v[18:19], v9, v[2:3]
	v_dual_sub_nc_u32 v8, 30, v8 :: v_dual_bitop2_b32 v9, 3, v18 bitop3:0x40
; %bb.8417:                             ;   in Loop: Header=BB2_8074 Depth=3
	s_or_b32 exec_lo, exec_lo, s77
	v_and_b32_e32 v2, 0x80000000, v10
	s_delay_alu instid0(VALU_DEP_1) | instskip(NEXT) | instid1(VALU_DEP_1)
	v_lshl_add_u32 v2, v8, 23, v2
	v_lshl_or_b32 v2, v9, 21, v2
                                        ; implicit-def: $vgpr9
	s_delay_alu instid0(VALU_DEP_1)
	v_add_nc_u32_e32 v8, 0x38000000, v2
.LBB2_8418:                             ;   in Loop: Header=BB2_8074 Depth=3
	s_and_not1_saveexec_b32 s76, s76
; %bb.8419:                             ;   in Loop: Header=BB2_8074 Depth=3
	v_cmp_lt_i32_e32 vcc_lo, -1, v10
	v_cndmask_b32_e32 v2, 0xff800000, v111, vcc_lo
	v_cmp_eq_u32_e32 vcc_lo, 0, v9
	s_delay_alu instid0(VALU_DEP_2)
	v_cndmask_b32_e32 v8, 0x7f800001, v2, vcc_lo
; %bb.8420:                             ;   in Loop: Header=BB2_8074 Depth=3
	s_or_b32 exec_lo, exec_lo, s76
.LBB2_8421:                             ;   in Loop: Header=BB2_8074 Depth=3
	s_delay_alu instid0(SALU_CYCLE_1)
	s_or_b32 exec_lo, exec_lo, s75
.LBB2_8422:                             ;   in Loop: Header=BB2_8074 Depth=3
	s_delay_alu instid0(SALU_CYCLE_1) | instskip(NEXT) | instid1(VALU_DEP_1)
	s_or_b32 exec_lo, exec_lo, s14
	v_dual_mul_f32 v8, s74, v8 :: v_dual_mov_b32 v19, v3
                                        ; implicit-def: $vgpr78
	s_mov_b32 s14, exec_lo
	s_delay_alu instid0(VALU_DEP_1) | instskip(SKIP_2) | instid1(VALU_DEP_3)
	v_and_b32_e32 v18, 0x7f800000, v8
	v_and_b32_e32 v2, 0x7fffff, v8
	v_lshrrev_b32_e32 v9, 24, v8
	v_cmpx_ne_u64_e32 0x7f800000, v[18:19]
	s_xor_b32 s75, exec_lo, s14
	s_cbranch_execz .LBB2_8436
; %bb.8423:                             ;   in Loop: Header=BB2_8074 Depth=3
	v_and_b32_e32 v18, 0x7fffffff, v8
	v_mov_b32_e32 v19, v3
	v_and_b32_e32 v17, 0x80, v9
                                        ; implicit-def: $vgpr78
	s_mov_b32 s14, exec_lo
	s_delay_alu instid0(VALU_DEP_2)
	v_cmpx_gt_u64_e32 0x47600001, v[18:19]
	s_xor_b32 s76, exec_lo, s14
	s_cbranch_execz .LBB2_8433
; %bb.8424:                             ;   in Loop: Header=BB2_8074 Depth=3
	v_mov_b32_e32 v78, 0
	s_mov_b32 s77, exec_lo
	v_cmpx_ne_u32_e32 0, v8
	s_cbranch_execz .LBB2_8432
; %bb.8425:                             ;   in Loop: Header=BB2_8074 Depth=3
	v_bfe_u32 v46, v8, 23, 8
	v_or_b32_e32 v18, 0x800000, v2
	s_delay_alu instid0(VALU_DEP_2) | instskip(SKIP_1) | instid1(VALU_DEP_2)
	v_dual_mov_b32 v19, v3 :: v_dual_sub_nc_u32 v8, 0x71, v46
	v_cmp_gt_u32_e32 vcc_lo, 0x72, v46
	v_cndmask_b32_e32 v8, 0, v8, vcc_lo
	v_cmp_eq_u32_e32 vcc_lo, 0, v46
	s_delay_alu instid0(VALU_DEP_2) | instskip(NEXT) | instid1(VALU_DEP_1)
	v_cndmask_b32_e64 v47, v8, 0x70, vcc_lo
	v_dual_cndmask_b32 v18, v18, v2, vcc_lo :: v_dual_add_nc_u32 v8, 21, v47
	v_add_nc_u32_e32 v44, 20, v47
	s_delay_alu instid0(VALU_DEP_2) | instskip(NEXT) | instid1(VALU_DEP_2)
	v_lshlrev_b64_e64 v[8:9], v8, -1
	v_lshlrev_b64_e64 v[44:45], v44, 1
	s_delay_alu instid0(VALU_DEP_2) | instskip(NEXT) | instid1(VALU_DEP_3)
	v_bfi_b32 v91, v9, 0, 0
	v_bfi_b32 v90, v8, 0, v18
	v_lshrrev_b64 v[8:9], v47, v[18:19]
	s_delay_alu instid0(VALU_DEP_2) | instskip(NEXT) | instid1(VALU_DEP_2)
	v_cmp_eq_u64_e64 s14, v[90:91], v[44:45]
	v_mov_b64_e32 v[44:45], v[8:9]
	s_and_saveexec_b32 s78, s14
; %bb.8426:                             ;   in Loop: Header=BB2_8074 Depth=3
	v_bfe_u32 v18, v8, 21, 1
	v_mov_b32_e32 v19, v3
	s_delay_alu instid0(VALU_DEP_1) | instskip(NEXT) | instid1(VALU_DEP_1)
	v_add_nc_u64_e32 v[18:19], v[8:9], v[18:19]
	v_add_nc_u64_e32 v[44:45], -1, v[18:19]
; %bb.8427:                             ;   in Loop: Header=BB2_8074 Depth=3
	s_or_b32 exec_lo, exec_lo, s78
	v_add_nc_u32_e32 v2, 0xffffff81, v46
	v_lshrrev_b32_e32 v9, 23, v8
	s_mov_b32 s14, exec_lo
	s_delay_alu instid0(VALU_DEP_2) | instskip(NEXT) | instid1(VALU_DEP_1)
	v_cndmask_b32_e64 v2, v2, 0xffffff82, vcc_lo
	v_add3_u32 v45, v47, v2, v9
	v_and_b32_e32 v2, 0x1fffff, v44
                                        ; implicit-def: $vgpr44
	s_delay_alu instid0(VALU_DEP_1) | instskip(NEXT) | instid1(VALU_DEP_1)
	v_dual_add_nc_u32 v46, 14, v45 :: v_dual_add_nc_u32 v2, v2, v8
                                        ; implicit-def: $vgpr8_vgpr9
	v_cmpx_ne_u32_e32 0, v46
	s_xor_b32 s14, exec_lo, s14
; %bb.8428:                             ;   in Loop: Header=BB2_8074 Depth=3
	s_delay_alu instid0(VALU_DEP_2) | instskip(SKIP_1) | instid1(VALU_DEP_1)
	v_cmp_lt_u64_e32 vcc_lo, 0xffffff, v[2:3]
	v_add_nc_u32_e32 v8, 15, v45
	v_cndmask_b32_e32 v44, v46, v8, vcc_lo
	v_cndmask_b32_e64 v8, 0, 1, vcc_lo
	s_delay_alu instid0(VALU_DEP_1)
	v_lshrrev_b64 v[8:9], v8, v[2:3]
; %bb.8429:                             ;   in Loop: Header=BB2_8074 Depth=3
	s_and_not1_saveexec_b32 s14, s14
; %bb.8430:                             ;   in Loop: Header=BB2_8074 Depth=3
	v_mov_b64_e32 v[8:9], v[2:3]
	v_bfe_u32 v44, v2, 23, 1
; %bb.8431:                             ;   in Loop: Header=BB2_8074 Depth=3
	s_or_b32 exec_lo, exec_lo, s14
	s_delay_alu instid0(VALU_DEP_2) | instskip(NEXT) | instid1(VALU_DEP_2)
	v_lshrrev_b64 v[8:9], 21, v[8:9]
	v_cmp_gt_i32_e32 vcc_lo, 32, v44
	v_min_i32_e32 v2, 31, v44
	v_cmp_eq_u32_e64 s14, 0, v44
	s_delay_alu instid0(VALU_DEP_2) | instskip(SKIP_1) | instid1(VALU_DEP_2)
	v_dual_cndmask_b32 v9, 0, v9 :: v_dual_lshlrev_b32 v2, 2, v2
	v_cndmask_b32_e32 v8, 3, v8, vcc_lo
	v_and_b32_e32 v2, 0xfc, v2
	s_delay_alu instid0(VALU_DEP_2) | instskip(NEXT) | instid1(VALU_DEP_2)
	v_cmp_eq_u64_e32 vcc_lo, 0, v[8:9]
	v_and_or_b32 v2, v8, 3, v2
	s_and_b32 s14, s14, vcc_lo
	s_delay_alu instid0(VALU_DEP_1) | instid1(SALU_CYCLE_1)
	v_cndmask_b32_e64 v2, v2, 0, s14
	s_delay_alu instid0(VALU_DEP_1)
	v_or_b32_e32 v78, v2, v17
.LBB2_8432:                             ;   in Loop: Header=BB2_8074 Depth=3
	s_or_b32 exec_lo, exec_lo, s77
                                        ; implicit-def: $vgpr17
.LBB2_8433:                             ;   in Loop: Header=BB2_8074 Depth=3
	s_and_not1_saveexec_b32 s14, s76
; %bb.8434:                             ;   in Loop: Header=BB2_8074 Depth=3
	v_or_b32_e32 v78, 0x7b, v17
; %bb.8435:                             ;   in Loop: Header=BB2_8074 Depth=3
	s_or_b32 exec_lo, exec_lo, s14
                                        ; implicit-def: $vgpr8
                                        ; implicit-def: $vgpr9
.LBB2_8436:                             ;   in Loop: Header=BB2_8074 Depth=3
	s_and_not1_saveexec_b32 s14, s75
	s_cbranch_execz .LBB2_8442
; %bb.8437:                             ;   in Loop: Header=BB2_8074 Depth=3
	s_mov_b32 s75, exec_lo
                                        ; implicit-def: $vgpr78
	v_cmpx_ne_u64_e32 0, v[2:3]
	s_xor_b32 s75, exec_lo, s75
; %bb.8438:                             ;   in Loop: Header=BB2_8074 Depth=3
	v_or_b32_e32 v78, 0x7f, v9
                                        ; implicit-def: $vgpr8
; %bb.8439:                             ;   in Loop: Header=BB2_8074 Depth=3
	s_and_not1_saveexec_b32 s75, s75
; %bb.8440:                             ;   in Loop: Header=BB2_8074 Depth=3
	v_cmp_lt_i32_e32 vcc_lo, -1, v8
	v_cndmask_b32_e32 v78, 0xfc, v120, vcc_lo
; %bb.8441:                             ;   in Loop: Header=BB2_8074 Depth=3
	s_or_b32 exec_lo, exec_lo, s75
.LBB2_8442:                             ;   in Loop: Header=BB2_8074 Depth=3
	s_delay_alu instid0(SALU_CYCLE_1) | instskip(SKIP_3) | instid1(VALU_DEP_2)
	s_or_b32 exec_lo, exec_lo, s14
	v_and_b32_e32 v9, 0xff, v11
	v_dual_mov_b32 v2, v11 :: v_dual_mov_b32 v8, 0
	s_mov_b32 s14, exec_lo
	v_cmpx_ne_u16_e32 0, v9
	s_cbranch_execz .LBB2_8452
; %bb.8443:                             ;   in Loop: Header=BB2_8074 Depth=3
	v_bfrev_b32_e32 v8, 1
	s_mov_b32 s75, exec_lo
	v_cmpx_ne_u16_e32 0x80, v9
	s_cbranch_execz .LBB2_8451
; %bb.8444:                             ;   in Loop: Header=BB2_8074 Depth=3
	v_and_b32_e32 v8, 0x7c, v11
	v_and_b32_e32 v9, 3, v11
	s_delay_alu instid0(VALU_DEP_2) | instskip(SKIP_1) | instid1(SALU_CYCLE_1)
	v_cmp_ne_u32_e32 vcc_lo, 0x7c, v8
                                        ; implicit-def: $vgpr8
	s_and_saveexec_b32 s76, vcc_lo
	s_xor_b32 s76, exec_lo, s76
	s_cbranch_execz .LBB2_8448
; %bb.8445:                             ;   in Loop: Header=BB2_8074 Depth=3
	v_bfe_u32 v8, v11, 2, 5
	s_mov_b32 s77, exec_lo
	s_delay_alu instid0(VALU_DEP_1)
	v_cmpx_eq_u32_e32 0, v8
; %bb.8446:                             ;   in Loop: Header=BB2_8074 Depth=3
	v_clz_i32_u32_e32 v8, v9
	s_delay_alu instid0(VALU_DEP_1) | instskip(NEXT) | instid1(VALU_DEP_1)
	v_min_u32_e32 v8, 32, v8
	v_subrev_nc_u32_e32 v9, 29, v8
	s_delay_alu instid0(VALU_DEP_1) | instskip(NEXT) | instid1(VALU_DEP_1)
	v_lshlrev_b64_e32 v[18:19], v9, v[2:3]
	v_dual_sub_nc_u32 v8, 30, v8 :: v_dual_bitop2_b32 v9, 3, v18 bitop3:0x40
; %bb.8447:                             ;   in Loop: Header=BB2_8074 Depth=3
	s_or_b32 exec_lo, exec_lo, s77
	v_lshlrev_b32_e32 v17, 24, v11
	s_delay_alu instid0(VALU_DEP_1) | instskip(NEXT) | instid1(VALU_DEP_1)
	v_and_b32_e32 v17, 0x80000000, v17
	v_lshl_add_u32 v8, v8, 23, v17
	s_delay_alu instid0(VALU_DEP_1) | instskip(NEXT) | instid1(VALU_DEP_1)
	v_lshl_or_b32 v8, v9, 21, v8
                                        ; implicit-def: $vgpr9
	v_add_nc_u32_e32 v8, 0x38000000, v8
.LBB2_8448:                             ;   in Loop: Header=BB2_8074 Depth=3
	s_and_not1_saveexec_b32 s76, s76
; %bb.8449:                             ;   in Loop: Header=BB2_8074 Depth=3
	v_bfe_i32 v8, v11, 0, 8
	s_delay_alu instid0(VALU_DEP_1) | instskip(SKIP_2) | instid1(VALU_DEP_2)
	v_cmp_lt_i16_e32 vcc_lo, -1, v8
	v_cndmask_b32_e32 v8, 0xff800000, v111, vcc_lo
	v_cmp_eq_u32_e32 vcc_lo, 0, v9
	v_cndmask_b32_e32 v8, 0x7f800001, v8, vcc_lo
; %bb.8450:                             ;   in Loop: Header=BB2_8074 Depth=3
	s_or_b32 exec_lo, exec_lo, s76
.LBB2_8451:                             ;   in Loop: Header=BB2_8074 Depth=3
	s_delay_alu instid0(SALU_CYCLE_1)
	s_or_b32 exec_lo, exec_lo, s75
.LBB2_8452:                             ;   in Loop: Header=BB2_8074 Depth=3
	s_delay_alu instid0(SALU_CYCLE_1) | instskip(NEXT) | instid1(VALU_DEP_1)
	s_or_b32 exec_lo, exec_lo, s14
	v_dual_mul_f32 v44, s74, v8 :: v_dual_mov_b32 v19, v3
	v_mov_b32_e32 v9, v3
                                        ; implicit-def: $vgpr17
	s_mov_b32 s14, exec_lo
	s_delay_alu instid0(VALU_DEP_2) | instskip(SKIP_2) | instid1(VALU_DEP_3)
	v_and_b32_e32 v18, 0x7f800000, v44
	v_and_b32_e32 v8, 0x7fffff, v44
	v_lshrrev_b32_e32 v45, 24, v44
	v_cmpx_ne_u64_e32 0x7f800000, v[18:19]
	s_xor_b32 s75, exec_lo, s14
	s_cbranch_execz .LBB2_8466
; %bb.8453:                             ;   in Loop: Header=BB2_8074 Depth=3
	v_and_b32_e32 v18, 0x7fffffff, v44
	v_mov_b32_e32 v19, v3
	v_and_b32_e32 v46, 0x80, v45
                                        ; implicit-def: $vgpr17
	s_mov_b32 s14, exec_lo
	s_delay_alu instid0(VALU_DEP_2)
	v_cmpx_gt_u64_e32 0x47600001, v[18:19]
	s_xor_b32 s76, exec_lo, s14
	s_cbranch_execz .LBB2_8463
; %bb.8454:                             ;   in Loop: Header=BB2_8074 Depth=3
	v_mov_b32_e32 v17, 0
	s_mov_b32 s77, exec_lo
	v_cmpx_ne_u32_e32 0, v44
	s_cbranch_execz .LBB2_8462
; %bb.8455:                             ;   in Loop: Header=BB2_8074 Depth=3
	v_bfe_u32 v17, v44, 23, 8
	v_or_b32_e32 v44, 0x800000, v8
	s_delay_alu instid0(VALU_DEP_2) | instskip(SKIP_1) | instid1(VALU_DEP_2)
	v_sub_nc_u32_e32 v18, 0x71, v17
	v_cmp_gt_u32_e32 vcc_lo, 0x72, v17
	v_cndmask_b32_e32 v18, 0, v18, vcc_lo
	v_cmp_eq_u32_e32 vcc_lo, 0, v17
	s_delay_alu instid0(VALU_DEP_2) | instskip(NEXT) | instid1(VALU_DEP_1)
	v_cndmask_b32_e64 v47, v18, 0x70, vcc_lo
	v_dual_cndmask_b32 v8, v44, v8, vcc_lo :: v_dual_add_nc_u32 v18, 21, v47
	v_add_nc_u32_e32 v45, 20, v47
	s_delay_alu instid0(VALU_DEP_2) | instskip(NEXT) | instid1(VALU_DEP_2)
	v_lshlrev_b64_e64 v[18:19], v18, -1
	v_lshlrev_b64_e64 v[44:45], v45, 1
	s_delay_alu instid0(VALU_DEP_2) | instskip(SKIP_1) | instid1(VALU_DEP_4)
	v_bfi_b32 v18, v18, 0, v8
	v_lshrrev_b64 v[8:9], v47, v[8:9]
	v_bfi_b32 v19, v19, 0, 0
	s_delay_alu instid0(VALU_DEP_1) | instskip(NEXT) | instid1(VALU_DEP_3)
	v_cmp_eq_u64_e64 s14, v[18:19], v[44:45]
	v_mov_b64_e32 v[44:45], v[8:9]
	s_and_saveexec_b32 s78, s14
; %bb.8456:                             ;   in Loop: Header=BB2_8074 Depth=3
	v_bfe_u32 v18, v8, 21, 1
	v_mov_b32_e32 v19, v3
	s_delay_alu instid0(VALU_DEP_1) | instskip(NEXT) | instid1(VALU_DEP_1)
	v_add_nc_u64_e32 v[18:19], v[8:9], v[18:19]
	v_add_nc_u64_e32 v[44:45], -1, v[18:19]
; %bb.8457:                             ;   in Loop: Header=BB2_8074 Depth=3
	s_or_b32 exec_lo, exec_lo, s78
	v_add_nc_u32_e32 v9, 0xffffff81, v17
	v_lshrrev_b32_e32 v17, 23, v8
	s_mov_b32 s14, exec_lo
	s_delay_alu instid0(VALU_DEP_2) | instskip(NEXT) | instid1(VALU_DEP_1)
	v_cndmask_b32_e64 v9, v9, 0xffffff82, vcc_lo
	v_add3_u32 v45, v47, v9, v17
	v_and_b32_e32 v9, 0x1fffff, v44
                                        ; implicit-def: $vgpr17
	s_delay_alu instid0(VALU_DEP_1) | instskip(SKIP_1) | instid1(VALU_DEP_2)
	v_dual_add_nc_u32 v44, 14, v45 :: v_dual_add_nc_u32 v8, v9, v8
	v_mov_b32_e32 v9, v3
	v_cmpx_ne_u32_e32 0, v44
	s_xor_b32 s14, exec_lo, s14
; %bb.8458:                             ;   in Loop: Header=BB2_8074 Depth=3
	s_delay_alu instid0(VALU_DEP_2) | instskip(SKIP_2) | instid1(VALU_DEP_2)
	v_cmp_lt_u64_e32 vcc_lo, 0xffffff, v[8:9]
	v_add_nc_u32_e32 v17, 15, v45
	v_cndmask_b32_e64 v18, 0, 1, vcc_lo
	v_cndmask_b32_e32 v17, v44, v17, vcc_lo
	s_delay_alu instid0(VALU_DEP_2)
	v_lshrrev_b64 v[8:9], v18, v[8:9]
; %bb.8459:                             ;   in Loop: Header=BB2_8074 Depth=3
	s_and_not1_saveexec_b32 s14, s14
; %bb.8460:                             ;   in Loop: Header=BB2_8074 Depth=3
	s_delay_alu instid0(VALU_DEP_1)
	v_bfe_u32 v17, v8, 23, 1
; %bb.8461:                             ;   in Loop: Header=BB2_8074 Depth=3
	s_or_b32 exec_lo, exec_lo, s14
	s_delay_alu instid0(VALU_DEP_2) | instskip(NEXT) | instid1(VALU_DEP_2)
	v_lshrrev_b64 v[8:9], 21, v[8:9]
	v_cmp_gt_i32_e32 vcc_lo, 32, v17
	v_min_i32_e32 v18, 31, v17
	v_cmp_eq_u32_e64 s14, 0, v17
	s_delay_alu instid0(VALU_DEP_2) | instskip(SKIP_1) | instid1(VALU_DEP_2)
	v_dual_cndmask_b32 v8, 3, v8, vcc_lo :: v_dual_lshlrev_b32 v18, 2, v18
	v_cndmask_b32_e32 v9, 0, v9, vcc_lo
	v_and_b32_e32 v18, 0xfc, v18
	s_delay_alu instid0(VALU_DEP_2) | instskip(NEXT) | instid1(VALU_DEP_2)
	v_cmp_eq_u64_e32 vcc_lo, 0, v[8:9]
	v_and_or_b32 v8, v8, 3, v18
	s_and_b32 s14, s14, vcc_lo
	s_delay_alu instid0(VALU_DEP_1) | instid1(SALU_CYCLE_1)
	v_cndmask_b32_e64 v8, v8, 0, s14
	s_delay_alu instid0(VALU_DEP_1)
	v_or_b32_e32 v17, v8, v46
.LBB2_8462:                             ;   in Loop: Header=BB2_8074 Depth=3
	s_or_b32 exec_lo, exec_lo, s77
                                        ; implicit-def: $vgpr46
.LBB2_8463:                             ;   in Loop: Header=BB2_8074 Depth=3
	s_and_not1_saveexec_b32 s14, s76
; %bb.8464:                             ;   in Loop: Header=BB2_8074 Depth=3
	v_or_b32_e32 v17, 0x7b, v46
; %bb.8465:                             ;   in Loop: Header=BB2_8074 Depth=3
	s_or_b32 exec_lo, exec_lo, s14
                                        ; implicit-def: $vgpr44
                                        ; implicit-def: $vgpr8_vgpr9
                                        ; implicit-def: $vgpr45
.LBB2_8466:                             ;   in Loop: Header=BB2_8074 Depth=3
	s_and_not1_saveexec_b32 s14, s75
	s_cbranch_execz .LBB2_8472
; %bb.8467:                             ;   in Loop: Header=BB2_8074 Depth=3
	s_mov_b32 s75, exec_lo
                                        ; implicit-def: $vgpr17
	v_cmpx_ne_u64_e32 0, v[8:9]
	s_xor_b32 s75, exec_lo, s75
; %bb.8468:                             ;   in Loop: Header=BB2_8074 Depth=3
	v_or_b32_e32 v17, 0x7f, v45
                                        ; implicit-def: $vgpr44
; %bb.8469:                             ;   in Loop: Header=BB2_8074 Depth=3
	s_and_not1_saveexec_b32 s75, s75
; %bb.8470:                             ;   in Loop: Header=BB2_8074 Depth=3
	v_cmp_lt_i32_e32 vcc_lo, -1, v44
	v_cndmask_b32_e32 v17, 0xfc, v120, vcc_lo
; %bb.8471:                             ;   in Loop: Header=BB2_8074 Depth=3
	s_or_b32 exec_lo, exec_lo, s75
.LBB2_8472:                             ;   in Loop: Header=BB2_8074 Depth=3
	s_delay_alu instid0(SALU_CYCLE_1) | instskip(SKIP_3) | instid1(VALU_DEP_2)
	s_or_b32 exec_lo, exec_lo, s14
	v_lshrrev_b16 v8, 8, v2
	v_mov_b32_e32 v44, 0
	s_mov_b32 s14, exec_lo
	v_cmpx_ne_u16_e32 0, v8
	s_cbranch_execz .LBB2_8482
; %bb.8473:                             ;   in Loop: Header=BB2_8074 Depth=3
	v_bfrev_b32_e32 v44, 1
	s_mov_b32 s75, exec_lo
	v_cmpx_ne_u16_e32 0x80, v8
	s_cbranch_execz .LBB2_8481
; %bb.8474:                             ;   in Loop: Header=BB2_8074 Depth=3
	v_and_b32_e32 v45, 0xffff, v8
	s_mov_b32 s76, exec_lo
                                        ; implicit-def: $vgpr44
	s_delay_alu instid0(VALU_DEP_1) | instskip(SKIP_1) | instid1(VALU_DEP_2)
	v_and_b32_e32 v18, 0x7c, v45
	v_and_b32_e32 v9, 3, v45
	v_cmpx_ne_u32_e32 0x7c, v18
	s_xor_b32 s76, exec_lo, s76
	s_cbranch_execz .LBB2_8478
; %bb.8475:                             ;   in Loop: Header=BB2_8074 Depth=3
	v_bfe_u32 v44, v45, 2, 5
	s_mov_b32 s77, exec_lo
	s_delay_alu instid0(VALU_DEP_1)
	v_cmpx_eq_u32_e32 0, v44
; %bb.8476:                             ;   in Loop: Header=BB2_8074 Depth=3
	v_clz_i32_u32_e32 v9, v9
	s_delay_alu instid0(VALU_DEP_1) | instskip(NEXT) | instid1(VALU_DEP_1)
	v_min_u32_e32 v18, 32, v9
	v_dual_mov_b32 v9, v3 :: v_dual_sub_nc_u32 v44, 30, v18
	v_subrev_nc_u32_e32 v19, 29, v18
	s_delay_alu instid0(VALU_DEP_1) | instskip(NEXT) | instid1(VALU_DEP_1)
	v_lshlrev_b64_e32 v[8:9], v19, v[8:9]
	v_and_b32_e32 v9, 3, v8
; %bb.8477:                             ;   in Loop: Header=BB2_8074 Depth=3
	s_or_b32 exec_lo, exec_lo, s77
	v_lshlrev_b32_e32 v2, 16, v2
	s_delay_alu instid0(VALU_DEP_1) | instskip(NEXT) | instid1(VALU_DEP_1)
	v_and_b32_e32 v2, 0x80000000, v2
	v_lshl_add_u32 v2, v44, 23, v2
	s_delay_alu instid0(VALU_DEP_1) | instskip(NEXT) | instid1(VALU_DEP_1)
	v_lshl_or_b32 v2, v9, 21, v2
                                        ; implicit-def: $vgpr9
	v_add_nc_u32_e32 v44, 0x38000000, v2
.LBB2_8478:                             ;   in Loop: Header=BB2_8074 Depth=3
	s_and_not1_saveexec_b32 s76, s76
; %bb.8479:                             ;   in Loop: Header=BB2_8074 Depth=3
	v_cmp_lt_i16_e32 vcc_lo, -1, v2
	v_cndmask_b32_e32 v2, 0xff800000, v111, vcc_lo
	v_cmp_eq_u32_e32 vcc_lo, 0, v9
	s_delay_alu instid0(VALU_DEP_2)
	v_cndmask_b32_e32 v44, 0x7f800001, v2, vcc_lo
; %bb.8480:                             ;   in Loop: Header=BB2_8074 Depth=3
	s_or_b32 exec_lo, exec_lo, s76
.LBB2_8481:                             ;   in Loop: Header=BB2_8074 Depth=3
	s_delay_alu instid0(SALU_CYCLE_1)
	s_or_b32 exec_lo, exec_lo, s75
.LBB2_8482:                             ;   in Loop: Header=BB2_8074 Depth=3
	s_delay_alu instid0(SALU_CYCLE_1) | instskip(NEXT) | instid1(VALU_DEP_1)
	s_or_b32 exec_lo, exec_lo, s14
	v_dual_mul_f32 v8, s74, v44 :: v_dual_mov_b32 v19, v3
                                        ; implicit-def: $vgpr63
	s_mov_b32 s14, exec_lo
	s_delay_alu instid0(VALU_DEP_1) | instskip(SKIP_2) | instid1(VALU_DEP_3)
	v_and_b32_e32 v18, 0x7f800000, v8
	v_and_b32_e32 v2, 0x7fffff, v8
	v_lshrrev_b32_e32 v9, 24, v8
	v_cmpx_ne_u64_e32 0x7f800000, v[18:19]
	s_xor_b32 s75, exec_lo, s14
	s_cbranch_execz .LBB2_8496
; %bb.8483:                             ;   in Loop: Header=BB2_8074 Depth=3
	v_and_b32_e32 v18, 0x7fffffff, v8
	v_mov_b32_e32 v19, v3
	v_and_b32_e32 v46, 0x80, v9
                                        ; implicit-def: $vgpr63
	s_mov_b32 s14, exec_lo
	s_delay_alu instid0(VALU_DEP_2)
	v_cmpx_gt_u64_e32 0x47600001, v[18:19]
	s_xor_b32 s76, exec_lo, s14
	s_cbranch_execz .LBB2_8493
; %bb.8484:                             ;   in Loop: Header=BB2_8074 Depth=3
	v_mov_b32_e32 v63, 0
	s_mov_b32 s77, exec_lo
	v_cmpx_ne_u32_e32 0, v8
	s_cbranch_execz .LBB2_8492
; %bb.8485:                             ;   in Loop: Header=BB2_8074 Depth=3
	v_bfe_u32 v47, v8, 23, 8
	v_or_b32_e32 v18, 0x800000, v2
	s_delay_alu instid0(VALU_DEP_2) | instskip(SKIP_1) | instid1(VALU_DEP_2)
	v_dual_mov_b32 v19, v3 :: v_dual_sub_nc_u32 v8, 0x71, v47
	v_cmp_gt_u32_e32 vcc_lo, 0x72, v47
	v_cndmask_b32_e32 v8, 0, v8, vcc_lo
	v_cmp_eq_u32_e32 vcc_lo, 0, v47
	s_delay_alu instid0(VALU_DEP_2) | instskip(NEXT) | instid1(VALU_DEP_1)
	v_cndmask_b32_e64 v63, v8, 0x70, vcc_lo
	v_dual_cndmask_b32 v18, v18, v2, vcc_lo :: v_dual_add_nc_u32 v8, 21, v63
	v_add_nc_u32_e32 v44, 20, v63
	s_delay_alu instid0(VALU_DEP_2) | instskip(NEXT) | instid1(VALU_DEP_2)
	v_lshlrev_b64_e64 v[8:9], v8, -1
	v_lshlrev_b64_e64 v[44:45], v44, 1
	s_delay_alu instid0(VALU_DEP_2) | instskip(NEXT) | instid1(VALU_DEP_3)
	v_bfi_b32 v91, v9, 0, 0
	v_bfi_b32 v90, v8, 0, v18
	v_lshrrev_b64 v[8:9], v63, v[18:19]
	s_delay_alu instid0(VALU_DEP_2) | instskip(NEXT) | instid1(VALU_DEP_2)
	v_cmp_eq_u64_e64 s14, v[90:91], v[44:45]
	v_mov_b64_e32 v[44:45], v[8:9]
	s_and_saveexec_b32 s78, s14
; %bb.8486:                             ;   in Loop: Header=BB2_8074 Depth=3
	v_bfe_u32 v18, v8, 21, 1
	v_mov_b32_e32 v19, v3
	s_delay_alu instid0(VALU_DEP_1) | instskip(NEXT) | instid1(VALU_DEP_1)
	v_add_nc_u64_e32 v[18:19], v[8:9], v[18:19]
	v_add_nc_u64_e32 v[44:45], -1, v[18:19]
; %bb.8487:                             ;   in Loop: Header=BB2_8074 Depth=3
	s_or_b32 exec_lo, exec_lo, s78
	v_add_nc_u32_e32 v2, 0xffffff81, v47
	v_lshrrev_b32_e32 v9, 23, v8
	s_mov_b32 s14, exec_lo
	s_delay_alu instid0(VALU_DEP_2) | instskip(NEXT) | instid1(VALU_DEP_1)
	v_cndmask_b32_e64 v2, v2, 0xffffff82, vcc_lo
	v_add3_u32 v45, v63, v2, v9
	v_and_b32_e32 v2, 0x1fffff, v44
                                        ; implicit-def: $vgpr44
	s_delay_alu instid0(VALU_DEP_1) | instskip(NEXT) | instid1(VALU_DEP_1)
	v_dual_add_nc_u32 v47, 14, v45 :: v_dual_add_nc_u32 v2, v2, v8
                                        ; implicit-def: $vgpr8_vgpr9
	v_cmpx_ne_u32_e32 0, v47
	s_xor_b32 s14, exec_lo, s14
; %bb.8488:                             ;   in Loop: Header=BB2_8074 Depth=3
	s_delay_alu instid0(VALU_DEP_2) | instskip(SKIP_1) | instid1(VALU_DEP_1)
	v_cmp_lt_u64_e32 vcc_lo, 0xffffff, v[2:3]
	v_add_nc_u32_e32 v8, 15, v45
	v_cndmask_b32_e32 v44, v47, v8, vcc_lo
	v_cndmask_b32_e64 v8, 0, 1, vcc_lo
	s_delay_alu instid0(VALU_DEP_1)
	v_lshrrev_b64 v[8:9], v8, v[2:3]
; %bb.8489:                             ;   in Loop: Header=BB2_8074 Depth=3
	s_and_not1_saveexec_b32 s14, s14
; %bb.8490:                             ;   in Loop: Header=BB2_8074 Depth=3
	v_mov_b64_e32 v[8:9], v[2:3]
	v_bfe_u32 v44, v2, 23, 1
; %bb.8491:                             ;   in Loop: Header=BB2_8074 Depth=3
	s_or_b32 exec_lo, exec_lo, s14
	s_delay_alu instid0(VALU_DEP_2) | instskip(NEXT) | instid1(VALU_DEP_2)
	v_lshrrev_b64 v[8:9], 21, v[8:9]
	v_cmp_gt_i32_e32 vcc_lo, 32, v44
	v_min_i32_e32 v2, 31, v44
	v_cmp_eq_u32_e64 s14, 0, v44
	s_delay_alu instid0(VALU_DEP_2) | instskip(SKIP_1) | instid1(VALU_DEP_2)
	v_dual_cndmask_b32 v9, 0, v9 :: v_dual_lshlrev_b32 v2, 2, v2
	v_cndmask_b32_e32 v8, 3, v8, vcc_lo
	v_and_b32_e32 v2, 0xfc, v2
	s_delay_alu instid0(VALU_DEP_2) | instskip(NEXT) | instid1(VALU_DEP_2)
	v_cmp_eq_u64_e32 vcc_lo, 0, v[8:9]
	v_and_or_b32 v2, v8, 3, v2
	s_and_b32 s14, s14, vcc_lo
	s_delay_alu instid0(VALU_DEP_1) | instid1(SALU_CYCLE_1)
	v_cndmask_b32_e64 v2, v2, 0, s14
	s_delay_alu instid0(VALU_DEP_1)
	v_or_b32_e32 v63, v2, v46
.LBB2_8492:                             ;   in Loop: Header=BB2_8074 Depth=3
	s_or_b32 exec_lo, exec_lo, s77
                                        ; implicit-def: $vgpr46
.LBB2_8493:                             ;   in Loop: Header=BB2_8074 Depth=3
	s_and_not1_saveexec_b32 s14, s76
; %bb.8494:                             ;   in Loop: Header=BB2_8074 Depth=3
	v_or_b32_e32 v63, 0x7b, v46
; %bb.8495:                             ;   in Loop: Header=BB2_8074 Depth=3
	s_or_b32 exec_lo, exec_lo, s14
                                        ; implicit-def: $vgpr8
                                        ; implicit-def: $vgpr9
.LBB2_8496:                             ;   in Loop: Header=BB2_8074 Depth=3
	s_and_not1_saveexec_b32 s14, s75
	s_cbranch_execz .LBB2_8502
; %bb.8497:                             ;   in Loop: Header=BB2_8074 Depth=3
	s_mov_b32 s75, exec_lo
                                        ; implicit-def: $vgpr63
	v_cmpx_ne_u64_e32 0, v[2:3]
	s_xor_b32 s75, exec_lo, s75
; %bb.8498:                             ;   in Loop: Header=BB2_8074 Depth=3
	v_or_b32_e32 v63, 0x7f, v9
                                        ; implicit-def: $vgpr8
; %bb.8499:                             ;   in Loop: Header=BB2_8074 Depth=3
	s_and_not1_saveexec_b32 s75, s75
; %bb.8500:                             ;   in Loop: Header=BB2_8074 Depth=3
	v_cmp_lt_i32_e32 vcc_lo, -1, v8
	v_cndmask_b32_e32 v63, 0xfc, v120, vcc_lo
; %bb.8501:                             ;   in Loop: Header=BB2_8074 Depth=3
	s_or_b32 exec_lo, exec_lo, s75
.LBB2_8502:                             ;   in Loop: Header=BB2_8074 Depth=3
	s_delay_alu instid0(SALU_CYCLE_1) | instskip(SKIP_2) | instid1(VALU_DEP_1)
	s_or_b32 exec_lo, exec_lo, s14
	v_dual_lshrrev_b32 v2, 16, v11 :: v_dual_mov_b32 v8, 0
	s_mov_b32 s14, exec_lo
	v_and_b32_e32 v9, 0xff, v2
	s_delay_alu instid0(VALU_DEP_1)
	v_cmpx_ne_u16_e32 0, v9
	s_cbranch_execz .LBB2_8512
; %bb.8503:                             ;   in Loop: Header=BB2_8074 Depth=3
	v_bfrev_b32_e32 v8, 1
	s_mov_b32 s75, exec_lo
	v_cmpx_ne_u16_e32 0x80, v9
	s_cbranch_execz .LBB2_8511
; %bb.8504:                             ;   in Loop: Header=BB2_8074 Depth=3
	v_and_b32_e32 v8, 0x7c0000, v11
	v_bfe_u32 v9, v11, 16, 2
	s_delay_alu instid0(VALU_DEP_2) | instskip(SKIP_1) | instid1(SALU_CYCLE_1)
	v_cmp_ne_u32_e32 vcc_lo, 0x7c0000, v8
                                        ; implicit-def: $vgpr8
	s_and_saveexec_b32 s76, vcc_lo
	s_xor_b32 s76, exec_lo, s76
	s_cbranch_execz .LBB2_8508
; %bb.8505:                             ;   in Loop: Header=BB2_8074 Depth=3
	v_bfe_u32 v8, v11, 18, 5
	s_mov_b32 s77, exec_lo
	s_delay_alu instid0(VALU_DEP_1)
	v_cmpx_eq_u32_e32 0, v8
; %bb.8506:                             ;   in Loop: Header=BB2_8074 Depth=3
	v_clz_i32_u32_e32 v8, v9
	s_delay_alu instid0(VALU_DEP_1) | instskip(NEXT) | instid1(VALU_DEP_1)
	v_min_u32_e32 v8, 32, v8
	v_subrev_nc_u32_e32 v9, 29, v8
	s_delay_alu instid0(VALU_DEP_1) | instskip(NEXT) | instid1(VALU_DEP_1)
	v_lshlrev_b64_e32 v[18:19], v9, v[2:3]
	v_dual_sub_nc_u32 v8, 30, v8 :: v_dual_bitop2_b32 v9, 3, v18 bitop3:0x40
; %bb.8507:                             ;   in Loop: Header=BB2_8074 Depth=3
	s_or_b32 exec_lo, exec_lo, s77
	v_lshlrev_b32_e32 v2, 24, v2
	s_delay_alu instid0(VALU_DEP_1) | instskip(NEXT) | instid1(VALU_DEP_1)
	v_and_b32_e32 v2, 0x80000000, v2
	v_lshl_add_u32 v2, v8, 23, v2
	s_delay_alu instid0(VALU_DEP_1) | instskip(NEXT) | instid1(VALU_DEP_1)
	v_lshl_or_b32 v2, v9, 21, v2
                                        ; implicit-def: $vgpr9
	v_add_nc_u32_e32 v8, 0x38000000, v2
                                        ; implicit-def: $vgpr2
.LBB2_8508:                             ;   in Loop: Header=BB2_8074 Depth=3
	s_and_not1_saveexec_b32 s76, s76
; %bb.8509:                             ;   in Loop: Header=BB2_8074 Depth=3
	v_bfe_i32 v2, v2, 0, 8
	s_delay_alu instid0(VALU_DEP_1) | instskip(SKIP_2) | instid1(VALU_DEP_2)
	v_cmp_lt_i16_e32 vcc_lo, -1, v2
	v_cndmask_b32_e32 v2, 0xff800000, v111, vcc_lo
	v_cmp_eq_u32_e32 vcc_lo, 0, v9
	v_cndmask_b32_e32 v8, 0x7f800001, v2, vcc_lo
; %bb.8510:                             ;   in Loop: Header=BB2_8074 Depth=3
	s_or_b32 exec_lo, exec_lo, s76
.LBB2_8511:                             ;   in Loop: Header=BB2_8074 Depth=3
	s_delay_alu instid0(SALU_CYCLE_1)
	s_or_b32 exec_lo, exec_lo, s75
.LBB2_8512:                             ;   in Loop: Header=BB2_8074 Depth=3
	s_delay_alu instid0(SALU_CYCLE_1) | instskip(NEXT) | instid1(VALU_DEP_1)
	s_or_b32 exec_lo, exec_lo, s14
	v_dual_mul_f32 v8, s74, v8 :: v_dual_mov_b32 v19, v3
                                        ; implicit-def: $vgpr73
	s_mov_b32 s14, exec_lo
	s_delay_alu instid0(VALU_DEP_1) | instskip(SKIP_2) | instid1(VALU_DEP_3)
	v_and_b32_e32 v18, 0x7f800000, v8
	v_and_b32_e32 v2, 0x7fffff, v8
	v_lshrrev_b32_e32 v9, 24, v8
	v_cmpx_ne_u64_e32 0x7f800000, v[18:19]
	s_xor_b32 s75, exec_lo, s14
	s_cbranch_execz .LBB2_8526
; %bb.8513:                             ;   in Loop: Header=BB2_8074 Depth=3
	v_and_b32_e32 v18, 0x7fffffff, v8
	v_mov_b32_e32 v19, v3
	v_and_b32_e32 v46, 0x80, v9
                                        ; implicit-def: $vgpr73
	s_mov_b32 s14, exec_lo
	s_delay_alu instid0(VALU_DEP_2)
	v_cmpx_gt_u64_e32 0x47600001, v[18:19]
	s_xor_b32 s76, exec_lo, s14
	s_cbranch_execz .LBB2_8523
; %bb.8514:                             ;   in Loop: Header=BB2_8074 Depth=3
	v_mov_b32_e32 v73, 0
	s_mov_b32 s77, exec_lo
	v_cmpx_ne_u32_e32 0, v8
	s_cbranch_execz .LBB2_8522
; %bb.8515:                             ;   in Loop: Header=BB2_8074 Depth=3
	v_bfe_u32 v47, v8, 23, 8
	v_or_b32_e32 v18, 0x800000, v2
	s_delay_alu instid0(VALU_DEP_2) | instskip(SKIP_1) | instid1(VALU_DEP_2)
	v_dual_mov_b32 v19, v3 :: v_dual_sub_nc_u32 v8, 0x71, v47
	v_cmp_gt_u32_e32 vcc_lo, 0x72, v47
	v_cndmask_b32_e32 v8, 0, v8, vcc_lo
	v_cmp_eq_u32_e32 vcc_lo, 0, v47
	s_delay_alu instid0(VALU_DEP_2) | instskip(NEXT) | instid1(VALU_DEP_1)
	v_cndmask_b32_e64 v73, v8, 0x70, vcc_lo
	v_dual_cndmask_b32 v18, v18, v2, vcc_lo :: v_dual_add_nc_u32 v8, 21, v73
	v_add_nc_u32_e32 v44, 20, v73
	s_delay_alu instid0(VALU_DEP_2) | instskip(NEXT) | instid1(VALU_DEP_2)
	v_lshlrev_b64_e64 v[8:9], v8, -1
	v_lshlrev_b64_e64 v[44:45], v44, 1
	s_delay_alu instid0(VALU_DEP_2) | instskip(NEXT) | instid1(VALU_DEP_3)
	v_bfi_b32 v91, v9, 0, 0
	v_bfi_b32 v90, v8, 0, v18
	v_lshrrev_b64 v[8:9], v73, v[18:19]
	s_delay_alu instid0(VALU_DEP_2) | instskip(NEXT) | instid1(VALU_DEP_2)
	v_cmp_eq_u64_e64 s14, v[90:91], v[44:45]
	v_mov_b64_e32 v[44:45], v[8:9]
	s_and_saveexec_b32 s78, s14
; %bb.8516:                             ;   in Loop: Header=BB2_8074 Depth=3
	v_bfe_u32 v18, v8, 21, 1
	v_mov_b32_e32 v19, v3
	s_delay_alu instid0(VALU_DEP_1) | instskip(NEXT) | instid1(VALU_DEP_1)
	v_add_nc_u64_e32 v[18:19], v[8:9], v[18:19]
	v_add_nc_u64_e32 v[44:45], -1, v[18:19]
; %bb.8517:                             ;   in Loop: Header=BB2_8074 Depth=3
	s_or_b32 exec_lo, exec_lo, s78
	v_add_nc_u32_e32 v2, 0xffffff81, v47
	v_lshrrev_b32_e32 v9, 23, v8
	s_mov_b32 s14, exec_lo
	s_delay_alu instid0(VALU_DEP_2) | instskip(NEXT) | instid1(VALU_DEP_1)
	v_cndmask_b32_e64 v2, v2, 0xffffff82, vcc_lo
	v_add3_u32 v45, v73, v2, v9
	v_and_b32_e32 v2, 0x1fffff, v44
                                        ; implicit-def: $vgpr44
	s_delay_alu instid0(VALU_DEP_1) | instskip(NEXT) | instid1(VALU_DEP_1)
	v_dual_add_nc_u32 v47, 14, v45 :: v_dual_add_nc_u32 v2, v2, v8
                                        ; implicit-def: $vgpr8_vgpr9
	v_cmpx_ne_u32_e32 0, v47
	s_xor_b32 s14, exec_lo, s14
; %bb.8518:                             ;   in Loop: Header=BB2_8074 Depth=3
	s_delay_alu instid0(VALU_DEP_2) | instskip(SKIP_1) | instid1(VALU_DEP_1)
	v_cmp_lt_u64_e32 vcc_lo, 0xffffff, v[2:3]
	v_add_nc_u32_e32 v8, 15, v45
	v_cndmask_b32_e32 v44, v47, v8, vcc_lo
	v_cndmask_b32_e64 v8, 0, 1, vcc_lo
	s_delay_alu instid0(VALU_DEP_1)
	v_lshrrev_b64 v[8:9], v8, v[2:3]
; %bb.8519:                             ;   in Loop: Header=BB2_8074 Depth=3
	s_and_not1_saveexec_b32 s14, s14
; %bb.8520:                             ;   in Loop: Header=BB2_8074 Depth=3
	v_mov_b64_e32 v[8:9], v[2:3]
	v_bfe_u32 v44, v2, 23, 1
; %bb.8521:                             ;   in Loop: Header=BB2_8074 Depth=3
	s_or_b32 exec_lo, exec_lo, s14
	s_delay_alu instid0(VALU_DEP_2) | instskip(NEXT) | instid1(VALU_DEP_2)
	v_lshrrev_b64 v[8:9], 21, v[8:9]
	v_cmp_gt_i32_e32 vcc_lo, 32, v44
	v_min_i32_e32 v2, 31, v44
	v_cmp_eq_u32_e64 s14, 0, v44
	s_delay_alu instid0(VALU_DEP_2) | instskip(SKIP_1) | instid1(VALU_DEP_2)
	v_dual_cndmask_b32 v9, 0, v9 :: v_dual_lshlrev_b32 v2, 2, v2
	v_cndmask_b32_e32 v8, 3, v8, vcc_lo
	v_and_b32_e32 v2, 0xfc, v2
	s_delay_alu instid0(VALU_DEP_2) | instskip(NEXT) | instid1(VALU_DEP_2)
	v_cmp_eq_u64_e32 vcc_lo, 0, v[8:9]
	v_and_or_b32 v2, v8, 3, v2
	s_and_b32 s14, s14, vcc_lo
	s_delay_alu instid0(VALU_DEP_1) | instid1(SALU_CYCLE_1)
	v_cndmask_b32_e64 v2, v2, 0, s14
	s_delay_alu instid0(VALU_DEP_1)
	v_or_b32_e32 v73, v2, v46
.LBB2_8522:                             ;   in Loop: Header=BB2_8074 Depth=3
	s_or_b32 exec_lo, exec_lo, s77
                                        ; implicit-def: $vgpr46
.LBB2_8523:                             ;   in Loop: Header=BB2_8074 Depth=3
	s_and_not1_saveexec_b32 s14, s76
; %bb.8524:                             ;   in Loop: Header=BB2_8074 Depth=3
	v_or_b32_e32 v73, 0x7b, v46
; %bb.8525:                             ;   in Loop: Header=BB2_8074 Depth=3
	s_or_b32 exec_lo, exec_lo, s14
                                        ; implicit-def: $vgpr8
                                        ; implicit-def: $vgpr9
.LBB2_8526:                             ;   in Loop: Header=BB2_8074 Depth=3
	s_and_not1_saveexec_b32 s14, s75
	s_cbranch_execz .LBB2_8532
; %bb.8527:                             ;   in Loop: Header=BB2_8074 Depth=3
	s_mov_b32 s75, exec_lo
                                        ; implicit-def: $vgpr73
	v_cmpx_ne_u64_e32 0, v[2:3]
	s_xor_b32 s75, exec_lo, s75
; %bb.8528:                             ;   in Loop: Header=BB2_8074 Depth=3
	v_or_b32_e32 v73, 0x7f, v9
                                        ; implicit-def: $vgpr8
; %bb.8529:                             ;   in Loop: Header=BB2_8074 Depth=3
	s_and_not1_saveexec_b32 s75, s75
; %bb.8530:                             ;   in Loop: Header=BB2_8074 Depth=3
	v_cmp_lt_i32_e32 vcc_lo, -1, v8
	v_cndmask_b32_e32 v73, 0xfc, v120, vcc_lo
; %bb.8531:                             ;   in Loop: Header=BB2_8074 Depth=3
	s_or_b32 exec_lo, exec_lo, s75
.LBB2_8532:                             ;   in Loop: Header=BB2_8074 Depth=3
	s_delay_alu instid0(SALU_CYCLE_1)
	s_or_b32 exec_lo, exec_lo, s14
	v_mov_b32_e32 v8, 0
	s_mov_b32 s14, exec_lo
	v_cmpx_lt_u64_e64 s[22:23], v[10:11]
	s_cbranch_execz .LBB2_8542
; %bb.8533:                             ;   in Loop: Header=BB2_8074 Depth=3
	v_lshrrev_b32_e32 v2, 24, v11
	v_bfrev_b32_e32 v8, 1
	s_mov_b32 s75, exec_lo
	s_delay_alu instid0(VALU_DEP_2)
	v_cmpx_ne_u32_e32 0x80, v2
	s_cbranch_execz .LBB2_8541
; %bb.8534:                             ;   in Loop: Header=BB2_8074 Depth=3
	v_and_b32_e32 v8, 0x7c000000, v11
	v_bfe_u32 v9, v11, 24, 2
	s_delay_alu instid0(VALU_DEP_2) | instskip(SKIP_1) | instid1(SALU_CYCLE_1)
	v_cmp_ne_u32_e32 vcc_lo, 0x7c000000, v8
                                        ; implicit-def: $vgpr8
	s_and_saveexec_b32 s76, vcc_lo
	s_xor_b32 s76, exec_lo, s76
	s_cbranch_execz .LBB2_8538
; %bb.8535:                             ;   in Loop: Header=BB2_8074 Depth=3
	v_bfe_u32 v8, v11, 26, 5
	s_mov_b32 s77, exec_lo
	s_delay_alu instid0(VALU_DEP_1)
	v_cmpx_eq_u32_e32 0, v8
; %bb.8536:                             ;   in Loop: Header=BB2_8074 Depth=3
	v_clz_i32_u32_e32 v8, v9
	s_delay_alu instid0(VALU_DEP_1) | instskip(NEXT) | instid1(VALU_DEP_1)
	v_min_u32_e32 v8, 32, v8
	v_subrev_nc_u32_e32 v9, 29, v8
	s_delay_alu instid0(VALU_DEP_1) | instskip(NEXT) | instid1(VALU_DEP_1)
	v_lshlrev_b64_e32 v[18:19], v9, v[2:3]
	v_dual_sub_nc_u32 v8, 30, v8 :: v_dual_bitop2_b32 v9, 3, v18 bitop3:0x40
; %bb.8537:                             ;   in Loop: Header=BB2_8074 Depth=3
	s_or_b32 exec_lo, exec_lo, s77
	v_and_b32_e32 v2, 0x80000000, v11
                                        ; implicit-def: $vgpr10_vgpr11
	s_delay_alu instid0(VALU_DEP_1) | instskip(NEXT) | instid1(VALU_DEP_1)
	v_lshl_add_u32 v2, v8, 23, v2
	v_lshl_or_b32 v2, v9, 21, v2
                                        ; implicit-def: $vgpr9
	s_delay_alu instid0(VALU_DEP_1)
	v_add_nc_u32_e32 v8, 0x38000000, v2
.LBB2_8538:                             ;   in Loop: Header=BB2_8074 Depth=3
	s_and_not1_saveexec_b32 s76, s76
; %bb.8539:                             ;   in Loop: Header=BB2_8074 Depth=3
	v_cmp_lt_i64_e32 vcc_lo, -1, v[10:11]
	v_cndmask_b32_e32 v2, 0xff800000, v111, vcc_lo
	v_cmp_eq_u32_e32 vcc_lo, 0, v9
	s_delay_alu instid0(VALU_DEP_2)
	v_cndmask_b32_e32 v8, 0x7f800001, v2, vcc_lo
; %bb.8540:                             ;   in Loop: Header=BB2_8074 Depth=3
	s_or_b32 exec_lo, exec_lo, s76
.LBB2_8541:                             ;   in Loop: Header=BB2_8074 Depth=3
	s_delay_alu instid0(SALU_CYCLE_1)
	s_or_b32 exec_lo, exec_lo, s75
.LBB2_8542:                             ;   in Loop: Header=BB2_8074 Depth=3
	s_delay_alu instid0(SALU_CYCLE_1) | instskip(NEXT) | instid1(VALU_DEP_1)
	s_or_b32 exec_lo, exec_lo, s14
	v_dual_mul_f32 v8, s74, v8 :: v_dual_mov_b32 v11, v3
                                        ; implicit-def: $vgpr76
	s_mov_b32 s14, exec_lo
	s_delay_alu instid0(VALU_DEP_1) | instskip(SKIP_2) | instid1(VALU_DEP_3)
	v_and_b32_e32 v10, 0x7f800000, v8
	v_and_b32_e32 v2, 0x7fffff, v8
	v_lshrrev_b32_e32 v9, 24, v8
	v_cmpx_ne_u64_e32 0x7f800000, v[10:11]
	s_xor_b32 s74, exec_lo, s14
	s_cbranch_execz .LBB2_8556
; %bb.8543:                             ;   in Loop: Header=BB2_8074 Depth=3
	v_and_b32_e32 v10, 0x7fffffff, v8
	v_mov_b32_e32 v11, v3
	v_and_b32_e32 v44, 0x80, v9
                                        ; implicit-def: $vgpr76
	s_mov_b32 s14, exec_lo
	s_delay_alu instid0(VALU_DEP_2)
	v_cmpx_gt_u64_e32 0x47600001, v[10:11]
	s_xor_b32 s75, exec_lo, s14
	s_cbranch_execz .LBB2_8553
; %bb.8544:                             ;   in Loop: Header=BB2_8074 Depth=3
	v_mov_b32_e32 v76, 0
	s_mov_b32 s76, exec_lo
	v_cmpx_ne_u32_e32 0, v8
	s_cbranch_execz .LBB2_8552
; %bb.8545:                             ;   in Loop: Header=BB2_8074 Depth=3
	v_bfe_u32 v45, v8, 23, 8
	v_or_b32_e32 v10, 0x800000, v2
	s_mov_b32 s77, exec_lo
	s_delay_alu instid0(VALU_DEP_2) | instskip(SKIP_1) | instid1(VALU_DEP_2)
	v_dual_mov_b32 v11, v3 :: v_dual_sub_nc_u32 v8, 0x71, v45
	v_cmp_gt_u32_e32 vcc_lo, 0x72, v45
	v_cndmask_b32_e32 v8, 0, v8, vcc_lo
	v_cmp_eq_u32_e32 vcc_lo, 0, v45
	s_delay_alu instid0(VALU_DEP_2) | instskip(SKIP_1) | instid1(VALU_DEP_2)
	v_cndmask_b32_e64 v46, v8, 0x70, vcc_lo
	v_cndmask_b32_e32 v10, v10, v2, vcc_lo
	v_dual_add_nc_u32 v8, 21, v46 :: v_dual_add_nc_u32 v18, 20, v46
	s_delay_alu instid0(VALU_DEP_1) | instskip(NEXT) | instid1(VALU_DEP_2)
	v_lshlrev_b64_e64 v[8:9], v8, -1
	v_lshlrev_b64_e64 v[18:19], v18, 1
	s_delay_alu instid0(VALU_DEP_2) | instskip(NEXT) | instid1(VALU_DEP_3)
	v_bfi_b32 v91, v9, 0, 0
	v_bfi_b32 v90, v8, 0, v10
	v_lshrrev_b64 v[8:9], v46, v[10:11]
	s_delay_alu instid0(VALU_DEP_1) | instskip(NEXT) | instid1(VALU_DEP_3)
	v_mov_b64_e32 v[10:11], v[8:9]
	v_cmpx_eq_u64_e64 v[90:91], v[18:19]
; %bb.8546:                             ;   in Loop: Header=BB2_8074 Depth=3
	v_bfe_u32 v10, v8, 21, 1
	v_mov_b32_e32 v11, v3
	s_delay_alu instid0(VALU_DEP_1) | instskip(NEXT) | instid1(VALU_DEP_1)
	v_add_nc_u64_e32 v[10:11], v[8:9], v[10:11]
	v_add_nc_u64_e32 v[10:11], -1, v[10:11]
; %bb.8547:                             ;   in Loop: Header=BB2_8074 Depth=3
	s_or_b32 exec_lo, exec_lo, s77
	v_add_nc_u32_e32 v2, 0xffffff81, v45
	v_lshrrev_b32_e32 v9, 23, v8
	s_mov_b32 s14, exec_lo
	s_delay_alu instid0(VALU_DEP_2) | instskip(NEXT) | instid1(VALU_DEP_1)
	v_cndmask_b32_e64 v2, v2, 0xffffff82, vcc_lo
	v_add3_u32 v11, v46, v2, v9
	v_and_b32_e32 v2, 0x1fffff, v10
                                        ; implicit-def: $vgpr10
	s_delay_alu instid0(VALU_DEP_1) | instskip(NEXT) | instid1(VALU_DEP_1)
	v_dual_add_nc_u32 v45, 14, v11 :: v_dual_add_nc_u32 v2, v2, v8
                                        ; implicit-def: $vgpr8_vgpr9
	v_cmpx_ne_u32_e32 0, v45
	s_xor_b32 s14, exec_lo, s14
; %bb.8548:                             ;   in Loop: Header=BB2_8074 Depth=3
	s_delay_alu instid0(VALU_DEP_2) | instskip(SKIP_1) | instid1(VALU_DEP_1)
	v_cmp_lt_u64_e32 vcc_lo, 0xffffff, v[2:3]
	v_add_nc_u32_e32 v8, 15, v11
	v_cndmask_b32_e32 v10, v45, v8, vcc_lo
	v_cndmask_b32_e64 v8, 0, 1, vcc_lo
	s_delay_alu instid0(VALU_DEP_1)
	v_lshrrev_b64 v[8:9], v8, v[2:3]
; %bb.8549:                             ;   in Loop: Header=BB2_8074 Depth=3
	s_and_not1_saveexec_b32 s14, s14
; %bb.8550:                             ;   in Loop: Header=BB2_8074 Depth=3
	v_mov_b64_e32 v[8:9], v[2:3]
	v_bfe_u32 v10, v2, 23, 1
; %bb.8551:                             ;   in Loop: Header=BB2_8074 Depth=3
	s_or_b32 exec_lo, exec_lo, s14
	s_delay_alu instid0(VALU_DEP_2) | instskip(NEXT) | instid1(VALU_DEP_2)
	v_lshrrev_b64 v[8:9], 21, v[8:9]
	v_cmp_gt_i32_e32 vcc_lo, 32, v10
	v_min_i32_e32 v2, 31, v10
	v_cmp_eq_u32_e64 s14, 0, v10
	s_delay_alu instid0(VALU_DEP_2) | instskip(SKIP_1) | instid1(VALU_DEP_2)
	v_dual_cndmask_b32 v9, 0, v9 :: v_dual_lshlrev_b32 v2, 2, v2
	v_cndmask_b32_e32 v8, 3, v8, vcc_lo
	v_and_b32_e32 v2, 0xfc, v2
	s_delay_alu instid0(VALU_DEP_2) | instskip(NEXT) | instid1(VALU_DEP_2)
	v_cmp_eq_u64_e32 vcc_lo, 0, v[8:9]
	v_and_or_b32 v2, v8, 3, v2
	s_and_b32 s14, s14, vcc_lo
	s_delay_alu instid0(VALU_DEP_1) | instid1(SALU_CYCLE_1)
	v_cndmask_b32_e64 v2, v2, 0, s14
	s_delay_alu instid0(VALU_DEP_1)
	v_or_b32_e32 v76, v2, v44
.LBB2_8552:                             ;   in Loop: Header=BB2_8074 Depth=3
	s_or_b32 exec_lo, exec_lo, s76
                                        ; implicit-def: $vgpr44
.LBB2_8553:                             ;   in Loop: Header=BB2_8074 Depth=3
	s_and_not1_saveexec_b32 s14, s75
; %bb.8554:                             ;   in Loop: Header=BB2_8074 Depth=3
	v_or_b32_e32 v76, 0x7b, v44
; %bb.8555:                             ;   in Loop: Header=BB2_8074 Depth=3
	s_or_b32 exec_lo, exec_lo, s14
                                        ; implicit-def: $vgpr8
                                        ; implicit-def: $vgpr9
.LBB2_8556:                             ;   in Loop: Header=BB2_8074 Depth=3
	s_and_not1_saveexec_b32 s14, s74
	s_cbranch_execz .LBB2_8562
; %bb.8557:                             ;   in Loop: Header=BB2_8074 Depth=3
	s_mov_b32 s74, exec_lo
                                        ; implicit-def: $vgpr76
	v_cmpx_ne_u64_e32 0, v[2:3]
	s_xor_b32 s74, exec_lo, s74
; %bb.8558:                             ;   in Loop: Header=BB2_8074 Depth=3
	v_or_b32_e32 v76, 0x7f, v9
                                        ; implicit-def: $vgpr8
; %bb.8559:                             ;   in Loop: Header=BB2_8074 Depth=3
	s_and_not1_saveexec_b32 s74, s74
; %bb.8560:                             ;   in Loop: Header=BB2_8074 Depth=3
	v_cmp_lt_i32_e32 vcc_lo, -1, v8
	v_cndmask_b32_e32 v76, 0xfc, v120, vcc_lo
; %bb.8561:                             ;   in Loop: Header=BB2_8074 Depth=3
	s_or_b32 exec_lo, exec_lo, s74
.LBB2_8562:                             ;   in Loop: Header=BB2_8074 Depth=3
	s_delay_alu instid0(SALU_CYCLE_1)
	s_or_b32 exec_lo, exec_lo, s14
	global_load_b128 v[8:11], v[42:43], off th:TH_LOAD_NT
	v_lshl_or_b32 v30, v30, 8, v16
	v_dual_lshlrev_b32 v2, 16, v60 :: v_dual_mov_b32 v44, 0
	v_lshlrev_b32_e32 v18, 24, v72
	s_mov_b32 s14, exec_lo
	s_delay_alu instid0(VALU_DEP_1)
	v_or3_b32 v2, v2, v18, v30
	s_wait_xcnt 0x0
	v_cmpx_ne_u32_e32 0, v16
	s_cbranch_execz .LBB2_8572
; %bb.8563:                             ;   in Loop: Header=BB2_8074 Depth=3
	v_bfrev_b32_e32 v44, 1
	s_mov_b32 s74, exec_lo
	v_cmpx_ne_u32_e32 0x80, v16
	s_cbranch_execz .LBB2_8571
; %bb.8564:                             ;   in Loop: Header=BB2_8074 Depth=3
	v_and_b32_e32 v18, 0x7c, v16
	v_and_b32_e32 v45, 3, v16
	s_mov_b32 s75, exec_lo
                                        ; implicit-def: $vgpr44
	s_delay_alu instid0(VALU_DEP_2)
	v_cmpx_ne_u32_e32 0x7c, v18
	s_xor_b32 s75, exec_lo, s75
	s_cbranch_execz .LBB2_8568
; %bb.8565:                             ;   in Loop: Header=BB2_8074 Depth=3
	v_bfe_u32 v44, v16, 2, 5
	s_mov_b32 s76, exec_lo
	s_delay_alu instid0(VALU_DEP_1)
	v_cmpx_eq_u32_e32 0, v44
; %bb.8566:                             ;   in Loop: Header=BB2_8074 Depth=3
	v_clz_i32_u32_e32 v18, v45
	s_delay_alu instid0(VALU_DEP_1) | instskip(NEXT) | instid1(VALU_DEP_1)
	v_min_u32_e32 v44, 32, v18
	v_subrev_nc_u32_e32 v18, 29, v44
	s_delay_alu instid0(VALU_DEP_1) | instskip(NEXT) | instid1(VALU_DEP_1)
	v_lshlrev_b64_e32 v[18:19], v18, v[2:3]
	v_dual_sub_nc_u32 v44, 30, v44 :: v_dual_bitop2_b32 v45, 3, v18 bitop3:0x40
; %bb.8567:                             ;   in Loop: Header=BB2_8074 Depth=3
	s_or_b32 exec_lo, exec_lo, s76
	v_lshlrev_b32_e32 v16, 24, v16
	s_delay_alu instid0(VALU_DEP_1) | instskip(NEXT) | instid1(VALU_DEP_1)
	v_and_b32_e32 v16, 0x80000000, v16
	v_lshl_add_u32 v16, v44, 23, v16
	s_delay_alu instid0(VALU_DEP_1) | instskip(NEXT) | instid1(VALU_DEP_1)
	v_lshl_or_b32 v16, v45, 21, v16
                                        ; implicit-def: $vgpr45
	v_add_nc_u32_e32 v44, 0x38000000, v16
                                        ; implicit-def: $vgpr16
.LBB2_8568:                             ;   in Loop: Header=BB2_8074 Depth=3
	s_and_not1_saveexec_b32 s75, s75
; %bb.8569:                             ;   in Loop: Header=BB2_8074 Depth=3
	v_and_b32_e32 v16, 0x80, v16
	s_delay_alu instid0(VALU_DEP_1) | instskip(SKIP_2) | instid1(VALU_DEP_2)
	v_cmp_eq_u32_e32 vcc_lo, 0, v16
	v_cndmask_b32_e32 v16, 0xff800000, v111, vcc_lo
	v_cmp_eq_u32_e32 vcc_lo, 0, v45
	v_cndmask_b32_e32 v44, 0x7f800001, v16, vcc_lo
; %bb.8570:                             ;   in Loop: Header=BB2_8074 Depth=3
	s_or_b32 exec_lo, exec_lo, s75
.LBB2_8571:                             ;   in Loop: Header=BB2_8074 Depth=3
	s_delay_alu instid0(SALU_CYCLE_1)
	s_or_b32 exec_lo, exec_lo, s74
.LBB2_8572:                             ;   in Loop: Header=BB2_8074 Depth=3
	s_delay_alu instid0(SALU_CYCLE_1) | instskip(SKIP_4) | instid1(VALU_DEP_1)
	s_or_b32 exec_lo, exec_lo, s14
	s_wait_loadcnt 0x0
	v_and_b32_e32 v45, 0xff, v8
	s_mov_b32 s74, 0
	s_mov_b32 s14, exec_lo
	v_cmpx_lt_i16_e32 0x7f, v45
	s_xor_b32 s14, exec_lo, s14
	s_cbranch_execz .LBB2_9113
; %bb.8573:                             ;   in Loop: Header=BB2_8074 Depth=3
	s_mov_b32 s74, -1
	s_mov_b32 s75, exec_lo
	v_cmpx_eq_u16_e32 0x80, v45
; %bb.8574:                             ;   in Loop: Header=BB2_8074 Depth=3
	s_xor_b32 s74, exec_lo, -1
; %bb.8575:                             ;   in Loop: Header=BB2_8074 Depth=3
	s_or_b32 exec_lo, exec_lo, s75
	s_delay_alu instid0(SALU_CYCLE_1)
	s_and_b32 s74, s74, exec_lo
                                        ; implicit-def: $vgpr45
	s_or_saveexec_b32 s14, s14
	v_bfrev_b32_e32 v16, 1
	s_xor_b32 exec_lo, exec_lo, s14
	s_cbranch_execnz .LBB2_9114
.LBB2_8576:                             ;   in Loop: Header=BB2_8074 Depth=3
	s_or_b32 exec_lo, exec_lo, s14
	s_and_saveexec_b32 s14, s74
	s_cbranch_execz .LBB2_8578
.LBB2_8577:                             ;   in Loop: Header=BB2_8074 Depth=3
	v_and_b32_e32 v16, 3, v8
	v_bfe_u32 v46, v8, 2, 5
	s_delay_alu instid0(VALU_DEP_2) | instskip(NEXT) | instid1(VALU_DEP_2)
	v_clz_i32_u32_e32 v18, v16
	v_cmp_eq_u32_e32 vcc_lo, 0, v46
	s_delay_alu instid0(VALU_DEP_2) | instskip(NEXT) | instid1(VALU_DEP_1)
	v_min_u32_e32 v45, 32, v18
	v_subrev_nc_u32_e32 v18, 29, v45
	s_delay_alu instid0(VALU_DEP_1) | instskip(SKIP_1) | instid1(VALU_DEP_1)
	v_lshlrev_b64_e32 v[18:19], v18, v[8:9]
	v_dual_lshlrev_b32 v19, 24, v8 :: v_dual_sub_nc_u32 v45, 30, v45
	v_and_b32_e32 v19, 0x80000000, v19
	s_delay_alu instid0(VALU_DEP_2) | instskip(SKIP_1) | instid1(VALU_DEP_2)
	v_dual_cndmask_b32 v45, v46, v45, vcc_lo :: v_dual_bitop2_b32 v18, 3, v18 bitop3:0x40
	v_bfe_i32 v46, v8, 0, 8
	v_cndmask_b32_e32 v18, v16, v18, vcc_lo
	s_delay_alu instid0(VALU_DEP_3) | instskip(NEXT) | instid1(VALU_DEP_3)
	v_lshl_add_u32 v19, v45, 23, v19
	v_cmp_lt_i16_e32 vcc_lo, -1, v46
	s_delay_alu instid0(VALU_DEP_2) | instskip(SKIP_3) | instid1(VALU_DEP_4)
	v_lshl_or_b32 v18, v18, 21, v19
	v_cndmask_b32_e32 v45, 0xff800000, v111, vcc_lo
	v_and_b32_e32 v19, 0x7c, v8
	v_cmp_eq_u32_e32 vcc_lo, 0, v16
	v_add_nc_u32_e32 v18, 0x38000000, v18
	s_delay_alu instid0(VALU_DEP_4) | instskip(NEXT) | instid1(VALU_DEP_4)
	v_cndmask_b32_e32 v16, 0x7f800001, v45, vcc_lo
	v_cmp_eq_u32_e32 vcc_lo, 0x7c, v19
	s_delay_alu instid0(VALU_DEP_2)
	v_cndmask_b32_e32 v16, v18, v16, vcc_lo
.LBB2_8578:                             ;   in Loop: Header=BB2_8074 Depth=3
	s_or_b32 exec_lo, exec_lo, s14
	s_delay_alu instid0(VALU_DEP_1) | instskip(SKIP_2) | instid1(VALU_DEP_2)
	v_dual_add_f32 v46, v44, v16 :: v_dual_mov_b32 v19, v3
	v_mov_b32_e32 v45, v3
                                        ; implicit-def: $vgpr16
	s_mov_b32 s14, exec_lo
	v_and_b32_e32 v18, 0x7f800000, v46
	v_and_b32_e32 v44, 0x7fffff, v46
	v_lshrrev_b32_e32 v47, 24, v46
	s_delay_alu instid0(VALU_DEP_3)
	v_cmpx_ne_u64_e32 0x7f800000, v[18:19]
	s_xor_b32 s74, exec_lo, s14
	s_cbranch_execz .LBB2_8592
; %bb.8579:                             ;   in Loop: Header=BB2_8074 Depth=3
	v_and_b32_e32 v18, 0x7fffffff, v46
	v_mov_b32_e32 v19, v3
	v_and_b32_e32 v60, 0x80, v47
                                        ; implicit-def: $vgpr16
	s_mov_b32 s14, exec_lo
	s_delay_alu instid0(VALU_DEP_2)
	v_cmpx_gt_u64_e32 0x47600001, v[18:19]
	s_xor_b32 s75, exec_lo, s14
	s_cbranch_execz .LBB2_8589
; %bb.8580:                             ;   in Loop: Header=BB2_8074 Depth=3
	v_mov_b32_e32 v16, 0
	s_mov_b32 s76, exec_lo
	v_cmpx_ne_u32_e32 0, v46
	s_cbranch_execz .LBB2_8588
; %bb.8581:                             ;   in Loop: Header=BB2_8074 Depth=3
	v_bfe_u32 v16, v46, 23, 8
	v_or_b32_e32 v46, 0x800000, v44
	s_delay_alu instid0(VALU_DEP_2) | instskip(SKIP_1) | instid1(VALU_DEP_2)
	v_sub_nc_u32_e32 v18, 0x71, v16
	v_cmp_gt_u32_e32 vcc_lo, 0x72, v16
	v_cndmask_b32_e32 v18, 0, v18, vcc_lo
	v_cmp_eq_u32_e32 vcc_lo, 0, v16
	s_delay_alu instid0(VALU_DEP_2) | instskip(SKIP_1) | instid1(VALU_DEP_2)
	v_cndmask_b32_e64 v72, v18, 0x70, vcc_lo
	v_cndmask_b32_e32 v44, v46, v44, vcc_lo
	v_dual_add_nc_u32 v18, 21, v72 :: v_dual_add_nc_u32 v47, 20, v72
	s_delay_alu instid0(VALU_DEP_1) | instskip(NEXT) | instid1(VALU_DEP_2)
	v_lshlrev_b64_e64 v[18:19], v18, -1
	v_lshlrev_b64_e64 v[46:47], v47, 1
	s_delay_alu instid0(VALU_DEP_2) | instskip(SKIP_1) | instid1(VALU_DEP_4)
	v_bfi_b32 v18, v18, 0, v44
	v_lshrrev_b64 v[44:45], v72, v[44:45]
	v_bfi_b32 v19, v19, 0, 0
	s_delay_alu instid0(VALU_DEP_1) | instskip(NEXT) | instid1(VALU_DEP_3)
	v_cmp_eq_u64_e64 s14, v[18:19], v[46:47]
	v_mov_b64_e32 v[46:47], v[44:45]
	s_and_saveexec_b32 s77, s14
; %bb.8582:                             ;   in Loop: Header=BB2_8074 Depth=3
	v_bfe_u32 v18, v44, 21, 1
	v_mov_b32_e32 v19, v3
	s_delay_alu instid0(VALU_DEP_1) | instskip(NEXT) | instid1(VALU_DEP_1)
	v_add_nc_u64_e32 v[18:19], v[44:45], v[18:19]
	v_add_nc_u64_e32 v[46:47], -1, v[18:19]
; %bb.8583:                             ;   in Loop: Header=BB2_8074 Depth=3
	s_or_b32 exec_lo, exec_lo, s77
	v_dual_mov_b32 v45, v3 :: v_dual_add_nc_u32 v16, 0xffffff81, v16
	v_lshrrev_b32_e32 v18, 23, v44
	s_mov_b32 s14, exec_lo
	s_delay_alu instid0(VALU_DEP_2) | instskip(NEXT) | instid1(VALU_DEP_1)
	v_cndmask_b32_e64 v16, v16, 0xffffff82, vcc_lo
	v_add3_u32 v47, v72, v16, v18
	v_and_b32_e32 v16, 0x1fffff, v46
	s_delay_alu instid0(VALU_DEP_1) | instskip(NEXT) | instid1(VALU_DEP_1)
	v_dual_add_nc_u32 v46, 14, v47 :: v_dual_add_nc_u32 v44, v16, v44
                                        ; implicit-def: $vgpr16
	v_cmpx_ne_u32_e32 0, v46
	s_xor_b32 s14, exec_lo, s14
; %bb.8584:                             ;   in Loop: Header=BB2_8074 Depth=3
	s_delay_alu instid0(VALU_DEP_2) | instskip(SKIP_2) | instid1(VALU_DEP_2)
	v_cmp_lt_u64_e32 vcc_lo, 0xffffff, v[44:45]
	v_add_nc_u32_e32 v16, 15, v47
	v_cndmask_b32_e64 v18, 0, 1, vcc_lo
	v_cndmask_b32_e32 v16, v46, v16, vcc_lo
	s_delay_alu instid0(VALU_DEP_2)
	v_lshrrev_b64 v[44:45], v18, v[44:45]
; %bb.8585:                             ;   in Loop: Header=BB2_8074 Depth=3
	s_and_not1_saveexec_b32 s14, s14
; %bb.8586:                             ;   in Loop: Header=BB2_8074 Depth=3
	s_delay_alu instid0(VALU_DEP_1)
	v_bfe_u32 v16, v44, 23, 1
; %bb.8587:                             ;   in Loop: Header=BB2_8074 Depth=3
	s_or_b32 exec_lo, exec_lo, s14
	s_delay_alu instid0(VALU_DEP_2) | instskip(NEXT) | instid1(VALU_DEP_2)
	v_lshrrev_b64 v[18:19], 21, v[44:45]
	v_cmp_gt_i32_e32 vcc_lo, 32, v16
	v_min_i32_e32 v44, 31, v16
	v_cmp_eq_u32_e64 s14, 0, v16
	s_delay_alu instid0(VALU_DEP_2) | instskip(SKIP_1) | instid1(VALU_DEP_2)
	v_dual_cndmask_b32 v19, 0, v19 :: v_dual_lshlrev_b32 v44, 2, v44
	v_cndmask_b32_e32 v18, 3, v18, vcc_lo
	v_and_b32_e32 v44, 0xfc, v44
	s_delay_alu instid0(VALU_DEP_2) | instskip(NEXT) | instid1(VALU_DEP_2)
	v_cmp_eq_u64_e32 vcc_lo, 0, v[18:19]
	v_and_or_b32 v16, v18, 3, v44
	s_and_b32 s14, s14, vcc_lo
	s_delay_alu instid0(VALU_DEP_1) | instid1(SALU_CYCLE_1)
	v_cndmask_b32_e64 v16, v16, 0, s14
	s_delay_alu instid0(VALU_DEP_1)
	v_or_b32_e32 v16, v16, v60
.LBB2_8588:                             ;   in Loop: Header=BB2_8074 Depth=3
	s_or_b32 exec_lo, exec_lo, s76
                                        ; implicit-def: $vgpr60
.LBB2_8589:                             ;   in Loop: Header=BB2_8074 Depth=3
	s_and_not1_saveexec_b32 s14, s75
; %bb.8590:                             ;   in Loop: Header=BB2_8074 Depth=3
	v_or_b32_e32 v16, 0x7b, v60
; %bb.8591:                             ;   in Loop: Header=BB2_8074 Depth=3
	s_or_b32 exec_lo, exec_lo, s14
                                        ; implicit-def: $vgpr46
                                        ; implicit-def: $vgpr44_vgpr45
                                        ; implicit-def: $vgpr47
.LBB2_8592:                             ;   in Loop: Header=BB2_8074 Depth=3
	s_and_not1_saveexec_b32 s14, s74
	s_cbranch_execz .LBB2_8598
; %bb.8593:                             ;   in Loop: Header=BB2_8074 Depth=3
	s_mov_b32 s74, exec_lo
                                        ; implicit-def: $vgpr16
	v_cmpx_ne_u64_e32 0, v[44:45]
	s_xor_b32 s74, exec_lo, s74
; %bb.8594:                             ;   in Loop: Header=BB2_8074 Depth=3
	v_or_b32_e32 v16, 0x7f, v47
                                        ; implicit-def: $vgpr46
; %bb.8595:                             ;   in Loop: Header=BB2_8074 Depth=3
	s_and_not1_saveexec_b32 s74, s74
; %bb.8596:                             ;   in Loop: Header=BB2_8074 Depth=3
	v_cmp_lt_i32_e32 vcc_lo, -1, v46
	v_cndmask_b32_e32 v16, 0xfc, v120, vcc_lo
; %bb.8597:                             ;   in Loop: Header=BB2_8074 Depth=3
	s_or_b32 exec_lo, exec_lo, s74
.LBB2_8598:                             ;   in Loop: Header=BB2_8074 Depth=3
	s_delay_alu instid0(SALU_CYCLE_1) | instskip(SKIP_3) | instid1(VALU_DEP_2)
	s_or_b32 exec_lo, exec_lo, s14
	v_lshrrev_b16 v44, 8, v30
	v_mov_b32_e32 v46, 0
	s_mov_b32 s14, exec_lo
	v_cmpx_ne_u16_e32 0, v44
	s_cbranch_execz .LBB2_8608
; %bb.8599:                             ;   in Loop: Header=BB2_8074 Depth=3
	v_bfrev_b32_e32 v46, 1
	s_mov_b32 s74, exec_lo
	v_cmpx_ne_u16_e32 0x80, v44
	s_cbranch_execz .LBB2_8607
; %bb.8600:                             ;   in Loop: Header=BB2_8074 Depth=3
	v_and_b32_e32 v47, 0xffff, v44
	s_mov_b32 s75, exec_lo
                                        ; implicit-def: $vgpr46
	s_delay_alu instid0(VALU_DEP_1) | instskip(SKIP_1) | instid1(VALU_DEP_2)
	v_and_b32_e32 v18, 0x7c, v47
	v_and_b32_e32 v45, 3, v47
	v_cmpx_ne_u32_e32 0x7c, v18
	s_xor_b32 s75, exec_lo, s75
	s_cbranch_execz .LBB2_8604
; %bb.8601:                             ;   in Loop: Header=BB2_8074 Depth=3
	v_bfe_u32 v46, v47, 2, 5
	s_mov_b32 s76, exec_lo
	s_delay_alu instid0(VALU_DEP_1)
	v_cmpx_eq_u32_e32 0, v46
	s_cbranch_execz .LBB2_8603
; %bb.8602:                             ;   in Loop: Header=BB2_8074 Depth=3
	v_clz_i32_u32_e32 v18, v45
	s_delay_alu instid0(VALU_DEP_1) | instskip(SKIP_1) | instid1(VALU_DEP_2)
	v_min_u32_e32 v46, 32, v18
	v_mov_b32_e32 v45, v3
	v_subrev_nc_u32_e32 v18, 29, v46
	v_sub_nc_u32_e32 v46, 30, v46
	s_delay_alu instid0(VALU_DEP_2) | instskip(NEXT) | instid1(VALU_DEP_1)
	v_lshlrev_b64_e32 v[18:19], v18, v[44:45]
	v_and_b32_e32 v45, 3, v18
.LBB2_8603:                             ;   in Loop: Header=BB2_8074 Depth=3
	s_or_b32 exec_lo, exec_lo, s76
	v_lshlrev_b32_e32 v18, 16, v30
                                        ; implicit-def: $vgpr30
	s_delay_alu instid0(VALU_DEP_1) | instskip(NEXT) | instid1(VALU_DEP_1)
	v_and_b32_e32 v18, 0x80000000, v18
	v_lshl_add_u32 v18, v46, 23, v18
	s_delay_alu instid0(VALU_DEP_1) | instskip(NEXT) | instid1(VALU_DEP_1)
	v_lshl_or_b32 v18, v45, 21, v18
                                        ; implicit-def: $vgpr45
	v_add_nc_u32_e32 v46, 0x38000000, v18
.LBB2_8604:                             ;   in Loop: Header=BB2_8074 Depth=3
	s_and_not1_saveexec_b32 s75, s75
; %bb.8605:                             ;   in Loop: Header=BB2_8074 Depth=3
	v_cmp_lt_i16_e32 vcc_lo, -1, v30
	v_cndmask_b32_e32 v18, 0xff800000, v111, vcc_lo
	v_cmp_eq_u32_e32 vcc_lo, 0, v45
	s_delay_alu instid0(VALU_DEP_2)
	v_cndmask_b32_e32 v46, 0x7f800001, v18, vcc_lo
; %bb.8606:                             ;   in Loop: Header=BB2_8074 Depth=3
	s_or_b32 exec_lo, exec_lo, s75
.LBB2_8607:                             ;   in Loop: Header=BB2_8074 Depth=3
	s_delay_alu instid0(SALU_CYCLE_1)
	s_or_b32 exec_lo, exec_lo, s74
.LBB2_8608:                             ;   in Loop: Header=BB2_8074 Depth=3
	s_delay_alu instid0(SALU_CYCLE_1) | instskip(SKIP_3) | instid1(VALU_DEP_1)
	s_or_b32 exec_lo, exec_lo, s14
	v_lshrrev_b16 v44, 8, v8
	s_mov_b32 s74, 0
	s_mov_b32 s14, exec_lo
	v_cmpx_lt_i16_e32 0x7f, v44
	s_xor_b32 s14, exec_lo, s14
	s_cbranch_execz .LBB2_9115
; %bb.8609:                             ;   in Loop: Header=BB2_8074 Depth=3
	s_mov_b32 s74, -1
	s_mov_b32 s75, exec_lo
	v_cmpx_eq_u16_e32 0x80, v44
; %bb.8610:                             ;   in Loop: Header=BB2_8074 Depth=3
	s_xor_b32 s74, exec_lo, -1
; %bb.8611:                             ;   in Loop: Header=BB2_8074 Depth=3
	s_or_b32 exec_lo, exec_lo, s75
	s_delay_alu instid0(SALU_CYCLE_1)
	s_and_b32 s74, s74, exec_lo
	s_or_saveexec_b32 s14, s14
	v_bfrev_b32_e32 v30, 1
	s_xor_b32 exec_lo, exec_lo, s14
	s_cbranch_execnz .LBB2_9116
.LBB2_8612:                             ;   in Loop: Header=BB2_8074 Depth=3
	s_or_b32 exec_lo, exec_lo, s14
	s_and_saveexec_b32 s14, s74
	s_cbranch_execz .LBB2_8614
.LBB2_8613:                             ;   in Loop: Header=BB2_8074 Depth=3
	v_and_b32_e32 v30, 0xffff, v44
	s_delay_alu instid0(VALU_DEP_1) | instskip(NEXT) | instid1(VALU_DEP_1)
	v_dual_mov_b32 v45, v3 :: v_dual_bitop2_b32 v47, 3, v30 bitop3:0x40
	v_clz_i32_u32_e32 v18, v47
	s_delay_alu instid0(VALU_DEP_1) | instskip(NEXT) | instid1(VALU_DEP_1)
	v_min_u32_e32 v60, 32, v18
	v_subrev_nc_u32_e32 v18, 29, v60
	s_delay_alu instid0(VALU_DEP_1) | instskip(SKIP_2) | instid1(VALU_DEP_1)
	v_lshlrev_b64_e32 v[18:19], v18, v[44:45]
	v_lshlrev_b32_e32 v19, 24, v44
	v_bfe_u32 v44, v30, 2, 5
	v_cmp_eq_u32_e32 vcc_lo, 0, v44
	s_delay_alu instid0(VALU_DEP_4) | instskip(NEXT) | instid1(VALU_DEP_4)
	v_dual_sub_nc_u32 v45, 30, v60 :: v_dual_bitop2_b32 v18, 3, v18 bitop3:0x40
	v_and_b32_e32 v19, 0x80000000, v19
	s_delay_alu instid0(VALU_DEP_2) | instskip(SKIP_1) | instid1(VALU_DEP_2)
	v_dual_cndmask_b32 v18, v47, v18, vcc_lo :: v_dual_cndmask_b32 v44, v44, v45, vcc_lo
	v_cmp_lt_i16_e32 vcc_lo, -1, v8
	v_lshl_add_u32 v19, v44, 23, v19
	v_cndmask_b32_e32 v44, 0xff800000, v111, vcc_lo
	v_cmp_eq_u32_e32 vcc_lo, 0, v47
	s_delay_alu instid0(VALU_DEP_3) | instskip(SKIP_1) | instid1(VALU_DEP_4)
	v_lshl_or_b32 v18, v18, 21, v19
	v_and_b32_e32 v19, 0x7c, v30
	v_cndmask_b32_e32 v30, 0x7f800001, v44, vcc_lo
	s_delay_alu instid0(VALU_DEP_3) | instskip(NEXT) | instid1(VALU_DEP_3)
	v_add_nc_u32_e32 v18, 0x38000000, v18
	v_cmp_eq_u32_e32 vcc_lo, 0x7c, v19
	s_delay_alu instid0(VALU_DEP_2)
	v_cndmask_b32_e32 v30, v18, v30, vcc_lo
.LBB2_8614:                             ;   in Loop: Header=BB2_8074 Depth=3
	s_or_b32 exec_lo, exec_lo, s14
	s_delay_alu instid0(VALU_DEP_1) | instskip(SKIP_2) | instid1(VALU_DEP_2)
	v_dual_add_f32 v46, v46, v30 :: v_dual_mov_b32 v19, v3
	v_mov_b32_e32 v45, v3
                                        ; implicit-def: $vgpr60
	s_mov_b32 s14, exec_lo
	v_and_b32_e32 v18, 0x7f800000, v46
	v_and_b32_e32 v44, 0x7fffff, v46
	v_lshrrev_b32_e32 v30, 24, v46
	s_delay_alu instid0(VALU_DEP_3)
	v_cmpx_ne_u64_e32 0x7f800000, v[18:19]
	s_xor_b32 s74, exec_lo, s14
	s_cbranch_execz .LBB2_8628
; %bb.8615:                             ;   in Loop: Header=BB2_8074 Depth=3
	v_and_b32_e32 v18, 0x7fffffff, v46
	v_mov_b32_e32 v19, v3
	v_and_b32_e32 v30, 0x80, v30
                                        ; implicit-def: $vgpr60
	s_mov_b32 s14, exec_lo
	s_delay_alu instid0(VALU_DEP_2)
	v_cmpx_gt_u64_e32 0x47600001, v[18:19]
	s_xor_b32 s75, exec_lo, s14
	s_cbranch_execz .LBB2_8625
; %bb.8616:                             ;   in Loop: Header=BB2_8074 Depth=3
	v_mov_b32_e32 v60, 0
	s_mov_b32 s76, exec_lo
	v_cmpx_ne_u32_e32 0, v46
	s_cbranch_execz .LBB2_8624
; %bb.8617:                             ;   in Loop: Header=BB2_8074 Depth=3
	v_bfe_u32 v60, v46, 23, 8
	v_or_b32_e32 v46, 0x800000, v44
	s_delay_alu instid0(VALU_DEP_2) | instskip(SKIP_1) | instid1(VALU_DEP_2)
	v_sub_nc_u32_e32 v18, 0x71, v60
	v_cmp_gt_u32_e32 vcc_lo, 0x72, v60
	v_cndmask_b32_e32 v18, 0, v18, vcc_lo
	v_cmp_eq_u32_e32 vcc_lo, 0, v60
	s_delay_alu instid0(VALU_DEP_2) | instskip(SKIP_1) | instid1(VALU_DEP_2)
	v_cndmask_b32_e64 v72, v18, 0x70, vcc_lo
	v_cndmask_b32_e32 v44, v46, v44, vcc_lo
	v_dual_add_nc_u32 v18, 21, v72 :: v_dual_add_nc_u32 v47, 20, v72
	s_delay_alu instid0(VALU_DEP_1) | instskip(NEXT) | instid1(VALU_DEP_2)
	v_lshlrev_b64_e64 v[18:19], v18, -1
	v_lshlrev_b64_e64 v[46:47], v47, 1
	s_delay_alu instid0(VALU_DEP_2) | instskip(SKIP_1) | instid1(VALU_DEP_4)
	v_bfi_b32 v18, v18, 0, v44
	v_lshrrev_b64 v[44:45], v72, v[44:45]
	v_bfi_b32 v19, v19, 0, 0
	s_delay_alu instid0(VALU_DEP_1) | instskip(NEXT) | instid1(VALU_DEP_3)
	v_cmp_eq_u64_e64 s14, v[18:19], v[46:47]
	v_mov_b64_e32 v[46:47], v[44:45]
	s_and_saveexec_b32 s77, s14
; %bb.8618:                             ;   in Loop: Header=BB2_8074 Depth=3
	v_bfe_u32 v18, v44, 21, 1
	v_mov_b32_e32 v19, v3
	s_delay_alu instid0(VALU_DEP_1) | instskip(NEXT) | instid1(VALU_DEP_1)
	v_add_nc_u64_e32 v[18:19], v[44:45], v[18:19]
	v_add_nc_u64_e32 v[46:47], -1, v[18:19]
; %bb.8619:                             ;   in Loop: Header=BB2_8074 Depth=3
	s_or_b32 exec_lo, exec_lo, s77
	v_dual_mov_b32 v45, v3 :: v_dual_add_nc_u32 v18, 0xffffff81, v60
	v_lshrrev_b32_e32 v19, 23, v44
	s_mov_b32 s14, exec_lo
	s_delay_alu instid0(VALU_DEP_2) | instskip(NEXT) | instid1(VALU_DEP_1)
	v_cndmask_b32_e64 v18, v18, 0xffffff82, vcc_lo
	v_add3_u32 v47, v72, v18, v19
	v_and_b32_e32 v18, 0x1fffff, v46
                                        ; implicit-def: $vgpr46
	s_delay_alu instid0(VALU_DEP_1) | instskip(NEXT) | instid1(VALU_DEP_1)
	v_dual_add_nc_u32 v60, 14, v47 :: v_dual_add_nc_u32 v44, v18, v44
	v_cmpx_ne_u32_e32 0, v60
	s_xor_b32 s14, exec_lo, s14
; %bb.8620:                             ;   in Loop: Header=BB2_8074 Depth=3
	s_delay_alu instid0(VALU_DEP_2) | instskip(SKIP_1) | instid1(VALU_DEP_1)
	v_cmp_lt_u64_e32 vcc_lo, 0xffffff, v[44:45]
	v_add_nc_u32_e32 v18, 15, v47
	v_cndmask_b32_e32 v46, v60, v18, vcc_lo
	v_cndmask_b32_e64 v18, 0, 1, vcc_lo
	s_delay_alu instid0(VALU_DEP_1)
	v_lshrrev_b64 v[44:45], v18, v[44:45]
; %bb.8621:                             ;   in Loop: Header=BB2_8074 Depth=3
	s_and_not1_saveexec_b32 s14, s14
; %bb.8622:                             ;   in Loop: Header=BB2_8074 Depth=3
	s_delay_alu instid0(VALU_DEP_1)
	v_bfe_u32 v46, v44, 23, 1
; %bb.8623:                             ;   in Loop: Header=BB2_8074 Depth=3
	s_or_b32 exec_lo, exec_lo, s14
	s_delay_alu instid0(VALU_DEP_2) | instskip(NEXT) | instid1(VALU_DEP_2)
	v_lshrrev_b64 v[18:19], 21, v[44:45]
	v_cmp_gt_i32_e32 vcc_lo, 32, v46
	v_min_i32_e32 v44, 31, v46
	v_cmp_eq_u32_e64 s14, 0, v46
	s_delay_alu instid0(VALU_DEP_2) | instskip(SKIP_1) | instid1(VALU_DEP_2)
	v_dual_cndmask_b32 v19, 0, v19 :: v_dual_lshlrev_b32 v44, 2, v44
	v_cndmask_b32_e32 v18, 3, v18, vcc_lo
	v_and_b32_e32 v44, 0xfc, v44
	s_delay_alu instid0(VALU_DEP_2) | instskip(NEXT) | instid1(VALU_DEP_2)
	v_cmp_eq_u64_e32 vcc_lo, 0, v[18:19]
	v_and_or_b32 v18, v18, 3, v44
	s_and_b32 s14, s14, vcc_lo
	s_delay_alu instid0(VALU_DEP_1) | instid1(SALU_CYCLE_1)
	v_cndmask_b32_e64 v18, v18, 0, s14
	s_delay_alu instid0(VALU_DEP_1)
	v_or_b32_e32 v60, v18, v30
.LBB2_8624:                             ;   in Loop: Header=BB2_8074 Depth=3
	s_or_b32 exec_lo, exec_lo, s76
                                        ; implicit-def: $vgpr30
.LBB2_8625:                             ;   in Loop: Header=BB2_8074 Depth=3
	s_and_not1_saveexec_b32 s14, s75
; %bb.8626:                             ;   in Loop: Header=BB2_8074 Depth=3
	v_or_b32_e32 v60, 0x7b, v30
; %bb.8627:                             ;   in Loop: Header=BB2_8074 Depth=3
	s_or_b32 exec_lo, exec_lo, s14
                                        ; implicit-def: $vgpr46
                                        ; implicit-def: $vgpr44_vgpr45
                                        ; implicit-def: $vgpr30
.LBB2_8628:                             ;   in Loop: Header=BB2_8074 Depth=3
	s_and_not1_saveexec_b32 s14, s74
	s_cbranch_execz .LBB2_8634
; %bb.8629:                             ;   in Loop: Header=BB2_8074 Depth=3
	s_mov_b32 s74, exec_lo
                                        ; implicit-def: $vgpr60
	v_cmpx_ne_u64_e32 0, v[44:45]
	s_xor_b32 s74, exec_lo, s74
; %bb.8630:                             ;   in Loop: Header=BB2_8074 Depth=3
	v_or_b32_e32 v60, 0x7f, v30
                                        ; implicit-def: $vgpr46
; %bb.8631:                             ;   in Loop: Header=BB2_8074 Depth=3
	s_and_not1_saveexec_b32 s74, s74
; %bb.8632:                             ;   in Loop: Header=BB2_8074 Depth=3
	v_cmp_lt_i32_e32 vcc_lo, -1, v46
	v_cndmask_b32_e32 v60, 0xfc, v120, vcc_lo
; %bb.8633:                             ;   in Loop: Header=BB2_8074 Depth=3
	s_or_b32 exec_lo, exec_lo, s74
.LBB2_8634:                             ;   in Loop: Header=BB2_8074 Depth=3
	s_delay_alu instid0(SALU_CYCLE_1) | instskip(SKIP_2) | instid1(VALU_DEP_1)
	s_or_b32 exec_lo, exec_lo, s14
	v_dual_lshrrev_b32 v30, 16, v2 :: v_dual_mov_b32 v44, 0
	s_mov_b32 s14, exec_lo
	v_and_b32_e32 v45, 0xff, v30
	s_delay_alu instid0(VALU_DEP_1)
	v_cmpx_ne_u16_e32 0, v45
	s_cbranch_execz .LBB2_8644
; %bb.8635:                             ;   in Loop: Header=BB2_8074 Depth=3
	v_bfrev_b32_e32 v44, 1
	s_mov_b32 s74, exec_lo
	v_cmpx_ne_u16_e32 0x80, v45
	s_cbranch_execz .LBB2_8643
; %bb.8636:                             ;   in Loop: Header=BB2_8074 Depth=3
	v_and_b32_e32 v18, 0x7c0000, v2
	v_bfe_u32 v45, v2, 16, 2
	s_mov_b32 s75, exec_lo
                                        ; implicit-def: $vgpr44
	s_delay_alu instid0(VALU_DEP_2)
	v_cmpx_ne_u32_e32 0x7c0000, v18
	s_xor_b32 s75, exec_lo, s75
	s_cbranch_execz .LBB2_8640
; %bb.8637:                             ;   in Loop: Header=BB2_8074 Depth=3
	v_bfe_u32 v44, v2, 18, 5
	v_lshrrev_b32_e32 v30, 16, v2
	s_mov_b32 s76, exec_lo
	s_delay_alu instid0(VALU_DEP_2)
	v_cmpx_eq_u32_e32 0, v44
; %bb.8638:                             ;   in Loop: Header=BB2_8074 Depth=3
	v_clz_i32_u32_e32 v18, v45
	s_delay_alu instid0(VALU_DEP_1) | instskip(NEXT) | instid1(VALU_DEP_1)
	v_min_u32_e32 v44, 32, v18
	v_subrev_nc_u32_e32 v18, 29, v44
	s_delay_alu instid0(VALU_DEP_1) | instskip(NEXT) | instid1(VALU_DEP_1)
	v_lshlrev_b64_e32 v[18:19], v18, v[30:31]
	v_dual_sub_nc_u32 v44, 30, v44 :: v_dual_bitop2_b32 v45, 3, v18 bitop3:0x40
; %bb.8639:                             ;   in Loop: Header=BB2_8074 Depth=3
	s_or_b32 exec_lo, exec_lo, s76
	v_lshlrev_b32_e32 v18, 24, v30
                                        ; implicit-def: $vgpr30
	s_delay_alu instid0(VALU_DEP_1) | instskip(NEXT) | instid1(VALU_DEP_1)
	v_and_b32_e32 v18, 0x80000000, v18
	v_lshl_add_u32 v18, v44, 23, v18
	s_delay_alu instid0(VALU_DEP_1) | instskip(NEXT) | instid1(VALU_DEP_1)
	v_lshl_or_b32 v18, v45, 21, v18
                                        ; implicit-def: $vgpr45
	v_add_nc_u32_e32 v44, 0x38000000, v18
.LBB2_8640:                             ;   in Loop: Header=BB2_8074 Depth=3
	s_and_not1_saveexec_b32 s75, s75
; %bb.8641:                             ;   in Loop: Header=BB2_8074 Depth=3
	v_bfe_i32 v18, v30, 0, 8
	s_delay_alu instid0(VALU_DEP_1) | instskip(SKIP_2) | instid1(VALU_DEP_2)
	v_cmp_lt_i16_e32 vcc_lo, -1, v18
	v_cndmask_b32_e32 v18, 0xff800000, v111, vcc_lo
	v_cmp_eq_u32_e32 vcc_lo, 0, v45
	v_cndmask_b32_e32 v44, 0x7f800001, v18, vcc_lo
; %bb.8642:                             ;   in Loop: Header=BB2_8074 Depth=3
	s_or_b32 exec_lo, exec_lo, s75
.LBB2_8643:                             ;   in Loop: Header=BB2_8074 Depth=3
	s_delay_alu instid0(SALU_CYCLE_1)
	s_or_b32 exec_lo, exec_lo, s74
.LBB2_8644:                             ;   in Loop: Header=BB2_8074 Depth=3
	s_delay_alu instid0(SALU_CYCLE_1) | instskip(SKIP_3) | instid1(VALU_DEP_1)
	s_or_b32 exec_lo, exec_lo, s14
	v_lshrrev_b32_e32 v30, 16, v8
	s_mov_b32 s74, 0
	s_mov_b32 s14, exec_lo
	v_and_b32_e32 v46, 0xff, v30
	s_delay_alu instid0(VALU_DEP_1)
	v_cmpx_lt_i16_e32 0x7f, v46
	s_xor_b32 s14, exec_lo, s14
	s_cbranch_execz .LBB2_9117
; %bb.8645:                             ;   in Loop: Header=BB2_8074 Depth=3
	s_mov_b32 s74, -1
	s_mov_b32 s75, exec_lo
	v_cmpx_eq_u16_e32 0x80, v46
; %bb.8646:                             ;   in Loop: Header=BB2_8074 Depth=3
	s_xor_b32 s74, exec_lo, -1
; %bb.8647:                             ;   in Loop: Header=BB2_8074 Depth=3
	s_or_b32 exec_lo, exec_lo, s75
	s_delay_alu instid0(SALU_CYCLE_1)
	s_and_b32 s74, s74, exec_lo
                                        ; implicit-def: $vgpr46
	s_or_saveexec_b32 s14, s14
	v_bfrev_b32_e32 v45, 1
	s_xor_b32 exec_lo, exec_lo, s14
	s_cbranch_execnz .LBB2_9118
.LBB2_8648:                             ;   in Loop: Header=BB2_8074 Depth=3
	s_or_b32 exec_lo, exec_lo, s14
	s_and_saveexec_b32 s14, s74
	s_cbranch_execz .LBB2_8650
.LBB2_8649:                             ;   in Loop: Header=BB2_8074 Depth=3
	v_and_b32_e32 v45, 3, v30
	v_bfe_u32 v47, v8, 18, 5
	s_delay_alu instid0(VALU_DEP_2) | instskip(NEXT) | instid1(VALU_DEP_2)
	v_clz_i32_u32_e32 v18, v45
	v_cmp_eq_u32_e32 vcc_lo, 0, v47
	s_delay_alu instid0(VALU_DEP_2) | instskip(NEXT) | instid1(VALU_DEP_1)
	v_min_u32_e32 v46, 32, v18
	v_subrev_nc_u32_e32 v18, 29, v46
	v_sub_nc_u32_e32 v46, 30, v46
	s_delay_alu instid0(VALU_DEP_2) | instskip(SKIP_1) | instid1(VALU_DEP_3)
	v_lshlrev_b64_e32 v[18:19], v18, v[30:31]
	v_lshlrev_b32_e32 v19, 24, v30
	v_cndmask_b32_e32 v46, v47, v46, vcc_lo
	v_bfe_i32 v30, v30, 0, 8
	s_delay_alu instid0(VALU_DEP_3) | instskip(SKIP_1) | instid1(VALU_DEP_2)
	v_and_b32_e32 v19, 0x80000000, v19
	v_and_b32_e32 v18, 3, v18
	v_lshl_add_u32 v19, v46, 23, v19
	s_delay_alu instid0(VALU_DEP_2) | instskip(SKIP_1) | instid1(VALU_DEP_2)
	v_cndmask_b32_e32 v18, v45, v18, vcc_lo
	v_cmp_lt_i16_e32 vcc_lo, -1, v30
	v_lshl_or_b32 v18, v18, 21, v19
	v_cndmask_b32_e32 v30, 0xff800000, v111, vcc_lo
	v_and_b32_e32 v19, 0x7c0000, v8
	v_cmp_eq_u32_e32 vcc_lo, 0, v45
	s_delay_alu instid0(VALU_DEP_4) | instskip(NEXT) | instid1(VALU_DEP_4)
	v_add_nc_u32_e32 v18, 0x38000000, v18
	v_cndmask_b32_e32 v30, 0x7f800001, v30, vcc_lo
	s_delay_alu instid0(VALU_DEP_4) | instskip(NEXT) | instid1(VALU_DEP_2)
	v_cmp_eq_u32_e32 vcc_lo, 0x7c0000, v19
	v_cndmask_b32_e32 v45, v18, v30, vcc_lo
.LBB2_8650:                             ;   in Loop: Header=BB2_8074 Depth=3
	s_or_b32 exec_lo, exec_lo, s14
	s_delay_alu instid0(VALU_DEP_1) | instskip(SKIP_2) | instid1(VALU_DEP_2)
	v_dual_add_f32 v46, v44, v45 :: v_dual_mov_b32 v19, v3
	v_mov_b32_e32 v45, v3
                                        ; implicit-def: $vgpr72
	s_mov_b32 s14, exec_lo
	v_and_b32_e32 v18, 0x7f800000, v46
	v_and_b32_e32 v44, 0x7fffff, v46
	v_lshrrev_b32_e32 v30, 24, v46
	s_delay_alu instid0(VALU_DEP_3)
	v_cmpx_ne_u64_e32 0x7f800000, v[18:19]
	s_xor_b32 s74, exec_lo, s14
	s_cbranch_execz .LBB2_8664
; %bb.8651:                             ;   in Loop: Header=BB2_8074 Depth=3
	v_and_b32_e32 v18, 0x7fffffff, v46
	v_mov_b32_e32 v19, v3
	v_and_b32_e32 v30, 0x80, v30
                                        ; implicit-def: $vgpr72
	s_mov_b32 s14, exec_lo
	s_delay_alu instid0(VALU_DEP_2)
	v_cmpx_gt_u64_e32 0x47600001, v[18:19]
	s_xor_b32 s75, exec_lo, s14
	s_cbranch_execz .LBB2_8661
; %bb.8652:                             ;   in Loop: Header=BB2_8074 Depth=3
	v_mov_b32_e32 v72, 0
	s_mov_b32 s76, exec_lo
	v_cmpx_ne_u32_e32 0, v46
	s_cbranch_execz .LBB2_8660
; %bb.8653:                             ;   in Loop: Header=BB2_8074 Depth=3
	v_bfe_u32 v72, v46, 23, 8
	v_or_b32_e32 v46, 0x800000, v44
	s_delay_alu instid0(VALU_DEP_2) | instskip(SKIP_1) | instid1(VALU_DEP_2)
	v_sub_nc_u32_e32 v18, 0x71, v72
	v_cmp_gt_u32_e32 vcc_lo, 0x72, v72
	v_cndmask_b32_e32 v18, 0, v18, vcc_lo
	v_cmp_eq_u32_e32 vcc_lo, 0, v72
	s_delay_alu instid0(VALU_DEP_2) | instskip(NEXT) | instid1(VALU_DEP_1)
	v_cndmask_b32_e64 v75, v18, 0x70, vcc_lo
	v_dual_cndmask_b32 v44, v46, v44, vcc_lo :: v_dual_add_nc_u32 v18, 21, v75
	v_add_nc_u32_e32 v47, 20, v75
	s_delay_alu instid0(VALU_DEP_2) | instskip(NEXT) | instid1(VALU_DEP_2)
	v_lshlrev_b64_e64 v[18:19], v18, -1
	v_lshlrev_b64_e64 v[46:47], v47, 1
	s_delay_alu instid0(VALU_DEP_2) | instskip(SKIP_1) | instid1(VALU_DEP_4)
	v_bfi_b32 v18, v18, 0, v44
	v_lshrrev_b64 v[44:45], v75, v[44:45]
	v_bfi_b32 v19, v19, 0, 0
	s_delay_alu instid0(VALU_DEP_1) | instskip(NEXT) | instid1(VALU_DEP_3)
	v_cmp_eq_u64_e64 s14, v[18:19], v[46:47]
	v_mov_b64_e32 v[46:47], v[44:45]
	s_and_saveexec_b32 s77, s14
; %bb.8654:                             ;   in Loop: Header=BB2_8074 Depth=3
	v_bfe_u32 v18, v44, 21, 1
	v_mov_b32_e32 v19, v3
	s_delay_alu instid0(VALU_DEP_1) | instskip(NEXT) | instid1(VALU_DEP_1)
	v_add_nc_u64_e32 v[18:19], v[44:45], v[18:19]
	v_add_nc_u64_e32 v[46:47], -1, v[18:19]
; %bb.8655:                             ;   in Loop: Header=BB2_8074 Depth=3
	s_or_b32 exec_lo, exec_lo, s77
	v_dual_mov_b32 v45, v3 :: v_dual_add_nc_u32 v18, 0xffffff81, v72
	v_lshrrev_b32_e32 v19, 23, v44
	s_mov_b32 s14, exec_lo
	s_delay_alu instid0(VALU_DEP_2) | instskip(NEXT) | instid1(VALU_DEP_1)
	v_cndmask_b32_e64 v18, v18, 0xffffff82, vcc_lo
	v_add3_u32 v47, v75, v18, v19
	v_and_b32_e32 v18, 0x1fffff, v46
                                        ; implicit-def: $vgpr46
	s_delay_alu instid0(VALU_DEP_1) | instskip(NEXT) | instid1(VALU_DEP_1)
	v_dual_add_nc_u32 v72, 14, v47 :: v_dual_add_nc_u32 v44, v18, v44
	v_cmpx_ne_u32_e32 0, v72
	s_xor_b32 s14, exec_lo, s14
; %bb.8656:                             ;   in Loop: Header=BB2_8074 Depth=3
	s_delay_alu instid0(VALU_DEP_2) | instskip(SKIP_1) | instid1(VALU_DEP_1)
	v_cmp_lt_u64_e32 vcc_lo, 0xffffff, v[44:45]
	v_add_nc_u32_e32 v18, 15, v47
	v_cndmask_b32_e32 v46, v72, v18, vcc_lo
	v_cndmask_b32_e64 v18, 0, 1, vcc_lo
	s_delay_alu instid0(VALU_DEP_1)
	v_lshrrev_b64 v[44:45], v18, v[44:45]
; %bb.8657:                             ;   in Loop: Header=BB2_8074 Depth=3
	s_and_not1_saveexec_b32 s14, s14
; %bb.8658:                             ;   in Loop: Header=BB2_8074 Depth=3
	s_delay_alu instid0(VALU_DEP_1)
	v_bfe_u32 v46, v44, 23, 1
; %bb.8659:                             ;   in Loop: Header=BB2_8074 Depth=3
	s_or_b32 exec_lo, exec_lo, s14
	s_delay_alu instid0(VALU_DEP_2) | instskip(NEXT) | instid1(VALU_DEP_2)
	v_lshrrev_b64 v[18:19], 21, v[44:45]
	v_cmp_gt_i32_e32 vcc_lo, 32, v46
	v_min_i32_e32 v44, 31, v46
	v_cmp_eq_u32_e64 s14, 0, v46
	s_delay_alu instid0(VALU_DEP_2) | instskip(SKIP_1) | instid1(VALU_DEP_2)
	v_dual_cndmask_b32 v19, 0, v19 :: v_dual_lshlrev_b32 v44, 2, v44
	v_cndmask_b32_e32 v18, 3, v18, vcc_lo
	v_and_b32_e32 v44, 0xfc, v44
	s_delay_alu instid0(VALU_DEP_2) | instskip(NEXT) | instid1(VALU_DEP_2)
	v_cmp_eq_u64_e32 vcc_lo, 0, v[18:19]
	v_and_or_b32 v18, v18, 3, v44
	s_and_b32 s14, s14, vcc_lo
	s_delay_alu instid0(VALU_DEP_1) | instid1(SALU_CYCLE_1)
	v_cndmask_b32_e64 v18, v18, 0, s14
	s_delay_alu instid0(VALU_DEP_1)
	v_or_b32_e32 v72, v18, v30
.LBB2_8660:                             ;   in Loop: Header=BB2_8074 Depth=3
	s_or_b32 exec_lo, exec_lo, s76
                                        ; implicit-def: $vgpr30
.LBB2_8661:                             ;   in Loop: Header=BB2_8074 Depth=3
	s_and_not1_saveexec_b32 s14, s75
; %bb.8662:                             ;   in Loop: Header=BB2_8074 Depth=3
	v_or_b32_e32 v72, 0x7b, v30
; %bb.8663:                             ;   in Loop: Header=BB2_8074 Depth=3
	s_or_b32 exec_lo, exec_lo, s14
                                        ; implicit-def: $vgpr46
                                        ; implicit-def: $vgpr44_vgpr45
                                        ; implicit-def: $vgpr30
.LBB2_8664:                             ;   in Loop: Header=BB2_8074 Depth=3
	s_and_not1_saveexec_b32 s14, s74
	s_cbranch_execz .LBB2_8670
; %bb.8665:                             ;   in Loop: Header=BB2_8074 Depth=3
	s_mov_b32 s74, exec_lo
                                        ; implicit-def: $vgpr72
	v_cmpx_ne_u64_e32 0, v[44:45]
	s_xor_b32 s74, exec_lo, s74
; %bb.8666:                             ;   in Loop: Header=BB2_8074 Depth=3
	v_or_b32_e32 v72, 0x7f, v30
                                        ; implicit-def: $vgpr46
; %bb.8667:                             ;   in Loop: Header=BB2_8074 Depth=3
	s_and_not1_saveexec_b32 s74, s74
; %bb.8668:                             ;   in Loop: Header=BB2_8074 Depth=3
	v_cmp_lt_i32_e32 vcc_lo, -1, v46
	v_cndmask_b32_e32 v72, 0xfc, v120, vcc_lo
; %bb.8669:                             ;   in Loop: Header=BB2_8074 Depth=3
	s_or_b32 exec_lo, exec_lo, s74
.LBB2_8670:                             ;   in Loop: Header=BB2_8074 Depth=3
	s_delay_alu instid0(SALU_CYCLE_1)
	s_or_b32 exec_lo, exec_lo, s14
	v_mov_b32_e32 v44, 0
	s_mov_b32 s14, exec_lo
	v_cmpx_lt_u32_e32 0xffffff, v2
	s_cbranch_execz .LBB2_8680
; %bb.8671:                             ;   in Loop: Header=BB2_8074 Depth=3
	v_lshrrev_b32_e32 v30, 24, v2
	v_bfrev_b32_e32 v44, 1
	s_mov_b32 s74, exec_lo
	s_delay_alu instid0(VALU_DEP_2)
	v_cmpx_ne_u32_e32 0x80, v30
	s_cbranch_execz .LBB2_8679
; %bb.8672:                             ;   in Loop: Header=BB2_8074 Depth=3
	v_and_b32_e32 v18, 0x7c000000, v2
	v_bfe_u32 v45, v2, 24, 2
	s_mov_b32 s75, exec_lo
                                        ; implicit-def: $vgpr44
	s_delay_alu instid0(VALU_DEP_2)
	v_cmpx_ne_u32_e32 0x7c000000, v18
	s_xor_b32 s75, exec_lo, s75
	s_cbranch_execz .LBB2_8676
; %bb.8673:                             ;   in Loop: Header=BB2_8074 Depth=3
	v_bfe_u32 v44, v2, 26, 5
	s_mov_b32 s76, exec_lo
	s_delay_alu instid0(VALU_DEP_1)
	v_cmpx_eq_u32_e32 0, v44
; %bb.8674:                             ;   in Loop: Header=BB2_8074 Depth=3
	v_clz_i32_u32_e32 v18, v45
	s_delay_alu instid0(VALU_DEP_1) | instskip(NEXT) | instid1(VALU_DEP_1)
	v_min_u32_e32 v44, 32, v18
	v_subrev_nc_u32_e32 v18, 29, v44
	s_delay_alu instid0(VALU_DEP_1) | instskip(NEXT) | instid1(VALU_DEP_1)
	v_lshlrev_b64_e32 v[18:19], v18, v[30:31]
	v_dual_sub_nc_u32 v44, 30, v44 :: v_dual_bitop2_b32 v45, 3, v18 bitop3:0x40
; %bb.8675:                             ;   in Loop: Header=BB2_8074 Depth=3
	s_or_b32 exec_lo, exec_lo, s76
	v_and_b32_e32 v2, 0x80000000, v2
	s_delay_alu instid0(VALU_DEP_1) | instskip(NEXT) | instid1(VALU_DEP_1)
	v_lshl_add_u32 v2, v44, 23, v2
	v_lshl_or_b32 v2, v45, 21, v2
                                        ; implicit-def: $vgpr45
	s_delay_alu instid0(VALU_DEP_1)
	v_add_nc_u32_e32 v44, 0x38000000, v2
.LBB2_8676:                             ;   in Loop: Header=BB2_8074 Depth=3
	s_and_not1_saveexec_b32 s75, s75
; %bb.8677:                             ;   in Loop: Header=BB2_8074 Depth=3
	v_cmp_lt_i32_e32 vcc_lo, -1, v2
	v_cndmask_b32_e32 v2, 0xff800000, v111, vcc_lo
	v_cmp_eq_u32_e32 vcc_lo, 0, v45
	s_delay_alu instid0(VALU_DEP_2)
	v_cndmask_b32_e32 v44, 0x7f800001, v2, vcc_lo
; %bb.8678:                             ;   in Loop: Header=BB2_8074 Depth=3
	s_or_b32 exec_lo, exec_lo, s75
.LBB2_8679:                             ;   in Loop: Header=BB2_8074 Depth=3
	s_delay_alu instid0(SALU_CYCLE_1)
	s_or_b32 exec_lo, exec_lo, s74
.LBB2_8680:                             ;   in Loop: Header=BB2_8074 Depth=3
	s_delay_alu instid0(SALU_CYCLE_1) | instskip(SKIP_3) | instid1(VALU_DEP_2)
	s_or_b32 exec_lo, exec_lo, s14
	v_bfe_u32 v30, v8, 24, 2
	v_bfe_u32 v46, v8, 26, 5
                                        ; implicit-def: $vgpr75
	s_mov_b32 s14, exec_lo
	v_clz_i32_u32_e32 v2, v30
	s_delay_alu instid0(VALU_DEP_2) | instskip(NEXT) | instid1(VALU_DEP_2)
	v_cmp_eq_u32_e32 vcc_lo, 0, v46
	v_min_u32_e32 v45, 32, v2
	v_lshrrev_b32_e32 v2, 24, v8
	s_delay_alu instid0(VALU_DEP_2) | instskip(NEXT) | instid1(VALU_DEP_1)
	v_subrev_nc_u32_e32 v18, 29, v45
	v_lshlrev_b64_e32 v[18:19], v18, v[2:3]
	v_sub_nc_u32_e32 v19, 30, v45
	v_and_b32_e32 v45, 0x80000000, v8
	s_delay_alu instid0(VALU_DEP_2) | instskip(NEXT) | instid1(VALU_DEP_1)
	v_dual_cndmask_b32 v19, v46, v19, vcc_lo :: v_dual_bitop2_b32 v18, 3, v18 bitop3:0x40
	v_lshl_add_u32 v19, v19, 23, v45
	s_delay_alu instid0(VALU_DEP_2) | instskip(SKIP_1) | instid1(VALU_DEP_2)
	v_cndmask_b32_e32 v18, v30, v18, vcc_lo
	v_cmp_lt_i32_e32 vcc_lo, -1, v8
	v_lshl_or_b32 v18, v18, 21, v19
	v_cndmask_b32_e32 v45, 0xff800000, v111, vcc_lo
	v_and_b32_e32 v19, 0x7c000000, v8
	v_cmp_eq_u32_e32 vcc_lo, 0, v30
	s_delay_alu instid0(VALU_DEP_4) | instskip(NEXT) | instid1(VALU_DEP_4)
	v_add_nc_u32_e32 v18, 0x38000000, v18
	v_cndmask_b32_e32 v30, 0x7f800001, v45, vcc_lo
	s_delay_alu instid0(VALU_DEP_4) | instskip(NEXT) | instid1(VALU_DEP_2)
	v_cmp_eq_u32_e32 vcc_lo, 0x7c000000, v19
	v_dual_mov_b32 v19, v3 :: v_dual_cndmask_b32 v18, v18, v30
	v_cmp_ne_u32_e32 vcc_lo, 0x80, v2
	s_delay_alu instid0(VALU_DEP_2) | instskip(SKIP_1) | instid1(VALU_DEP_2)
	v_cndmask_b32_e32 v2, 0x80000000, v18, vcc_lo
	v_cmp_lt_u32_e32 vcc_lo, 0xffffff, v8
	v_cndmask_b32_e32 v2, 0, v2, vcc_lo
	s_delay_alu instid0(VALU_DEP_1) | instskip(NEXT) | instid1(VALU_DEP_1)
	v_add_f32_e32 v44, v2, v44
	v_and_b32_e32 v18, 0x7f800000, v44
	v_and_b32_e32 v2, 0x7fffff, v44
	v_lshrrev_b32_e32 v30, 24, v44
	s_delay_alu instid0(VALU_DEP_3)
	v_cmpx_ne_u64_e32 0x7f800000, v[18:19]
	s_xor_b32 s74, exec_lo, s14
	s_cbranch_execz .LBB2_8694
; %bb.8681:                             ;   in Loop: Header=BB2_8074 Depth=3
	v_and_b32_e32 v18, 0x7fffffff, v44
	v_mov_b32_e32 v19, v3
	v_and_b32_e32 v30, 0x80, v30
                                        ; implicit-def: $vgpr75
	s_mov_b32 s14, exec_lo
	s_delay_alu instid0(VALU_DEP_2)
	v_cmpx_gt_u64_e32 0x47600001, v[18:19]
	s_xor_b32 s75, exec_lo, s14
	s_cbranch_execz .LBB2_8691
; %bb.8682:                             ;   in Loop: Header=BB2_8074 Depth=3
	v_mov_b32_e32 v75, 0
	s_mov_b32 s76, exec_lo
	v_cmpx_ne_u32_e32 0, v44
	s_cbranch_execz .LBB2_8690
; %bb.8683:                             ;   in Loop: Header=BB2_8074 Depth=3
	v_bfe_u32 v75, v44, 23, 8
	v_or_b32_e32 v44, 0x800000, v2
	s_delay_alu instid0(VALU_DEP_2) | instskip(SKIP_1) | instid1(VALU_DEP_2)
	v_dual_mov_b32 v45, v3 :: v_dual_sub_nc_u32 v18, 0x71, v75
	v_cmp_gt_u32_e32 vcc_lo, 0x72, v75
	v_cndmask_b32_e32 v18, 0, v18, vcc_lo
	v_cmp_eq_u32_e32 vcc_lo, 0, v75
	s_delay_alu instid0(VALU_DEP_2) | instskip(NEXT) | instid1(VALU_DEP_1)
	v_cndmask_b32_e64 v89, v18, 0x70, vcc_lo
	v_dual_cndmask_b32 v44, v44, v2, vcc_lo :: v_dual_add_nc_u32 v18, 21, v89
	v_add_nc_u32_e32 v46, 20, v89
	s_delay_alu instid0(VALU_DEP_2) | instskip(NEXT) | instid1(VALU_DEP_2)
	v_lshlrev_b64_e64 v[18:19], v18, -1
	v_lshlrev_b64_e64 v[46:47], v46, 1
	s_delay_alu instid0(VALU_DEP_2) | instskip(SKIP_1) | instid1(VALU_DEP_4)
	v_bfi_b32 v18, v18, 0, v44
	v_lshrrev_b64 v[44:45], v89, v[44:45]
	v_bfi_b32 v19, v19, 0, 0
	s_delay_alu instid0(VALU_DEP_1) | instskip(NEXT) | instid1(VALU_DEP_3)
	v_cmp_eq_u64_e64 s14, v[18:19], v[46:47]
	v_mov_b64_e32 v[46:47], v[44:45]
	s_and_saveexec_b32 s77, s14
; %bb.8684:                             ;   in Loop: Header=BB2_8074 Depth=3
	v_bfe_u32 v18, v44, 21, 1
	v_mov_b32_e32 v19, v3
	s_delay_alu instid0(VALU_DEP_1) | instskip(NEXT) | instid1(VALU_DEP_1)
	v_add_nc_u64_e32 v[18:19], v[44:45], v[18:19]
	v_add_nc_u64_e32 v[46:47], -1, v[18:19]
; %bb.8685:                             ;   in Loop: Header=BB2_8074 Depth=3
	s_or_b32 exec_lo, exec_lo, s77
	v_add_nc_u32_e32 v2, 0xffffff81, v75
	v_lshrrev_b32_e32 v18, 23, v44
	s_mov_b32 s14, exec_lo
	s_delay_alu instid0(VALU_DEP_2) | instskip(NEXT) | instid1(VALU_DEP_1)
	v_cndmask_b32_e64 v2, v2, 0xffffff82, vcc_lo
	v_add3_u32 v47, v89, v2, v18
	v_and_b32_e32 v2, 0x1fffff, v46
                                        ; implicit-def: $vgpr46
	s_delay_alu instid0(VALU_DEP_1) | instskip(NEXT) | instid1(VALU_DEP_1)
	v_dual_add_nc_u32 v75, 14, v47 :: v_dual_add_nc_u32 v2, v2, v44
                                        ; implicit-def: $vgpr44_vgpr45
	v_cmpx_ne_u32_e32 0, v75
	s_xor_b32 s14, exec_lo, s14
; %bb.8686:                             ;   in Loop: Header=BB2_8074 Depth=3
	s_delay_alu instid0(VALU_DEP_2) | instskip(SKIP_1) | instid1(VALU_DEP_1)
	v_cmp_lt_u64_e32 vcc_lo, 0xffffff, v[2:3]
	v_add_nc_u32_e32 v18, 15, v47
	v_cndmask_b32_e32 v46, v75, v18, vcc_lo
	v_cndmask_b32_e64 v18, 0, 1, vcc_lo
	s_delay_alu instid0(VALU_DEP_1)
	v_lshrrev_b64 v[44:45], v18, v[2:3]
; %bb.8687:                             ;   in Loop: Header=BB2_8074 Depth=3
	s_and_not1_saveexec_b32 s14, s14
; %bb.8688:                             ;   in Loop: Header=BB2_8074 Depth=3
	v_mov_b64_e32 v[44:45], v[2:3]
	v_bfe_u32 v46, v2, 23, 1
; %bb.8689:                             ;   in Loop: Header=BB2_8074 Depth=3
	s_or_b32 exec_lo, exec_lo, s14
	s_delay_alu instid0(VALU_DEP_2) | instskip(NEXT) | instid1(VALU_DEP_2)
	v_lshrrev_b64 v[18:19], 21, v[44:45]
	v_cmp_gt_i32_e32 vcc_lo, 32, v46
	v_min_i32_e32 v2, 31, v46
	v_cmp_eq_u32_e64 s14, 0, v46
	s_delay_alu instid0(VALU_DEP_2) | instskip(SKIP_1) | instid1(VALU_DEP_2)
	v_dual_cndmask_b32 v19, 0, v19 :: v_dual_lshlrev_b32 v2, 2, v2
	v_cndmask_b32_e32 v18, 3, v18, vcc_lo
	v_and_b32_e32 v2, 0xfc, v2
	s_delay_alu instid0(VALU_DEP_2) | instskip(NEXT) | instid1(VALU_DEP_2)
	v_cmp_eq_u64_e32 vcc_lo, 0, v[18:19]
	v_and_or_b32 v2, v18, 3, v2
	s_and_b32 s14, s14, vcc_lo
	s_delay_alu instid0(VALU_DEP_1) | instid1(SALU_CYCLE_1)
	v_cndmask_b32_e64 v2, v2, 0, s14
	s_delay_alu instid0(VALU_DEP_1)
	v_or_b32_e32 v75, v2, v30
.LBB2_8690:                             ;   in Loop: Header=BB2_8074 Depth=3
	s_or_b32 exec_lo, exec_lo, s76
                                        ; implicit-def: $vgpr30
.LBB2_8691:                             ;   in Loop: Header=BB2_8074 Depth=3
	s_and_not1_saveexec_b32 s14, s75
; %bb.8692:                             ;   in Loop: Header=BB2_8074 Depth=3
	v_or_b32_e32 v75, 0x7b, v30
; %bb.8693:                             ;   in Loop: Header=BB2_8074 Depth=3
	s_or_b32 exec_lo, exec_lo, s14
                                        ; implicit-def: $vgpr44
                                        ; implicit-def: $vgpr30
.LBB2_8694:                             ;   in Loop: Header=BB2_8074 Depth=3
	s_and_not1_saveexec_b32 s14, s74
	s_cbranch_execz .LBB2_8700
; %bb.8695:                             ;   in Loop: Header=BB2_8074 Depth=3
	s_mov_b32 s74, exec_lo
                                        ; implicit-def: $vgpr75
	v_cmpx_ne_u64_e32 0, v[2:3]
	s_xor_b32 s74, exec_lo, s74
; %bb.8696:                             ;   in Loop: Header=BB2_8074 Depth=3
	v_or_b32_e32 v75, 0x7f, v30
                                        ; implicit-def: $vgpr44
; %bb.8697:                             ;   in Loop: Header=BB2_8074 Depth=3
	s_and_not1_saveexec_b32 s74, s74
; %bb.8698:                             ;   in Loop: Header=BB2_8074 Depth=3
	v_cmp_lt_i32_e32 vcc_lo, -1, v44
	v_cndmask_b32_e32 v75, 0xfc, v120, vcc_lo
; %bb.8699:                             ;   in Loop: Header=BB2_8074 Depth=3
	s_or_b32 exec_lo, exec_lo, s74
.LBB2_8700:                             ;   in Loop: Header=BB2_8074 Depth=3
	s_delay_alu instid0(SALU_CYCLE_1) | instskip(SKIP_4) | instid1(VALU_DEP_2)
	s_or_b32 exec_lo, exec_lo, s14
	v_lshl_or_b32 v30, v57, 8, v56
	v_dual_lshlrev_b32 v2, 16, v79 :: v_dual_lshlrev_b32 v18, 24, v88
	v_mov_b32_e32 v46, 0
	s_mov_b32 s14, exec_lo
	v_or3_b32 v2, v2, v18, v30
	v_cmpx_ne_u32_e32 0, v56
	s_cbranch_execz .LBB2_8710
; %bb.8701:                             ;   in Loop: Header=BB2_8074 Depth=3
	v_bfrev_b32_e32 v46, 1
	s_mov_b32 s74, exec_lo
	v_cmpx_ne_u32_e32 0x80, v56
	s_cbranch_execz .LBB2_8709
; %bb.8702:                             ;   in Loop: Header=BB2_8074 Depth=3
	v_and_b32_e32 v18, 0x7c, v56
	v_and_b32_e32 v44, 3, v56
	s_mov_b32 s75, exec_lo
                                        ; implicit-def: $vgpr46
	s_delay_alu instid0(VALU_DEP_2)
	v_cmpx_ne_u32_e32 0x7c, v18
	s_xor_b32 s75, exec_lo, s75
	s_cbranch_execz .LBB2_8706
; %bb.8703:                             ;   in Loop: Header=BB2_8074 Depth=3
	v_bfe_u32 v45, v56, 2, 5
	s_mov_b32 s76, exec_lo
	s_delay_alu instid0(VALU_DEP_1)
	v_cmpx_eq_u32_e32 0, v45
; %bb.8704:                             ;   in Loop: Header=BB2_8074 Depth=3
	v_clz_i32_u32_e32 v18, v44
	s_delay_alu instid0(VALU_DEP_1) | instskip(NEXT) | instid1(VALU_DEP_1)
	v_min_u32_e32 v44, 32, v18
	v_subrev_nc_u32_e32 v18, 29, v44
	s_delay_alu instid0(VALU_DEP_1) | instskip(NEXT) | instid1(VALU_DEP_1)
	v_lshlrev_b64_e32 v[18:19], v18, v[2:3]
	v_dual_sub_nc_u32 v45, 30, v44 :: v_dual_bitop2_b32 v44, 3, v18 bitop3:0x40
; %bb.8705:                             ;   in Loop: Header=BB2_8074 Depth=3
	s_or_b32 exec_lo, exec_lo, s76
	v_lshlrev_b32_e32 v18, 24, v56
                                        ; implicit-def: $vgpr56
	s_delay_alu instid0(VALU_DEP_1) | instskip(NEXT) | instid1(VALU_DEP_1)
	v_and_b32_e32 v18, 0x80000000, v18
	v_lshl_add_u32 v18, v45, 23, v18
	s_delay_alu instid0(VALU_DEP_1) | instskip(NEXT) | instid1(VALU_DEP_1)
	v_lshl_or_b32 v18, v44, 21, v18
                                        ; implicit-def: $vgpr44
	v_add_nc_u32_e32 v46, 0x38000000, v18
.LBB2_8706:                             ;   in Loop: Header=BB2_8074 Depth=3
	s_and_not1_saveexec_b32 s75, s75
; %bb.8707:                             ;   in Loop: Header=BB2_8074 Depth=3
	v_and_b32_e32 v18, 0x80, v56
	s_delay_alu instid0(VALU_DEP_1) | instskip(SKIP_2) | instid1(VALU_DEP_2)
	v_cmp_eq_u32_e32 vcc_lo, 0, v18
	v_cndmask_b32_e32 v18, 0xff800000, v111, vcc_lo
	v_cmp_eq_u32_e32 vcc_lo, 0, v44
	v_cndmask_b32_e32 v46, 0x7f800001, v18, vcc_lo
; %bb.8708:                             ;   in Loop: Header=BB2_8074 Depth=3
	s_or_b32 exec_lo, exec_lo, s75
.LBB2_8709:                             ;   in Loop: Header=BB2_8074 Depth=3
	s_delay_alu instid0(SALU_CYCLE_1)
	s_or_b32 exec_lo, exec_lo, s74
.LBB2_8710:                             ;   in Loop: Header=BB2_8074 Depth=3
	s_delay_alu instid0(SALU_CYCLE_1) | instskip(SKIP_4) | instid1(VALU_DEP_2)
	s_or_b32 exec_lo, exec_lo, s14
	v_and_b32_e32 v45, 0xff, v9
	v_mov_b32_e32 v44, v9
	s_mov_b32 s74, 0
	s_mov_b32 s14, exec_lo
	v_cmpx_lt_i16_e32 0x7f, v45
	s_xor_b32 s14, exec_lo, s14
	s_cbranch_execz .LBB2_9119
; %bb.8711:                             ;   in Loop: Header=BB2_8074 Depth=3
	s_mov_b32 s74, -1
	s_mov_b32 s75, exec_lo
	v_cmpx_eq_u16_e32 0x80, v45
; %bb.8712:                             ;   in Loop: Header=BB2_8074 Depth=3
	s_xor_b32 s74, exec_lo, -1
; %bb.8713:                             ;   in Loop: Header=BB2_8074 Depth=3
	s_or_b32 exec_lo, exec_lo, s75
	s_delay_alu instid0(SALU_CYCLE_1)
	s_and_b32 s74, s74, exec_lo
                                        ; implicit-def: $vgpr45
	s_or_saveexec_b32 s14, s14
	v_bfrev_b32_e32 v47, 1
	s_xor_b32 exec_lo, exec_lo, s14
	s_cbranch_execnz .LBB2_9120
.LBB2_8714:                             ;   in Loop: Header=BB2_8074 Depth=3
	s_or_b32 exec_lo, exec_lo, s14
	v_mov_b32_e32 v45, v3
	s_and_saveexec_b32 s14, s74
	s_cbranch_execz .LBB2_8716
.LBB2_8715:                             ;   in Loop: Header=BB2_8074 Depth=3
	v_and_b32_e32 v47, 3, v9
	s_delay_alu instid0(VALU_DEP_1) | instskip(NEXT) | instid1(VALU_DEP_1)
	v_clz_i32_u32_e32 v18, v47
	v_min_u32_e32 v56, 32, v18
	s_delay_alu instid0(VALU_DEP_1) | instskip(NEXT) | instid1(VALU_DEP_1)
	v_subrev_nc_u32_e32 v18, 29, v56
	v_lshlrev_b64_e32 v[18:19], v18, v[44:45]
	v_bfe_u32 v45, v9, 2, 5
	v_dual_lshlrev_b32 v19, 24, v9 :: v_dual_sub_nc_u32 v56, 30, v56
	s_delay_alu instid0(VALU_DEP_2) | instskip(NEXT) | instid1(VALU_DEP_2)
	v_cmp_eq_u32_e32 vcc_lo, 0, v45
	v_and_b32_e32 v19, 0x80000000, v19
	s_delay_alu instid0(VALU_DEP_3) | instskip(SKIP_1) | instid1(VALU_DEP_2)
	v_dual_cndmask_b32 v45, v45, v56, vcc_lo :: v_dual_bitop2_b32 v18, 3, v18 bitop3:0x40
	v_bfe_i32 v56, v9, 0, 8
	v_cndmask_b32_e32 v18, v47, v18, vcc_lo
	s_delay_alu instid0(VALU_DEP_3) | instskip(NEXT) | instid1(VALU_DEP_3)
	v_lshl_add_u32 v19, v45, 23, v19
	v_cmp_lt_i16_e32 vcc_lo, -1, v56
	s_delay_alu instid0(VALU_DEP_2) | instskip(SKIP_3) | instid1(VALU_DEP_4)
	v_lshl_or_b32 v18, v18, 21, v19
	v_cndmask_b32_e32 v45, 0xff800000, v111, vcc_lo
	v_and_b32_e32 v19, 0x7c, v9
	v_cmp_eq_u32_e32 vcc_lo, 0, v47
	v_add_nc_u32_e32 v18, 0x38000000, v18
	s_delay_alu instid0(VALU_DEP_4) | instskip(NEXT) | instid1(VALU_DEP_4)
	v_cndmask_b32_e32 v45, 0x7f800001, v45, vcc_lo
	v_cmp_eq_u32_e32 vcc_lo, 0x7c, v19
	s_delay_alu instid0(VALU_DEP_2)
	v_cndmask_b32_e32 v47, v18, v45, vcc_lo
.LBB2_8716:                             ;   in Loop: Header=BB2_8074 Depth=3
	s_or_b32 exec_lo, exec_lo, s14
	s_delay_alu instid0(VALU_DEP_1) | instskip(SKIP_2) | instid1(VALU_DEP_2)
	v_dual_add_f32 v57, v46, v47 :: v_dual_mov_b32 v19, v3
	v_mov_b32_e32 v47, v3
                                        ; implicit-def: $vgpr56
	s_mov_b32 s14, exec_lo
	v_and_b32_e32 v18, 0x7f800000, v57
	v_and_b32_e32 v46, 0x7fffff, v57
	v_lshrrev_b32_e32 v45, 24, v57
	s_delay_alu instid0(VALU_DEP_3)
	v_cmpx_ne_u64_e32 0x7f800000, v[18:19]
	s_xor_b32 s74, exec_lo, s14
	s_cbranch_execz .LBB2_8730
; %bb.8717:                             ;   in Loop: Header=BB2_8074 Depth=3
	v_and_b32_e32 v18, 0x7fffffff, v57
	v_mov_b32_e32 v19, v3
	v_and_b32_e32 v45, 0x80, v45
                                        ; implicit-def: $vgpr56
	s_mov_b32 s14, exec_lo
	s_delay_alu instid0(VALU_DEP_2)
	v_cmpx_gt_u64_e32 0x47600001, v[18:19]
	s_xor_b32 s75, exec_lo, s14
	s_cbranch_execz .LBB2_8727
; %bb.8718:                             ;   in Loop: Header=BB2_8074 Depth=3
	v_mov_b32_e32 v56, 0
	s_mov_b32 s76, exec_lo
	v_cmpx_ne_u32_e32 0, v57
	s_cbranch_execz .LBB2_8726
; %bb.8719:                             ;   in Loop: Header=BB2_8074 Depth=3
	v_bfe_u32 v79, v57, 23, 8
	v_or_b32_e32 v56, 0x800000, v46
	s_delay_alu instid0(VALU_DEP_2) | instskip(SKIP_1) | instid1(VALU_DEP_2)
	v_sub_nc_u32_e32 v18, 0x71, v79
	v_cmp_gt_u32_e32 vcc_lo, 0x72, v79
	v_cndmask_b32_e32 v18, 0, v18, vcc_lo
	v_cmp_eq_u32_e32 vcc_lo, 0, v79
	s_delay_alu instid0(VALU_DEP_2) | instskip(NEXT) | instid1(VALU_DEP_1)
	v_cndmask_b32_e64 v88, v18, 0x70, vcc_lo
	v_dual_cndmask_b32 v46, v56, v46, vcc_lo :: v_dual_add_nc_u32 v18, 21, v88
	v_add_nc_u32_e32 v57, 20, v88
	s_delay_alu instid0(VALU_DEP_2) | instskip(NEXT) | instid1(VALU_DEP_2)
	v_lshlrev_b64_e64 v[18:19], v18, -1
	v_lshlrev_b64_e64 v[56:57], v57, 1
	s_delay_alu instid0(VALU_DEP_2) | instskip(SKIP_1) | instid1(VALU_DEP_4)
	v_bfi_b32 v18, v18, 0, v46
	v_lshrrev_b64 v[46:47], v88, v[46:47]
	v_bfi_b32 v19, v19, 0, 0
	s_delay_alu instid0(VALU_DEP_1) | instskip(NEXT) | instid1(VALU_DEP_3)
	v_cmp_eq_u64_e64 s14, v[18:19], v[56:57]
	v_mov_b64_e32 v[56:57], v[46:47]
	s_and_saveexec_b32 s77, s14
; %bb.8720:                             ;   in Loop: Header=BB2_8074 Depth=3
	v_bfe_u32 v18, v46, 21, 1
	v_mov_b32_e32 v19, v3
	s_delay_alu instid0(VALU_DEP_1) | instskip(NEXT) | instid1(VALU_DEP_1)
	v_add_nc_u64_e32 v[18:19], v[46:47], v[18:19]
	v_add_nc_u64_e32 v[56:57], -1, v[18:19]
; %bb.8721:                             ;   in Loop: Header=BB2_8074 Depth=3
	s_or_b32 exec_lo, exec_lo, s77
	v_dual_mov_b32 v47, v3 :: v_dual_add_nc_u32 v18, 0xffffff81, v79
	v_lshrrev_b32_e32 v19, 23, v46
	s_mov_b32 s14, exec_lo
	s_delay_alu instid0(VALU_DEP_2) | instskip(NEXT) | instid1(VALU_DEP_1)
	v_cndmask_b32_e64 v18, v18, 0xffffff82, vcc_lo
	v_add3_u32 v57, v88, v18, v19
	v_and_b32_e32 v18, 0x1fffff, v56
                                        ; implicit-def: $vgpr56
	s_delay_alu instid0(VALU_DEP_1) | instskip(NEXT) | instid1(VALU_DEP_1)
	v_dual_add_nc_u32 v79, 14, v57 :: v_dual_add_nc_u32 v46, v18, v46
	v_cmpx_ne_u32_e32 0, v79
	s_xor_b32 s14, exec_lo, s14
; %bb.8722:                             ;   in Loop: Header=BB2_8074 Depth=3
	s_delay_alu instid0(VALU_DEP_2) | instskip(SKIP_1) | instid1(VALU_DEP_1)
	v_cmp_lt_u64_e32 vcc_lo, 0xffffff, v[46:47]
	v_add_nc_u32_e32 v18, 15, v57
	v_cndmask_b32_e32 v56, v79, v18, vcc_lo
	v_cndmask_b32_e64 v18, 0, 1, vcc_lo
	s_delay_alu instid0(VALU_DEP_1)
	v_lshrrev_b64 v[46:47], v18, v[46:47]
; %bb.8723:                             ;   in Loop: Header=BB2_8074 Depth=3
	s_and_not1_saveexec_b32 s14, s14
; %bb.8724:                             ;   in Loop: Header=BB2_8074 Depth=3
	s_delay_alu instid0(VALU_DEP_1)
	v_bfe_u32 v56, v46, 23, 1
; %bb.8725:                             ;   in Loop: Header=BB2_8074 Depth=3
	s_or_b32 exec_lo, exec_lo, s14
	s_delay_alu instid0(VALU_DEP_2) | instskip(NEXT) | instid1(VALU_DEP_2)
	v_lshrrev_b64 v[18:19], 21, v[46:47]
	v_cmp_gt_i32_e32 vcc_lo, 32, v56
	v_min_i32_e32 v46, 31, v56
	v_cmp_eq_u32_e64 s14, 0, v56
	s_delay_alu instid0(VALU_DEP_2) | instskip(SKIP_1) | instid1(VALU_DEP_2)
	v_dual_cndmask_b32 v19, 0, v19 :: v_dual_lshlrev_b32 v46, 2, v46
	v_cndmask_b32_e32 v18, 3, v18, vcc_lo
	v_and_b32_e32 v46, 0xfc, v46
	s_delay_alu instid0(VALU_DEP_2) | instskip(NEXT) | instid1(VALU_DEP_2)
	v_cmp_eq_u64_e32 vcc_lo, 0, v[18:19]
	v_and_or_b32 v18, v18, 3, v46
	s_and_b32 s14, s14, vcc_lo
	s_delay_alu instid0(VALU_DEP_1) | instid1(SALU_CYCLE_1)
	v_cndmask_b32_e64 v18, v18, 0, s14
	s_delay_alu instid0(VALU_DEP_1)
	v_or_b32_e32 v56, v18, v45
.LBB2_8726:                             ;   in Loop: Header=BB2_8074 Depth=3
	s_or_b32 exec_lo, exec_lo, s76
                                        ; implicit-def: $vgpr45
.LBB2_8727:                             ;   in Loop: Header=BB2_8074 Depth=3
	s_and_not1_saveexec_b32 s14, s75
; %bb.8728:                             ;   in Loop: Header=BB2_8074 Depth=3
	v_or_b32_e32 v56, 0x7b, v45
; %bb.8729:                             ;   in Loop: Header=BB2_8074 Depth=3
	s_or_b32 exec_lo, exec_lo, s14
                                        ; implicit-def: $vgpr57
                                        ; implicit-def: $vgpr46_vgpr47
                                        ; implicit-def: $vgpr45
.LBB2_8730:                             ;   in Loop: Header=BB2_8074 Depth=3
	s_and_not1_saveexec_b32 s14, s74
	s_cbranch_execz .LBB2_8736
; %bb.8731:                             ;   in Loop: Header=BB2_8074 Depth=3
	s_mov_b32 s74, exec_lo
                                        ; implicit-def: $vgpr56
	v_cmpx_ne_u64_e32 0, v[46:47]
	s_xor_b32 s74, exec_lo, s74
; %bb.8732:                             ;   in Loop: Header=BB2_8074 Depth=3
	v_or_b32_e32 v56, 0x7f, v45
                                        ; implicit-def: $vgpr57
; %bb.8733:                             ;   in Loop: Header=BB2_8074 Depth=3
	s_and_not1_saveexec_b32 s74, s74
; %bb.8734:                             ;   in Loop: Header=BB2_8074 Depth=3
	v_cmp_lt_i32_e32 vcc_lo, -1, v57
	v_cndmask_b32_e32 v56, 0xfc, v120, vcc_lo
; %bb.8735:                             ;   in Loop: Header=BB2_8074 Depth=3
	s_or_b32 exec_lo, exec_lo, s74
.LBB2_8736:                             ;   in Loop: Header=BB2_8074 Depth=3
	s_delay_alu instid0(SALU_CYCLE_1) | instskip(SKIP_3) | instid1(VALU_DEP_2)
	s_or_b32 exec_lo, exec_lo, s14
	v_lshrrev_b16 v46, 8, v30
	v_mov_b32_e32 v45, 0
	s_mov_b32 s14, exec_lo
	v_cmpx_ne_u16_e32 0, v46
	s_cbranch_execz .LBB2_8746
; %bb.8737:                             ;   in Loop: Header=BB2_8074 Depth=3
	v_bfrev_b32_e32 v45, 1
	s_mov_b32 s74, exec_lo
	v_cmpx_ne_u16_e32 0x80, v46
	s_cbranch_execz .LBB2_8745
; %bb.8738:                             ;   in Loop: Header=BB2_8074 Depth=3
	v_and_b32_e32 v57, 0xffff, v46
	s_mov_b32 s75, exec_lo
                                        ; implicit-def: $vgpr45
	s_delay_alu instid0(VALU_DEP_1) | instskip(SKIP_1) | instid1(VALU_DEP_2)
	v_and_b32_e32 v18, 0x7c, v57
	v_and_b32_e32 v47, 3, v57
	v_cmpx_ne_u32_e32 0x7c, v18
	s_xor_b32 s75, exec_lo, s75
	s_cbranch_execz .LBB2_8742
; %bb.8739:                             ;   in Loop: Header=BB2_8074 Depth=3
	v_bfe_u32 v45, v57, 2, 5
	s_mov_b32 s76, exec_lo
	s_delay_alu instid0(VALU_DEP_1)
	v_cmpx_eq_u32_e32 0, v45
	s_cbranch_execz .LBB2_8741
; %bb.8740:                             ;   in Loop: Header=BB2_8074 Depth=3
	v_clz_i32_u32_e32 v18, v47
	s_delay_alu instid0(VALU_DEP_1) | instskip(SKIP_1) | instid1(VALU_DEP_2)
	v_min_u32_e32 v45, 32, v18
	v_mov_b32_e32 v47, v3
	v_subrev_nc_u32_e32 v18, 29, v45
	v_sub_nc_u32_e32 v45, 30, v45
	s_delay_alu instid0(VALU_DEP_2) | instskip(NEXT) | instid1(VALU_DEP_1)
	v_lshlrev_b64_e32 v[18:19], v18, v[46:47]
	v_and_b32_e32 v47, 3, v18
.LBB2_8741:                             ;   in Loop: Header=BB2_8074 Depth=3
	s_or_b32 exec_lo, exec_lo, s76
	v_lshlrev_b32_e32 v18, 16, v30
                                        ; implicit-def: $vgpr30
	s_delay_alu instid0(VALU_DEP_1) | instskip(NEXT) | instid1(VALU_DEP_1)
	v_and_b32_e32 v18, 0x80000000, v18
	v_lshl_add_u32 v18, v45, 23, v18
	s_delay_alu instid0(VALU_DEP_1) | instskip(NEXT) | instid1(VALU_DEP_1)
	v_lshl_or_b32 v18, v47, 21, v18
                                        ; implicit-def: $vgpr47
	v_add_nc_u32_e32 v45, 0x38000000, v18
.LBB2_8742:                             ;   in Loop: Header=BB2_8074 Depth=3
	s_and_not1_saveexec_b32 s75, s75
; %bb.8743:                             ;   in Loop: Header=BB2_8074 Depth=3
	v_cmp_lt_i16_e32 vcc_lo, -1, v30
	v_cndmask_b32_e32 v18, 0xff800000, v111, vcc_lo
	v_cmp_eq_u32_e32 vcc_lo, 0, v47
	s_delay_alu instid0(VALU_DEP_2)
	v_cndmask_b32_e32 v45, 0x7f800001, v18, vcc_lo
; %bb.8744:                             ;   in Loop: Header=BB2_8074 Depth=3
	s_or_b32 exec_lo, exec_lo, s75
.LBB2_8745:                             ;   in Loop: Header=BB2_8074 Depth=3
	s_delay_alu instid0(SALU_CYCLE_1)
	s_or_b32 exec_lo, exec_lo, s74
.LBB2_8746:                             ;   in Loop: Header=BB2_8074 Depth=3
	s_delay_alu instid0(SALU_CYCLE_1) | instskip(SKIP_3) | instid1(VALU_DEP_1)
	s_or_b32 exec_lo, exec_lo, s14
	v_lshrrev_b16 v46, 8, v44
	s_mov_b32 s74, 0
	s_mov_b32 s14, exec_lo
	v_cmpx_lt_i16_e32 0x7f, v46
	s_xor_b32 s14, exec_lo, s14
	s_cbranch_execz .LBB2_9121
; %bb.8747:                             ;   in Loop: Header=BB2_8074 Depth=3
	s_mov_b32 s74, -1
	s_mov_b32 s75, exec_lo
	v_cmpx_eq_u16_e32 0x80, v46
; %bb.8748:                             ;   in Loop: Header=BB2_8074 Depth=3
	s_xor_b32 s74, exec_lo, -1
; %bb.8749:                             ;   in Loop: Header=BB2_8074 Depth=3
	s_or_b32 exec_lo, exec_lo, s75
	s_delay_alu instid0(SALU_CYCLE_1)
	s_and_b32 s74, s74, exec_lo
	s_or_saveexec_b32 s14, s14
	v_bfrev_b32_e32 v30, 1
	s_xor_b32 exec_lo, exec_lo, s14
	s_cbranch_execnz .LBB2_9122
.LBB2_8750:                             ;   in Loop: Header=BB2_8074 Depth=3
	s_or_b32 exec_lo, exec_lo, s14
	s_and_saveexec_b32 s14, s74
	s_cbranch_execz .LBB2_8752
.LBB2_8751:                             ;   in Loop: Header=BB2_8074 Depth=3
	v_and_b32_e32 v30, 0xffff, v46
	s_delay_alu instid0(VALU_DEP_1) | instskip(NEXT) | instid1(VALU_DEP_1)
	v_dual_mov_b32 v47, v3 :: v_dual_bitop2_b32 v57, 3, v30 bitop3:0x40
	v_clz_i32_u32_e32 v18, v57
	s_delay_alu instid0(VALU_DEP_1) | instskip(NEXT) | instid1(VALU_DEP_1)
	v_min_u32_e32 v79, 32, v18
	v_subrev_nc_u32_e32 v18, 29, v79
	s_delay_alu instid0(VALU_DEP_1) | instskip(SKIP_2) | instid1(VALU_DEP_2)
	v_lshlrev_b64_e32 v[18:19], v18, v[46:47]
	v_dual_lshlrev_b32 v19, 24, v46 :: v_dual_sub_nc_u32 v47, 30, v79
	v_bfe_u32 v46, v30, 2, 5
	v_and_b32_e32 v19, 0x80000000, v19
	s_delay_alu instid0(VALU_DEP_2) | instskip(NEXT) | instid1(VALU_DEP_4)
	v_cmp_eq_u32_e32 vcc_lo, 0, v46
	v_dual_cndmask_b32 v46, v46, v47, vcc_lo :: v_dual_bitop2_b32 v18, 3, v18 bitop3:0x40
	s_delay_alu instid0(VALU_DEP_1) | instskip(SKIP_1) | instid1(VALU_DEP_3)
	v_cndmask_b32_e32 v18, v57, v18, vcc_lo
	v_cmp_lt_i16_e32 vcc_lo, -1, v44
	v_lshl_add_u32 v19, v46, 23, v19
	v_cndmask_b32_e32 v44, 0xff800000, v111, vcc_lo
	v_cmp_eq_u32_e32 vcc_lo, 0, v57
	s_delay_alu instid0(VALU_DEP_3) | instskip(SKIP_1) | instid1(VALU_DEP_4)
	v_lshl_or_b32 v18, v18, 21, v19
	v_and_b32_e32 v19, 0x7c, v30
	v_cndmask_b32_e32 v30, 0x7f800001, v44, vcc_lo
	s_delay_alu instid0(VALU_DEP_3) | instskip(NEXT) | instid1(VALU_DEP_3)
	v_add_nc_u32_e32 v18, 0x38000000, v18
	v_cmp_eq_u32_e32 vcc_lo, 0x7c, v19
	s_delay_alu instid0(VALU_DEP_2)
	v_cndmask_b32_e32 v30, v18, v30, vcc_lo
.LBB2_8752:                             ;   in Loop: Header=BB2_8074 Depth=3
	s_or_b32 exec_lo, exec_lo, s14
	s_delay_alu instid0(VALU_DEP_1) | instskip(SKIP_2) | instid1(VALU_DEP_2)
	v_dual_add_f32 v46, v45, v30 :: v_dual_mov_b32 v19, v3
	v_mov_b32_e32 v45, v3
                                        ; implicit-def: $vgpr57
	s_mov_b32 s14, exec_lo
	v_and_b32_e32 v18, 0x7f800000, v46
	v_and_b32_e32 v44, 0x7fffff, v46
	v_lshrrev_b32_e32 v30, 24, v46
	s_delay_alu instid0(VALU_DEP_3)
	v_cmpx_ne_u64_e32 0x7f800000, v[18:19]
	s_xor_b32 s74, exec_lo, s14
	s_cbranch_execz .LBB2_8766
; %bb.8753:                             ;   in Loop: Header=BB2_8074 Depth=3
	v_and_b32_e32 v18, 0x7fffffff, v46
	v_mov_b32_e32 v19, v3
	v_and_b32_e32 v30, 0x80, v30
                                        ; implicit-def: $vgpr57
	s_mov_b32 s14, exec_lo
	s_delay_alu instid0(VALU_DEP_2)
	v_cmpx_gt_u64_e32 0x47600001, v[18:19]
	s_xor_b32 s75, exec_lo, s14
	s_cbranch_execz .LBB2_8763
; %bb.8754:                             ;   in Loop: Header=BB2_8074 Depth=3
	v_mov_b32_e32 v57, 0
	s_mov_b32 s76, exec_lo
	v_cmpx_ne_u32_e32 0, v46
	s_cbranch_execz .LBB2_8762
; %bb.8755:                             ;   in Loop: Header=BB2_8074 Depth=3
	v_bfe_u32 v57, v46, 23, 8
	v_or_b32_e32 v46, 0x800000, v44
	s_delay_alu instid0(VALU_DEP_2) | instskip(SKIP_1) | instid1(VALU_DEP_2)
	v_sub_nc_u32_e32 v18, 0x71, v57
	v_cmp_gt_u32_e32 vcc_lo, 0x72, v57
	v_cndmask_b32_e32 v18, 0, v18, vcc_lo
	v_cmp_eq_u32_e32 vcc_lo, 0, v57
	s_delay_alu instid0(VALU_DEP_2) | instskip(NEXT) | instid1(VALU_DEP_1)
	v_cndmask_b32_e64 v79, v18, 0x70, vcc_lo
	v_dual_cndmask_b32 v44, v46, v44, vcc_lo :: v_dual_add_nc_u32 v18, 21, v79
	v_add_nc_u32_e32 v47, 20, v79
	s_delay_alu instid0(VALU_DEP_2) | instskip(NEXT) | instid1(VALU_DEP_2)
	v_lshlrev_b64_e64 v[18:19], v18, -1
	v_lshlrev_b64_e64 v[46:47], v47, 1
	s_delay_alu instid0(VALU_DEP_2) | instskip(SKIP_1) | instid1(VALU_DEP_4)
	v_bfi_b32 v18, v18, 0, v44
	v_lshrrev_b64 v[44:45], v79, v[44:45]
	v_bfi_b32 v19, v19, 0, 0
	s_delay_alu instid0(VALU_DEP_1) | instskip(NEXT) | instid1(VALU_DEP_3)
	v_cmp_eq_u64_e64 s14, v[18:19], v[46:47]
	v_mov_b64_e32 v[46:47], v[44:45]
	s_and_saveexec_b32 s77, s14
; %bb.8756:                             ;   in Loop: Header=BB2_8074 Depth=3
	v_bfe_u32 v18, v44, 21, 1
	v_mov_b32_e32 v19, v3
	s_delay_alu instid0(VALU_DEP_1) | instskip(NEXT) | instid1(VALU_DEP_1)
	v_add_nc_u64_e32 v[18:19], v[44:45], v[18:19]
	v_add_nc_u64_e32 v[46:47], -1, v[18:19]
; %bb.8757:                             ;   in Loop: Header=BB2_8074 Depth=3
	s_or_b32 exec_lo, exec_lo, s77
	v_dual_mov_b32 v45, v3 :: v_dual_add_nc_u32 v18, 0xffffff81, v57
	v_lshrrev_b32_e32 v19, 23, v44
	s_mov_b32 s14, exec_lo
	s_delay_alu instid0(VALU_DEP_2) | instskip(NEXT) | instid1(VALU_DEP_1)
	v_cndmask_b32_e64 v18, v18, 0xffffff82, vcc_lo
	v_add3_u32 v47, v79, v18, v19
	v_and_b32_e32 v18, 0x1fffff, v46
                                        ; implicit-def: $vgpr46
	s_delay_alu instid0(VALU_DEP_1) | instskip(NEXT) | instid1(VALU_DEP_1)
	v_dual_add_nc_u32 v57, 14, v47 :: v_dual_add_nc_u32 v44, v18, v44
	v_cmpx_ne_u32_e32 0, v57
	s_xor_b32 s14, exec_lo, s14
; %bb.8758:                             ;   in Loop: Header=BB2_8074 Depth=3
	s_delay_alu instid0(VALU_DEP_2) | instskip(SKIP_1) | instid1(VALU_DEP_1)
	v_cmp_lt_u64_e32 vcc_lo, 0xffffff, v[44:45]
	v_add_nc_u32_e32 v18, 15, v47
	v_cndmask_b32_e32 v46, v57, v18, vcc_lo
	v_cndmask_b32_e64 v18, 0, 1, vcc_lo
	s_delay_alu instid0(VALU_DEP_1)
	v_lshrrev_b64 v[44:45], v18, v[44:45]
; %bb.8759:                             ;   in Loop: Header=BB2_8074 Depth=3
	s_and_not1_saveexec_b32 s14, s14
; %bb.8760:                             ;   in Loop: Header=BB2_8074 Depth=3
	s_delay_alu instid0(VALU_DEP_1)
	v_bfe_u32 v46, v44, 23, 1
; %bb.8761:                             ;   in Loop: Header=BB2_8074 Depth=3
	s_or_b32 exec_lo, exec_lo, s14
	s_delay_alu instid0(VALU_DEP_2) | instskip(NEXT) | instid1(VALU_DEP_2)
	v_lshrrev_b64 v[18:19], 21, v[44:45]
	v_cmp_gt_i32_e32 vcc_lo, 32, v46
	v_min_i32_e32 v44, 31, v46
	v_cmp_eq_u32_e64 s14, 0, v46
	s_delay_alu instid0(VALU_DEP_2) | instskip(SKIP_1) | instid1(VALU_DEP_2)
	v_dual_cndmask_b32 v19, 0, v19 :: v_dual_lshlrev_b32 v44, 2, v44
	v_cndmask_b32_e32 v18, 3, v18, vcc_lo
	v_and_b32_e32 v44, 0xfc, v44
	s_delay_alu instid0(VALU_DEP_2) | instskip(NEXT) | instid1(VALU_DEP_2)
	v_cmp_eq_u64_e32 vcc_lo, 0, v[18:19]
	v_and_or_b32 v18, v18, 3, v44
	s_and_b32 s14, s14, vcc_lo
	s_delay_alu instid0(VALU_DEP_1) | instid1(SALU_CYCLE_1)
	v_cndmask_b32_e64 v18, v18, 0, s14
	s_delay_alu instid0(VALU_DEP_1)
	v_or_b32_e32 v57, v18, v30
.LBB2_8762:                             ;   in Loop: Header=BB2_8074 Depth=3
	s_or_b32 exec_lo, exec_lo, s76
                                        ; implicit-def: $vgpr30
.LBB2_8763:                             ;   in Loop: Header=BB2_8074 Depth=3
	s_and_not1_saveexec_b32 s14, s75
; %bb.8764:                             ;   in Loop: Header=BB2_8074 Depth=3
	v_or_b32_e32 v57, 0x7b, v30
; %bb.8765:                             ;   in Loop: Header=BB2_8074 Depth=3
	s_or_b32 exec_lo, exec_lo, s14
                                        ; implicit-def: $vgpr46
                                        ; implicit-def: $vgpr44_vgpr45
                                        ; implicit-def: $vgpr30
.LBB2_8766:                             ;   in Loop: Header=BB2_8074 Depth=3
	s_and_not1_saveexec_b32 s14, s74
	s_cbranch_execz .LBB2_8772
; %bb.8767:                             ;   in Loop: Header=BB2_8074 Depth=3
	s_mov_b32 s74, exec_lo
                                        ; implicit-def: $vgpr57
	v_cmpx_ne_u64_e32 0, v[44:45]
	s_xor_b32 s74, exec_lo, s74
; %bb.8768:                             ;   in Loop: Header=BB2_8074 Depth=3
	v_or_b32_e32 v57, 0x7f, v30
                                        ; implicit-def: $vgpr46
; %bb.8769:                             ;   in Loop: Header=BB2_8074 Depth=3
	s_and_not1_saveexec_b32 s74, s74
; %bb.8770:                             ;   in Loop: Header=BB2_8074 Depth=3
	v_cmp_lt_i32_e32 vcc_lo, -1, v46
	v_cndmask_b32_e32 v57, 0xfc, v120, vcc_lo
; %bb.8771:                             ;   in Loop: Header=BB2_8074 Depth=3
	s_or_b32 exec_lo, exec_lo, s74
.LBB2_8772:                             ;   in Loop: Header=BB2_8074 Depth=3
	s_delay_alu instid0(SALU_CYCLE_1) | instskip(SKIP_2) | instid1(VALU_DEP_1)
	s_or_b32 exec_lo, exec_lo, s14
	v_dual_lshrrev_b32 v30, 16, v2 :: v_dual_mov_b32 v44, 0
	s_mov_b32 s14, exec_lo
	v_and_b32_e32 v45, 0xff, v30
	s_delay_alu instid0(VALU_DEP_1)
	v_cmpx_ne_u16_e32 0, v45
	s_cbranch_execz .LBB2_8782
; %bb.8773:                             ;   in Loop: Header=BB2_8074 Depth=3
	v_bfrev_b32_e32 v44, 1
	s_mov_b32 s74, exec_lo
	v_cmpx_ne_u16_e32 0x80, v45
	s_cbranch_execz .LBB2_8781
; %bb.8774:                             ;   in Loop: Header=BB2_8074 Depth=3
	v_and_b32_e32 v18, 0x7c0000, v2
	v_bfe_u32 v45, v2, 16, 2
	s_mov_b32 s75, exec_lo
                                        ; implicit-def: $vgpr44
	s_delay_alu instid0(VALU_DEP_2)
	v_cmpx_ne_u32_e32 0x7c0000, v18
	s_xor_b32 s75, exec_lo, s75
	s_cbranch_execz .LBB2_8778
; %bb.8775:                             ;   in Loop: Header=BB2_8074 Depth=3
	v_bfe_u32 v44, v2, 18, 5
	s_mov_b32 s76, exec_lo
	s_delay_alu instid0(VALU_DEP_1)
	v_cmpx_eq_u32_e32 0, v44
; %bb.8776:                             ;   in Loop: Header=BB2_8074 Depth=3
	v_clz_i32_u32_e32 v18, v45
	s_delay_alu instid0(VALU_DEP_1) | instskip(NEXT) | instid1(VALU_DEP_1)
	v_min_u32_e32 v44, 32, v18
	v_subrev_nc_u32_e32 v18, 29, v44
	s_delay_alu instid0(VALU_DEP_1) | instskip(NEXT) | instid1(VALU_DEP_1)
	v_lshlrev_b64_e32 v[18:19], v18, v[30:31]
	v_dual_sub_nc_u32 v44, 30, v44 :: v_dual_bitop2_b32 v45, 3, v18 bitop3:0x40
; %bb.8777:                             ;   in Loop: Header=BB2_8074 Depth=3
	s_or_b32 exec_lo, exec_lo, s76
	v_lshlrev_b32_e32 v18, 24, v30
                                        ; implicit-def: $vgpr30
	s_delay_alu instid0(VALU_DEP_1) | instskip(NEXT) | instid1(VALU_DEP_1)
	v_and_b32_e32 v18, 0x80000000, v18
	v_lshl_add_u32 v18, v44, 23, v18
	s_delay_alu instid0(VALU_DEP_1) | instskip(NEXT) | instid1(VALU_DEP_1)
	v_lshl_or_b32 v18, v45, 21, v18
                                        ; implicit-def: $vgpr45
	v_add_nc_u32_e32 v44, 0x38000000, v18
.LBB2_8778:                             ;   in Loop: Header=BB2_8074 Depth=3
	s_and_not1_saveexec_b32 s75, s75
; %bb.8779:                             ;   in Loop: Header=BB2_8074 Depth=3
	v_bfe_i32 v18, v30, 0, 8
	s_delay_alu instid0(VALU_DEP_1) | instskip(SKIP_2) | instid1(VALU_DEP_2)
	v_cmp_lt_i16_e32 vcc_lo, -1, v18
	v_cndmask_b32_e32 v18, 0xff800000, v111, vcc_lo
	v_cmp_eq_u32_e32 vcc_lo, 0, v45
	v_cndmask_b32_e32 v44, 0x7f800001, v18, vcc_lo
; %bb.8780:                             ;   in Loop: Header=BB2_8074 Depth=3
	s_or_b32 exec_lo, exec_lo, s75
.LBB2_8781:                             ;   in Loop: Header=BB2_8074 Depth=3
	s_delay_alu instid0(SALU_CYCLE_1)
	s_or_b32 exec_lo, exec_lo, s74
.LBB2_8782:                             ;   in Loop: Header=BB2_8074 Depth=3
	s_delay_alu instid0(SALU_CYCLE_1) | instskip(SKIP_3) | instid1(VALU_DEP_1)
	s_or_b32 exec_lo, exec_lo, s14
	v_lshrrev_b32_e32 v30, 16, v9
	s_mov_b32 s74, 0
	s_mov_b32 s14, exec_lo
	v_and_b32_e32 v46, 0xff, v30
	s_delay_alu instid0(VALU_DEP_1)
	v_cmpx_lt_i16_e32 0x7f, v46
	s_xor_b32 s14, exec_lo, s14
	s_cbranch_execz .LBB2_9123
; %bb.8783:                             ;   in Loop: Header=BB2_8074 Depth=3
	s_mov_b32 s74, -1
	s_mov_b32 s75, exec_lo
	v_cmpx_eq_u16_e32 0x80, v46
; %bb.8784:                             ;   in Loop: Header=BB2_8074 Depth=3
	s_xor_b32 s74, exec_lo, -1
; %bb.8785:                             ;   in Loop: Header=BB2_8074 Depth=3
	s_or_b32 exec_lo, exec_lo, s75
	s_delay_alu instid0(SALU_CYCLE_1)
	s_and_b32 s74, s74, exec_lo
                                        ; implicit-def: $vgpr46
	s_or_saveexec_b32 s14, s14
	v_bfrev_b32_e32 v45, 1
	s_xor_b32 exec_lo, exec_lo, s14
	s_cbranch_execnz .LBB2_9124
.LBB2_8786:                             ;   in Loop: Header=BB2_8074 Depth=3
	s_or_b32 exec_lo, exec_lo, s14
	s_and_saveexec_b32 s14, s74
	s_cbranch_execz .LBB2_8788
.LBB2_8787:                             ;   in Loop: Header=BB2_8074 Depth=3
	v_and_b32_e32 v45, 3, v30
	v_bfe_u32 v47, v9, 18, 5
	s_delay_alu instid0(VALU_DEP_2) | instskip(NEXT) | instid1(VALU_DEP_2)
	v_clz_i32_u32_e32 v18, v45
	v_cmp_eq_u32_e32 vcc_lo, 0, v47
	s_delay_alu instid0(VALU_DEP_2) | instskip(NEXT) | instid1(VALU_DEP_1)
	v_min_u32_e32 v46, 32, v18
	v_subrev_nc_u32_e32 v18, 29, v46
	v_sub_nc_u32_e32 v46, 30, v46
	s_delay_alu instid0(VALU_DEP_2) | instskip(SKIP_1) | instid1(VALU_DEP_3)
	v_lshlrev_b64_e32 v[18:19], v18, v[30:31]
	v_lshlrev_b32_e32 v19, 24, v30
	v_cndmask_b32_e32 v46, v47, v46, vcc_lo
	v_bfe_i32 v30, v30, 0, 8
	s_delay_alu instid0(VALU_DEP_3) | instskip(SKIP_1) | instid1(VALU_DEP_2)
	v_and_b32_e32 v19, 0x80000000, v19
	v_and_b32_e32 v18, 3, v18
	v_lshl_add_u32 v19, v46, 23, v19
	s_delay_alu instid0(VALU_DEP_2) | instskip(SKIP_1) | instid1(VALU_DEP_2)
	v_cndmask_b32_e32 v18, v45, v18, vcc_lo
	v_cmp_lt_i16_e32 vcc_lo, -1, v30
	v_lshl_or_b32 v18, v18, 21, v19
	v_cndmask_b32_e32 v30, 0xff800000, v111, vcc_lo
	v_and_b32_e32 v19, 0x7c0000, v9
	v_cmp_eq_u32_e32 vcc_lo, 0, v45
	s_delay_alu instid0(VALU_DEP_4) | instskip(NEXT) | instid1(VALU_DEP_4)
	v_add_nc_u32_e32 v18, 0x38000000, v18
	v_cndmask_b32_e32 v30, 0x7f800001, v30, vcc_lo
	s_delay_alu instid0(VALU_DEP_4) | instskip(NEXT) | instid1(VALU_DEP_2)
	v_cmp_eq_u32_e32 vcc_lo, 0x7c0000, v19
	v_cndmask_b32_e32 v45, v18, v30, vcc_lo
.LBB2_8788:                             ;   in Loop: Header=BB2_8074 Depth=3
	s_or_b32 exec_lo, exec_lo, s14
	s_delay_alu instid0(VALU_DEP_1) | instskip(SKIP_2) | instid1(VALU_DEP_2)
	v_dual_add_f32 v46, v44, v45 :: v_dual_mov_b32 v19, v3
	v_mov_b32_e32 v45, v3
                                        ; implicit-def: $vgpr79
	s_mov_b32 s14, exec_lo
	v_and_b32_e32 v18, 0x7f800000, v46
	v_and_b32_e32 v44, 0x7fffff, v46
	v_lshrrev_b32_e32 v30, 24, v46
	s_delay_alu instid0(VALU_DEP_3)
	v_cmpx_ne_u64_e32 0x7f800000, v[18:19]
	s_xor_b32 s74, exec_lo, s14
	s_cbranch_execz .LBB2_8802
; %bb.8789:                             ;   in Loop: Header=BB2_8074 Depth=3
	v_and_b32_e32 v18, 0x7fffffff, v46
	v_mov_b32_e32 v19, v3
	v_and_b32_e32 v30, 0x80, v30
                                        ; implicit-def: $vgpr79
	s_mov_b32 s14, exec_lo
	s_delay_alu instid0(VALU_DEP_2)
	v_cmpx_gt_u64_e32 0x47600001, v[18:19]
	s_xor_b32 s75, exec_lo, s14
	s_cbranch_execz .LBB2_8799
; %bb.8790:                             ;   in Loop: Header=BB2_8074 Depth=3
	v_mov_b32_e32 v79, 0
	s_mov_b32 s76, exec_lo
	v_cmpx_ne_u32_e32 0, v46
	s_cbranch_execz .LBB2_8798
; %bb.8791:                             ;   in Loop: Header=BB2_8074 Depth=3
	v_bfe_u32 v79, v46, 23, 8
	v_or_b32_e32 v46, 0x800000, v44
	s_delay_alu instid0(VALU_DEP_2) | instskip(SKIP_1) | instid1(VALU_DEP_2)
	v_sub_nc_u32_e32 v18, 0x71, v79
	v_cmp_gt_u32_e32 vcc_lo, 0x72, v79
	v_cndmask_b32_e32 v18, 0, v18, vcc_lo
	v_cmp_eq_u32_e32 vcc_lo, 0, v79
	s_delay_alu instid0(VALU_DEP_2) | instskip(SKIP_1) | instid1(VALU_DEP_2)
	v_cndmask_b32_e64 v88, v18, 0x70, vcc_lo
	v_cndmask_b32_e32 v44, v46, v44, vcc_lo
	v_dual_add_nc_u32 v18, 21, v88 :: v_dual_add_nc_u32 v47, 20, v88
	s_delay_alu instid0(VALU_DEP_1) | instskip(NEXT) | instid1(VALU_DEP_2)
	v_lshlrev_b64_e64 v[18:19], v18, -1
	v_lshlrev_b64_e64 v[46:47], v47, 1
	s_delay_alu instid0(VALU_DEP_2) | instskip(SKIP_1) | instid1(VALU_DEP_4)
	v_bfi_b32 v18, v18, 0, v44
	v_lshrrev_b64 v[44:45], v88, v[44:45]
	v_bfi_b32 v19, v19, 0, 0
	s_delay_alu instid0(VALU_DEP_1) | instskip(NEXT) | instid1(VALU_DEP_3)
	v_cmp_eq_u64_e64 s14, v[18:19], v[46:47]
	v_mov_b64_e32 v[46:47], v[44:45]
	s_and_saveexec_b32 s77, s14
; %bb.8792:                             ;   in Loop: Header=BB2_8074 Depth=3
	v_bfe_u32 v18, v44, 21, 1
	v_mov_b32_e32 v19, v3
	s_delay_alu instid0(VALU_DEP_1) | instskip(NEXT) | instid1(VALU_DEP_1)
	v_add_nc_u64_e32 v[18:19], v[44:45], v[18:19]
	v_add_nc_u64_e32 v[46:47], -1, v[18:19]
; %bb.8793:                             ;   in Loop: Header=BB2_8074 Depth=3
	s_or_b32 exec_lo, exec_lo, s77
	v_dual_mov_b32 v45, v3 :: v_dual_add_nc_u32 v18, 0xffffff81, v79
	v_lshrrev_b32_e32 v19, 23, v44
	s_mov_b32 s14, exec_lo
	s_delay_alu instid0(VALU_DEP_2) | instskip(NEXT) | instid1(VALU_DEP_1)
	v_cndmask_b32_e64 v18, v18, 0xffffff82, vcc_lo
	v_add3_u32 v47, v88, v18, v19
	v_and_b32_e32 v18, 0x1fffff, v46
                                        ; implicit-def: $vgpr46
	s_delay_alu instid0(VALU_DEP_1) | instskip(NEXT) | instid1(VALU_DEP_1)
	v_dual_add_nc_u32 v79, 14, v47 :: v_dual_add_nc_u32 v44, v18, v44
	v_cmpx_ne_u32_e32 0, v79
	s_xor_b32 s14, exec_lo, s14
; %bb.8794:                             ;   in Loop: Header=BB2_8074 Depth=3
	s_delay_alu instid0(VALU_DEP_2) | instskip(SKIP_1) | instid1(VALU_DEP_1)
	v_cmp_lt_u64_e32 vcc_lo, 0xffffff, v[44:45]
	v_add_nc_u32_e32 v18, 15, v47
	v_cndmask_b32_e32 v46, v79, v18, vcc_lo
	v_cndmask_b32_e64 v18, 0, 1, vcc_lo
	s_delay_alu instid0(VALU_DEP_1)
	v_lshrrev_b64 v[44:45], v18, v[44:45]
; %bb.8795:                             ;   in Loop: Header=BB2_8074 Depth=3
	s_and_not1_saveexec_b32 s14, s14
; %bb.8796:                             ;   in Loop: Header=BB2_8074 Depth=3
	s_delay_alu instid0(VALU_DEP_1)
	v_bfe_u32 v46, v44, 23, 1
; %bb.8797:                             ;   in Loop: Header=BB2_8074 Depth=3
	s_or_b32 exec_lo, exec_lo, s14
	s_delay_alu instid0(VALU_DEP_2) | instskip(NEXT) | instid1(VALU_DEP_2)
	v_lshrrev_b64 v[18:19], 21, v[44:45]
	v_cmp_gt_i32_e32 vcc_lo, 32, v46
	v_min_i32_e32 v44, 31, v46
	v_cmp_eq_u32_e64 s14, 0, v46
	s_delay_alu instid0(VALU_DEP_2) | instskip(SKIP_1) | instid1(VALU_DEP_2)
	v_dual_cndmask_b32 v19, 0, v19 :: v_dual_lshlrev_b32 v44, 2, v44
	v_cndmask_b32_e32 v18, 3, v18, vcc_lo
	v_and_b32_e32 v44, 0xfc, v44
	s_delay_alu instid0(VALU_DEP_2) | instskip(NEXT) | instid1(VALU_DEP_2)
	v_cmp_eq_u64_e32 vcc_lo, 0, v[18:19]
	v_and_or_b32 v18, v18, 3, v44
	s_and_b32 s14, s14, vcc_lo
	s_delay_alu instid0(VALU_DEP_1) | instid1(SALU_CYCLE_1)
	v_cndmask_b32_e64 v18, v18, 0, s14
	s_delay_alu instid0(VALU_DEP_1)
	v_or_b32_e32 v79, v18, v30
.LBB2_8798:                             ;   in Loop: Header=BB2_8074 Depth=3
	s_or_b32 exec_lo, exec_lo, s76
                                        ; implicit-def: $vgpr30
.LBB2_8799:                             ;   in Loop: Header=BB2_8074 Depth=3
	s_and_not1_saveexec_b32 s14, s75
; %bb.8800:                             ;   in Loop: Header=BB2_8074 Depth=3
	v_or_b32_e32 v79, 0x7b, v30
; %bb.8801:                             ;   in Loop: Header=BB2_8074 Depth=3
	s_or_b32 exec_lo, exec_lo, s14
                                        ; implicit-def: $vgpr46
                                        ; implicit-def: $vgpr44_vgpr45
                                        ; implicit-def: $vgpr30
.LBB2_8802:                             ;   in Loop: Header=BB2_8074 Depth=3
	s_and_not1_saveexec_b32 s14, s74
	s_cbranch_execz .LBB2_8808
; %bb.8803:                             ;   in Loop: Header=BB2_8074 Depth=3
	s_mov_b32 s74, exec_lo
                                        ; implicit-def: $vgpr79
	v_cmpx_ne_u64_e32 0, v[44:45]
	s_xor_b32 s74, exec_lo, s74
; %bb.8804:                             ;   in Loop: Header=BB2_8074 Depth=3
	v_or_b32_e32 v79, 0x7f, v30
                                        ; implicit-def: $vgpr46
; %bb.8805:                             ;   in Loop: Header=BB2_8074 Depth=3
	s_and_not1_saveexec_b32 s74, s74
; %bb.8806:                             ;   in Loop: Header=BB2_8074 Depth=3
	v_cmp_lt_i32_e32 vcc_lo, -1, v46
	v_cndmask_b32_e32 v79, 0xfc, v120, vcc_lo
; %bb.8807:                             ;   in Loop: Header=BB2_8074 Depth=3
	s_or_b32 exec_lo, exec_lo, s74
.LBB2_8808:                             ;   in Loop: Header=BB2_8074 Depth=3
	s_delay_alu instid0(SALU_CYCLE_1)
	s_or_b32 exec_lo, exec_lo, s14
	v_mov_b32_e32 v44, 0
	s_mov_b32 s14, exec_lo
	v_cmpx_lt_u32_e32 0xffffff, v2
	s_cbranch_execz .LBB2_8818
; %bb.8809:                             ;   in Loop: Header=BB2_8074 Depth=3
	v_lshrrev_b32_e32 v30, 24, v2
	v_bfrev_b32_e32 v44, 1
	s_mov_b32 s74, exec_lo
	s_delay_alu instid0(VALU_DEP_2)
	v_cmpx_ne_u32_e32 0x80, v30
	s_cbranch_execz .LBB2_8817
; %bb.8810:                             ;   in Loop: Header=BB2_8074 Depth=3
	v_and_b32_e32 v18, 0x7c000000, v2
	v_bfe_u32 v45, v2, 24, 2
	s_mov_b32 s75, exec_lo
                                        ; implicit-def: $vgpr44
	s_delay_alu instid0(VALU_DEP_2)
	v_cmpx_ne_u32_e32 0x7c000000, v18
	s_xor_b32 s75, exec_lo, s75
	s_cbranch_execz .LBB2_8814
; %bb.8811:                             ;   in Loop: Header=BB2_8074 Depth=3
	v_bfe_u32 v44, v2, 26, 5
	s_mov_b32 s76, exec_lo
	s_delay_alu instid0(VALU_DEP_1)
	v_cmpx_eq_u32_e32 0, v44
; %bb.8812:                             ;   in Loop: Header=BB2_8074 Depth=3
	v_clz_i32_u32_e32 v18, v45
	s_delay_alu instid0(VALU_DEP_1) | instskip(NEXT) | instid1(VALU_DEP_1)
	v_min_u32_e32 v44, 32, v18
	v_subrev_nc_u32_e32 v18, 29, v44
	s_delay_alu instid0(VALU_DEP_1) | instskip(NEXT) | instid1(VALU_DEP_1)
	v_lshlrev_b64_e32 v[18:19], v18, v[30:31]
	v_dual_sub_nc_u32 v44, 30, v44 :: v_dual_bitop2_b32 v45, 3, v18 bitop3:0x40
; %bb.8813:                             ;   in Loop: Header=BB2_8074 Depth=3
	s_or_b32 exec_lo, exec_lo, s76
	v_and_b32_e32 v2, 0x80000000, v2
	s_delay_alu instid0(VALU_DEP_1) | instskip(NEXT) | instid1(VALU_DEP_1)
	v_lshl_add_u32 v2, v44, 23, v2
	v_lshl_or_b32 v2, v45, 21, v2
                                        ; implicit-def: $vgpr45
	s_delay_alu instid0(VALU_DEP_1)
	v_add_nc_u32_e32 v44, 0x38000000, v2
.LBB2_8814:                             ;   in Loop: Header=BB2_8074 Depth=3
	s_and_not1_saveexec_b32 s75, s75
; %bb.8815:                             ;   in Loop: Header=BB2_8074 Depth=3
	v_cmp_lt_i32_e32 vcc_lo, -1, v2
	v_cndmask_b32_e32 v2, 0xff800000, v111, vcc_lo
	v_cmp_eq_u32_e32 vcc_lo, 0, v45
	s_delay_alu instid0(VALU_DEP_2)
	v_cndmask_b32_e32 v44, 0x7f800001, v2, vcc_lo
; %bb.8816:                             ;   in Loop: Header=BB2_8074 Depth=3
	s_or_b32 exec_lo, exec_lo, s75
.LBB2_8817:                             ;   in Loop: Header=BB2_8074 Depth=3
	s_delay_alu instid0(SALU_CYCLE_1)
	s_or_b32 exec_lo, exec_lo, s74
.LBB2_8818:                             ;   in Loop: Header=BB2_8074 Depth=3
	s_delay_alu instid0(SALU_CYCLE_1) | instskip(SKIP_3) | instid1(VALU_DEP_2)
	s_or_b32 exec_lo, exec_lo, s14
	v_bfe_u32 v30, v9, 24, 2
	v_bfe_u32 v46, v9, 26, 5
	s_mov_b32 s14, exec_lo
	v_clz_i32_u32_e32 v2, v30
	s_delay_alu instid0(VALU_DEP_2) | instskip(NEXT) | instid1(VALU_DEP_2)
	v_cmp_eq_u32_e32 vcc_lo, 0, v46
	v_min_u32_e32 v45, 32, v2
	v_lshrrev_b32_e32 v2, 24, v9
	s_delay_alu instid0(VALU_DEP_2) | instskip(NEXT) | instid1(VALU_DEP_1)
	v_subrev_nc_u32_e32 v18, 29, v45
	v_lshlrev_b64_e32 v[18:19], v18, v[2:3]
	v_sub_nc_u32_e32 v19, 30, v45
	v_and_b32_e32 v45, 0x80000000, v9
	s_delay_alu instid0(VALU_DEP_2) | instskip(NEXT) | instid1(VALU_DEP_1)
	v_dual_cndmask_b32 v19, v46, v19, vcc_lo :: v_dual_bitop2_b32 v18, 3, v18 bitop3:0x40
	v_cndmask_b32_e32 v18, v30, v18, vcc_lo
	v_cmp_lt_i64_e32 vcc_lo, -1, v[8:9]
	s_delay_alu instid0(VALU_DEP_3) | instskip(NEXT) | instid1(VALU_DEP_1)
	v_lshl_add_u32 v19, v19, 23, v45
	v_lshl_or_b32 v18, v18, 21, v19
	v_cndmask_b32_e32 v45, 0xff800000, v111, vcc_lo
	v_and_b32_e32 v19, 0x7c000000, v9
	v_cmp_eq_u32_e32 vcc_lo, 0, v30
	s_delay_alu instid0(VALU_DEP_4) | instskip(NEXT) | instid1(VALU_DEP_4)
	v_add_nc_u32_e32 v18, 0x38000000, v18
	v_cndmask_b32_e32 v30, 0x7f800001, v45, vcc_lo
	s_delay_alu instid0(VALU_DEP_4) | instskip(NEXT) | instid1(VALU_DEP_2)
	v_cmp_eq_u32_e32 vcc_lo, 0x7c000000, v19
	v_dual_mov_b32 v19, v3 :: v_dual_cndmask_b32 v18, v18, v30
	v_cmp_ne_u32_e32 vcc_lo, 0x80, v2
                                        ; implicit-def: $vgpr30
	s_delay_alu instid0(VALU_DEP_2) | instskip(SKIP_1) | instid1(VALU_DEP_2)
	v_cndmask_b32_e32 v2, 0x80000000, v18, vcc_lo
	v_cmp_lt_u64_e32 vcc_lo, s[22:23], v[8:9]
	v_cndmask_b32_e32 v2, 0, v2, vcc_lo
	s_delay_alu instid0(VALU_DEP_1) | instskip(NEXT) | instid1(VALU_DEP_1)
	v_add_f32_e32 v8, v2, v44
	v_and_b32_e32 v18, 0x7f800000, v8
	v_and_b32_e32 v2, 0x7fffff, v8
	v_lshrrev_b32_e32 v9, 24, v8
	s_delay_alu instid0(VALU_DEP_3)
	v_cmpx_ne_u64_e32 0x7f800000, v[18:19]
	s_xor_b32 s74, exec_lo, s14
	s_cbranch_execz .LBB2_8832
; %bb.8819:                             ;   in Loop: Header=BB2_8074 Depth=3
	v_and_b32_e32 v18, 0x7fffffff, v8
	v_mov_b32_e32 v19, v3
	v_and_b32_e32 v46, 0x80, v9
                                        ; implicit-def: $vgpr30
	s_mov_b32 s14, exec_lo
	s_delay_alu instid0(VALU_DEP_2)
	v_cmpx_gt_u64_e32 0x47600001, v[18:19]
	s_xor_b32 s75, exec_lo, s14
	s_cbranch_execz .LBB2_8829
; %bb.8820:                             ;   in Loop: Header=BB2_8074 Depth=3
	v_mov_b32_e32 v30, 0
	s_mov_b32 s76, exec_lo
	v_cmpx_ne_u32_e32 0, v8
	s_cbranch_execz .LBB2_8828
; %bb.8821:                             ;   in Loop: Header=BB2_8074 Depth=3
	v_bfe_u32 v30, v8, 23, 8
	v_or_b32_e32 v18, 0x800000, v2
	s_delay_alu instid0(VALU_DEP_2) | instskip(SKIP_1) | instid1(VALU_DEP_2)
	v_dual_mov_b32 v19, v3 :: v_dual_sub_nc_u32 v8, 0x71, v30
	v_cmp_gt_u32_e32 vcc_lo, 0x72, v30
	v_cndmask_b32_e32 v8, 0, v8, vcc_lo
	v_cmp_eq_u32_e32 vcc_lo, 0, v30
	s_delay_alu instid0(VALU_DEP_2) | instskip(NEXT) | instid1(VALU_DEP_1)
	v_cndmask_b32_e64 v47, v8, 0x70, vcc_lo
	v_dual_cndmask_b32 v18, v18, v2, vcc_lo :: v_dual_add_nc_u32 v8, 21, v47
	v_add_nc_u32_e32 v44, 20, v47
	s_delay_alu instid0(VALU_DEP_2) | instskip(NEXT) | instid1(VALU_DEP_2)
	v_lshlrev_b64_e64 v[8:9], v8, -1
	v_lshlrev_b64_e64 v[44:45], v44, 1
	s_delay_alu instid0(VALU_DEP_2) | instskip(NEXT) | instid1(VALU_DEP_3)
	v_bfi_b32 v89, v9, 0, 0
	v_bfi_b32 v88, v8, 0, v18
	v_lshrrev_b64 v[8:9], v47, v[18:19]
	s_delay_alu instid0(VALU_DEP_2) | instskip(NEXT) | instid1(VALU_DEP_2)
	v_cmp_eq_u64_e64 s14, v[88:89], v[44:45]
	v_mov_b64_e32 v[44:45], v[8:9]
	s_and_saveexec_b32 s77, s14
; %bb.8822:                             ;   in Loop: Header=BB2_8074 Depth=3
	v_bfe_u32 v18, v8, 21, 1
	v_mov_b32_e32 v19, v3
	s_delay_alu instid0(VALU_DEP_1) | instskip(NEXT) | instid1(VALU_DEP_1)
	v_add_nc_u64_e32 v[18:19], v[8:9], v[18:19]
	v_add_nc_u64_e32 v[44:45], -1, v[18:19]
; %bb.8823:                             ;   in Loop: Header=BB2_8074 Depth=3
	s_or_b32 exec_lo, exec_lo, s77
	v_add_nc_u32_e32 v2, 0xffffff81, v30
	v_lshrrev_b32_e32 v9, 23, v8
	s_mov_b32 s14, exec_lo
                                        ; implicit-def: $vgpr30
	s_delay_alu instid0(VALU_DEP_2) | instskip(NEXT) | instid1(VALU_DEP_1)
	v_cndmask_b32_e64 v2, v2, 0xffffff82, vcc_lo
	v_add3_u32 v45, v47, v2, v9
	v_and_b32_e32 v2, 0x1fffff, v44
	s_delay_alu instid0(VALU_DEP_1) | instskip(NEXT) | instid1(VALU_DEP_1)
	v_dual_add_nc_u32 v44, 14, v45 :: v_dual_add_nc_u32 v2, v2, v8
                                        ; implicit-def: $vgpr8_vgpr9
	v_cmpx_ne_u32_e32 0, v44
	s_xor_b32 s14, exec_lo, s14
; %bb.8824:                             ;   in Loop: Header=BB2_8074 Depth=3
	s_delay_alu instid0(VALU_DEP_2) | instskip(SKIP_1) | instid1(VALU_DEP_1)
	v_cmp_lt_u64_e32 vcc_lo, 0xffffff, v[2:3]
	v_add_nc_u32_e32 v8, 15, v45
	v_cndmask_b32_e32 v30, v44, v8, vcc_lo
	v_cndmask_b32_e64 v8, 0, 1, vcc_lo
	s_delay_alu instid0(VALU_DEP_1)
	v_lshrrev_b64 v[8:9], v8, v[2:3]
; %bb.8825:                             ;   in Loop: Header=BB2_8074 Depth=3
	s_and_not1_saveexec_b32 s14, s14
; %bb.8826:                             ;   in Loop: Header=BB2_8074 Depth=3
	v_mov_b64_e32 v[8:9], v[2:3]
	v_bfe_u32 v30, v2, 23, 1
; %bb.8827:                             ;   in Loop: Header=BB2_8074 Depth=3
	s_or_b32 exec_lo, exec_lo, s14
	s_delay_alu instid0(VALU_DEP_2) | instskip(NEXT) | instid1(VALU_DEP_2)
	v_lshrrev_b64 v[8:9], 21, v[8:9]
	v_cmp_gt_i32_e32 vcc_lo, 32, v30
	v_min_i32_e32 v2, 31, v30
	v_cmp_eq_u32_e64 s14, 0, v30
	s_delay_alu instid0(VALU_DEP_2) | instskip(SKIP_1) | instid1(VALU_DEP_2)
	v_dual_cndmask_b32 v9, 0, v9 :: v_dual_lshlrev_b32 v2, 2, v2
	v_cndmask_b32_e32 v8, 3, v8, vcc_lo
	v_and_b32_e32 v2, 0xfc, v2
	s_delay_alu instid0(VALU_DEP_2) | instskip(NEXT) | instid1(VALU_DEP_2)
	v_cmp_eq_u64_e32 vcc_lo, 0, v[8:9]
	v_and_or_b32 v2, v8, 3, v2
	s_and_b32 s14, s14, vcc_lo
	s_delay_alu instid0(VALU_DEP_1) | instid1(SALU_CYCLE_1)
	v_cndmask_b32_e64 v2, v2, 0, s14
	s_delay_alu instid0(VALU_DEP_1)
	v_or_b32_e32 v30, v2, v46
.LBB2_8828:                             ;   in Loop: Header=BB2_8074 Depth=3
	s_or_b32 exec_lo, exec_lo, s76
                                        ; implicit-def: $vgpr46
.LBB2_8829:                             ;   in Loop: Header=BB2_8074 Depth=3
	s_and_not1_saveexec_b32 s14, s75
; %bb.8830:                             ;   in Loop: Header=BB2_8074 Depth=3
	v_or_b32_e32 v30, 0x7b, v46
; %bb.8831:                             ;   in Loop: Header=BB2_8074 Depth=3
	s_or_b32 exec_lo, exec_lo, s14
                                        ; implicit-def: $vgpr8
                                        ; implicit-def: $vgpr9
.LBB2_8832:                             ;   in Loop: Header=BB2_8074 Depth=3
	s_and_not1_saveexec_b32 s14, s74
	s_cbranch_execz .LBB2_8838
; %bb.8833:                             ;   in Loop: Header=BB2_8074 Depth=3
	s_mov_b32 s74, exec_lo
                                        ; implicit-def: $vgpr30
	v_cmpx_ne_u64_e32 0, v[2:3]
	s_xor_b32 s74, exec_lo, s74
; %bb.8834:                             ;   in Loop: Header=BB2_8074 Depth=3
	v_or_b32_e32 v30, 0x7f, v9
                                        ; implicit-def: $vgpr8
; %bb.8835:                             ;   in Loop: Header=BB2_8074 Depth=3
	s_and_not1_saveexec_b32 s74, s74
; %bb.8836:                             ;   in Loop: Header=BB2_8074 Depth=3
	v_cmp_lt_i32_e32 vcc_lo, -1, v8
	v_cndmask_b32_e32 v30, 0xfc, v120, vcc_lo
; %bb.8837:                             ;   in Loop: Header=BB2_8074 Depth=3
	s_or_b32 exec_lo, exec_lo, s74
.LBB2_8838:                             ;   in Loop: Header=BB2_8074 Depth=3
	s_delay_alu instid0(SALU_CYCLE_1) | instskip(SKIP_3) | instid1(VALU_DEP_1)
	s_or_b32 exec_lo, exec_lo, s14
	v_lshl_or_b32 v46, v74, 8, v62
	v_dual_lshlrev_b32 v2, 16, v77 :: v_dual_lshlrev_b32 v8, 24, v78
	s_mov_b32 s14, exec_lo
	v_or3_b32 v2, v2, v8, v46
	v_mov_b32_e32 v8, 0
	v_cmpx_ne_u32_e32 0, v62
	s_cbranch_execz .LBB2_8848
; %bb.8839:                             ;   in Loop: Header=BB2_8074 Depth=3
	v_bfrev_b32_e32 v8, 1
	s_mov_b32 s74, exec_lo
	v_cmpx_ne_u32_e32 0x80, v62
	s_cbranch_execz .LBB2_8847
; %bb.8840:                             ;   in Loop: Header=BB2_8074 Depth=3
	v_and_b32_e32 v8, 0x7c, v62
	v_and_b32_e32 v9, 3, v62
	s_delay_alu instid0(VALU_DEP_2) | instskip(SKIP_1) | instid1(SALU_CYCLE_1)
	v_cmp_ne_u32_e32 vcc_lo, 0x7c, v8
                                        ; implicit-def: $vgpr8
	s_and_saveexec_b32 s75, vcc_lo
	s_xor_b32 s75, exec_lo, s75
	s_cbranch_execz .LBB2_8844
; %bb.8841:                             ;   in Loop: Header=BB2_8074 Depth=3
	v_bfe_u32 v8, v62, 2, 5
	s_mov_b32 s76, exec_lo
	s_delay_alu instid0(VALU_DEP_1)
	v_cmpx_eq_u32_e32 0, v8
; %bb.8842:                             ;   in Loop: Header=BB2_8074 Depth=3
	v_clz_i32_u32_e32 v8, v9
	s_delay_alu instid0(VALU_DEP_1) | instskip(NEXT) | instid1(VALU_DEP_1)
	v_min_u32_e32 v8, 32, v8
	v_subrev_nc_u32_e32 v9, 29, v8
	s_delay_alu instid0(VALU_DEP_1) | instskip(NEXT) | instid1(VALU_DEP_1)
	v_lshlrev_b64_e32 v[18:19], v9, v[2:3]
	v_dual_sub_nc_u32 v8, 30, v8 :: v_dual_bitop2_b32 v9, 3, v18 bitop3:0x40
; %bb.8843:                             ;   in Loop: Header=BB2_8074 Depth=3
	s_or_b32 exec_lo, exec_lo, s76
	v_lshlrev_b32_e32 v18, 24, v62
                                        ; implicit-def: $vgpr62
	s_delay_alu instid0(VALU_DEP_1) | instskip(NEXT) | instid1(VALU_DEP_1)
	v_and_b32_e32 v18, 0x80000000, v18
	v_lshl_add_u32 v8, v8, 23, v18
	s_delay_alu instid0(VALU_DEP_1) | instskip(NEXT) | instid1(VALU_DEP_1)
	v_lshl_or_b32 v8, v9, 21, v8
                                        ; implicit-def: $vgpr9
	v_add_nc_u32_e32 v8, 0x38000000, v8
.LBB2_8844:                             ;   in Loop: Header=BB2_8074 Depth=3
	s_and_not1_saveexec_b32 s75, s75
; %bb.8845:                             ;   in Loop: Header=BB2_8074 Depth=3
	v_and_b32_e32 v8, 0x80, v62
	s_delay_alu instid0(VALU_DEP_1) | instskip(SKIP_2) | instid1(VALU_DEP_2)
	v_cmp_eq_u32_e32 vcc_lo, 0, v8
	v_cndmask_b32_e32 v8, 0xff800000, v111, vcc_lo
	v_cmp_eq_u32_e32 vcc_lo, 0, v9
	v_cndmask_b32_e32 v8, 0x7f800001, v8, vcc_lo
; %bb.8846:                             ;   in Loop: Header=BB2_8074 Depth=3
	s_or_b32 exec_lo, exec_lo, s75
.LBB2_8847:                             ;   in Loop: Header=BB2_8074 Depth=3
	s_delay_alu instid0(SALU_CYCLE_1)
	s_or_b32 exec_lo, exec_lo, s74
.LBB2_8848:                             ;   in Loop: Header=BB2_8074 Depth=3
	s_delay_alu instid0(SALU_CYCLE_1) | instskip(SKIP_3) | instid1(VALU_DEP_1)
	s_or_b32 exec_lo, exec_lo, s14
	v_and_b32_e32 v44, 0xff, v10
	s_mov_b32 s74, 0
	s_mov_b32 s14, exec_lo
	v_cmpx_lt_i16_e32 0x7f, v44
	s_xor_b32 s14, exec_lo, s14
	s_cbranch_execz .LBB2_9125
; %bb.8849:                             ;   in Loop: Header=BB2_8074 Depth=3
	s_mov_b32 s74, -1
	s_mov_b32 s75, exec_lo
	v_cmpx_eq_u16_e32 0x80, v44
; %bb.8850:                             ;   in Loop: Header=BB2_8074 Depth=3
	s_xor_b32 s74, exec_lo, -1
; %bb.8851:                             ;   in Loop: Header=BB2_8074 Depth=3
	s_or_b32 exec_lo, exec_lo, s75
	s_delay_alu instid0(SALU_CYCLE_1)
	s_and_b32 s74, s74, exec_lo
                                        ; implicit-def: $vgpr44
	s_or_saveexec_b32 s14, s14
	v_bfrev_b32_e32 v9, 1
	s_xor_b32 exec_lo, exec_lo, s14
	s_cbranch_execnz .LBB2_9126
.LBB2_8852:                             ;   in Loop: Header=BB2_8074 Depth=3
	s_or_b32 exec_lo, exec_lo, s14
	s_and_saveexec_b32 s14, s74
	s_cbranch_execz .LBB2_8854
.LBB2_8853:                             ;   in Loop: Header=BB2_8074 Depth=3
	v_and_b32_e32 v9, 3, v10
	v_bfe_u32 v45, v10, 2, 5
	s_delay_alu instid0(VALU_DEP_2) | instskip(NEXT) | instid1(VALU_DEP_2)
	v_clz_i32_u32_e32 v18, v9
	v_cmp_eq_u32_e32 vcc_lo, 0, v45
	s_delay_alu instid0(VALU_DEP_2) | instskip(NEXT) | instid1(VALU_DEP_1)
	v_min_u32_e32 v44, 32, v18
	v_subrev_nc_u32_e32 v18, 29, v44
	s_delay_alu instid0(VALU_DEP_1) | instskip(SKIP_1) | instid1(VALU_DEP_1)
	v_lshlrev_b64_e32 v[18:19], v18, v[10:11]
	v_dual_lshlrev_b32 v19, 24, v10 :: v_dual_sub_nc_u32 v44, 30, v44
	v_and_b32_e32 v19, 0x80000000, v19
	s_delay_alu instid0(VALU_DEP_2) | instskip(SKIP_1) | instid1(VALU_DEP_2)
	v_dual_cndmask_b32 v44, v45, v44, vcc_lo :: v_dual_bitop2_b32 v18, 3, v18 bitop3:0x40
	v_bfe_i32 v45, v10, 0, 8
	v_cndmask_b32_e32 v18, v9, v18, vcc_lo
	s_delay_alu instid0(VALU_DEP_3) | instskip(NEXT) | instid1(VALU_DEP_3)
	v_lshl_add_u32 v19, v44, 23, v19
	v_cmp_lt_i16_e32 vcc_lo, -1, v45
	s_delay_alu instid0(VALU_DEP_2) | instskip(SKIP_3) | instid1(VALU_DEP_4)
	v_lshl_or_b32 v18, v18, 21, v19
	v_cndmask_b32_e32 v44, 0xff800000, v111, vcc_lo
	v_and_b32_e32 v19, 0x7c, v10
	v_cmp_eq_u32_e32 vcc_lo, 0, v9
	v_add_nc_u32_e32 v18, 0x38000000, v18
	s_delay_alu instid0(VALU_DEP_4) | instskip(NEXT) | instid1(VALU_DEP_4)
	v_cndmask_b32_e32 v9, 0x7f800001, v44, vcc_lo
	v_cmp_eq_u32_e32 vcc_lo, 0x7c, v19
	s_delay_alu instid0(VALU_DEP_2)
	v_cndmask_b32_e32 v9, v18, v9, vcc_lo
.LBB2_8854:                             ;   in Loop: Header=BB2_8074 Depth=3
	s_or_b32 exec_lo, exec_lo, s14
	s_delay_alu instid0(VALU_DEP_1) | instskip(SKIP_2) | instid1(VALU_DEP_2)
	v_dual_add_f32 v44, v8, v9 :: v_dual_mov_b32 v19, v3
	v_mov_b32_e32 v9, v3
                                        ; implicit-def: $vgpr62
	s_mov_b32 s14, exec_lo
	v_and_b32_e32 v18, 0x7f800000, v44
	v_and_b32_e32 v8, 0x7fffff, v44
	v_lshrrev_b32_e32 v45, 24, v44
	s_delay_alu instid0(VALU_DEP_3)
	v_cmpx_ne_u64_e32 0x7f800000, v[18:19]
	s_xor_b32 s74, exec_lo, s14
	s_cbranch_execz .LBB2_8868
; %bb.8855:                             ;   in Loop: Header=BB2_8074 Depth=3
	v_and_b32_e32 v18, 0x7fffffff, v44
	v_mov_b32_e32 v19, v3
	v_and_b32_e32 v47, 0x80, v45
                                        ; implicit-def: $vgpr62
	s_mov_b32 s14, exec_lo
	s_delay_alu instid0(VALU_DEP_2)
	v_cmpx_gt_u64_e32 0x47600001, v[18:19]
	s_xor_b32 s75, exec_lo, s14
	s_cbranch_execz .LBB2_8865
; %bb.8856:                             ;   in Loop: Header=BB2_8074 Depth=3
	v_mov_b32_e32 v62, 0
	s_mov_b32 s76, exec_lo
	v_cmpx_ne_u32_e32 0, v44
	s_cbranch_execz .LBB2_8864
; %bb.8857:                             ;   in Loop: Header=BB2_8074 Depth=3
	v_bfe_u32 v62, v44, 23, 8
	v_or_b32_e32 v44, 0x800000, v8
	s_delay_alu instid0(VALU_DEP_2) | instskip(SKIP_1) | instid1(VALU_DEP_2)
	v_sub_nc_u32_e32 v18, 0x71, v62
	v_cmp_gt_u32_e32 vcc_lo, 0x72, v62
	v_cndmask_b32_e32 v18, 0, v18, vcc_lo
	v_cmp_eq_u32_e32 vcc_lo, 0, v62
	v_cndmask_b32_e32 v8, v44, v8, vcc_lo
	s_delay_alu instid0(VALU_DEP_3) | instskip(NEXT) | instid1(VALU_DEP_1)
	v_cndmask_b32_e64 v74, v18, 0x70, vcc_lo
	v_dual_add_nc_u32 v18, 21, v74 :: v_dual_add_nc_u32 v45, 20, v74
	s_delay_alu instid0(VALU_DEP_1) | instskip(NEXT) | instid1(VALU_DEP_2)
	v_lshlrev_b64_e64 v[18:19], v18, -1
	v_lshlrev_b64_e64 v[44:45], v45, 1
	s_delay_alu instid0(VALU_DEP_2) | instskip(SKIP_1) | instid1(VALU_DEP_4)
	v_bfi_b32 v18, v18, 0, v8
	v_lshrrev_b64 v[8:9], v74, v[8:9]
	v_bfi_b32 v19, v19, 0, 0
	s_delay_alu instid0(VALU_DEP_1) | instskip(NEXT) | instid1(VALU_DEP_3)
	v_cmp_eq_u64_e64 s14, v[18:19], v[44:45]
	v_mov_b64_e32 v[44:45], v[8:9]
	s_and_saveexec_b32 s77, s14
; %bb.8858:                             ;   in Loop: Header=BB2_8074 Depth=3
	v_bfe_u32 v18, v8, 21, 1
	v_mov_b32_e32 v19, v3
	s_delay_alu instid0(VALU_DEP_1) | instskip(NEXT) | instid1(VALU_DEP_1)
	v_add_nc_u64_e32 v[18:19], v[8:9], v[18:19]
	v_add_nc_u64_e32 v[44:45], -1, v[18:19]
; %bb.8859:                             ;   in Loop: Header=BB2_8074 Depth=3
	s_or_b32 exec_lo, exec_lo, s77
	v_add_nc_u32_e32 v9, 0xffffff81, v62
	v_lshrrev_b32_e32 v18, 23, v8
	s_mov_b32 s14, exec_lo
	s_delay_alu instid0(VALU_DEP_2) | instskip(NEXT) | instid1(VALU_DEP_1)
	v_cndmask_b32_e64 v9, v9, 0xffffff82, vcc_lo
	v_add3_u32 v45, v74, v9, v18
	v_and_b32_e32 v9, 0x1fffff, v44
                                        ; implicit-def: $vgpr44
	s_delay_alu instid0(VALU_DEP_1) | instskip(SKIP_1) | instid1(VALU_DEP_2)
	v_dual_add_nc_u32 v62, 14, v45 :: v_dual_add_nc_u32 v8, v9, v8
	v_mov_b32_e32 v9, v3
	v_cmpx_ne_u32_e32 0, v62
	s_xor_b32 s14, exec_lo, s14
; %bb.8860:                             ;   in Loop: Header=BB2_8074 Depth=3
	s_delay_alu instid0(VALU_DEP_2) | instskip(SKIP_1) | instid1(VALU_DEP_1)
	v_cmp_lt_u64_e32 vcc_lo, 0xffffff, v[8:9]
	v_add_nc_u32_e32 v18, 15, v45
	v_cndmask_b32_e32 v44, v62, v18, vcc_lo
	v_cndmask_b32_e64 v18, 0, 1, vcc_lo
	s_delay_alu instid0(VALU_DEP_1)
	v_lshrrev_b64 v[8:9], v18, v[8:9]
; %bb.8861:                             ;   in Loop: Header=BB2_8074 Depth=3
	s_and_not1_saveexec_b32 s14, s14
; %bb.8862:                             ;   in Loop: Header=BB2_8074 Depth=3
	s_delay_alu instid0(VALU_DEP_1)
	v_bfe_u32 v44, v8, 23, 1
; %bb.8863:                             ;   in Loop: Header=BB2_8074 Depth=3
	s_or_b32 exec_lo, exec_lo, s14
	s_delay_alu instid0(VALU_DEP_2) | instskip(NEXT) | instid1(VALU_DEP_2)
	v_lshrrev_b64 v[8:9], 21, v[8:9]
	v_cmp_gt_i32_e32 vcc_lo, 32, v44
	v_min_i32_e32 v18, 31, v44
	v_cmp_eq_u32_e64 s14, 0, v44
	s_delay_alu instid0(VALU_DEP_2) | instskip(SKIP_1) | instid1(VALU_DEP_2)
	v_dual_cndmask_b32 v9, 0, v9 :: v_dual_lshlrev_b32 v18, 2, v18
	v_cndmask_b32_e32 v8, 3, v8, vcc_lo
	v_and_b32_e32 v18, 0xfc, v18
	s_delay_alu instid0(VALU_DEP_2) | instskip(NEXT) | instid1(VALU_DEP_2)
	v_cmp_eq_u64_e32 vcc_lo, 0, v[8:9]
	v_and_or_b32 v8, v8, 3, v18
	s_and_b32 s14, s14, vcc_lo
	s_delay_alu instid0(VALU_DEP_1) | instid1(SALU_CYCLE_1)
	v_cndmask_b32_e64 v8, v8, 0, s14
	s_delay_alu instid0(VALU_DEP_1)
	v_or_b32_e32 v62, v8, v47
.LBB2_8864:                             ;   in Loop: Header=BB2_8074 Depth=3
	s_or_b32 exec_lo, exec_lo, s76
                                        ; implicit-def: $vgpr47
.LBB2_8865:                             ;   in Loop: Header=BB2_8074 Depth=3
	s_and_not1_saveexec_b32 s14, s75
; %bb.8866:                             ;   in Loop: Header=BB2_8074 Depth=3
	v_or_b32_e32 v62, 0x7b, v47
; %bb.8867:                             ;   in Loop: Header=BB2_8074 Depth=3
	s_or_b32 exec_lo, exec_lo, s14
                                        ; implicit-def: $vgpr44
                                        ; implicit-def: $vgpr8_vgpr9
                                        ; implicit-def: $vgpr45
.LBB2_8868:                             ;   in Loop: Header=BB2_8074 Depth=3
	s_and_not1_saveexec_b32 s14, s74
	s_cbranch_execz .LBB2_8874
; %bb.8869:                             ;   in Loop: Header=BB2_8074 Depth=3
	s_mov_b32 s74, exec_lo
                                        ; implicit-def: $vgpr62
	v_cmpx_ne_u64_e32 0, v[8:9]
	s_xor_b32 s74, exec_lo, s74
; %bb.8870:                             ;   in Loop: Header=BB2_8074 Depth=3
	v_or_b32_e32 v62, 0x7f, v45
                                        ; implicit-def: $vgpr44
; %bb.8871:                             ;   in Loop: Header=BB2_8074 Depth=3
	s_and_not1_saveexec_b32 s74, s74
; %bb.8872:                             ;   in Loop: Header=BB2_8074 Depth=3
	v_cmp_lt_i32_e32 vcc_lo, -1, v44
	v_cndmask_b32_e32 v62, 0xfc, v120, vcc_lo
; %bb.8873:                             ;   in Loop: Header=BB2_8074 Depth=3
	s_or_b32 exec_lo, exec_lo, s74
.LBB2_8874:                             ;   in Loop: Header=BB2_8074 Depth=3
	s_delay_alu instid0(SALU_CYCLE_1) | instskip(SKIP_3) | instid1(VALU_DEP_2)
	s_or_b32 exec_lo, exec_lo, s14
	v_lshrrev_b16 v8, 8, v46
	v_mov_b32_e32 v44, 0
	s_mov_b32 s14, exec_lo
	v_cmpx_ne_u16_e32 0, v8
	s_cbranch_execz .LBB2_8884
; %bb.8875:                             ;   in Loop: Header=BB2_8074 Depth=3
	v_bfrev_b32_e32 v44, 1
	s_mov_b32 s74, exec_lo
	v_cmpx_ne_u16_e32 0x80, v8
	s_cbranch_execz .LBB2_8883
; %bb.8876:                             ;   in Loop: Header=BB2_8074 Depth=3
	v_and_b32_e32 v45, 0xffff, v8
	s_mov_b32 s75, exec_lo
                                        ; implicit-def: $vgpr44
	s_delay_alu instid0(VALU_DEP_1) | instskip(SKIP_1) | instid1(VALU_DEP_2)
	v_and_b32_e32 v18, 0x7c, v45
	v_and_b32_e32 v9, 3, v45
	v_cmpx_ne_u32_e32 0x7c, v18
	s_xor_b32 s75, exec_lo, s75
	s_cbranch_execz .LBB2_8880
; %bb.8877:                             ;   in Loop: Header=BB2_8074 Depth=3
	v_bfe_u32 v44, v45, 2, 5
	s_mov_b32 s76, exec_lo
	s_delay_alu instid0(VALU_DEP_1)
	v_cmpx_eq_u32_e32 0, v44
; %bb.8878:                             ;   in Loop: Header=BB2_8074 Depth=3
	v_clz_i32_u32_e32 v9, v9
	s_delay_alu instid0(VALU_DEP_1) | instskip(NEXT) | instid1(VALU_DEP_1)
	v_min_u32_e32 v18, 32, v9
	v_dual_mov_b32 v9, v3 :: v_dual_sub_nc_u32 v44, 30, v18
	v_subrev_nc_u32_e32 v19, 29, v18
	s_delay_alu instid0(VALU_DEP_1) | instskip(NEXT) | instid1(VALU_DEP_1)
	v_lshlrev_b64_e32 v[8:9], v19, v[8:9]
	v_and_b32_e32 v9, 3, v8
; %bb.8879:                             ;   in Loop: Header=BB2_8074 Depth=3
	s_or_b32 exec_lo, exec_lo, s76
	v_lshlrev_b32_e32 v8, 16, v46
                                        ; implicit-def: $vgpr46
	s_delay_alu instid0(VALU_DEP_1) | instskip(NEXT) | instid1(VALU_DEP_1)
	v_and_b32_e32 v8, 0x80000000, v8
	v_lshl_add_u32 v8, v44, 23, v8
	s_delay_alu instid0(VALU_DEP_1) | instskip(NEXT) | instid1(VALU_DEP_1)
	v_lshl_or_b32 v8, v9, 21, v8
                                        ; implicit-def: $vgpr9
	v_add_nc_u32_e32 v44, 0x38000000, v8
.LBB2_8880:                             ;   in Loop: Header=BB2_8074 Depth=3
	s_and_not1_saveexec_b32 s75, s75
; %bb.8881:                             ;   in Loop: Header=BB2_8074 Depth=3
	v_cmp_lt_i16_e32 vcc_lo, -1, v46
	v_cndmask_b32_e32 v8, 0xff800000, v111, vcc_lo
	v_cmp_eq_u32_e32 vcc_lo, 0, v9
	s_delay_alu instid0(VALU_DEP_2)
	v_cndmask_b32_e32 v44, 0x7f800001, v8, vcc_lo
; %bb.8882:                             ;   in Loop: Header=BB2_8074 Depth=3
	s_or_b32 exec_lo, exec_lo, s75
.LBB2_8883:                             ;   in Loop: Header=BB2_8074 Depth=3
	s_delay_alu instid0(SALU_CYCLE_1)
	s_or_b32 exec_lo, exec_lo, s74
.LBB2_8884:                             ;   in Loop: Header=BB2_8074 Depth=3
	s_delay_alu instid0(SALU_CYCLE_1) | instskip(SKIP_3) | instid1(VALU_DEP_1)
	s_or_b32 exec_lo, exec_lo, s14
	v_lshrrev_b16 v8, 8, v10
	s_mov_b32 s74, 0
	s_mov_b32 s14, exec_lo
	v_cmpx_lt_i16_e32 0x7f, v8
	s_xor_b32 s14, exec_lo, s14
	s_cbranch_execz .LBB2_9127
; %bb.8885:                             ;   in Loop: Header=BB2_8074 Depth=3
	s_mov_b32 s74, -1
	s_mov_b32 s75, exec_lo
	v_cmpx_eq_u16_e32 0x80, v8
; %bb.8886:                             ;   in Loop: Header=BB2_8074 Depth=3
	s_xor_b32 s74, exec_lo, -1
; %bb.8887:                             ;   in Loop: Header=BB2_8074 Depth=3
	s_or_b32 exec_lo, exec_lo, s75
	s_delay_alu instid0(SALU_CYCLE_1)
	s_and_b32 s74, s74, exec_lo
	s_or_saveexec_b32 s14, s14
	v_bfrev_b32_e32 v9, 1
	s_xor_b32 exec_lo, exec_lo, s14
	s_cbranch_execnz .LBB2_9128
.LBB2_8888:                             ;   in Loop: Header=BB2_8074 Depth=3
	s_or_b32 exec_lo, exec_lo, s14
	s_and_saveexec_b32 s14, s74
	s_cbranch_execz .LBB2_8890
.LBB2_8889:                             ;   in Loop: Header=BB2_8074 Depth=3
	v_and_b32_e32 v45, 0xffff, v8
	s_delay_alu instid0(VALU_DEP_1) | instskip(NEXT) | instid1(VALU_DEP_1)
	v_and_b32_e32 v46, 3, v45
	v_clz_i32_u32_e32 v9, v46
	s_delay_alu instid0(VALU_DEP_1) | instskip(SKIP_1) | instid1(VALU_DEP_2)
	v_min_u32_e32 v47, 32, v9
	v_mov_b32_e32 v9, v3
	v_subrev_nc_u32_e32 v18, 29, v47
	s_delay_alu instid0(VALU_DEP_1) | instskip(SKIP_2) | instid1(VALU_DEP_2)
	v_lshlrev_b64_e32 v[18:19], v18, v[8:9]
	v_bfe_u32 v9, v45, 2, 5
	v_dual_lshlrev_b32 v8, 24, v8 :: v_dual_sub_nc_u32 v19, 30, v47
	v_cmp_eq_u32_e32 vcc_lo, 0, v9
	s_delay_alu instid0(VALU_DEP_2) | instskip(NEXT) | instid1(VALU_DEP_3)
	v_and_b32_e32 v8, 0x80000000, v8
	v_dual_cndmask_b32 v9, v9, v19, vcc_lo :: v_dual_bitop2_b32 v18, 3, v18 bitop3:0x40
	s_delay_alu instid0(VALU_DEP_1) | instskip(SKIP_1) | instid1(VALU_DEP_3)
	v_cndmask_b32_e32 v18, v46, v18, vcc_lo
	v_cmp_lt_i16_e32 vcc_lo, -1, v10
	v_lshl_add_u32 v8, v9, 23, v8
	v_cndmask_b32_e32 v9, 0xff800000, v111, vcc_lo
	v_cmp_eq_u32_e32 vcc_lo, 0, v46
	s_delay_alu instid0(VALU_DEP_3) | instskip(SKIP_1) | instid1(VALU_DEP_4)
	v_lshl_or_b32 v8, v18, 21, v8
	v_and_b32_e32 v18, 0x7c, v45
	v_cndmask_b32_e32 v9, 0x7f800001, v9, vcc_lo
	s_delay_alu instid0(VALU_DEP_3) | instskip(NEXT) | instid1(VALU_DEP_3)
	v_add_nc_u32_e32 v8, 0x38000000, v8
	v_cmp_eq_u32_e32 vcc_lo, 0x7c, v18
	s_delay_alu instid0(VALU_DEP_2)
	v_cndmask_b32_e32 v9, v8, v9, vcc_lo
.LBB2_8890:                             ;   in Loop: Header=BB2_8074 Depth=3
	s_or_b32 exec_lo, exec_lo, s14
	s_delay_alu instid0(VALU_DEP_1) | instskip(SKIP_2) | instid1(VALU_DEP_2)
	v_dual_add_f32 v44, v44, v9 :: v_dual_mov_b32 v19, v3
	v_mov_b32_e32 v9, v3
                                        ; implicit-def: $vgpr74
	s_mov_b32 s14, exec_lo
	v_and_b32_e32 v18, 0x7f800000, v44
	v_and_b32_e32 v8, 0x7fffff, v44
	v_lshrrev_b32_e32 v45, 24, v44
	s_delay_alu instid0(VALU_DEP_3)
	v_cmpx_ne_u64_e32 0x7f800000, v[18:19]
	s_xor_b32 s74, exec_lo, s14
	s_cbranch_execz .LBB2_8904
; %bb.8891:                             ;   in Loop: Header=BB2_8074 Depth=3
	v_and_b32_e32 v18, 0x7fffffff, v44
	v_mov_b32_e32 v19, v3
	v_and_b32_e32 v46, 0x80, v45
                                        ; implicit-def: $vgpr74
	s_mov_b32 s14, exec_lo
	s_delay_alu instid0(VALU_DEP_2)
	v_cmpx_gt_u64_e32 0x47600001, v[18:19]
	s_xor_b32 s75, exec_lo, s14
	s_cbranch_execz .LBB2_8901
; %bb.8892:                             ;   in Loop: Header=BB2_8074 Depth=3
	v_mov_b32_e32 v74, 0
	s_mov_b32 s76, exec_lo
	v_cmpx_ne_u32_e32 0, v44
	s_cbranch_execz .LBB2_8900
; %bb.8893:                             ;   in Loop: Header=BB2_8074 Depth=3
	v_bfe_u32 v47, v44, 23, 8
	v_or_b32_e32 v44, 0x800000, v8
	s_delay_alu instid0(VALU_DEP_2) | instskip(SKIP_1) | instid1(VALU_DEP_2)
	v_sub_nc_u32_e32 v18, 0x71, v47
	v_cmp_gt_u32_e32 vcc_lo, 0x72, v47
	v_cndmask_b32_e32 v18, 0, v18, vcc_lo
	v_cmp_eq_u32_e32 vcc_lo, 0, v47
	v_cndmask_b32_e32 v8, v44, v8, vcc_lo
	s_delay_alu instid0(VALU_DEP_3) | instskip(NEXT) | instid1(VALU_DEP_1)
	v_cndmask_b32_e64 v74, v18, 0x70, vcc_lo
	v_dual_add_nc_u32 v18, 21, v74 :: v_dual_add_nc_u32 v45, 20, v74
	s_delay_alu instid0(VALU_DEP_1) | instskip(NEXT) | instid1(VALU_DEP_2)
	v_lshlrev_b64_e64 v[18:19], v18, -1
	v_lshlrev_b64_e64 v[44:45], v45, 1
	s_delay_alu instid0(VALU_DEP_2) | instskip(SKIP_1) | instid1(VALU_DEP_4)
	v_bfi_b32 v18, v18, 0, v8
	v_lshrrev_b64 v[8:9], v74, v[8:9]
	v_bfi_b32 v19, v19, 0, 0
	s_delay_alu instid0(VALU_DEP_1) | instskip(NEXT) | instid1(VALU_DEP_3)
	v_cmp_eq_u64_e64 s14, v[18:19], v[44:45]
	v_mov_b64_e32 v[44:45], v[8:9]
	s_and_saveexec_b32 s77, s14
; %bb.8894:                             ;   in Loop: Header=BB2_8074 Depth=3
	v_bfe_u32 v18, v8, 21, 1
	v_mov_b32_e32 v19, v3
	s_delay_alu instid0(VALU_DEP_1) | instskip(NEXT) | instid1(VALU_DEP_1)
	v_add_nc_u64_e32 v[18:19], v[8:9], v[18:19]
	v_add_nc_u64_e32 v[44:45], -1, v[18:19]
; %bb.8895:                             ;   in Loop: Header=BB2_8074 Depth=3
	s_or_b32 exec_lo, exec_lo, s77
	v_add_nc_u32_e32 v9, 0xffffff81, v47
	v_lshrrev_b32_e32 v18, 23, v8
	s_mov_b32 s14, exec_lo
	s_delay_alu instid0(VALU_DEP_2) | instskip(NEXT) | instid1(VALU_DEP_1)
	v_cndmask_b32_e64 v9, v9, 0xffffff82, vcc_lo
	v_add3_u32 v45, v74, v9, v18
	v_and_b32_e32 v9, 0x1fffff, v44
                                        ; implicit-def: $vgpr44
	s_delay_alu instid0(VALU_DEP_1) | instskip(SKIP_1) | instid1(VALU_DEP_2)
	v_dual_add_nc_u32 v47, 14, v45 :: v_dual_add_nc_u32 v8, v9, v8
	v_mov_b32_e32 v9, v3
	v_cmpx_ne_u32_e32 0, v47
	s_xor_b32 s14, exec_lo, s14
; %bb.8896:                             ;   in Loop: Header=BB2_8074 Depth=3
	s_delay_alu instid0(VALU_DEP_2) | instskip(SKIP_1) | instid1(VALU_DEP_1)
	v_cmp_lt_u64_e32 vcc_lo, 0xffffff, v[8:9]
	v_add_nc_u32_e32 v18, 15, v45
	v_cndmask_b32_e32 v44, v47, v18, vcc_lo
	v_cndmask_b32_e64 v18, 0, 1, vcc_lo
	s_delay_alu instid0(VALU_DEP_1)
	v_lshrrev_b64 v[8:9], v18, v[8:9]
; %bb.8897:                             ;   in Loop: Header=BB2_8074 Depth=3
	s_and_not1_saveexec_b32 s14, s14
; %bb.8898:                             ;   in Loop: Header=BB2_8074 Depth=3
	s_delay_alu instid0(VALU_DEP_1)
	v_bfe_u32 v44, v8, 23, 1
; %bb.8899:                             ;   in Loop: Header=BB2_8074 Depth=3
	s_or_b32 exec_lo, exec_lo, s14
	s_delay_alu instid0(VALU_DEP_2) | instskip(NEXT) | instid1(VALU_DEP_2)
	v_lshrrev_b64 v[8:9], 21, v[8:9]
	v_cmp_gt_i32_e32 vcc_lo, 32, v44
	v_min_i32_e32 v18, 31, v44
	v_cmp_eq_u32_e64 s14, 0, v44
	s_delay_alu instid0(VALU_DEP_2) | instskip(SKIP_1) | instid1(VALU_DEP_2)
	v_dual_cndmask_b32 v9, 0, v9 :: v_dual_lshlrev_b32 v18, 2, v18
	v_cndmask_b32_e32 v8, 3, v8, vcc_lo
	v_and_b32_e32 v18, 0xfc, v18
	s_delay_alu instid0(VALU_DEP_2) | instskip(NEXT) | instid1(VALU_DEP_2)
	v_cmp_eq_u64_e32 vcc_lo, 0, v[8:9]
	v_and_or_b32 v8, v8, 3, v18
	s_and_b32 s14, s14, vcc_lo
	s_delay_alu instid0(VALU_DEP_1) | instid1(SALU_CYCLE_1)
	v_cndmask_b32_e64 v8, v8, 0, s14
	s_delay_alu instid0(VALU_DEP_1)
	v_or_b32_e32 v74, v8, v46
.LBB2_8900:                             ;   in Loop: Header=BB2_8074 Depth=3
	s_or_b32 exec_lo, exec_lo, s76
                                        ; implicit-def: $vgpr46
.LBB2_8901:                             ;   in Loop: Header=BB2_8074 Depth=3
	s_and_not1_saveexec_b32 s14, s75
; %bb.8902:                             ;   in Loop: Header=BB2_8074 Depth=3
	v_or_b32_e32 v74, 0x7b, v46
; %bb.8903:                             ;   in Loop: Header=BB2_8074 Depth=3
	s_or_b32 exec_lo, exec_lo, s14
                                        ; implicit-def: $vgpr44
                                        ; implicit-def: $vgpr8_vgpr9
                                        ; implicit-def: $vgpr45
.LBB2_8904:                             ;   in Loop: Header=BB2_8074 Depth=3
	s_and_not1_saveexec_b32 s14, s74
	s_cbranch_execz .LBB2_8910
; %bb.8905:                             ;   in Loop: Header=BB2_8074 Depth=3
	s_mov_b32 s74, exec_lo
                                        ; implicit-def: $vgpr74
	v_cmpx_ne_u64_e32 0, v[8:9]
	s_xor_b32 s74, exec_lo, s74
; %bb.8906:                             ;   in Loop: Header=BB2_8074 Depth=3
	v_or_b32_e32 v74, 0x7f, v45
                                        ; implicit-def: $vgpr44
; %bb.8907:                             ;   in Loop: Header=BB2_8074 Depth=3
	s_and_not1_saveexec_b32 s74, s74
; %bb.8908:                             ;   in Loop: Header=BB2_8074 Depth=3
	v_cmp_lt_i32_e32 vcc_lo, -1, v44
	v_cndmask_b32_e32 v74, 0xfc, v120, vcc_lo
; %bb.8909:                             ;   in Loop: Header=BB2_8074 Depth=3
	s_or_b32 exec_lo, exec_lo, s74
.LBB2_8910:                             ;   in Loop: Header=BB2_8074 Depth=3
	s_delay_alu instid0(SALU_CYCLE_1) | instskip(SKIP_2) | instid1(VALU_DEP_1)
	s_or_b32 exec_lo, exec_lo, s14
	v_dual_mov_b32 v9, 0 :: v_dual_lshrrev_b32 v8, 16, v2
	s_mov_b32 s14, exec_lo
	v_and_b32_e32 v44, 0xff, v8
	s_delay_alu instid0(VALU_DEP_1)
	v_cmpx_ne_u16_e32 0, v44
	s_cbranch_execz .LBB2_8920
; %bb.8911:                             ;   in Loop: Header=BB2_8074 Depth=3
	v_bfrev_b32_e32 v9, 1
	s_mov_b32 s74, exec_lo
	v_cmpx_ne_u16_e32 0x80, v44
	s_cbranch_execz .LBB2_8919
; %bb.8912:                             ;   in Loop: Header=BB2_8074 Depth=3
	v_and_b32_e32 v9, 0x7c0000, v2
	v_bfe_u32 v44, v2, 16, 2
	s_delay_alu instid0(VALU_DEP_2) | instskip(SKIP_1) | instid1(SALU_CYCLE_1)
	v_cmp_ne_u32_e32 vcc_lo, 0x7c0000, v9
                                        ; implicit-def: $vgpr9
	s_and_saveexec_b32 s75, vcc_lo
	s_xor_b32 s75, exec_lo, s75
	s_cbranch_execz .LBB2_8916
; %bb.8913:                             ;   in Loop: Header=BB2_8074 Depth=3
	v_bfe_u32 v9, v2, 18, 5
	s_mov_b32 s76, exec_lo
	s_delay_alu instid0(VALU_DEP_1)
	v_cmpx_eq_u32_e32 0, v9
; %bb.8914:                             ;   in Loop: Header=BB2_8074 Depth=3
	v_clz_i32_u32_e32 v9, v44
	s_delay_alu instid0(VALU_DEP_1) | instskip(NEXT) | instid1(VALU_DEP_1)
	v_min_u32_e32 v9, 32, v9
	v_subrev_nc_u32_e32 v18, 29, v9
	s_delay_alu instid0(VALU_DEP_1) | instskip(NEXT) | instid1(VALU_DEP_1)
	v_lshlrev_b64_e32 v[18:19], v18, v[8:9]
	v_dual_sub_nc_u32 v9, 30, v9 :: v_dual_bitop2_b32 v44, 3, v18 bitop3:0x40
; %bb.8915:                             ;   in Loop: Header=BB2_8074 Depth=3
	s_or_b32 exec_lo, exec_lo, s76
	v_lshlrev_b32_e32 v8, 24, v8
	s_delay_alu instid0(VALU_DEP_1) | instskip(NEXT) | instid1(VALU_DEP_1)
	v_and_b32_e32 v8, 0x80000000, v8
	v_lshl_add_u32 v8, v9, 23, v8
	s_delay_alu instid0(VALU_DEP_1) | instskip(NEXT) | instid1(VALU_DEP_1)
	v_lshl_or_b32 v8, v44, 21, v8
                                        ; implicit-def: $vgpr44
	v_add_nc_u32_e32 v9, 0x38000000, v8
                                        ; implicit-def: $vgpr8
.LBB2_8916:                             ;   in Loop: Header=BB2_8074 Depth=3
	s_and_not1_saveexec_b32 s75, s75
; %bb.8917:                             ;   in Loop: Header=BB2_8074 Depth=3
	v_bfe_i32 v8, v8, 0, 8
	s_delay_alu instid0(VALU_DEP_1) | instskip(SKIP_2) | instid1(VALU_DEP_2)
	v_cmp_lt_i16_e32 vcc_lo, -1, v8
	v_cndmask_b32_e32 v8, 0xff800000, v111, vcc_lo
	v_cmp_eq_u32_e32 vcc_lo, 0, v44
	v_cndmask_b32_e32 v9, 0x7f800001, v8, vcc_lo
; %bb.8918:                             ;   in Loop: Header=BB2_8074 Depth=3
	s_or_b32 exec_lo, exec_lo, s75
.LBB2_8919:                             ;   in Loop: Header=BB2_8074 Depth=3
	s_delay_alu instid0(SALU_CYCLE_1)
	s_or_b32 exec_lo, exec_lo, s74
.LBB2_8920:                             ;   in Loop: Header=BB2_8074 Depth=3
	s_delay_alu instid0(SALU_CYCLE_1) | instskip(SKIP_3) | instid1(VALU_DEP_1)
	s_or_b32 exec_lo, exec_lo, s14
	v_lshrrev_b32_e32 v8, 16, v10
	s_mov_b32 s74, 0
	s_mov_b32 s14, exec_lo
	v_and_b32_e32 v45, 0xff, v8
	s_delay_alu instid0(VALU_DEP_1)
	v_cmpx_lt_i16_e32 0x7f, v45
	s_xor_b32 s14, exec_lo, s14
	s_cbranch_execz .LBB2_9129
; %bb.8921:                             ;   in Loop: Header=BB2_8074 Depth=3
	s_mov_b32 s74, -1
	s_mov_b32 s75, exec_lo
	v_cmpx_eq_u16_e32 0x80, v45
; %bb.8922:                             ;   in Loop: Header=BB2_8074 Depth=3
	s_xor_b32 s74, exec_lo, -1
; %bb.8923:                             ;   in Loop: Header=BB2_8074 Depth=3
	s_or_b32 exec_lo, exec_lo, s75
	s_delay_alu instid0(SALU_CYCLE_1)
	s_and_b32 s74, s74, exec_lo
                                        ; implicit-def: $vgpr45
	s_or_saveexec_b32 s14, s14
	v_bfrev_b32_e32 v44, 1
	s_xor_b32 exec_lo, exec_lo, s14
	s_cbranch_execnz .LBB2_9130
.LBB2_8924:                             ;   in Loop: Header=BB2_8074 Depth=3
	s_or_b32 exec_lo, exec_lo, s14
	s_and_saveexec_b32 s14, s74
	s_cbranch_execz .LBB2_8926
.LBB2_8925:                             ;   in Loop: Header=BB2_8074 Depth=3
	v_and_b32_e32 v44, 3, v8
	v_bfe_u32 v46, v10, 18, 5
	s_delay_alu instid0(VALU_DEP_2) | instskip(NEXT) | instid1(VALU_DEP_2)
	v_clz_i32_u32_e32 v18, v44
	v_cmp_eq_u32_e32 vcc_lo, 0, v46
	s_delay_alu instid0(VALU_DEP_2) | instskip(NEXT) | instid1(VALU_DEP_1)
	v_min_u32_e32 v45, 32, v18
	v_subrev_nc_u32_e32 v18, 29, v45
	s_delay_alu instid0(VALU_DEP_1) | instskip(SKIP_2) | instid1(VALU_DEP_2)
	v_lshlrev_b64_e32 v[18:19], v18, v[8:9]
	v_dual_lshlrev_b32 v19, 24, v8 :: v_dual_sub_nc_u32 v45, 30, v45
	v_bfe_i32 v8, v8, 0, 8
	v_and_b32_e32 v19, 0x80000000, v19
	s_delay_alu instid0(VALU_DEP_3) | instskip(NEXT) | instid1(VALU_DEP_1)
	v_dual_cndmask_b32 v45, v46, v45, vcc_lo :: v_dual_bitop2_b32 v18, 3, v18 bitop3:0x40
	v_cndmask_b32_e32 v18, v44, v18, vcc_lo
	s_delay_alu instid0(VALU_DEP_2) | instskip(SKIP_1) | instid1(VALU_DEP_2)
	v_lshl_add_u32 v19, v45, 23, v19
	v_cmp_lt_i16_e32 vcc_lo, -1, v8
	v_lshl_or_b32 v18, v18, 21, v19
	v_cndmask_b32_e32 v8, 0xff800000, v111, vcc_lo
	v_and_b32_e32 v19, 0x7c0000, v10
	v_cmp_eq_u32_e32 vcc_lo, 0, v44
	s_delay_alu instid0(VALU_DEP_4) | instskip(NEXT) | instid1(VALU_DEP_4)
	v_add_nc_u32_e32 v18, 0x38000000, v18
	v_cndmask_b32_e32 v8, 0x7f800001, v8, vcc_lo
	s_delay_alu instid0(VALU_DEP_4) | instskip(NEXT) | instid1(VALU_DEP_2)
	v_cmp_eq_u32_e32 vcc_lo, 0x7c0000, v19
	v_cndmask_b32_e32 v44, v18, v8, vcc_lo
.LBB2_8926:                             ;   in Loop: Header=BB2_8074 Depth=3
	s_or_b32 exec_lo, exec_lo, s14
	s_delay_alu instid0(VALU_DEP_1) | instskip(SKIP_2) | instid1(VALU_DEP_2)
	v_dual_add_f32 v44, v9, v44 :: v_dual_mov_b32 v19, v3
	v_mov_b32_e32 v9, v3
                                        ; implicit-def: $vgpr77
	s_mov_b32 s14, exec_lo
	v_and_b32_e32 v18, 0x7f800000, v44
	v_and_b32_e32 v8, 0x7fffff, v44
	v_lshrrev_b32_e32 v45, 24, v44
	s_delay_alu instid0(VALU_DEP_3)
	v_cmpx_ne_u64_e32 0x7f800000, v[18:19]
	s_xor_b32 s74, exec_lo, s14
	s_cbranch_execz .LBB2_8940
; %bb.8927:                             ;   in Loop: Header=BB2_8074 Depth=3
	v_and_b32_e32 v18, 0x7fffffff, v44
	v_mov_b32_e32 v19, v3
	v_and_b32_e32 v46, 0x80, v45
                                        ; implicit-def: $vgpr77
	s_mov_b32 s14, exec_lo
	s_delay_alu instid0(VALU_DEP_2)
	v_cmpx_gt_u64_e32 0x47600001, v[18:19]
	s_xor_b32 s75, exec_lo, s14
	s_cbranch_execz .LBB2_8937
; %bb.8928:                             ;   in Loop: Header=BB2_8074 Depth=3
	v_mov_b32_e32 v77, 0
	s_mov_b32 s76, exec_lo
	v_cmpx_ne_u32_e32 0, v44
	s_cbranch_execz .LBB2_8936
; %bb.8929:                             ;   in Loop: Header=BB2_8074 Depth=3
	v_bfe_u32 v47, v44, 23, 8
	v_or_b32_e32 v44, 0x800000, v8
	s_delay_alu instid0(VALU_DEP_2) | instskip(SKIP_1) | instid1(VALU_DEP_2)
	v_sub_nc_u32_e32 v18, 0x71, v47
	v_cmp_gt_u32_e32 vcc_lo, 0x72, v47
	v_cndmask_b32_e32 v18, 0, v18, vcc_lo
	v_cmp_eq_u32_e32 vcc_lo, 0, v47
	s_delay_alu instid0(VALU_DEP_2) | instskip(NEXT) | instid1(VALU_DEP_1)
	v_cndmask_b32_e64 v77, v18, 0x70, vcc_lo
	v_dual_cndmask_b32 v8, v44, v8, vcc_lo :: v_dual_add_nc_u32 v18, 21, v77
	v_add_nc_u32_e32 v45, 20, v77
	s_delay_alu instid0(VALU_DEP_2) | instskip(NEXT) | instid1(VALU_DEP_2)
	v_lshlrev_b64_e64 v[18:19], v18, -1
	v_lshlrev_b64_e64 v[44:45], v45, 1
	s_delay_alu instid0(VALU_DEP_2) | instskip(SKIP_1) | instid1(VALU_DEP_4)
	v_bfi_b32 v18, v18, 0, v8
	v_lshrrev_b64 v[8:9], v77, v[8:9]
	v_bfi_b32 v19, v19, 0, 0
	s_delay_alu instid0(VALU_DEP_1) | instskip(NEXT) | instid1(VALU_DEP_3)
	v_cmp_eq_u64_e64 s14, v[18:19], v[44:45]
	v_mov_b64_e32 v[44:45], v[8:9]
	s_and_saveexec_b32 s77, s14
; %bb.8930:                             ;   in Loop: Header=BB2_8074 Depth=3
	v_bfe_u32 v18, v8, 21, 1
	v_mov_b32_e32 v19, v3
	s_delay_alu instid0(VALU_DEP_1) | instskip(NEXT) | instid1(VALU_DEP_1)
	v_add_nc_u64_e32 v[18:19], v[8:9], v[18:19]
	v_add_nc_u64_e32 v[44:45], -1, v[18:19]
; %bb.8931:                             ;   in Loop: Header=BB2_8074 Depth=3
	s_or_b32 exec_lo, exec_lo, s77
	v_add_nc_u32_e32 v9, 0xffffff81, v47
	v_lshrrev_b32_e32 v18, 23, v8
	s_mov_b32 s14, exec_lo
	s_delay_alu instid0(VALU_DEP_2) | instskip(NEXT) | instid1(VALU_DEP_1)
	v_cndmask_b32_e64 v9, v9, 0xffffff82, vcc_lo
	v_add3_u32 v45, v77, v9, v18
	v_and_b32_e32 v9, 0x1fffff, v44
                                        ; implicit-def: $vgpr44
	s_delay_alu instid0(VALU_DEP_1) | instskip(SKIP_1) | instid1(VALU_DEP_2)
	v_dual_add_nc_u32 v47, 14, v45 :: v_dual_add_nc_u32 v8, v9, v8
	v_mov_b32_e32 v9, v3
	v_cmpx_ne_u32_e32 0, v47
	s_xor_b32 s14, exec_lo, s14
; %bb.8932:                             ;   in Loop: Header=BB2_8074 Depth=3
	s_delay_alu instid0(VALU_DEP_2) | instskip(SKIP_1) | instid1(VALU_DEP_1)
	v_cmp_lt_u64_e32 vcc_lo, 0xffffff, v[8:9]
	v_add_nc_u32_e32 v18, 15, v45
	v_cndmask_b32_e32 v44, v47, v18, vcc_lo
	v_cndmask_b32_e64 v18, 0, 1, vcc_lo
	s_delay_alu instid0(VALU_DEP_1)
	v_lshrrev_b64 v[8:9], v18, v[8:9]
; %bb.8933:                             ;   in Loop: Header=BB2_8074 Depth=3
	s_and_not1_saveexec_b32 s14, s14
; %bb.8934:                             ;   in Loop: Header=BB2_8074 Depth=3
	s_delay_alu instid0(VALU_DEP_1)
	v_bfe_u32 v44, v8, 23, 1
; %bb.8935:                             ;   in Loop: Header=BB2_8074 Depth=3
	s_or_b32 exec_lo, exec_lo, s14
	s_delay_alu instid0(VALU_DEP_2) | instskip(NEXT) | instid1(VALU_DEP_2)
	v_lshrrev_b64 v[8:9], 21, v[8:9]
	v_cmp_gt_i32_e32 vcc_lo, 32, v44
	v_min_i32_e32 v18, 31, v44
	v_cmp_eq_u32_e64 s14, 0, v44
	s_delay_alu instid0(VALU_DEP_2) | instskip(SKIP_1) | instid1(VALU_DEP_2)
	v_dual_cndmask_b32 v9, 0, v9 :: v_dual_lshlrev_b32 v18, 2, v18
	v_cndmask_b32_e32 v8, 3, v8, vcc_lo
	v_and_b32_e32 v18, 0xfc, v18
	s_delay_alu instid0(VALU_DEP_2) | instskip(NEXT) | instid1(VALU_DEP_2)
	v_cmp_eq_u64_e32 vcc_lo, 0, v[8:9]
	v_and_or_b32 v8, v8, 3, v18
	s_and_b32 s14, s14, vcc_lo
	s_delay_alu instid0(VALU_DEP_1) | instid1(SALU_CYCLE_1)
	v_cndmask_b32_e64 v8, v8, 0, s14
	s_delay_alu instid0(VALU_DEP_1)
	v_or_b32_e32 v77, v8, v46
.LBB2_8936:                             ;   in Loop: Header=BB2_8074 Depth=3
	s_or_b32 exec_lo, exec_lo, s76
                                        ; implicit-def: $vgpr46
.LBB2_8937:                             ;   in Loop: Header=BB2_8074 Depth=3
	s_and_not1_saveexec_b32 s14, s75
; %bb.8938:                             ;   in Loop: Header=BB2_8074 Depth=3
	v_or_b32_e32 v77, 0x7b, v46
; %bb.8939:                             ;   in Loop: Header=BB2_8074 Depth=3
	s_or_b32 exec_lo, exec_lo, s14
                                        ; implicit-def: $vgpr44
                                        ; implicit-def: $vgpr8_vgpr9
                                        ; implicit-def: $vgpr45
.LBB2_8940:                             ;   in Loop: Header=BB2_8074 Depth=3
	s_and_not1_saveexec_b32 s14, s74
	s_cbranch_execz .LBB2_8946
; %bb.8941:                             ;   in Loop: Header=BB2_8074 Depth=3
	s_mov_b32 s74, exec_lo
                                        ; implicit-def: $vgpr77
	v_cmpx_ne_u64_e32 0, v[8:9]
	s_xor_b32 s74, exec_lo, s74
; %bb.8942:                             ;   in Loop: Header=BB2_8074 Depth=3
	v_or_b32_e32 v77, 0x7f, v45
                                        ; implicit-def: $vgpr44
; %bb.8943:                             ;   in Loop: Header=BB2_8074 Depth=3
	s_and_not1_saveexec_b32 s74, s74
; %bb.8944:                             ;   in Loop: Header=BB2_8074 Depth=3
	v_cmp_lt_i32_e32 vcc_lo, -1, v44
	v_cndmask_b32_e32 v77, 0xfc, v120, vcc_lo
; %bb.8945:                             ;   in Loop: Header=BB2_8074 Depth=3
	s_or_b32 exec_lo, exec_lo, s74
.LBB2_8946:                             ;   in Loop: Header=BB2_8074 Depth=3
	s_delay_alu instid0(SALU_CYCLE_1)
	s_or_b32 exec_lo, exec_lo, s14
	v_mov_b32_e32 v9, 0
	s_mov_b32 s14, exec_lo
	v_cmpx_lt_u32_e32 0xffffff, v2
	s_cbranch_execz .LBB2_8956
; %bb.8947:                             ;   in Loop: Header=BB2_8074 Depth=3
	v_lshrrev_b32_e32 v8, 24, v2
	v_bfrev_b32_e32 v9, 1
	s_mov_b32 s74, exec_lo
	s_delay_alu instid0(VALU_DEP_2)
	v_cmpx_ne_u32_e32 0x80, v8
	s_cbranch_execz .LBB2_8955
; %bb.8948:                             ;   in Loop: Header=BB2_8074 Depth=3
	v_and_b32_e32 v9, 0x7c000000, v2
	v_bfe_u32 v44, v2, 24, 2
	s_delay_alu instid0(VALU_DEP_2) | instskip(SKIP_1) | instid1(SALU_CYCLE_1)
	v_cmp_ne_u32_e32 vcc_lo, 0x7c000000, v9
                                        ; implicit-def: $vgpr9
	s_and_saveexec_b32 s75, vcc_lo
	s_xor_b32 s75, exec_lo, s75
	s_cbranch_execz .LBB2_8952
; %bb.8949:                             ;   in Loop: Header=BB2_8074 Depth=3
	v_bfe_u32 v9, v2, 26, 5
	s_mov_b32 s76, exec_lo
	s_delay_alu instid0(VALU_DEP_1)
	v_cmpx_eq_u32_e32 0, v9
; %bb.8950:                             ;   in Loop: Header=BB2_8074 Depth=3
	v_clz_i32_u32_e32 v9, v44
	s_delay_alu instid0(VALU_DEP_1) | instskip(NEXT) | instid1(VALU_DEP_1)
	v_min_u32_e32 v18, 32, v9
	v_subrev_nc_u32_e32 v9, 29, v18
	s_delay_alu instid0(VALU_DEP_1) | instskip(NEXT) | instid1(VALU_DEP_1)
	v_lshlrev_b64_e32 v[8:9], v9, v[8:9]
	v_dual_sub_nc_u32 v9, 30, v18 :: v_dual_bitop2_b32 v44, 3, v8 bitop3:0x40
; %bb.8951:                             ;   in Loop: Header=BB2_8074 Depth=3
	s_or_b32 exec_lo, exec_lo, s76
	v_and_b32_e32 v2, 0x80000000, v2
	s_delay_alu instid0(VALU_DEP_1) | instskip(NEXT) | instid1(VALU_DEP_1)
	v_lshl_add_u32 v2, v9, 23, v2
	v_lshl_or_b32 v2, v44, 21, v2
                                        ; implicit-def: $vgpr44
	s_delay_alu instid0(VALU_DEP_1)
	v_add_nc_u32_e32 v9, 0x38000000, v2
.LBB2_8952:                             ;   in Loop: Header=BB2_8074 Depth=3
	s_and_not1_saveexec_b32 s75, s75
; %bb.8953:                             ;   in Loop: Header=BB2_8074 Depth=3
	v_cmp_lt_i32_e32 vcc_lo, -1, v2
	v_cndmask_b32_e32 v2, 0xff800000, v111, vcc_lo
	v_cmp_eq_u32_e32 vcc_lo, 0, v44
	s_delay_alu instid0(VALU_DEP_2)
	v_cndmask_b32_e32 v9, 0x7f800001, v2, vcc_lo
; %bb.8954:                             ;   in Loop: Header=BB2_8074 Depth=3
	s_or_b32 exec_lo, exec_lo, s75
.LBB2_8955:                             ;   in Loop: Header=BB2_8074 Depth=3
	s_delay_alu instid0(SALU_CYCLE_1)
	s_or_b32 exec_lo, exec_lo, s74
.LBB2_8956:                             ;   in Loop: Header=BB2_8074 Depth=3
	s_delay_alu instid0(SALU_CYCLE_1) | instskip(SKIP_3) | instid1(VALU_DEP_2)
	s_or_b32 exec_lo, exec_lo, s14
	v_bfe_u32 v8, v10, 24, 2
	v_bfe_u32 v45, v10, 26, 5
                                        ; implicit-def: $vgpr78
	s_mov_b32 s14, exec_lo
	v_clz_i32_u32_e32 v2, v8
	s_delay_alu instid0(VALU_DEP_2) | instskip(NEXT) | instid1(VALU_DEP_2)
	v_cmp_eq_u32_e32 vcc_lo, 0, v45
	v_min_u32_e32 v44, 32, v2
	v_lshrrev_b32_e32 v2, 24, v10
	s_delay_alu instid0(VALU_DEP_2) | instskip(NEXT) | instid1(VALU_DEP_1)
	v_subrev_nc_u32_e32 v18, 29, v44
	v_lshlrev_b64_e32 v[18:19], v18, v[2:3]
	v_sub_nc_u32_e32 v19, 30, v44
	v_and_b32_e32 v44, 0x80000000, v10
	s_delay_alu instid0(VALU_DEP_2) | instskip(NEXT) | instid1(VALU_DEP_1)
	v_dual_cndmask_b32 v19, v45, v19, vcc_lo :: v_dual_bitop2_b32 v18, 3, v18 bitop3:0x40
	v_lshl_add_u32 v19, v19, 23, v44
	s_delay_alu instid0(VALU_DEP_2) | instskip(SKIP_1) | instid1(VALU_DEP_2)
	v_cndmask_b32_e32 v18, v8, v18, vcc_lo
	v_cmp_lt_i32_e32 vcc_lo, -1, v10
	v_lshl_or_b32 v18, v18, 21, v19
	v_cndmask_b32_e32 v44, 0xff800000, v111, vcc_lo
	v_and_b32_e32 v19, 0x7c000000, v10
	v_cmp_eq_u32_e32 vcc_lo, 0, v8
	s_delay_alu instid0(VALU_DEP_4) | instskip(NEXT) | instid1(VALU_DEP_4)
	v_add_nc_u32_e32 v18, 0x38000000, v18
	v_cndmask_b32_e32 v8, 0x7f800001, v44, vcc_lo
	s_delay_alu instid0(VALU_DEP_4) | instskip(NEXT) | instid1(VALU_DEP_2)
	v_cmp_eq_u32_e32 vcc_lo, 0x7c000000, v19
	v_dual_mov_b32 v19, v3 :: v_dual_cndmask_b32 v8, v18, v8
	v_cmp_ne_u32_e32 vcc_lo, 0x80, v2
	s_delay_alu instid0(VALU_DEP_2) | instskip(SKIP_1) | instid1(VALU_DEP_2)
	v_cndmask_b32_e32 v2, 0x80000000, v8, vcc_lo
	v_cmp_lt_u32_e32 vcc_lo, 0xffffff, v10
	v_cndmask_b32_e32 v2, 0, v2, vcc_lo
	s_delay_alu instid0(VALU_DEP_1) | instskip(NEXT) | instid1(VALU_DEP_1)
	v_add_f32_e32 v8, v2, v9
	v_and_b32_e32 v18, 0x7f800000, v8
	v_and_b32_e32 v2, 0x7fffff, v8
	v_lshrrev_b32_e32 v9, 24, v8
	s_delay_alu instid0(VALU_DEP_3)
	v_cmpx_ne_u64_e32 0x7f800000, v[18:19]
	s_xor_b32 s74, exec_lo, s14
	s_cbranch_execz .LBB2_8970
; %bb.8957:                             ;   in Loop: Header=BB2_8074 Depth=3
	v_and_b32_e32 v18, 0x7fffffff, v8
	v_mov_b32_e32 v19, v3
	v_and_b32_e32 v46, 0x80, v9
                                        ; implicit-def: $vgpr78
	s_mov_b32 s14, exec_lo
	s_delay_alu instid0(VALU_DEP_2)
	v_cmpx_gt_u64_e32 0x47600001, v[18:19]
	s_xor_b32 s75, exec_lo, s14
	s_cbranch_execz .LBB2_8967
; %bb.8958:                             ;   in Loop: Header=BB2_8074 Depth=3
	v_mov_b32_e32 v78, 0
	s_mov_b32 s76, exec_lo
	v_cmpx_ne_u32_e32 0, v8
	s_cbranch_execz .LBB2_8966
; %bb.8959:                             ;   in Loop: Header=BB2_8074 Depth=3
	v_bfe_u32 v47, v8, 23, 8
	v_or_b32_e32 v18, 0x800000, v2
	s_delay_alu instid0(VALU_DEP_2) | instskip(SKIP_1) | instid1(VALU_DEP_2)
	v_dual_mov_b32 v19, v3 :: v_dual_sub_nc_u32 v8, 0x71, v47
	v_cmp_gt_u32_e32 vcc_lo, 0x72, v47
	v_cndmask_b32_e32 v8, 0, v8, vcc_lo
	v_cmp_eq_u32_e32 vcc_lo, 0, v47
	s_delay_alu instid0(VALU_DEP_2) | instskip(SKIP_1) | instid1(VALU_DEP_2)
	v_cndmask_b32_e64 v78, v8, 0x70, vcc_lo
	v_cndmask_b32_e32 v18, v18, v2, vcc_lo
	v_dual_add_nc_u32 v8, 21, v78 :: v_dual_add_nc_u32 v44, 20, v78
	s_delay_alu instid0(VALU_DEP_1) | instskip(NEXT) | instid1(VALU_DEP_2)
	v_lshlrev_b64_e64 v[8:9], v8, -1
	v_lshlrev_b64_e64 v[44:45], v44, 1
	s_delay_alu instid0(VALU_DEP_2) | instskip(NEXT) | instid1(VALU_DEP_3)
	v_bfi_b32 v89, v9, 0, 0
	v_bfi_b32 v88, v8, 0, v18
	v_lshrrev_b64 v[8:9], v78, v[18:19]
	s_delay_alu instid0(VALU_DEP_2) | instskip(NEXT) | instid1(VALU_DEP_2)
	v_cmp_eq_u64_e64 s14, v[88:89], v[44:45]
	v_mov_b64_e32 v[44:45], v[8:9]
	s_and_saveexec_b32 s77, s14
; %bb.8960:                             ;   in Loop: Header=BB2_8074 Depth=3
	v_bfe_u32 v18, v8, 21, 1
	v_mov_b32_e32 v19, v3
	s_delay_alu instid0(VALU_DEP_1) | instskip(NEXT) | instid1(VALU_DEP_1)
	v_add_nc_u64_e32 v[18:19], v[8:9], v[18:19]
	v_add_nc_u64_e32 v[44:45], -1, v[18:19]
; %bb.8961:                             ;   in Loop: Header=BB2_8074 Depth=3
	s_or_b32 exec_lo, exec_lo, s77
	v_add_nc_u32_e32 v2, 0xffffff81, v47
	v_lshrrev_b32_e32 v9, 23, v8
	s_mov_b32 s14, exec_lo
	s_delay_alu instid0(VALU_DEP_2) | instskip(NEXT) | instid1(VALU_DEP_1)
	v_cndmask_b32_e64 v2, v2, 0xffffff82, vcc_lo
	v_add3_u32 v45, v78, v2, v9
	v_and_b32_e32 v2, 0x1fffff, v44
                                        ; implicit-def: $vgpr44
	s_delay_alu instid0(VALU_DEP_1) | instskip(NEXT) | instid1(VALU_DEP_1)
	v_dual_add_nc_u32 v47, 14, v45 :: v_dual_add_nc_u32 v2, v2, v8
                                        ; implicit-def: $vgpr8_vgpr9
	v_cmpx_ne_u32_e32 0, v47
	s_xor_b32 s14, exec_lo, s14
; %bb.8962:                             ;   in Loop: Header=BB2_8074 Depth=3
	s_delay_alu instid0(VALU_DEP_2) | instskip(SKIP_1) | instid1(VALU_DEP_1)
	v_cmp_lt_u64_e32 vcc_lo, 0xffffff, v[2:3]
	v_add_nc_u32_e32 v8, 15, v45
	v_cndmask_b32_e32 v44, v47, v8, vcc_lo
	v_cndmask_b32_e64 v8, 0, 1, vcc_lo
	s_delay_alu instid0(VALU_DEP_1)
	v_lshrrev_b64 v[8:9], v8, v[2:3]
; %bb.8963:                             ;   in Loop: Header=BB2_8074 Depth=3
	s_and_not1_saveexec_b32 s14, s14
; %bb.8964:                             ;   in Loop: Header=BB2_8074 Depth=3
	v_mov_b64_e32 v[8:9], v[2:3]
	v_bfe_u32 v44, v2, 23, 1
; %bb.8965:                             ;   in Loop: Header=BB2_8074 Depth=3
	s_or_b32 exec_lo, exec_lo, s14
	s_delay_alu instid0(VALU_DEP_2) | instskip(NEXT) | instid1(VALU_DEP_2)
	v_lshrrev_b64 v[8:9], 21, v[8:9]
	v_cmp_gt_i32_e32 vcc_lo, 32, v44
	v_min_i32_e32 v2, 31, v44
	v_cmp_eq_u32_e64 s14, 0, v44
	s_delay_alu instid0(VALU_DEP_2) | instskip(SKIP_1) | instid1(VALU_DEP_2)
	v_dual_cndmask_b32 v9, 0, v9 :: v_dual_lshlrev_b32 v2, 2, v2
	v_cndmask_b32_e32 v8, 3, v8, vcc_lo
	v_and_b32_e32 v2, 0xfc, v2
	s_delay_alu instid0(VALU_DEP_2) | instskip(NEXT) | instid1(VALU_DEP_2)
	v_cmp_eq_u64_e32 vcc_lo, 0, v[8:9]
	v_and_or_b32 v2, v8, 3, v2
	s_and_b32 s14, s14, vcc_lo
	s_delay_alu instid0(VALU_DEP_1) | instid1(SALU_CYCLE_1)
	v_cndmask_b32_e64 v2, v2, 0, s14
	s_delay_alu instid0(VALU_DEP_1)
	v_or_b32_e32 v78, v2, v46
.LBB2_8966:                             ;   in Loop: Header=BB2_8074 Depth=3
	s_or_b32 exec_lo, exec_lo, s76
                                        ; implicit-def: $vgpr46
.LBB2_8967:                             ;   in Loop: Header=BB2_8074 Depth=3
	s_and_not1_saveexec_b32 s14, s75
; %bb.8968:                             ;   in Loop: Header=BB2_8074 Depth=3
	v_or_b32_e32 v78, 0x7b, v46
; %bb.8969:                             ;   in Loop: Header=BB2_8074 Depth=3
	s_or_b32 exec_lo, exec_lo, s14
                                        ; implicit-def: $vgpr8
                                        ; implicit-def: $vgpr9
.LBB2_8970:                             ;   in Loop: Header=BB2_8074 Depth=3
	s_and_not1_saveexec_b32 s14, s74
	s_cbranch_execz .LBB2_8976
; %bb.8971:                             ;   in Loop: Header=BB2_8074 Depth=3
	s_mov_b32 s74, exec_lo
                                        ; implicit-def: $vgpr78
	v_cmpx_ne_u64_e32 0, v[2:3]
	s_xor_b32 s74, exec_lo, s74
; %bb.8972:                             ;   in Loop: Header=BB2_8074 Depth=3
	v_or_b32_e32 v78, 0x7f, v9
                                        ; implicit-def: $vgpr8
; %bb.8973:                             ;   in Loop: Header=BB2_8074 Depth=3
	s_and_not1_saveexec_b32 s74, s74
; %bb.8974:                             ;   in Loop: Header=BB2_8074 Depth=3
	v_cmp_lt_i32_e32 vcc_lo, -1, v8
	v_cndmask_b32_e32 v78, 0xfc, v120, vcc_lo
; %bb.8975:                             ;   in Loop: Header=BB2_8074 Depth=3
	s_or_b32 exec_lo, exec_lo, s74
.LBB2_8976:                             ;   in Loop: Header=BB2_8074 Depth=3
	s_delay_alu instid0(SALU_CYCLE_1) | instskip(SKIP_4) | instid1(VALU_DEP_2)
	s_or_b32 exec_lo, exec_lo, s14
	v_dual_lshlrev_b32 v2, 24, v76 :: v_dual_lshlrev_b32 v8, 16, v73
	v_lshl_or_b32 v63, v63, 8, v17
	v_mov_b32_e32 v44, 0
	s_mov_b32 s14, exec_lo
	v_or3_b32 v2, v8, v2, v63
	v_cmpx_ne_u32_e32 0, v17
	s_cbranch_execz .LBB2_8986
; %bb.8977:                             ;   in Loop: Header=BB2_8074 Depth=3
	v_bfrev_b32_e32 v44, 1
	s_mov_b32 s74, exec_lo
	v_cmpx_ne_u32_e32 0x80, v17
	s_cbranch_execz .LBB2_8985
; %bb.8978:                             ;   in Loop: Header=BB2_8074 Depth=3
	v_and_b32_e32 v9, 0x7c, v17
	v_and_b32_e32 v8, 3, v17
	s_mov_b32 s75, exec_lo
                                        ; implicit-def: $vgpr44
	s_delay_alu instid0(VALU_DEP_2)
	v_cmpx_ne_u32_e32 0x7c, v9
	s_xor_b32 s75, exec_lo, s75
	s_cbranch_execz .LBB2_8982
; %bb.8979:                             ;   in Loop: Header=BB2_8074 Depth=3
	v_bfe_u32 v9, v17, 2, 5
	s_mov_b32 s76, exec_lo
	s_delay_alu instid0(VALU_DEP_1)
	v_cmpx_eq_u32_e32 0, v9
; %bb.8980:                             ;   in Loop: Header=BB2_8074 Depth=3
	v_clz_i32_u32_e32 v8, v8
	s_delay_alu instid0(VALU_DEP_1) | instskip(NEXT) | instid1(VALU_DEP_1)
	v_min_u32_e32 v18, 32, v8
	v_subrev_nc_u32_e32 v8, 29, v18
	s_delay_alu instid0(VALU_DEP_1) | instskip(NEXT) | instid1(VALU_DEP_1)
	v_lshlrev_b64_e32 v[8:9], v8, v[2:3]
	v_dual_sub_nc_u32 v9, 30, v18 :: v_dual_bitop2_b32 v8, 3, v8 bitop3:0x40
; %bb.8981:                             ;   in Loop: Header=BB2_8074 Depth=3
	s_or_b32 exec_lo, exec_lo, s76
	v_lshlrev_b32_e32 v17, 24, v17
	s_delay_alu instid0(VALU_DEP_1) | instskip(NEXT) | instid1(VALU_DEP_1)
	v_and_b32_e32 v17, 0x80000000, v17
	v_lshl_add_u32 v9, v9, 23, v17
                                        ; implicit-def: $vgpr17
	s_delay_alu instid0(VALU_DEP_1) | instskip(NEXT) | instid1(VALU_DEP_1)
	v_lshl_or_b32 v8, v8, 21, v9
	v_add_nc_u32_e32 v44, 0x38000000, v8
                                        ; implicit-def: $vgpr8
.LBB2_8982:                             ;   in Loop: Header=BB2_8074 Depth=3
	s_and_not1_saveexec_b32 s75, s75
; %bb.8983:                             ;   in Loop: Header=BB2_8074 Depth=3
	v_and_b32_e32 v9, 0x80, v17
	s_delay_alu instid0(VALU_DEP_1) | instskip(SKIP_2) | instid1(VALU_DEP_2)
	v_cmp_eq_u32_e32 vcc_lo, 0, v9
	v_cndmask_b32_e32 v9, 0xff800000, v111, vcc_lo
	v_cmp_eq_u32_e32 vcc_lo, 0, v8
	v_cndmask_b32_e32 v44, 0x7f800001, v9, vcc_lo
; %bb.8984:                             ;   in Loop: Header=BB2_8074 Depth=3
	s_or_b32 exec_lo, exec_lo, s75
.LBB2_8985:                             ;   in Loop: Header=BB2_8074 Depth=3
	s_delay_alu instid0(SALU_CYCLE_1)
	s_or_b32 exec_lo, exec_lo, s74
.LBB2_8986:                             ;   in Loop: Header=BB2_8074 Depth=3
	s_delay_alu instid0(SALU_CYCLE_1) | instskip(SKIP_4) | instid1(VALU_DEP_2)
	s_or_b32 exec_lo, exec_lo, s14
	v_and_b32_e32 v9, 0xff, v11
	v_mov_b32_e32 v8, v11
	s_mov_b32 s74, 0
	s_mov_b32 s14, exec_lo
	v_cmpx_lt_i16_e32 0x7f, v9
	s_xor_b32 s14, exec_lo, s14
	s_cbranch_execz .LBB2_9131
; %bb.8987:                             ;   in Loop: Header=BB2_8074 Depth=3
	s_mov_b32 s74, -1
	s_mov_b32 s75, exec_lo
	v_cmpx_eq_u16_e32 0x80, v9
; %bb.8988:                             ;   in Loop: Header=BB2_8074 Depth=3
	s_xor_b32 s74, exec_lo, -1
; %bb.8989:                             ;   in Loop: Header=BB2_8074 Depth=3
	s_or_b32 exec_lo, exec_lo, s75
	s_delay_alu instid0(SALU_CYCLE_1)
	s_and_b32 s74, s74, exec_lo
                                        ; implicit-def: $vgpr9
	s_or_saveexec_b32 s14, s14
	v_bfrev_b32_e32 v17, 1
	s_xor_b32 exec_lo, exec_lo, s14
	s_cbranch_execnz .LBB2_9132
.LBB2_8990:                             ;   in Loop: Header=BB2_8074 Depth=3
	s_or_b32 exec_lo, exec_lo, s14
	v_mov_b32_e32 v9, v3
	s_and_saveexec_b32 s14, s74
	s_cbranch_execz .LBB2_8992
.LBB2_8991:                             ;   in Loop: Header=BB2_8074 Depth=3
	v_and_b32_e32 v17, 3, v11
	s_delay_alu instid0(VALU_DEP_1) | instskip(NEXT) | instid1(VALU_DEP_1)
	v_clz_i32_u32_e32 v18, v17
	v_min_u32_e32 v45, 32, v18
	s_delay_alu instid0(VALU_DEP_1) | instskip(NEXT) | instid1(VALU_DEP_1)
	v_subrev_nc_u32_e32 v18, 29, v45
	v_lshlrev_b64_e32 v[18:19], v18, v[8:9]
	v_bfe_u32 v19, v11, 2, 5
	v_dual_lshlrev_b32 v9, 24, v11 :: v_dual_sub_nc_u32 v45, 30, v45
	s_delay_alu instid0(VALU_DEP_2) | instskip(NEXT) | instid1(VALU_DEP_2)
	v_cmp_eq_u32_e32 vcc_lo, 0, v19
	v_and_b32_e32 v9, 0x80000000, v9
	s_delay_alu instid0(VALU_DEP_3) | instskip(SKIP_1) | instid1(VALU_DEP_2)
	v_dual_cndmask_b32 v19, v19, v45, vcc_lo :: v_dual_bitop2_b32 v18, 3, v18 bitop3:0x40
	v_bfe_i32 v45, v11, 0, 8
	v_cndmask_b32_e32 v18, v17, v18, vcc_lo
	s_delay_alu instid0(VALU_DEP_3) | instskip(NEXT) | instid1(VALU_DEP_3)
	v_lshl_add_u32 v9, v19, 23, v9
	v_cmp_lt_i16_e32 vcc_lo, -1, v45
	s_delay_alu instid0(VALU_DEP_2) | instskip(SKIP_3) | instid1(VALU_DEP_4)
	v_lshl_or_b32 v9, v18, 21, v9
	v_cndmask_b32_e32 v19, 0xff800000, v111, vcc_lo
	v_and_b32_e32 v18, 0x7c, v11
	v_cmp_eq_u32_e32 vcc_lo, 0, v17
	v_add_nc_u32_e32 v9, 0x38000000, v9
	s_delay_alu instid0(VALU_DEP_4) | instskip(NEXT) | instid1(VALU_DEP_4)
	v_cndmask_b32_e32 v17, 0x7f800001, v19, vcc_lo
	v_cmp_eq_u32_e32 vcc_lo, 0x7c, v18
	s_delay_alu instid0(VALU_DEP_2)
	v_cndmask_b32_e32 v17, v9, v17, vcc_lo
.LBB2_8992:                             ;   in Loop: Header=BB2_8074 Depth=3
	s_or_b32 exec_lo, exec_lo, s14
	s_delay_alu instid0(VALU_DEP_1) | instskip(SKIP_2) | instid1(VALU_DEP_2)
	v_dual_add_f32 v46, v44, v17 :: v_dual_mov_b32 v19, v3
	v_mov_b32_e32 v45, v3
                                        ; implicit-def: $vgpr17
	s_mov_b32 s14, exec_lo
	v_and_b32_e32 v18, 0x7f800000, v46
	v_and_b32_e32 v44, 0x7fffff, v46
	v_lshrrev_b32_e32 v9, 24, v46
	s_delay_alu instid0(VALU_DEP_3)
	v_cmpx_ne_u64_e32 0x7f800000, v[18:19]
	s_xor_b32 s74, exec_lo, s14
	s_cbranch_execz .LBB2_9006
; %bb.8993:                             ;   in Loop: Header=BB2_8074 Depth=3
	v_and_b32_e32 v18, 0x7fffffff, v46
	v_mov_b32_e32 v19, v3
	v_and_b32_e32 v9, 0x80, v9
                                        ; implicit-def: $vgpr17
	s_mov_b32 s14, exec_lo
	s_delay_alu instid0(VALU_DEP_2)
	v_cmpx_gt_u64_e32 0x47600001, v[18:19]
	s_xor_b32 s75, exec_lo, s14
	s_cbranch_execz .LBB2_9003
; %bb.8994:                             ;   in Loop: Header=BB2_8074 Depth=3
	v_mov_b32_e32 v17, 0
	s_mov_b32 s76, exec_lo
	v_cmpx_ne_u32_e32 0, v46
	s_cbranch_execz .LBB2_9002
; %bb.8995:                             ;   in Loop: Header=BB2_8074 Depth=3
	v_bfe_u32 v17, v46, 23, 8
	v_or_b32_e32 v46, 0x800000, v44
	s_delay_alu instid0(VALU_DEP_2) | instskip(SKIP_1) | instid1(VALU_DEP_2)
	v_sub_nc_u32_e32 v18, 0x71, v17
	v_cmp_gt_u32_e32 vcc_lo, 0x72, v17
	v_cndmask_b32_e32 v18, 0, v18, vcc_lo
	v_cmp_eq_u32_e32 vcc_lo, 0, v17
	s_delay_alu instid0(VALU_DEP_2) | instskip(NEXT) | instid1(VALU_DEP_1)
	v_cndmask_b32_e64 v73, v18, 0x70, vcc_lo
	v_dual_cndmask_b32 v44, v46, v44, vcc_lo :: v_dual_add_nc_u32 v18, 21, v73
	v_add_nc_u32_e32 v47, 20, v73
	s_delay_alu instid0(VALU_DEP_2) | instskip(NEXT) | instid1(VALU_DEP_2)
	v_lshlrev_b64_e64 v[18:19], v18, -1
	v_lshlrev_b64_e64 v[46:47], v47, 1
	s_delay_alu instid0(VALU_DEP_2) | instskip(SKIP_1) | instid1(VALU_DEP_4)
	v_bfi_b32 v18, v18, 0, v44
	v_lshrrev_b64 v[44:45], v73, v[44:45]
	v_bfi_b32 v19, v19, 0, 0
	s_delay_alu instid0(VALU_DEP_1) | instskip(NEXT) | instid1(VALU_DEP_3)
	v_cmp_eq_u64_e64 s14, v[18:19], v[46:47]
	v_mov_b64_e32 v[46:47], v[44:45]
	s_and_saveexec_b32 s77, s14
; %bb.8996:                             ;   in Loop: Header=BB2_8074 Depth=3
	v_bfe_u32 v18, v44, 21, 1
	v_mov_b32_e32 v19, v3
	s_delay_alu instid0(VALU_DEP_1) | instskip(NEXT) | instid1(VALU_DEP_1)
	v_add_nc_u64_e32 v[18:19], v[44:45], v[18:19]
	v_add_nc_u64_e32 v[46:47], -1, v[18:19]
; %bb.8997:                             ;   in Loop: Header=BB2_8074 Depth=3
	s_or_b32 exec_lo, exec_lo, s77
	v_add_nc_u32_e32 v17, 0xffffff81, v17
	v_lshrrev_b32_e32 v18, 23, v44
	s_mov_b32 s14, exec_lo
	v_mov_b32_e32 v45, v3
	s_delay_alu instid0(VALU_DEP_3) | instskip(NEXT) | instid1(VALU_DEP_1)
	v_cndmask_b32_e64 v17, v17, 0xffffff82, vcc_lo
	v_add3_u32 v47, v73, v17, v18
	v_and_b32_e32 v17, 0x1fffff, v46
	s_delay_alu instid0(VALU_DEP_1) | instskip(NEXT) | instid1(VALU_DEP_1)
	v_dual_add_nc_u32 v46, 14, v47 :: v_dual_add_nc_u32 v44, v17, v44
                                        ; implicit-def: $vgpr17
	v_cmpx_ne_u32_e32 0, v46
	s_xor_b32 s14, exec_lo, s14
; %bb.8998:                             ;   in Loop: Header=BB2_8074 Depth=3
	s_delay_alu instid0(VALU_DEP_2) | instskip(SKIP_2) | instid1(VALU_DEP_2)
	v_cmp_lt_u64_e32 vcc_lo, 0xffffff, v[44:45]
	v_add_nc_u32_e32 v17, 15, v47
	v_cndmask_b32_e64 v18, 0, 1, vcc_lo
	v_cndmask_b32_e32 v17, v46, v17, vcc_lo
	s_delay_alu instid0(VALU_DEP_2)
	v_lshrrev_b64 v[44:45], v18, v[44:45]
; %bb.8999:                             ;   in Loop: Header=BB2_8074 Depth=3
	s_and_not1_saveexec_b32 s14, s14
; %bb.9000:                             ;   in Loop: Header=BB2_8074 Depth=3
	s_delay_alu instid0(VALU_DEP_1)
	v_bfe_u32 v17, v44, 23, 1
; %bb.9001:                             ;   in Loop: Header=BB2_8074 Depth=3
	s_or_b32 exec_lo, exec_lo, s14
	s_delay_alu instid0(VALU_DEP_2) | instskip(NEXT) | instid1(VALU_DEP_2)
	v_lshrrev_b64 v[18:19], 21, v[44:45]
	v_cmp_gt_i32_e32 vcc_lo, 32, v17
	v_min_i32_e32 v44, 31, v17
	v_cmp_eq_u32_e64 s14, 0, v17
	s_delay_alu instid0(VALU_DEP_2) | instskip(SKIP_1) | instid1(VALU_DEP_2)
	v_dual_cndmask_b32 v19, 0, v19 :: v_dual_lshlrev_b32 v44, 2, v44
	v_cndmask_b32_e32 v18, 3, v18, vcc_lo
	v_and_b32_e32 v44, 0xfc, v44
	s_delay_alu instid0(VALU_DEP_2) | instskip(NEXT) | instid1(VALU_DEP_2)
	v_cmp_eq_u64_e32 vcc_lo, 0, v[18:19]
	v_and_or_b32 v17, v18, 3, v44
	s_and_b32 s14, s14, vcc_lo
	s_delay_alu instid0(VALU_DEP_1) | instid1(SALU_CYCLE_1)
	v_cndmask_b32_e64 v17, v17, 0, s14
	s_delay_alu instid0(VALU_DEP_1)
	v_or_b32_e32 v17, v17, v9
.LBB2_9002:                             ;   in Loop: Header=BB2_8074 Depth=3
	s_or_b32 exec_lo, exec_lo, s76
                                        ; implicit-def: $vgpr9
.LBB2_9003:                             ;   in Loop: Header=BB2_8074 Depth=3
	s_and_not1_saveexec_b32 s14, s75
; %bb.9004:                             ;   in Loop: Header=BB2_8074 Depth=3
	v_or_b32_e32 v17, 0x7b, v9
; %bb.9005:                             ;   in Loop: Header=BB2_8074 Depth=3
	s_or_b32 exec_lo, exec_lo, s14
                                        ; implicit-def: $vgpr46
                                        ; implicit-def: $vgpr44_vgpr45
                                        ; implicit-def: $vgpr9
.LBB2_9006:                             ;   in Loop: Header=BB2_8074 Depth=3
	s_and_not1_saveexec_b32 s14, s74
	s_cbranch_execz .LBB2_9012
; %bb.9007:                             ;   in Loop: Header=BB2_8074 Depth=3
	s_mov_b32 s74, exec_lo
                                        ; implicit-def: $vgpr17
	v_cmpx_ne_u64_e32 0, v[44:45]
	s_xor_b32 s74, exec_lo, s74
; %bb.9008:                             ;   in Loop: Header=BB2_8074 Depth=3
	v_or_b32_e32 v17, 0x7f, v9
                                        ; implicit-def: $vgpr46
; %bb.9009:                             ;   in Loop: Header=BB2_8074 Depth=3
	s_and_not1_saveexec_b32 s74, s74
; %bb.9010:                             ;   in Loop: Header=BB2_8074 Depth=3
	v_cmp_lt_i32_e32 vcc_lo, -1, v46
	v_cndmask_b32_e32 v17, 0xfc, v120, vcc_lo
; %bb.9011:                             ;   in Loop: Header=BB2_8074 Depth=3
	s_or_b32 exec_lo, exec_lo, s74
.LBB2_9012:                             ;   in Loop: Header=BB2_8074 Depth=3
	s_delay_alu instid0(SALU_CYCLE_1) | instskip(SKIP_3) | instid1(VALU_DEP_2)
	s_or_b32 exec_lo, exec_lo, s14
	v_lshrrev_b16 v44, 8, v63
	v_mov_b32_e32 v9, 0
	s_mov_b32 s14, exec_lo
	v_cmpx_ne_u16_e32 0, v44
	s_cbranch_execz .LBB2_9022
; %bb.9013:                             ;   in Loop: Header=BB2_8074 Depth=3
	v_bfrev_b32_e32 v9, 1
	s_mov_b32 s74, exec_lo
	v_cmpx_ne_u16_e32 0x80, v44
	s_cbranch_execz .LBB2_9021
; %bb.9014:                             ;   in Loop: Header=BB2_8074 Depth=3
	v_and_b32_e32 v46, 0xffff, v44
	s_delay_alu instid0(VALU_DEP_1) | instskip(SKIP_1) | instid1(VALU_DEP_2)
	v_and_b32_e32 v9, 0x7c, v46
	v_and_b32_e32 v45, 3, v46
	v_cmp_ne_u32_e32 vcc_lo, 0x7c, v9
                                        ; implicit-def: $vgpr9
	s_and_saveexec_b32 s75, vcc_lo
	s_delay_alu instid0(SALU_CYCLE_1)
	s_xor_b32 s75, exec_lo, s75
	s_cbranch_execz .LBB2_9018
; %bb.9015:                             ;   in Loop: Header=BB2_8074 Depth=3
	v_bfe_u32 v9, v46, 2, 5
	s_mov_b32 s76, exec_lo
	s_delay_alu instid0(VALU_DEP_1)
	v_cmpx_eq_u32_e32 0, v9
	s_cbranch_execz .LBB2_9017
; %bb.9016:                             ;   in Loop: Header=BB2_8074 Depth=3
	v_clz_i32_u32_e32 v9, v45
	s_delay_alu instid0(VALU_DEP_1) | instskip(SKIP_1) | instid1(VALU_DEP_2)
	v_min_u32_e32 v9, 32, v9
	v_mov_b32_e32 v45, v3
	v_subrev_nc_u32_e32 v18, 29, v9
	v_sub_nc_u32_e32 v9, 30, v9
	s_delay_alu instid0(VALU_DEP_2) | instskip(NEXT) | instid1(VALU_DEP_1)
	v_lshlrev_b64_e32 v[18:19], v18, v[44:45]
	v_and_b32_e32 v45, 3, v18
.LBB2_9017:                             ;   in Loop: Header=BB2_8074 Depth=3
	s_or_b32 exec_lo, exec_lo, s76
	v_lshlrev_b32_e32 v18, 16, v63
                                        ; implicit-def: $vgpr63
	s_delay_alu instid0(VALU_DEP_1) | instskip(NEXT) | instid1(VALU_DEP_1)
	v_and_b32_e32 v18, 0x80000000, v18
	v_lshl_add_u32 v9, v9, 23, v18
	s_delay_alu instid0(VALU_DEP_1) | instskip(NEXT) | instid1(VALU_DEP_1)
	v_lshl_or_b32 v9, v45, 21, v9
                                        ; implicit-def: $vgpr45
	v_add_nc_u32_e32 v9, 0x38000000, v9
.LBB2_9018:                             ;   in Loop: Header=BB2_8074 Depth=3
	s_and_not1_saveexec_b32 s75, s75
; %bb.9019:                             ;   in Loop: Header=BB2_8074 Depth=3
	v_cmp_lt_i16_e32 vcc_lo, -1, v63
	v_cndmask_b32_e32 v9, 0xff800000, v111, vcc_lo
	v_cmp_eq_u32_e32 vcc_lo, 0, v45
	s_delay_alu instid0(VALU_DEP_2)
	v_cndmask_b32_e32 v9, 0x7f800001, v9, vcc_lo
; %bb.9020:                             ;   in Loop: Header=BB2_8074 Depth=3
	s_or_b32 exec_lo, exec_lo, s75
.LBB2_9021:                             ;   in Loop: Header=BB2_8074 Depth=3
	s_delay_alu instid0(SALU_CYCLE_1)
	s_or_b32 exec_lo, exec_lo, s74
.LBB2_9022:                             ;   in Loop: Header=BB2_8074 Depth=3
	s_delay_alu instid0(SALU_CYCLE_1) | instskip(SKIP_3) | instid1(VALU_DEP_1)
	s_or_b32 exec_lo, exec_lo, s14
	v_lshrrev_b16 v44, 8, v8
	s_mov_b32 s74, 0
	s_mov_b32 s14, exec_lo
	v_cmpx_lt_i16_e32 0x7f, v44
	s_xor_b32 s14, exec_lo, s14
	s_cbranch_execz .LBB2_9133
; %bb.9023:                             ;   in Loop: Header=BB2_8074 Depth=3
	s_mov_b32 s74, -1
	s_mov_b32 s75, exec_lo
	v_cmpx_eq_u16_e32 0x80, v44
; %bb.9024:                             ;   in Loop: Header=BB2_8074 Depth=3
	s_xor_b32 s74, exec_lo, -1
; %bb.9025:                             ;   in Loop: Header=BB2_8074 Depth=3
	s_or_b32 exec_lo, exec_lo, s75
	s_delay_alu instid0(SALU_CYCLE_1)
	s_and_b32 s74, s74, exec_lo
	s_or_saveexec_b32 s14, s14
	v_bfrev_b32_e32 v45, 1
	s_xor_b32 exec_lo, exec_lo, s14
	s_cbranch_execnz .LBB2_9134
.LBB2_9026:                             ;   in Loop: Header=BB2_8074 Depth=3
	s_or_b32 exec_lo, exec_lo, s14
	s_and_saveexec_b32 s14, s74
	s_cbranch_execz .LBB2_9028
.LBB2_9027:                             ;   in Loop: Header=BB2_8074 Depth=3
	v_and_b32_e32 v46, 0xffff, v44
	s_delay_alu instid0(VALU_DEP_1) | instskip(NEXT) | instid1(VALU_DEP_1)
	v_dual_mov_b32 v45, v3 :: v_dual_bitop2_b32 v47, 3, v46 bitop3:0x40
	v_clz_i32_u32_e32 v18, v47
	s_delay_alu instid0(VALU_DEP_1) | instskip(NEXT) | instid1(VALU_DEP_1)
	v_min_u32_e32 v63, 32, v18
	v_subrev_nc_u32_e32 v18, 29, v63
	s_delay_alu instid0(VALU_DEP_1) | instskip(SKIP_2) | instid1(VALU_DEP_2)
	v_lshlrev_b64_e32 v[18:19], v18, v[44:45]
	v_dual_lshlrev_b32 v19, 24, v44 :: v_dual_sub_nc_u32 v45, 30, v63
	v_bfe_u32 v44, v46, 2, 5
	v_and_b32_e32 v19, 0x80000000, v19
	s_delay_alu instid0(VALU_DEP_2) | instskip(NEXT) | instid1(VALU_DEP_4)
	v_cmp_eq_u32_e32 vcc_lo, 0, v44
	v_dual_cndmask_b32 v44, v44, v45, vcc_lo :: v_dual_bitop2_b32 v18, 3, v18 bitop3:0x40
	s_delay_alu instid0(VALU_DEP_1) | instskip(SKIP_1) | instid1(VALU_DEP_3)
	v_cndmask_b32_e32 v18, v47, v18, vcc_lo
	v_cmp_lt_i16_e32 vcc_lo, -1, v8
	v_lshl_add_u32 v19, v44, 23, v19
	v_cndmask_b32_e32 v8, 0xff800000, v111, vcc_lo
	v_cmp_eq_u32_e32 vcc_lo, 0, v47
	s_delay_alu instid0(VALU_DEP_3) | instskip(SKIP_1) | instid1(VALU_DEP_4)
	v_lshl_or_b32 v18, v18, 21, v19
	v_and_b32_e32 v19, 0x7c, v46
	v_cndmask_b32_e32 v8, 0x7f800001, v8, vcc_lo
	s_delay_alu instid0(VALU_DEP_3) | instskip(NEXT) | instid1(VALU_DEP_3)
	v_add_nc_u32_e32 v18, 0x38000000, v18
	v_cmp_eq_u32_e32 vcc_lo, 0x7c, v19
	s_delay_alu instid0(VALU_DEP_2)
	v_cndmask_b32_e32 v45, v18, v8, vcc_lo
.LBB2_9028:                             ;   in Loop: Header=BB2_8074 Depth=3
	s_or_b32 exec_lo, exec_lo, s14
	s_delay_alu instid0(VALU_DEP_1) | instskip(SKIP_2) | instid1(VALU_DEP_2)
	v_dual_add_f32 v44, v9, v45 :: v_dual_mov_b32 v19, v3
	v_mov_b32_e32 v9, v3
                                        ; implicit-def: $vgpr46
	s_mov_b32 s14, exec_lo
	v_and_b32_e32 v18, 0x7f800000, v44
	v_and_b32_e32 v8, 0x7fffff, v44
	v_lshrrev_b32_e32 v45, 24, v44
	s_delay_alu instid0(VALU_DEP_3)
	v_cmpx_ne_u64_e32 0x7f800000, v[18:19]
	s_xor_b32 s74, exec_lo, s14
	s_cbranch_execz .LBB2_9042
; %bb.9029:                             ;   in Loop: Header=BB2_8074 Depth=3
	v_and_b32_e32 v18, 0x7fffffff, v44
	v_mov_b32_e32 v19, v3
	v_and_b32_e32 v47, 0x80, v45
                                        ; implicit-def: $vgpr46
	s_mov_b32 s14, exec_lo
	s_delay_alu instid0(VALU_DEP_2)
	v_cmpx_gt_u64_e32 0x47600001, v[18:19]
	s_xor_b32 s75, exec_lo, s14
	s_cbranch_execz .LBB2_9039
; %bb.9030:                             ;   in Loop: Header=BB2_8074 Depth=3
	v_mov_b32_e32 v46, 0
	s_mov_b32 s76, exec_lo
	v_cmpx_ne_u32_e32 0, v44
	s_cbranch_execz .LBB2_9038
; %bb.9031:                             ;   in Loop: Header=BB2_8074 Depth=3
	v_bfe_u32 v46, v44, 23, 8
	v_or_b32_e32 v44, 0x800000, v8
	s_delay_alu instid0(VALU_DEP_2) | instskip(SKIP_1) | instid1(VALU_DEP_2)
	v_sub_nc_u32_e32 v18, 0x71, v46
	v_cmp_gt_u32_e32 vcc_lo, 0x72, v46
	v_cndmask_b32_e32 v18, 0, v18, vcc_lo
	v_cmp_eq_u32_e32 vcc_lo, 0, v46
	s_delay_alu instid0(VALU_DEP_2) | instskip(NEXT) | instid1(VALU_DEP_1)
	v_cndmask_b32_e64 v63, v18, 0x70, vcc_lo
	v_dual_cndmask_b32 v8, v44, v8, vcc_lo :: v_dual_add_nc_u32 v18, 21, v63
	v_add_nc_u32_e32 v45, 20, v63
	s_delay_alu instid0(VALU_DEP_2) | instskip(NEXT) | instid1(VALU_DEP_2)
	v_lshlrev_b64_e64 v[18:19], v18, -1
	v_lshlrev_b64_e64 v[44:45], v45, 1
	s_delay_alu instid0(VALU_DEP_2) | instskip(SKIP_1) | instid1(VALU_DEP_4)
	v_bfi_b32 v18, v18, 0, v8
	v_lshrrev_b64 v[8:9], v63, v[8:9]
	v_bfi_b32 v19, v19, 0, 0
	s_delay_alu instid0(VALU_DEP_1) | instskip(NEXT) | instid1(VALU_DEP_3)
	v_cmp_eq_u64_e64 s14, v[18:19], v[44:45]
	v_mov_b64_e32 v[44:45], v[8:9]
	s_and_saveexec_b32 s77, s14
; %bb.9032:                             ;   in Loop: Header=BB2_8074 Depth=3
	v_bfe_u32 v18, v8, 21, 1
	v_mov_b32_e32 v19, v3
	s_delay_alu instid0(VALU_DEP_1) | instskip(NEXT) | instid1(VALU_DEP_1)
	v_add_nc_u64_e32 v[18:19], v[8:9], v[18:19]
	v_add_nc_u64_e32 v[44:45], -1, v[18:19]
; %bb.9033:                             ;   in Loop: Header=BB2_8074 Depth=3
	s_or_b32 exec_lo, exec_lo, s77
	v_add_nc_u32_e32 v9, 0xffffff81, v46
	v_lshrrev_b32_e32 v18, 23, v8
	s_mov_b32 s14, exec_lo
	s_delay_alu instid0(VALU_DEP_2) | instskip(NEXT) | instid1(VALU_DEP_1)
	v_cndmask_b32_e64 v9, v9, 0xffffff82, vcc_lo
	v_add3_u32 v45, v63, v9, v18
	v_and_b32_e32 v9, 0x1fffff, v44
                                        ; implicit-def: $vgpr44
	s_delay_alu instid0(VALU_DEP_1) | instskip(SKIP_1) | instid1(VALU_DEP_2)
	v_dual_add_nc_u32 v46, 14, v45 :: v_dual_add_nc_u32 v8, v9, v8
	v_mov_b32_e32 v9, v3
	v_cmpx_ne_u32_e32 0, v46
	s_xor_b32 s14, exec_lo, s14
; %bb.9034:                             ;   in Loop: Header=BB2_8074 Depth=3
	s_delay_alu instid0(VALU_DEP_2) | instskip(SKIP_1) | instid1(VALU_DEP_1)
	v_cmp_lt_u64_e32 vcc_lo, 0xffffff, v[8:9]
	v_add_nc_u32_e32 v18, 15, v45
	v_cndmask_b32_e32 v44, v46, v18, vcc_lo
	v_cndmask_b32_e64 v18, 0, 1, vcc_lo
	s_delay_alu instid0(VALU_DEP_1)
	v_lshrrev_b64 v[8:9], v18, v[8:9]
; %bb.9035:                             ;   in Loop: Header=BB2_8074 Depth=3
	s_and_not1_saveexec_b32 s14, s14
; %bb.9036:                             ;   in Loop: Header=BB2_8074 Depth=3
	s_delay_alu instid0(VALU_DEP_1)
	v_bfe_u32 v44, v8, 23, 1
; %bb.9037:                             ;   in Loop: Header=BB2_8074 Depth=3
	s_or_b32 exec_lo, exec_lo, s14
	s_delay_alu instid0(VALU_DEP_2) | instskip(NEXT) | instid1(VALU_DEP_2)
	v_lshrrev_b64 v[8:9], 21, v[8:9]
	v_cmp_gt_i32_e32 vcc_lo, 32, v44
	v_min_i32_e32 v18, 31, v44
	v_cmp_eq_u32_e64 s14, 0, v44
	s_delay_alu instid0(VALU_DEP_2) | instskip(SKIP_1) | instid1(VALU_DEP_2)
	v_dual_cndmask_b32 v9, 0, v9 :: v_dual_lshlrev_b32 v18, 2, v18
	v_cndmask_b32_e32 v8, 3, v8, vcc_lo
	v_and_b32_e32 v18, 0xfc, v18
	s_delay_alu instid0(VALU_DEP_2) | instskip(NEXT) | instid1(VALU_DEP_2)
	v_cmp_eq_u64_e32 vcc_lo, 0, v[8:9]
	v_and_or_b32 v8, v8, 3, v18
	s_and_b32 s14, s14, vcc_lo
	s_delay_alu instid0(VALU_DEP_1) | instid1(SALU_CYCLE_1)
	v_cndmask_b32_e64 v8, v8, 0, s14
	s_delay_alu instid0(VALU_DEP_1)
	v_or_b32_e32 v46, v8, v47
.LBB2_9038:                             ;   in Loop: Header=BB2_8074 Depth=3
	s_or_b32 exec_lo, exec_lo, s76
                                        ; implicit-def: $vgpr47
.LBB2_9039:                             ;   in Loop: Header=BB2_8074 Depth=3
	s_and_not1_saveexec_b32 s14, s75
; %bb.9040:                             ;   in Loop: Header=BB2_8074 Depth=3
	v_or_b32_e32 v46, 0x7b, v47
; %bb.9041:                             ;   in Loop: Header=BB2_8074 Depth=3
	s_or_b32 exec_lo, exec_lo, s14
                                        ; implicit-def: $vgpr44
                                        ; implicit-def: $vgpr8_vgpr9
                                        ; implicit-def: $vgpr45
.LBB2_9042:                             ;   in Loop: Header=BB2_8074 Depth=3
	s_and_not1_saveexec_b32 s14, s74
	s_cbranch_execz .LBB2_9048
; %bb.9043:                             ;   in Loop: Header=BB2_8074 Depth=3
	s_mov_b32 s74, exec_lo
                                        ; implicit-def: $vgpr46
	v_cmpx_ne_u64_e32 0, v[8:9]
	s_xor_b32 s74, exec_lo, s74
; %bb.9044:                             ;   in Loop: Header=BB2_8074 Depth=3
	v_or_b32_e32 v46, 0x7f, v45
                                        ; implicit-def: $vgpr44
; %bb.9045:                             ;   in Loop: Header=BB2_8074 Depth=3
	s_and_not1_saveexec_b32 s74, s74
; %bb.9046:                             ;   in Loop: Header=BB2_8074 Depth=3
	v_cmp_lt_i32_e32 vcc_lo, -1, v44
	v_cndmask_b32_e32 v46, 0xfc, v120, vcc_lo
; %bb.9047:                             ;   in Loop: Header=BB2_8074 Depth=3
	s_or_b32 exec_lo, exec_lo, s74
.LBB2_9048:                             ;   in Loop: Header=BB2_8074 Depth=3
	s_delay_alu instid0(SALU_CYCLE_1) | instskip(SKIP_2) | instid1(VALU_DEP_1)
	s_or_b32 exec_lo, exec_lo, s14
	v_dual_mov_b32 v9, 0 :: v_dual_lshrrev_b32 v8, 16, v2
	s_mov_b32 s14, exec_lo
	v_and_b32_e32 v44, 0xff, v8
	s_delay_alu instid0(VALU_DEP_1)
	v_cmpx_ne_u16_e32 0, v44
	s_cbranch_execz .LBB2_9058
; %bb.9049:                             ;   in Loop: Header=BB2_8074 Depth=3
	v_bfrev_b32_e32 v9, 1
	s_mov_b32 s74, exec_lo
	v_cmpx_ne_u16_e32 0x80, v44
	s_cbranch_execz .LBB2_9057
; %bb.9050:                             ;   in Loop: Header=BB2_8074 Depth=3
	v_and_b32_e32 v9, 0x7c0000, v2
	v_bfe_u32 v44, v2, 16, 2
	s_delay_alu instid0(VALU_DEP_2) | instskip(SKIP_1) | instid1(SALU_CYCLE_1)
	v_cmp_ne_u32_e32 vcc_lo, 0x7c0000, v9
                                        ; implicit-def: $vgpr9
	s_and_saveexec_b32 s75, vcc_lo
	s_xor_b32 s75, exec_lo, s75
	s_cbranch_execz .LBB2_9054
; %bb.9051:                             ;   in Loop: Header=BB2_8074 Depth=3
	v_bfe_u32 v9, v2, 18, 5
	s_mov_b32 s76, exec_lo
	s_delay_alu instid0(VALU_DEP_1)
	v_cmpx_eq_u32_e32 0, v9
; %bb.9052:                             ;   in Loop: Header=BB2_8074 Depth=3
	v_clz_i32_u32_e32 v9, v44
	s_delay_alu instid0(VALU_DEP_1) | instskip(NEXT) | instid1(VALU_DEP_1)
	v_min_u32_e32 v9, 32, v9
	v_subrev_nc_u32_e32 v18, 29, v9
	s_delay_alu instid0(VALU_DEP_1) | instskip(NEXT) | instid1(VALU_DEP_1)
	v_lshlrev_b64_e32 v[18:19], v18, v[8:9]
	v_dual_sub_nc_u32 v9, 30, v9 :: v_dual_bitop2_b32 v44, 3, v18 bitop3:0x40
; %bb.9053:                             ;   in Loop: Header=BB2_8074 Depth=3
	s_or_b32 exec_lo, exec_lo, s76
	v_lshlrev_b32_e32 v8, 24, v8
	s_delay_alu instid0(VALU_DEP_1) | instskip(NEXT) | instid1(VALU_DEP_1)
	v_and_b32_e32 v8, 0x80000000, v8
	v_lshl_add_u32 v8, v9, 23, v8
	s_delay_alu instid0(VALU_DEP_1) | instskip(NEXT) | instid1(VALU_DEP_1)
	v_lshl_or_b32 v8, v44, 21, v8
                                        ; implicit-def: $vgpr44
	v_add_nc_u32_e32 v9, 0x38000000, v8
                                        ; implicit-def: $vgpr8
.LBB2_9054:                             ;   in Loop: Header=BB2_8074 Depth=3
	s_and_not1_saveexec_b32 s75, s75
; %bb.9055:                             ;   in Loop: Header=BB2_8074 Depth=3
	v_bfe_i32 v8, v8, 0, 8
	s_delay_alu instid0(VALU_DEP_1) | instskip(SKIP_2) | instid1(VALU_DEP_2)
	v_cmp_lt_i16_e32 vcc_lo, -1, v8
	v_cndmask_b32_e32 v8, 0xff800000, v111, vcc_lo
	v_cmp_eq_u32_e32 vcc_lo, 0, v44
	v_cndmask_b32_e32 v9, 0x7f800001, v8, vcc_lo
; %bb.9056:                             ;   in Loop: Header=BB2_8074 Depth=3
	s_or_b32 exec_lo, exec_lo, s75
.LBB2_9057:                             ;   in Loop: Header=BB2_8074 Depth=3
	s_delay_alu instid0(SALU_CYCLE_1)
	s_or_b32 exec_lo, exec_lo, s74
.LBB2_9058:                             ;   in Loop: Header=BB2_8074 Depth=3
	s_delay_alu instid0(SALU_CYCLE_1) | instskip(SKIP_3) | instid1(VALU_DEP_1)
	s_or_b32 exec_lo, exec_lo, s14
	v_lshrrev_b32_e32 v8, 16, v11
	s_mov_b32 s74, 0
	s_mov_b32 s14, exec_lo
	v_and_b32_e32 v45, 0xff, v8
	s_delay_alu instid0(VALU_DEP_1)
	v_cmpx_lt_i16_e32 0x7f, v45
	s_xor_b32 s14, exec_lo, s14
	s_cbranch_execz .LBB2_9135
; %bb.9059:                             ;   in Loop: Header=BB2_8074 Depth=3
	s_mov_b32 s74, -1
	s_mov_b32 s75, exec_lo
	v_cmpx_eq_u16_e32 0x80, v45
; %bb.9060:                             ;   in Loop: Header=BB2_8074 Depth=3
	s_xor_b32 s74, exec_lo, -1
; %bb.9061:                             ;   in Loop: Header=BB2_8074 Depth=3
	s_or_b32 exec_lo, exec_lo, s75
	s_delay_alu instid0(SALU_CYCLE_1)
	s_and_b32 s74, s74, exec_lo
                                        ; implicit-def: $vgpr45
	s_or_saveexec_b32 s14, s14
	v_bfrev_b32_e32 v44, 1
	s_xor_b32 exec_lo, exec_lo, s14
	s_cbranch_execnz .LBB2_9136
.LBB2_9062:                             ;   in Loop: Header=BB2_8074 Depth=3
	s_or_b32 exec_lo, exec_lo, s14
	s_and_saveexec_b32 s14, s74
	s_cbranch_execz .LBB2_9064
.LBB2_9063:                             ;   in Loop: Header=BB2_8074 Depth=3
	v_and_b32_e32 v44, 3, v8
	v_bfe_u32 v47, v11, 18, 5
	s_delay_alu instid0(VALU_DEP_2) | instskip(NEXT) | instid1(VALU_DEP_2)
	v_clz_i32_u32_e32 v18, v44
	v_cmp_eq_u32_e32 vcc_lo, 0, v47
	s_delay_alu instid0(VALU_DEP_2) | instskip(NEXT) | instid1(VALU_DEP_1)
	v_min_u32_e32 v45, 32, v18
	v_subrev_nc_u32_e32 v18, 29, v45
	s_delay_alu instid0(VALU_DEP_1) | instskip(SKIP_2) | instid1(VALU_DEP_2)
	v_lshlrev_b64_e32 v[18:19], v18, v[8:9]
	v_dual_lshlrev_b32 v19, 24, v8 :: v_dual_sub_nc_u32 v45, 30, v45
	v_bfe_i32 v8, v8, 0, 8
	v_and_b32_e32 v19, 0x80000000, v19
	s_delay_alu instid0(VALU_DEP_3) | instskip(NEXT) | instid1(VALU_DEP_1)
	v_dual_cndmask_b32 v45, v47, v45, vcc_lo :: v_dual_bitop2_b32 v18, 3, v18 bitop3:0x40
	v_cndmask_b32_e32 v18, v44, v18, vcc_lo
	s_delay_alu instid0(VALU_DEP_2) | instskip(SKIP_1) | instid1(VALU_DEP_2)
	v_lshl_add_u32 v19, v45, 23, v19
	v_cmp_lt_i16_e32 vcc_lo, -1, v8
	v_lshl_or_b32 v18, v18, 21, v19
	v_cndmask_b32_e32 v8, 0xff800000, v111, vcc_lo
	v_and_b32_e32 v19, 0x7c0000, v11
	v_cmp_eq_u32_e32 vcc_lo, 0, v44
	s_delay_alu instid0(VALU_DEP_4) | instskip(NEXT) | instid1(VALU_DEP_4)
	v_add_nc_u32_e32 v18, 0x38000000, v18
	v_cndmask_b32_e32 v8, 0x7f800001, v8, vcc_lo
	s_delay_alu instid0(VALU_DEP_4) | instskip(NEXT) | instid1(VALU_DEP_2)
	v_cmp_eq_u32_e32 vcc_lo, 0x7c0000, v19
	v_cndmask_b32_e32 v44, v18, v8, vcc_lo
.LBB2_9064:                             ;   in Loop: Header=BB2_8074 Depth=3
	s_or_b32 exec_lo, exec_lo, s14
	s_delay_alu instid0(VALU_DEP_1) | instskip(SKIP_2) | instid1(VALU_DEP_2)
	v_dual_add_f32 v45, v9, v44 :: v_dual_mov_b32 v19, v3
	v_mov_b32_e32 v9, v3
                                        ; implicit-def: $vgpr44
	s_mov_b32 s14, exec_lo
	v_and_b32_e32 v18, 0x7f800000, v45
	v_and_b32_e32 v8, 0x7fffff, v45
	v_lshrrev_b32_e32 v47, 24, v45
	s_delay_alu instid0(VALU_DEP_3)
	v_cmpx_ne_u64_e32 0x7f800000, v[18:19]
	s_xor_b32 s74, exec_lo, s14
	s_cbranch_execz .LBB2_9078
; %bb.9065:                             ;   in Loop: Header=BB2_8074 Depth=3
	v_and_b32_e32 v18, 0x7fffffff, v45
	v_mov_b32_e32 v19, v3
	v_and_b32_e32 v47, 0x80, v47
                                        ; implicit-def: $vgpr44
	s_mov_b32 s14, exec_lo
	s_delay_alu instid0(VALU_DEP_2)
	v_cmpx_gt_u64_e32 0x47600001, v[18:19]
	s_xor_b32 s75, exec_lo, s14
	s_cbranch_execz .LBB2_9075
; %bb.9066:                             ;   in Loop: Header=BB2_8074 Depth=3
	v_mov_b32_e32 v44, 0
	s_mov_b32 s76, exec_lo
	v_cmpx_ne_u32_e32 0, v45
	s_cbranch_execz .LBB2_9074
; %bb.9067:                             ;   in Loop: Header=BB2_8074 Depth=3
	v_bfe_u32 v63, v45, 23, 8
	v_or_b32_e32 v44, 0x800000, v8
	s_delay_alu instid0(VALU_DEP_2) | instskip(SKIP_1) | instid1(VALU_DEP_2)
	v_sub_nc_u32_e32 v18, 0x71, v63
	v_cmp_gt_u32_e32 vcc_lo, 0x72, v63
	v_cndmask_b32_e32 v18, 0, v18, vcc_lo
	v_cmp_eq_u32_e32 vcc_lo, 0, v63
	s_delay_alu instid0(VALU_DEP_2) | instskip(NEXT) | instid1(VALU_DEP_1)
	v_cndmask_b32_e64 v73, v18, 0x70, vcc_lo
	v_dual_cndmask_b32 v8, v44, v8, vcc_lo :: v_dual_add_nc_u32 v18, 21, v73
	v_add_nc_u32_e32 v45, 20, v73
	s_delay_alu instid0(VALU_DEP_2) | instskip(NEXT) | instid1(VALU_DEP_2)
	v_lshlrev_b64_e64 v[18:19], v18, -1
	v_lshlrev_b64_e64 v[44:45], v45, 1
	s_delay_alu instid0(VALU_DEP_2) | instskip(SKIP_1) | instid1(VALU_DEP_4)
	v_bfi_b32 v18, v18, 0, v8
	v_lshrrev_b64 v[8:9], v73, v[8:9]
	v_bfi_b32 v19, v19, 0, 0
	s_delay_alu instid0(VALU_DEP_1) | instskip(NEXT) | instid1(VALU_DEP_3)
	v_cmp_eq_u64_e64 s14, v[18:19], v[44:45]
	v_mov_b64_e32 v[44:45], v[8:9]
	s_and_saveexec_b32 s77, s14
; %bb.9068:                             ;   in Loop: Header=BB2_8074 Depth=3
	v_bfe_u32 v18, v8, 21, 1
	v_mov_b32_e32 v19, v3
	s_delay_alu instid0(VALU_DEP_1) | instskip(NEXT) | instid1(VALU_DEP_1)
	v_add_nc_u64_e32 v[18:19], v[8:9], v[18:19]
	v_add_nc_u64_e32 v[44:45], -1, v[18:19]
; %bb.9069:                             ;   in Loop: Header=BB2_8074 Depth=3
	s_or_b32 exec_lo, exec_lo, s77
	v_add_nc_u32_e32 v9, 0xffffff81, v63
	v_lshrrev_b32_e32 v18, 23, v8
	s_mov_b32 s14, exec_lo
	s_delay_alu instid0(VALU_DEP_2) | instskip(NEXT) | instid1(VALU_DEP_1)
	v_cndmask_b32_e64 v9, v9, 0xffffff82, vcc_lo
	v_add3_u32 v45, v73, v9, v18
	v_and_b32_e32 v9, 0x1fffff, v44
                                        ; implicit-def: $vgpr44
	s_delay_alu instid0(VALU_DEP_1) | instskip(SKIP_1) | instid1(VALU_DEP_2)
	v_dual_add_nc_u32 v63, 14, v45 :: v_dual_add_nc_u32 v8, v9, v8
	v_mov_b32_e32 v9, v3
	v_cmpx_ne_u32_e32 0, v63
	s_xor_b32 s14, exec_lo, s14
; %bb.9070:                             ;   in Loop: Header=BB2_8074 Depth=3
	s_delay_alu instid0(VALU_DEP_2) | instskip(SKIP_1) | instid1(VALU_DEP_1)
	v_cmp_lt_u64_e32 vcc_lo, 0xffffff, v[8:9]
	v_add_nc_u32_e32 v18, 15, v45
	v_cndmask_b32_e32 v44, v63, v18, vcc_lo
	v_cndmask_b32_e64 v18, 0, 1, vcc_lo
	s_delay_alu instid0(VALU_DEP_1)
	v_lshrrev_b64 v[8:9], v18, v[8:9]
; %bb.9071:                             ;   in Loop: Header=BB2_8074 Depth=3
	s_and_not1_saveexec_b32 s14, s14
; %bb.9072:                             ;   in Loop: Header=BB2_8074 Depth=3
	s_delay_alu instid0(VALU_DEP_1)
	v_bfe_u32 v44, v8, 23, 1
; %bb.9073:                             ;   in Loop: Header=BB2_8074 Depth=3
	s_or_b32 exec_lo, exec_lo, s14
	s_delay_alu instid0(VALU_DEP_2) | instskip(NEXT) | instid1(VALU_DEP_2)
	v_lshrrev_b64 v[8:9], 21, v[8:9]
	v_cmp_gt_i32_e32 vcc_lo, 32, v44
	v_min_i32_e32 v18, 31, v44
	v_cmp_eq_u32_e64 s14, 0, v44
	s_delay_alu instid0(VALU_DEP_2) | instskip(SKIP_1) | instid1(VALU_DEP_2)
	v_dual_cndmask_b32 v9, 0, v9 :: v_dual_lshlrev_b32 v18, 2, v18
	v_cndmask_b32_e32 v8, 3, v8, vcc_lo
	v_and_b32_e32 v18, 0xfc, v18
	s_delay_alu instid0(VALU_DEP_2) | instskip(NEXT) | instid1(VALU_DEP_2)
	v_cmp_eq_u64_e32 vcc_lo, 0, v[8:9]
	v_and_or_b32 v8, v8, 3, v18
	s_and_b32 s14, s14, vcc_lo
	s_delay_alu instid0(VALU_DEP_1) | instid1(SALU_CYCLE_1)
	v_cndmask_b32_e64 v8, v8, 0, s14
	s_delay_alu instid0(VALU_DEP_1)
	v_or_b32_e32 v44, v8, v47
.LBB2_9074:                             ;   in Loop: Header=BB2_8074 Depth=3
	s_or_b32 exec_lo, exec_lo, s76
                                        ; implicit-def: $vgpr47
.LBB2_9075:                             ;   in Loop: Header=BB2_8074 Depth=3
	s_and_not1_saveexec_b32 s14, s75
; %bb.9076:                             ;   in Loop: Header=BB2_8074 Depth=3
	v_or_b32_e32 v44, 0x7b, v47
; %bb.9077:                             ;   in Loop: Header=BB2_8074 Depth=3
	s_or_b32 exec_lo, exec_lo, s14
                                        ; implicit-def: $vgpr45
                                        ; implicit-def: $vgpr8_vgpr9
                                        ; implicit-def: $vgpr47
.LBB2_9078:                             ;   in Loop: Header=BB2_8074 Depth=3
	s_and_not1_saveexec_b32 s14, s74
	s_cbranch_execz .LBB2_9084
; %bb.9079:                             ;   in Loop: Header=BB2_8074 Depth=3
	s_mov_b32 s74, exec_lo
                                        ; implicit-def: $vgpr44
	v_cmpx_ne_u64_e32 0, v[8:9]
	s_xor_b32 s74, exec_lo, s74
; %bb.9080:                             ;   in Loop: Header=BB2_8074 Depth=3
	v_or_b32_e32 v44, 0x7f, v47
                                        ; implicit-def: $vgpr45
; %bb.9081:                             ;   in Loop: Header=BB2_8074 Depth=3
	s_and_not1_saveexec_b32 s74, s74
; %bb.9082:                             ;   in Loop: Header=BB2_8074 Depth=3
	v_cmp_lt_i32_e32 vcc_lo, -1, v45
	v_cndmask_b32_e32 v44, 0xfc, v120, vcc_lo
; %bb.9083:                             ;   in Loop: Header=BB2_8074 Depth=3
	s_or_b32 exec_lo, exec_lo, s74
.LBB2_9084:                             ;   in Loop: Header=BB2_8074 Depth=3
	s_delay_alu instid0(SALU_CYCLE_1)
	s_or_b32 exec_lo, exec_lo, s14
	v_mov_b32_e32 v9, 0
	s_mov_b32 s14, exec_lo
	v_cmpx_lt_u32_e32 0xffffff, v2
	s_cbranch_execz .LBB2_9094
; %bb.9085:                             ;   in Loop: Header=BB2_8074 Depth=3
	v_lshrrev_b32_e32 v8, 24, v2
	v_bfrev_b32_e32 v9, 1
	s_mov_b32 s74, exec_lo
	s_delay_alu instid0(VALU_DEP_2)
	v_cmpx_ne_u32_e32 0x80, v8
	s_cbranch_execz .LBB2_9093
; %bb.9086:                             ;   in Loop: Header=BB2_8074 Depth=3
	v_and_b32_e32 v9, 0x7c000000, v2
	v_bfe_u32 v45, v2, 24, 2
	s_delay_alu instid0(VALU_DEP_2) | instskip(SKIP_1) | instid1(SALU_CYCLE_1)
	v_cmp_ne_u32_e32 vcc_lo, 0x7c000000, v9
                                        ; implicit-def: $vgpr9
	s_and_saveexec_b32 s75, vcc_lo
	s_xor_b32 s75, exec_lo, s75
	s_cbranch_execz .LBB2_9090
; %bb.9087:                             ;   in Loop: Header=BB2_8074 Depth=3
	v_bfe_u32 v9, v2, 26, 5
	s_mov_b32 s76, exec_lo
	s_delay_alu instid0(VALU_DEP_1)
	v_cmpx_eq_u32_e32 0, v9
; %bb.9088:                             ;   in Loop: Header=BB2_8074 Depth=3
	v_clz_i32_u32_e32 v9, v45
	s_delay_alu instid0(VALU_DEP_1) | instskip(NEXT) | instid1(VALU_DEP_1)
	v_min_u32_e32 v18, 32, v9
	v_subrev_nc_u32_e32 v9, 29, v18
	s_delay_alu instid0(VALU_DEP_1) | instskip(NEXT) | instid1(VALU_DEP_1)
	v_lshlrev_b64_e32 v[8:9], v9, v[8:9]
	v_dual_sub_nc_u32 v9, 30, v18 :: v_dual_bitop2_b32 v45, 3, v8 bitop3:0x40
; %bb.9089:                             ;   in Loop: Header=BB2_8074 Depth=3
	s_or_b32 exec_lo, exec_lo, s76
	v_and_b32_e32 v2, 0x80000000, v2
	s_delay_alu instid0(VALU_DEP_1) | instskip(NEXT) | instid1(VALU_DEP_1)
	v_lshl_add_u32 v2, v9, 23, v2
	v_lshl_or_b32 v2, v45, 21, v2
                                        ; implicit-def: $vgpr45
	s_delay_alu instid0(VALU_DEP_1)
	v_add_nc_u32_e32 v9, 0x38000000, v2
.LBB2_9090:                             ;   in Loop: Header=BB2_8074 Depth=3
	s_and_not1_saveexec_b32 s75, s75
; %bb.9091:                             ;   in Loop: Header=BB2_8074 Depth=3
	v_cmp_lt_i32_e32 vcc_lo, -1, v2
	v_cndmask_b32_e32 v2, 0xff800000, v111, vcc_lo
	v_cmp_eq_u32_e32 vcc_lo, 0, v45
	s_delay_alu instid0(VALU_DEP_2)
	v_cndmask_b32_e32 v9, 0x7f800001, v2, vcc_lo
; %bb.9092:                             ;   in Loop: Header=BB2_8074 Depth=3
	s_or_b32 exec_lo, exec_lo, s75
.LBB2_9093:                             ;   in Loop: Header=BB2_8074 Depth=3
	s_delay_alu instid0(SALU_CYCLE_1)
	s_or_b32 exec_lo, exec_lo, s74
.LBB2_9094:                             ;   in Loop: Header=BB2_8074 Depth=3
	s_delay_alu instid0(SALU_CYCLE_1) | instskip(SKIP_2) | instid1(VALU_DEP_2)
	s_or_b32 exec_lo, exec_lo, s14
	v_bfe_u32 v8, v11, 24, 2
	v_bfe_u32 v47, v11, 26, 5
	v_clz_i32_u32_e32 v2, v8
	s_delay_alu instid0(VALU_DEP_2) | instskip(NEXT) | instid1(VALU_DEP_2)
	v_cmp_eq_u32_e32 vcc_lo, 0, v47
	v_min_u32_e32 v45, 32, v2
	v_lshrrev_b32_e32 v2, 24, v11
	s_delay_alu instid0(VALU_DEP_2) | instskip(NEXT) | instid1(VALU_DEP_1)
	v_subrev_nc_u32_e32 v18, 29, v45
	v_lshlrev_b64_e32 v[18:19], v18, v[2:3]
	v_sub_nc_u32_e32 v19, 30, v45
	v_and_b32_e32 v45, 0x80000000, v11
	s_delay_alu instid0(VALU_DEP_2) | instskip(NEXT) | instid1(VALU_DEP_1)
	v_dual_cndmask_b32 v19, v47, v19, vcc_lo :: v_dual_bitop2_b32 v18, 3, v18 bitop3:0x40
	v_lshl_add_u32 v19, v19, 23, v45
	s_delay_alu instid0(VALU_DEP_2) | instskip(SKIP_1) | instid1(VALU_DEP_2)
	v_cndmask_b32_e32 v18, v8, v18, vcc_lo
	v_cmp_lt_i64_e32 vcc_lo, -1, v[10:11]
	v_lshl_or_b32 v18, v18, 21, v19
	v_and_b32_e32 v19, 0x7c000000, v11
	v_cndmask_b32_e32 v45, 0xff800000, v111, vcc_lo
	v_cmp_eq_u32_e32 vcc_lo, 0, v8
	s_delay_alu instid0(VALU_DEP_4) | instskip(NEXT) | instid1(VALU_DEP_3)
	v_add_nc_u32_e32 v18, 0x38000000, v18
	v_cndmask_b32_e32 v8, 0x7f800001, v45, vcc_lo
	v_cmp_eq_u32_e32 vcc_lo, 0x7c000000, v19
	s_delay_alu instid0(VALU_DEP_2) | instskip(SKIP_1) | instid1(VALU_DEP_2)
	v_cndmask_b32_e32 v8, v18, v8, vcc_lo
	v_cmp_ne_u32_e32 vcc_lo, 0x80, v2
	v_cndmask_b32_e32 v2, 0x80000000, v8, vcc_lo
	v_cmp_lt_u64_e32 vcc_lo, s[22:23], v[10:11]
	v_mov_b32_e32 v11, v3
                                        ; implicit-def: $vgpr8
	s_delay_alu instid0(VALU_DEP_3) | instskip(NEXT) | instid1(VALU_DEP_1)
	v_cndmask_b32_e32 v2, 0, v2, vcc_lo
	v_add_f32_e32 v9, v2, v9
	s_delay_alu instid0(VALU_DEP_1) | instskip(SKIP_1) | instid1(VALU_DEP_2)
	v_and_b32_e32 v10, 0x7f800000, v9
	v_and_b32_e32 v2, 0x7fffff, v9
	v_cmp_ne_u64_e32 vcc_lo, 0x7f800000, v[10:11]
	v_lshrrev_b32_e32 v10, 24, v9
	s_and_saveexec_b32 s14, vcc_lo
	s_delay_alu instid0(SALU_CYCLE_1)
	s_xor_b32 s74, exec_lo, s14
	s_cbranch_execz .LBB2_9108
; %bb.9095:                             ;   in Loop: Header=BB2_8074 Depth=3
	v_and_b32_e32 v18, 0x7fffffff, v9
	v_mov_b32_e32 v19, v3
	v_and_b32_e32 v45, 0x80, v10
                                        ; implicit-def: $vgpr8
	s_mov_b32 s14, exec_lo
	s_delay_alu instid0(VALU_DEP_2)
	v_cmpx_gt_u64_e32 0x47600001, v[18:19]
	s_xor_b32 s75, exec_lo, s14
	s_cbranch_execz .LBB2_9105
; %bb.9096:                             ;   in Loop: Header=BB2_8074 Depth=3
	v_mov_b32_e32 v8, 0
	s_mov_b32 s76, exec_lo
	v_cmpx_ne_u32_e32 0, v9
	s_cbranch_execz .LBB2_9104
; %bb.9097:                             ;   in Loop: Header=BB2_8074 Depth=3
	v_bfe_u32 v47, v9, 23, 8
	v_or_b32_e32 v10, 0x800000, v2
	s_mov_b32 s77, exec_lo
	s_delay_alu instid0(VALU_DEP_2) | instskip(SKIP_1) | instid1(VALU_DEP_2)
	v_dual_mov_b32 v11, v3 :: v_dual_sub_nc_u32 v8, 0x71, v47
	v_cmp_gt_u32_e32 vcc_lo, 0x72, v47
	v_cndmask_b32_e32 v8, 0, v8, vcc_lo
	v_cmp_eq_u32_e32 vcc_lo, 0, v47
	s_delay_alu instid0(VALU_DEP_2) | instskip(NEXT) | instid1(VALU_DEP_1)
	v_cndmask_b32_e64 v63, v8, 0x70, vcc_lo
	v_dual_cndmask_b32 v10, v10, v2, vcc_lo :: v_dual_add_nc_u32 v8, 21, v63
	v_add_nc_u32_e32 v18, 20, v63
	s_delay_alu instid0(VALU_DEP_2) | instskip(NEXT) | instid1(VALU_DEP_2)
	v_lshlrev_b64_e64 v[8:9], v8, -1
	v_lshlrev_b64_e64 v[18:19], v18, 1
	s_delay_alu instid0(VALU_DEP_2) | instskip(NEXT) | instid1(VALU_DEP_3)
	v_bfi_b32 v89, v9, 0, 0
	v_bfi_b32 v88, v8, 0, v10
	v_lshrrev_b64 v[8:9], v63, v[10:11]
	s_delay_alu instid0(VALU_DEP_1) | instskip(NEXT) | instid1(VALU_DEP_3)
	v_mov_b64_e32 v[10:11], v[8:9]
	v_cmpx_eq_u64_e64 v[88:89], v[18:19]
; %bb.9098:                             ;   in Loop: Header=BB2_8074 Depth=3
	v_bfe_u32 v10, v8, 21, 1
	v_mov_b32_e32 v11, v3
	s_delay_alu instid0(VALU_DEP_1) | instskip(NEXT) | instid1(VALU_DEP_1)
	v_add_nc_u64_e32 v[10:11], v[8:9], v[10:11]
	v_add_nc_u64_e32 v[10:11], -1, v[10:11]
; %bb.9099:                             ;   in Loop: Header=BB2_8074 Depth=3
	s_or_b32 exec_lo, exec_lo, s77
	v_add_nc_u32_e32 v2, 0xffffff81, v47
	v_lshrrev_b32_e32 v9, 23, v8
	s_mov_b32 s14, exec_lo
	s_delay_alu instid0(VALU_DEP_2) | instskip(NEXT) | instid1(VALU_DEP_1)
	v_cndmask_b32_e64 v2, v2, 0xffffff82, vcc_lo
	v_add3_u32 v11, v63, v2, v9
	v_and_b32_e32 v2, 0x1fffff, v10
                                        ; implicit-def: $vgpr10
	s_delay_alu instid0(VALU_DEP_1) | instskip(NEXT) | instid1(VALU_DEP_1)
	v_dual_add_nc_u32 v47, 14, v11 :: v_dual_add_nc_u32 v2, v2, v8
                                        ; implicit-def: $vgpr8_vgpr9
	v_cmpx_ne_u32_e32 0, v47
	s_xor_b32 s14, exec_lo, s14
; %bb.9100:                             ;   in Loop: Header=BB2_8074 Depth=3
	s_delay_alu instid0(VALU_DEP_2) | instskip(SKIP_1) | instid1(VALU_DEP_1)
	v_cmp_lt_u64_e32 vcc_lo, 0xffffff, v[2:3]
	v_add_nc_u32_e32 v8, 15, v11
	v_cndmask_b32_e32 v10, v47, v8, vcc_lo
	v_cndmask_b32_e64 v8, 0, 1, vcc_lo
	s_delay_alu instid0(VALU_DEP_1)
	v_lshrrev_b64 v[8:9], v8, v[2:3]
; %bb.9101:                             ;   in Loop: Header=BB2_8074 Depth=3
	s_and_not1_saveexec_b32 s14, s14
; %bb.9102:                             ;   in Loop: Header=BB2_8074 Depth=3
	v_mov_b64_e32 v[8:9], v[2:3]
	v_bfe_u32 v10, v2, 23, 1
; %bb.9103:                             ;   in Loop: Header=BB2_8074 Depth=3
	s_or_b32 exec_lo, exec_lo, s14
	s_delay_alu instid0(VALU_DEP_2) | instskip(NEXT) | instid1(VALU_DEP_2)
	v_lshrrev_b64 v[8:9], 21, v[8:9]
	v_cmp_gt_i32_e32 vcc_lo, 32, v10
	v_min_i32_e32 v2, 31, v10
	v_cmp_eq_u32_e64 s14, 0, v10
	s_delay_alu instid0(VALU_DEP_2) | instskip(SKIP_1) | instid1(VALU_DEP_2)
	v_dual_cndmask_b32 v9, 0, v9 :: v_dual_lshlrev_b32 v2, 2, v2
	v_cndmask_b32_e32 v8, 3, v8, vcc_lo
	v_and_b32_e32 v2, 0xfc, v2
	s_delay_alu instid0(VALU_DEP_2) | instskip(NEXT) | instid1(VALU_DEP_2)
	v_cmp_eq_u64_e32 vcc_lo, 0, v[8:9]
	v_and_or_b32 v2, v8, 3, v2
	s_and_b32 s14, s14, vcc_lo
	s_delay_alu instid0(VALU_DEP_1) | instid1(SALU_CYCLE_1)
	v_cndmask_b32_e64 v2, v2, 0, s14
	s_delay_alu instid0(VALU_DEP_1)
	v_or_b32_e32 v8, v2, v45
.LBB2_9104:                             ;   in Loop: Header=BB2_8074 Depth=3
	s_or_b32 exec_lo, exec_lo, s76
                                        ; implicit-def: $vgpr45
.LBB2_9105:                             ;   in Loop: Header=BB2_8074 Depth=3
	s_and_not1_saveexec_b32 s14, s75
; %bb.9106:                             ;   in Loop: Header=BB2_8074 Depth=3
	v_or_b32_e32 v8, 0x7b, v45
; %bb.9107:                             ;   in Loop: Header=BB2_8074 Depth=3
	s_or_b32 exec_lo, exec_lo, s14
                                        ; implicit-def: $vgpr9
                                        ; implicit-def: $vgpr10
.LBB2_9108:                             ;   in Loop: Header=BB2_8074 Depth=3
	s_and_not1_saveexec_b32 s14, s74
	s_cbranch_execz .LBB2_8073
; %bb.9109:                             ;   in Loop: Header=BB2_8074 Depth=3
	s_mov_b32 s74, exec_lo
                                        ; implicit-def: $vgpr8
	v_cmpx_ne_u64_e32 0, v[2:3]
	s_xor_b32 s74, exec_lo, s74
; %bb.9110:                             ;   in Loop: Header=BB2_8074 Depth=3
	v_or_b32_e32 v8, 0x7f, v10
                                        ; implicit-def: $vgpr9
; %bb.9111:                             ;   in Loop: Header=BB2_8074 Depth=3
	s_and_not1_saveexec_b32 s74, s74
	s_cbranch_execz .LBB2_8072
; %bb.9112:                             ;   in Loop: Header=BB2_8074 Depth=3
	v_cmp_lt_i32_e32 vcc_lo, -1, v9
	v_cndmask_b32_e32 v8, 0xfc, v120, vcc_lo
	s_branch .LBB2_8072
.LBB2_9113:                             ;   in Loop: Header=BB2_8074 Depth=3
	s_or_saveexec_b32 s14, s14
	v_bfrev_b32_e32 v16, 1
	s_xor_b32 exec_lo, exec_lo, s14
	s_cbranch_execz .LBB2_8576
.LBB2_9114:                             ;   in Loop: Header=BB2_8074 Depth=3
	v_cmp_ne_u16_e32 vcc_lo, 0, v45
	v_mov_b32_e32 v16, 0
	s_and_not1_b32 s74, s74, exec_lo
	s_and_b32 s75, vcc_lo, exec_lo
	s_delay_alu instid0(SALU_CYCLE_1)
	s_or_b32 s74, s74, s75
	s_or_b32 exec_lo, exec_lo, s14
	s_and_saveexec_b32 s14, s74
	s_cbranch_execnz .LBB2_8577
	s_branch .LBB2_8578
.LBB2_9115:                             ;   in Loop: Header=BB2_8074 Depth=3
	s_or_saveexec_b32 s14, s14
	v_bfrev_b32_e32 v30, 1
	s_xor_b32 exec_lo, exec_lo, s14
	s_cbranch_execz .LBB2_8612
.LBB2_9116:                             ;   in Loop: Header=BB2_8074 Depth=3
	v_cmp_ne_u16_e32 vcc_lo, 0, v44
	v_mov_b32_e32 v30, 0
	s_and_not1_b32 s74, s74, exec_lo
	s_and_b32 s75, vcc_lo, exec_lo
	s_delay_alu instid0(SALU_CYCLE_1)
	s_or_b32 s74, s74, s75
	s_or_b32 exec_lo, exec_lo, s14
	s_and_saveexec_b32 s14, s74
	s_cbranch_execnz .LBB2_8613
	s_branch .LBB2_8614
.LBB2_9117:                             ;   in Loop: Header=BB2_8074 Depth=3
	s_or_saveexec_b32 s14, s14
	v_bfrev_b32_e32 v45, 1
	s_xor_b32 exec_lo, exec_lo, s14
	s_cbranch_execz .LBB2_8648
.LBB2_9118:                             ;   in Loop: Header=BB2_8074 Depth=3
	v_cmp_ne_u16_e32 vcc_lo, 0, v46
	v_mov_b32_e32 v45, 0
	s_and_not1_b32 s74, s74, exec_lo
	s_and_b32 s75, vcc_lo, exec_lo
	s_delay_alu instid0(SALU_CYCLE_1)
	s_or_b32 s74, s74, s75
	s_or_b32 exec_lo, exec_lo, s14
	s_and_saveexec_b32 s14, s74
	s_cbranch_execnz .LBB2_8649
	s_branch .LBB2_8650
.LBB2_9119:                             ;   in Loop: Header=BB2_8074 Depth=3
	s_or_saveexec_b32 s14, s14
	v_bfrev_b32_e32 v47, 1
	s_xor_b32 exec_lo, exec_lo, s14
	s_cbranch_execz .LBB2_8714
.LBB2_9120:                             ;   in Loop: Header=BB2_8074 Depth=3
	v_cmp_ne_u16_e32 vcc_lo, 0, v45
	v_mov_b32_e32 v47, 0
	s_and_not1_b32 s74, s74, exec_lo
	s_and_b32 s75, vcc_lo, exec_lo
	s_delay_alu instid0(SALU_CYCLE_1)
	s_or_b32 s74, s74, s75
	s_or_b32 exec_lo, exec_lo, s14
	v_mov_b32_e32 v45, v3
	s_and_saveexec_b32 s14, s74
	s_cbranch_execnz .LBB2_8715
	s_branch .LBB2_8716
.LBB2_9121:                             ;   in Loop: Header=BB2_8074 Depth=3
	s_or_saveexec_b32 s14, s14
	v_bfrev_b32_e32 v30, 1
	s_xor_b32 exec_lo, exec_lo, s14
	s_cbranch_execz .LBB2_8750
.LBB2_9122:                             ;   in Loop: Header=BB2_8074 Depth=3
	v_cmp_ne_u16_e32 vcc_lo, 0, v46
	v_mov_b32_e32 v30, 0
	s_and_not1_b32 s74, s74, exec_lo
	s_and_b32 s75, vcc_lo, exec_lo
	s_delay_alu instid0(SALU_CYCLE_1)
	s_or_b32 s74, s74, s75
	s_or_b32 exec_lo, exec_lo, s14
	s_and_saveexec_b32 s14, s74
	s_cbranch_execnz .LBB2_8751
	s_branch .LBB2_8752
.LBB2_9123:                             ;   in Loop: Header=BB2_8074 Depth=3
	s_or_saveexec_b32 s14, s14
	v_bfrev_b32_e32 v45, 1
	s_xor_b32 exec_lo, exec_lo, s14
	s_cbranch_execz .LBB2_8786
.LBB2_9124:                             ;   in Loop: Header=BB2_8074 Depth=3
	v_cmp_ne_u16_e32 vcc_lo, 0, v46
	v_mov_b32_e32 v45, 0
	s_and_not1_b32 s74, s74, exec_lo
	s_and_b32 s75, vcc_lo, exec_lo
	s_delay_alu instid0(SALU_CYCLE_1)
	s_or_b32 s74, s74, s75
	s_or_b32 exec_lo, exec_lo, s14
	s_and_saveexec_b32 s14, s74
	s_cbranch_execnz .LBB2_8787
	s_branch .LBB2_8788
.LBB2_9125:                             ;   in Loop: Header=BB2_8074 Depth=3
	s_or_saveexec_b32 s14, s14
	v_bfrev_b32_e32 v9, 1
	s_xor_b32 exec_lo, exec_lo, s14
	s_cbranch_execz .LBB2_8852
.LBB2_9126:                             ;   in Loop: Header=BB2_8074 Depth=3
	v_cmp_ne_u16_e32 vcc_lo, 0, v44
	v_mov_b32_e32 v9, 0
	s_and_not1_b32 s74, s74, exec_lo
	s_and_b32 s75, vcc_lo, exec_lo
	s_delay_alu instid0(SALU_CYCLE_1)
	s_or_b32 s74, s74, s75
	s_or_b32 exec_lo, exec_lo, s14
	s_and_saveexec_b32 s14, s74
	s_cbranch_execnz .LBB2_8853
	s_branch .LBB2_8854
.LBB2_9127:                             ;   in Loop: Header=BB2_8074 Depth=3
	s_or_saveexec_b32 s14, s14
	v_bfrev_b32_e32 v9, 1
	s_xor_b32 exec_lo, exec_lo, s14
	s_cbranch_execz .LBB2_8888
.LBB2_9128:                             ;   in Loop: Header=BB2_8074 Depth=3
	v_cmp_ne_u16_e32 vcc_lo, 0, v8
	v_mov_b32_e32 v9, 0
	s_and_not1_b32 s74, s74, exec_lo
	s_and_b32 s75, vcc_lo, exec_lo
	s_delay_alu instid0(SALU_CYCLE_1)
	s_or_b32 s74, s74, s75
	s_or_b32 exec_lo, exec_lo, s14
	s_and_saveexec_b32 s14, s74
	s_cbranch_execnz .LBB2_8889
	s_branch .LBB2_8890
.LBB2_9129:                             ;   in Loop: Header=BB2_8074 Depth=3
	s_or_saveexec_b32 s14, s14
	v_bfrev_b32_e32 v44, 1
	s_xor_b32 exec_lo, exec_lo, s14
	s_cbranch_execz .LBB2_8924
.LBB2_9130:                             ;   in Loop: Header=BB2_8074 Depth=3
	v_cmp_ne_u16_e32 vcc_lo, 0, v45
	v_mov_b32_e32 v44, 0
	s_and_not1_b32 s74, s74, exec_lo
	s_and_b32 s75, vcc_lo, exec_lo
	s_delay_alu instid0(SALU_CYCLE_1)
	s_or_b32 s74, s74, s75
	s_or_b32 exec_lo, exec_lo, s14
	s_and_saveexec_b32 s14, s74
	s_cbranch_execnz .LBB2_8925
	s_branch .LBB2_8926
.LBB2_9131:                             ;   in Loop: Header=BB2_8074 Depth=3
	s_or_saveexec_b32 s14, s14
	v_bfrev_b32_e32 v17, 1
	s_xor_b32 exec_lo, exec_lo, s14
	s_cbranch_execz .LBB2_8990
.LBB2_9132:                             ;   in Loop: Header=BB2_8074 Depth=3
	v_cmp_ne_u16_e32 vcc_lo, 0, v9
	v_mov_b32_e32 v17, 0
	s_and_not1_b32 s74, s74, exec_lo
	s_and_b32 s75, vcc_lo, exec_lo
	s_delay_alu instid0(SALU_CYCLE_1)
	s_or_b32 s74, s74, s75
	s_or_b32 exec_lo, exec_lo, s14
	v_mov_b32_e32 v9, v3
	s_and_saveexec_b32 s14, s74
	s_cbranch_execnz .LBB2_8991
	s_branch .LBB2_8992
.LBB2_9133:                             ;   in Loop: Header=BB2_8074 Depth=3
	s_or_saveexec_b32 s14, s14
	v_bfrev_b32_e32 v45, 1
	s_xor_b32 exec_lo, exec_lo, s14
	s_cbranch_execz .LBB2_9026
.LBB2_9134:                             ;   in Loop: Header=BB2_8074 Depth=3
	v_cmp_ne_u16_e32 vcc_lo, 0, v44
	v_mov_b32_e32 v45, 0
	s_and_not1_b32 s74, s74, exec_lo
	s_and_b32 s75, vcc_lo, exec_lo
	s_delay_alu instid0(SALU_CYCLE_1)
	s_or_b32 s74, s74, s75
	s_or_b32 exec_lo, exec_lo, s14
	s_and_saveexec_b32 s14, s74
	s_cbranch_execnz .LBB2_9027
	s_branch .LBB2_9028
.LBB2_9135:                             ;   in Loop: Header=BB2_8074 Depth=3
	s_or_saveexec_b32 s14, s14
	v_bfrev_b32_e32 v44, 1
	s_xor_b32 exec_lo, exec_lo, s14
	s_cbranch_execz .LBB2_9062
.LBB2_9136:                             ;   in Loop: Header=BB2_8074 Depth=3
	v_cmp_ne_u16_e32 vcc_lo, 0, v45
	v_mov_b32_e32 v44, 0
	s_and_not1_b32 s74, s74, exec_lo
	s_and_b32 s75, vcc_lo, exec_lo
	s_delay_alu instid0(SALU_CYCLE_1)
	s_or_b32 s74, s74, s75
	s_or_b32 exec_lo, exec_lo, s14
	s_and_saveexec_b32 s14, s74
	s_cbranch_execnz .LBB2_9063
	s_branch .LBB2_9064
.LBB2_9137:                             ;   in Loop: Header=BB2_5115 Depth=2
	s_or_b32 exec_lo, exec_lo, s42
.LBB2_9138:                             ;   in Loop: Header=BB2_5115 Depth=2
	s_delay_alu instid0(SALU_CYCLE_1) | instskip(SKIP_3) | instid1(VALU_DEP_1)
	s_or_b32 exec_lo, exec_lo, s15
	v_dual_mov_b32 v30, 0 :: v_dual_bitop2_b32 v2, 15, v101 bitop3:0x40
	s_mov_b32 s14, 0
	s_mov_b32 s15, exec_lo
                                        ; implicit-def: $vgpr92
                                        ; implicit-def: $vgpr93
	v_cndmask_b32_e64 v103, v61, v2, s13
	s_delay_alu instid0(VALU_DEP_1)
	v_cmpx_ne_u32_e32 0, v103
	s_cbranch_execz .LBB2_10208
; %bb.9139:                             ;   in Loop: Header=BB2_5115 Depth=2
	v_cmp_lt_i32_e32 vcc_lo, 0, v59
	v_ashrrev_i32_e32 v10, 31, v103
	s_mov_b32 s42, exec_lo
	s_delay_alu instid0(VALU_DEP_1) | instskip(NEXT) | instid1(VALU_DEP_1)
	v_dual_cndmask_b32 v8, 0, v32, vcc_lo :: v_dual_lshrrev_b32 v10, 23, v10
	v_dual_sub_nc_u32 v8, v8, v59 :: v_dual_add_nc_u32 v10, v103, v10
	s_delay_alu instid0(VALU_DEP_1) | instskip(NEXT) | instid1(VALU_DEP_2)
	v_lshl_or_b32 v8, v8, 5, v108
	v_and_b32_e32 v60, 0xfffffe00, v10
	s_delay_alu instid0(VALU_DEP_2) | instskip(NEXT) | instid1(VALU_DEP_1)
	v_dual_ashrrev_i32 v10, 9, v10 :: v_dual_ashrrev_i32 v9, 31, v8
	v_lshrrev_b32_e32 v9, 27, v9
	s_delay_alu instid0(VALU_DEP_1) | instskip(NEXT) | instid1(VALU_DEP_1)
	v_add_nc_u32_e32 v9, v8, v9
	v_and_b32_e32 v11, 0xffffffe0, v9
	s_delay_alu instid0(VALU_DEP_1) | instskip(SKIP_1) | instid1(VALU_DEP_2)
	v_dual_sub_nc_u32 v59, v8, v11 :: v_dual_ashrrev_i32 v8, 5, v9
	v_dual_sub_nc_u32 v11, v61, v2 :: v_dual_sub_nc_u32 v61, v103, v60
	v_lshlrev_b32_e32 v9, 4, v59
	s_delay_alu instid0(VALU_DEP_1) | instskip(NEXT) | instid1(VALU_DEP_3)
	v_lshl_add_u32 v2, v8, 9, v9
	v_cndmask_b32_e64 v9, 0, v11, s13
	s_delay_alu instid0(VALU_DEP_4) | instskip(NEXT) | instid1(VALU_DEP_3)
	v_cmp_lt_i32_e64 s13, 15, v61
	v_sub_nc_u32_e32 v63, v103, v2
	s_delay_alu instid0(VALU_DEP_2) | instskip(NEXT) | instid1(VALU_DEP_1)
	v_add_co_ci_u32_e64 v10, null, 0, v10, s13
	v_dual_add_nc_u32 v58, v9, v58 :: v_dual_sub_nc_u32 v62, v10, v8
	s_delay_alu instid0(VALU_DEP_3)
	v_cmpx_lt_i32_e32 15, v63
	s_cbranch_execz .LBB2_10207
; %bb.9140:                             ;   in Loop: Header=BB2_5115 Depth=2
	s_trap 2
	ds_load_b64 v[8:9], v0
	v_add_nc_u32_e32 v10, v2, v58
	s_delay_alu instid0(VALU_DEP_1) | instskip(NEXT) | instid1(VALU_DEP_1)
	v_ashrrev_i32_e32 v11, 31, v10
	v_add_nc_u64_e32 v[118:119], v[10:11], v[114:115]
	v_add_nc_u64_e32 v[40:41], v[10:11], v[116:117]
	s_wait_dscnt 0x0
	v_readfirstlane_b32 s74, v8
	v_readfirstlane_b32 s75, v9
	v_add_nc_u64_e32 v[42:43], v[8:9], v[10:11]
	s_and_b32 s43, s74, 3
	s_bfe_i32 s14, s74, 0x80000
	s_clz_i32_u32 s77, s43
	s_bfe_u32 s73, s74, 0x50002
	s_min_u32 s77, s77, 32
	s_and_b32 s76, s74, 0x7c
	s_sub_co_i32 s88, s77, 29
	s_lshl_b32 s78, s74, 24
	s_sext_i32_i8 s79, s74
	s_lshl_b64 s[74:75], s[74:75], s88
	s_and_b32 s78, s78, 0x80000000
	s_sub_co_i32 s75, 30, s77
	s_and_b32 s74, s74, 3
	s_cmp_gt_i32 s79, -1
	s_cselect_b32 s77, s47, 0xff800000
	s_cmp_eq_u32 s43, 0
	s_cselect_b32 s77, s77, 0x7f800001
	s_cmp_eq_u32 s73, 0
	s_cselect_b32 s73, s75, s73
	s_cselect_b32 s43, s74, s43
	s_lshl_b32 s73, s73, 23
	s_lshl_b32 s43, s43, 21
	s_add_co_i32 s73, s73, s78
	s_delay_alu instid0(SALU_CYCLE_1) | instskip(NEXT) | instid1(SALU_CYCLE_1)
	s_or_b32 s43, s73, s43
	s_add_co_i32 s73, s43, 0x38000000
	s_cmp_eq_u32 s76, 0x7c
	s_mov_b32 s43, 0
	s_cselect_b32 s73, s77, s73
	s_and_b32 s74, s14, 0xff
	s_branch .LBB2_9143
.LBB2_9141:                             ;   in Loop: Header=BB2_9143 Depth=3
	s_or_b32 exec_lo, exec_lo, s75
.LBB2_9142:                             ;   in Loop: Header=BB2_9143 Depth=3
	s_delay_alu instid0(SALU_CYCLE_1)
	s_or_b32 exec_lo, exec_lo, s14
	v_lshl_or_b32 v2, v57, 8, v56
	v_lshlrev_b32_e32 v9, 16, v90
	v_dual_lshlrev_b32 v10, 24, v30 :: v_dual_lshlrev_b32 v30, 16, v88
	v_lshl_or_b32 v11, v72, 8, v16
	v_dual_lshlrev_b32 v16, 16, v75 :: v_dual_lshlrev_b32 v18, 24, v78
	v_lshlrev_b32_e32 v45, 24, v89
	v_lshl_or_b32 v19, v77, 8, v73
	v_lshlrev_b32_e32 v47, 24, v8
	v_lshlrev_b32_e32 v44, 16, v44
	v_lshl_or_b32 v17, v46, 8, v17
	v_or3_b32 v9, v2, v9, v10
	v_or3_b32 v8, v11, v16, v18
	;; [unrolled: 1-line block ×3, first 2 shown]
	v_sub_nc_u32_e32 v63, v63, v52
	v_or3_b32 v11, v17, v44, v47
	v_add_nc_u64_e32 v[118:119], v[118:119], v[52:53]
	v_add_nc_u64_e32 v[42:43], v[42:43], v[52:53]
	v_sub_nc_u32_e32 v62, v62, v32
	v_cmp_gt_i32_e32 vcc_lo, 16, v63
	global_store_b128 v[40:41], v[8:11], off th:TH_STORE_NT
	s_wait_xcnt 0x0
	v_add_nc_u64_e32 v[40:41], v[40:41], v[52:53]
	s_or_b32 s43, vcc_lo, s43
	s_delay_alu instid0(SALU_CYCLE_1)
	s_and_not1_b32 exec_lo, exec_lo, s43
	s_cbranch_execz .LBB2_10206
.LBB2_9143:                             ;   Parent Loop BB2_47 Depth=1
                                        ;     Parent Loop BB2_5115 Depth=2
                                        ; =>    This Inner Loop Header: Depth=3
	s_cmp_lt_i32 s74, 0x80
	s_cbranch_scc1 .LBB2_9147
; %bb.9144:                             ;   in Loop: Header=BB2_9143 Depth=3
	s_and_b32 s14, 0xffff, s74
	s_delay_alu instid0(SALU_CYCLE_1)
	s_cmp_eq_u32 s14, 0x80
	s_mov_b32 s14, -1
	s_cbranch_scc0 .LBB2_9146
; %bb.9145:                             ;   in Loop: Header=BB2_9143 Depth=3
	s_mov_b32 s14, 0
.LBB2_9146:                             ;   in Loop: Header=BB2_9143 Depth=3
	s_brev_b32 s75, 1
	s_branch .LBB2_9149
.LBB2_9147:                             ;   in Loop: Header=BB2_9143 Depth=3
	s_mov_b32 s14, 0
	s_brev_b32 s75, 1
	s_cbranch_execz .LBB2_9149
; %bb.9148:                             ;   in Loop: Header=BB2_9143 Depth=3
	s_and_b32 s14, 0xffff, s74
	s_mov_b32 s75, 0
	s_cmp_lg_u32 s14, 0
	s_cselect_b32 s14, -1, 0
.LBB2_9149:                             ;   in Loop: Header=BB2_9143 Depth=3
	s_delay_alu instid0(SALU_CYCLE_1)
	s_and_not1_b32 vcc_lo, exec_lo, s14
	s_cbranch_vccnz .LBB2_9151
; %bb.9150:                             ;   in Loop: Header=BB2_9143 Depth=3
	s_mov_b32 s75, s73
.LBB2_9151:                             ;   in Loop: Header=BB2_9143 Depth=3
	global_load_b128 v[8:11], v[118:119], off th:TH_LOAD_NT
	s_wait_loadcnt 0x0
	v_and_b32_e32 v2, 0xff, v8
	s_delay_alu instid0(VALU_DEP_1)
	v_cmp_ne_u16_e32 vcc_lo, 0, v2
	v_mov_b32_e32 v2, 0
	s_wait_xcnt 0x0
	s_and_saveexec_b32 s14, vcc_lo
	s_cbranch_execz .LBB2_9161
; %bb.9152:                             ;   in Loop: Header=BB2_9143 Depth=3
	v_bfe_i32 v17, v8, 0, 8
	v_bfrev_b32_e32 v2, 1
	s_mov_b32 s76, exec_lo
	s_delay_alu instid0(VALU_DEP_2)
	v_cmpx_ne_u16_e32 0xff80, v17
	s_cbranch_execz .LBB2_9160
; %bb.9153:                             ;   in Loop: Header=BB2_9143 Depth=3
	v_and_b32_e32 v2, 0x7c, v8
	v_and_b32_e32 v16, 3, v8
	s_delay_alu instid0(VALU_DEP_2) | instskip(SKIP_1) | instid1(SALU_CYCLE_1)
	v_cmp_ne_u32_e32 vcc_lo, 0x7c, v2
                                        ; implicit-def: $vgpr2
	s_and_saveexec_b32 s77, vcc_lo
	s_xor_b32 s77, exec_lo, s77
	s_cbranch_execz .LBB2_9157
; %bb.9154:                             ;   in Loop: Header=BB2_9143 Depth=3
	v_bfe_u32 v2, v8, 2, 5
	s_mov_b32 s78, exec_lo
	s_delay_alu instid0(VALU_DEP_1)
	v_cmpx_eq_u32_e32 0, v2
; %bb.9155:                             ;   in Loop: Header=BB2_9143 Depth=3
	v_clz_i32_u32_e32 v2, v16
	s_delay_alu instid0(VALU_DEP_1) | instskip(NEXT) | instid1(VALU_DEP_1)
	v_min_u32_e32 v2, 32, v2
	v_subrev_nc_u32_e32 v16, 29, v2
	s_delay_alu instid0(VALU_DEP_1) | instskip(NEXT) | instid1(VALU_DEP_1)
	v_lshlrev_b64_e32 v[16:17], v16, v[8:9]
	v_dual_sub_nc_u32 v2, 30, v2 :: v_dual_bitop2_b32 v16, 3, v16 bitop3:0x40
; %bb.9156:                             ;   in Loop: Header=BB2_9143 Depth=3
	s_or_b32 exec_lo, exec_lo, s78
	v_lshlrev_b32_e32 v17, 24, v8
	s_delay_alu instid0(VALU_DEP_1) | instskip(NEXT) | instid1(VALU_DEP_1)
	v_and_b32_e32 v17, 0x80000000, v17
	v_lshl_add_u32 v2, v2, 23, v17
                                        ; implicit-def: $vgpr17
	s_delay_alu instid0(VALU_DEP_1) | instskip(NEXT) | instid1(VALU_DEP_1)
	v_lshl_or_b32 v2, v16, 21, v2
                                        ; implicit-def: $vgpr16
	v_add_nc_u32_e32 v2, 0x38000000, v2
.LBB2_9157:                             ;   in Loop: Header=BB2_9143 Depth=3
	s_and_not1_saveexec_b32 s77, s77
; %bb.9158:                             ;   in Loop: Header=BB2_9143 Depth=3
	v_cmp_lt_i16_e32 vcc_lo, -1, v17
	v_cndmask_b32_e32 v2, 0xff800000, v111, vcc_lo
	v_cmp_eq_u32_e32 vcc_lo, 0, v16
	s_delay_alu instid0(VALU_DEP_2)
	v_cndmask_b32_e32 v2, 0x7f800001, v2, vcc_lo
; %bb.9159:                             ;   in Loop: Header=BB2_9143 Depth=3
	s_or_b32 exec_lo, exec_lo, s77
.LBB2_9160:                             ;   in Loop: Header=BB2_9143 Depth=3
	s_delay_alu instid0(SALU_CYCLE_1)
	s_or_b32 exec_lo, exec_lo, s76
.LBB2_9161:                             ;   in Loop: Header=BB2_9143 Depth=3
	s_delay_alu instid0(SALU_CYCLE_1) | instskip(NEXT) | instid1(VALU_DEP_1)
	s_or_b32 exec_lo, exec_lo, s14
	v_dual_mul_f32 v30, s75, v2 :: v_dual_mov_b32 v17, v3
	s_delay_alu instid0(VALU_DEP_1) | instskip(SKIP_1) | instid1(VALU_DEP_2)
	v_and_b32_e32 v16, 0x7f800000, v30
	v_and_b32_e32 v2, 0x7fffff, v30
	v_cmp_ne_u64_e32 vcc_lo, 0x7f800000, v[16:17]
	v_lshrrev_b32_e32 v17, 24, v30
                                        ; implicit-def: $vgpr16
	s_and_saveexec_b32 s14, vcc_lo
	s_delay_alu instid0(SALU_CYCLE_1)
	s_xor_b32 s76, exec_lo, s14
	s_cbranch_execz .LBB2_9175
; %bb.9162:                             ;   in Loop: Header=BB2_9143 Depth=3
	v_and_b32_e32 v18, 0x7fffffff, v30
	v_mov_b32_e32 v19, v3
	v_and_b32_e32 v17, 0x80, v17
                                        ; implicit-def: $vgpr16
	s_mov_b32 s14, exec_lo
	s_delay_alu instid0(VALU_DEP_2)
	v_cmpx_gt_u64_e32 0x47600001, v[18:19]
	s_xor_b32 s77, exec_lo, s14
	s_cbranch_execz .LBB2_9172
; %bb.9163:                             ;   in Loop: Header=BB2_9143 Depth=3
	v_mov_b32_e32 v16, 0
	s_mov_b32 s78, exec_lo
	v_cmpx_ne_u32_e32 0, v30
	s_cbranch_execz .LBB2_9171
; %bb.9164:                             ;   in Loop: Header=BB2_9143 Depth=3
	v_bfe_u32 v16, v30, 23, 8
	v_or_b32_e32 v44, 0x800000, v2
	s_delay_alu instid0(VALU_DEP_2) | instskip(SKIP_1) | instid1(VALU_DEP_2)
	v_dual_mov_b32 v45, v3 :: v_dual_sub_nc_u32 v18, 0x71, v16
	v_cmp_gt_u32_e32 vcc_lo, 0x72, v16
	v_cndmask_b32_e32 v18, 0, v18, vcc_lo
	v_cmp_eq_u32_e32 vcc_lo, 0, v16
	s_delay_alu instid0(VALU_DEP_2) | instskip(SKIP_1) | instid1(VALU_DEP_2)
	v_cndmask_b32_e64 v30, v18, 0x70, vcc_lo
	v_cndmask_b32_e32 v44, v44, v2, vcc_lo
	v_dual_add_nc_u32 v18, 21, v30 :: v_dual_add_nc_u32 v46, 20, v30
	s_delay_alu instid0(VALU_DEP_1) | instskip(NEXT) | instid1(VALU_DEP_2)
	v_lshlrev_b64_e64 v[18:19], v18, -1
	v_lshlrev_b64_e64 v[46:47], v46, 1
	s_delay_alu instid0(VALU_DEP_2) | instskip(SKIP_1) | instid1(VALU_DEP_4)
	v_bfi_b32 v18, v18, 0, v44
	v_lshrrev_b64 v[44:45], v30, v[44:45]
	v_bfi_b32 v19, v19, 0, 0
	s_delay_alu instid0(VALU_DEP_1) | instskip(NEXT) | instid1(VALU_DEP_3)
	v_cmp_eq_u64_e64 s14, v[18:19], v[46:47]
	v_mov_b64_e32 v[46:47], v[44:45]
	s_and_saveexec_b32 s79, s14
; %bb.9165:                             ;   in Loop: Header=BB2_9143 Depth=3
	v_bfe_u32 v18, v44, 21, 1
	v_mov_b32_e32 v19, v3
	s_delay_alu instid0(VALU_DEP_1) | instskip(NEXT) | instid1(VALU_DEP_1)
	v_add_nc_u64_e32 v[18:19], v[44:45], v[18:19]
	v_add_nc_u64_e32 v[46:47], -1, v[18:19]
; %bb.9166:                             ;   in Loop: Header=BB2_9143 Depth=3
	s_or_b32 exec_lo, exec_lo, s79
	v_add_nc_u32_e32 v2, 0xffffff81, v16
	v_lshrrev_b32_e32 v16, 23, v44
	s_mov_b32 s14, exec_lo
	s_delay_alu instid0(VALU_DEP_2) | instskip(NEXT) | instid1(VALU_DEP_1)
	v_cndmask_b32_e64 v2, v2, 0xffffff82, vcc_lo
	v_add3_u32 v30, v30, v2, v16
	v_and_b32_e32 v2, 0x1fffff, v46
                                        ; implicit-def: $vgpr16
	s_delay_alu instid0(VALU_DEP_1) | instskip(NEXT) | instid1(VALU_DEP_1)
	v_dual_add_nc_u32 v46, 14, v30 :: v_dual_add_nc_u32 v2, v2, v44
                                        ; implicit-def: $vgpr44_vgpr45
	v_cmpx_ne_u32_e32 0, v46
	s_xor_b32 s14, exec_lo, s14
; %bb.9167:                             ;   in Loop: Header=BB2_9143 Depth=3
	s_delay_alu instid0(VALU_DEP_2) | instskip(SKIP_2) | instid1(VALU_DEP_2)
	v_cmp_lt_u64_e32 vcc_lo, 0xffffff, v[2:3]
	v_add_nc_u32_e32 v16, 15, v30
	v_cndmask_b32_e64 v18, 0, 1, vcc_lo
	v_cndmask_b32_e32 v16, v46, v16, vcc_lo
	s_delay_alu instid0(VALU_DEP_2)
	v_lshrrev_b64 v[44:45], v18, v[2:3]
; %bb.9168:                             ;   in Loop: Header=BB2_9143 Depth=3
	s_and_not1_saveexec_b32 s14, s14
; %bb.9169:                             ;   in Loop: Header=BB2_9143 Depth=3
	v_mov_b64_e32 v[44:45], v[2:3]
	v_bfe_u32 v16, v2, 23, 1
; %bb.9170:                             ;   in Loop: Header=BB2_9143 Depth=3
	s_or_b32 exec_lo, exec_lo, s14
	s_delay_alu instid0(VALU_DEP_2) | instskip(NEXT) | instid1(VALU_DEP_2)
	v_lshrrev_b64 v[18:19], 21, v[44:45]
	v_cmp_gt_i32_e32 vcc_lo, 32, v16
	v_min_i32_e32 v2, 31, v16
	v_cmp_eq_u32_e64 s14, 0, v16
	s_delay_alu instid0(VALU_DEP_2) | instskip(SKIP_1) | instid1(VALU_DEP_2)
	v_dual_cndmask_b32 v19, 0, v19 :: v_dual_lshlrev_b32 v2, 2, v2
	v_cndmask_b32_e32 v18, 3, v18, vcc_lo
	v_and_b32_e32 v2, 0xfc, v2
	s_delay_alu instid0(VALU_DEP_2) | instskip(NEXT) | instid1(VALU_DEP_2)
	v_cmp_eq_u64_e32 vcc_lo, 0, v[18:19]
	v_and_or_b32 v2, v18, 3, v2
	s_and_b32 s14, s14, vcc_lo
	s_delay_alu instid0(VALU_DEP_1) | instid1(SALU_CYCLE_1)
	v_cndmask_b32_e64 v2, v2, 0, s14
	s_delay_alu instid0(VALU_DEP_1)
	v_or_b32_e32 v16, v2, v17
.LBB2_9171:                             ;   in Loop: Header=BB2_9143 Depth=3
	s_or_b32 exec_lo, exec_lo, s78
                                        ; implicit-def: $vgpr17
.LBB2_9172:                             ;   in Loop: Header=BB2_9143 Depth=3
	s_and_not1_saveexec_b32 s14, s77
; %bb.9173:                             ;   in Loop: Header=BB2_9143 Depth=3
	v_or_b32_e32 v16, 0x7b, v17
; %bb.9174:                             ;   in Loop: Header=BB2_9143 Depth=3
	s_or_b32 exec_lo, exec_lo, s14
                                        ; implicit-def: $vgpr30
                                        ; implicit-def: $vgpr17
.LBB2_9175:                             ;   in Loop: Header=BB2_9143 Depth=3
	s_and_not1_saveexec_b32 s14, s76
	s_cbranch_execz .LBB2_9181
; %bb.9176:                             ;   in Loop: Header=BB2_9143 Depth=3
	s_mov_b32 s76, exec_lo
                                        ; implicit-def: $vgpr16
	v_cmpx_ne_u64_e32 0, v[2:3]
	s_xor_b32 s76, exec_lo, s76
; %bb.9177:                             ;   in Loop: Header=BB2_9143 Depth=3
	v_or_b32_e32 v16, 0x7f, v17
                                        ; implicit-def: $vgpr30
; %bb.9178:                             ;   in Loop: Header=BB2_9143 Depth=3
	s_and_not1_saveexec_b32 s76, s76
; %bb.9179:                             ;   in Loop: Header=BB2_9143 Depth=3
	v_cmp_lt_i32_e32 vcc_lo, -1, v30
	v_cndmask_b32_e32 v16, 0xfc, v120, vcc_lo
; %bb.9180:                             ;   in Loop: Header=BB2_9143 Depth=3
	s_or_b32 exec_lo, exec_lo, s76
.LBB2_9181:                             ;   in Loop: Header=BB2_9143 Depth=3
	s_delay_alu instid0(SALU_CYCLE_1) | instskip(SKIP_3) | instid1(VALU_DEP_2)
	s_or_b32 exec_lo, exec_lo, s14
	v_lshrrev_b16 v44, 8, v8
	v_mov_b32_e32 v17, 0
	s_mov_b32 s14, exec_lo
	v_cmpx_ne_u16_e32 0, v44
	s_cbranch_execz .LBB2_9191
; %bb.9182:                             ;   in Loop: Header=BB2_9143 Depth=3
	v_bfrev_b32_e32 v17, 1
	s_mov_b32 s76, exec_lo
	v_cmpx_ne_u16_e32 0x80, v44
	s_cbranch_execz .LBB2_9190
; %bb.9183:                             ;   in Loop: Header=BB2_9143 Depth=3
	v_and_b32_e32 v30, 0xffff, v44
	s_delay_alu instid0(VALU_DEP_1) | instskip(SKIP_1) | instid1(VALU_DEP_2)
	v_and_b32_e32 v17, 0x7c, v30
	v_and_b32_e32 v2, 3, v30
	v_cmp_ne_u32_e32 vcc_lo, 0x7c, v17
                                        ; implicit-def: $vgpr17
	s_and_saveexec_b32 s77, vcc_lo
	s_delay_alu instid0(SALU_CYCLE_1)
	s_xor_b32 s77, exec_lo, s77
	s_cbranch_execz .LBB2_9187
; %bb.9184:                             ;   in Loop: Header=BB2_9143 Depth=3
	v_bfe_u32 v17, v30, 2, 5
	s_mov_b32 s78, exec_lo
	s_delay_alu instid0(VALU_DEP_1)
	v_cmpx_eq_u32_e32 0, v17
	s_cbranch_execz .LBB2_9186
; %bb.9185:                             ;   in Loop: Header=BB2_9143 Depth=3
	v_clz_i32_u32_e32 v2, v2
	s_delay_alu instid0(VALU_DEP_1) | instskip(SKIP_1) | instid1(VALU_DEP_2)
	v_min_u32_e32 v2, 32, v2
	v_mov_b32_e32 v45, v3
	v_subrev_nc_u32_e32 v17, 29, v2
	s_delay_alu instid0(VALU_DEP_1) | instskip(SKIP_1) | instid1(VALU_DEP_2)
	v_lshlrev_b64_e32 v[18:19], v17, v[44:45]
	v_sub_nc_u32_e32 v17, 30, v2
	v_and_b32_e32 v2, 3, v18
.LBB2_9186:                             ;   in Loop: Header=BB2_9143 Depth=3
	s_or_b32 exec_lo, exec_lo, s78
	v_lshlrev_b32_e32 v18, 16, v8
	s_delay_alu instid0(VALU_DEP_1) | instskip(NEXT) | instid1(VALU_DEP_1)
	v_and_b32_e32 v18, 0x80000000, v18
	v_lshl_add_u32 v17, v17, 23, v18
	s_delay_alu instid0(VALU_DEP_1) | instskip(NEXT) | instid1(VALU_DEP_1)
	v_lshl_or_b32 v2, v2, 21, v17
	v_add_nc_u32_e32 v17, 0x38000000, v2
                                        ; implicit-def: $vgpr2
.LBB2_9187:                             ;   in Loop: Header=BB2_9143 Depth=3
	s_and_not1_saveexec_b32 s77, s77
; %bb.9188:                             ;   in Loop: Header=BB2_9143 Depth=3
	v_cmp_lt_i16_e32 vcc_lo, -1, v8
	v_cndmask_b32_e32 v17, 0xff800000, v111, vcc_lo
	v_cmp_eq_u32_e32 vcc_lo, 0, v2
	s_delay_alu instid0(VALU_DEP_2)
	v_cndmask_b32_e32 v17, 0x7f800001, v17, vcc_lo
; %bb.9189:                             ;   in Loop: Header=BB2_9143 Depth=3
	s_or_b32 exec_lo, exec_lo, s77
.LBB2_9190:                             ;   in Loop: Header=BB2_9143 Depth=3
	s_delay_alu instid0(SALU_CYCLE_1)
	s_or_b32 exec_lo, exec_lo, s76
.LBB2_9191:                             ;   in Loop: Header=BB2_9143 Depth=3
	s_delay_alu instid0(SALU_CYCLE_1) | instskip(NEXT) | instid1(VALU_DEP_1)
	s_or_b32 exec_lo, exec_lo, s14
	v_dual_mul_f32 v44, s75, v17 :: v_dual_mov_b32 v19, v3
                                        ; implicit-def: $vgpr30
	s_mov_b32 s14, exec_lo
	s_delay_alu instid0(VALU_DEP_1) | instskip(SKIP_2) | instid1(VALU_DEP_3)
	v_and_b32_e32 v18, 0x7f800000, v44
	v_and_b32_e32 v2, 0x7fffff, v44
	v_lshrrev_b32_e32 v17, 24, v44
	v_cmpx_ne_u64_e32 0x7f800000, v[18:19]
	s_xor_b32 s76, exec_lo, s14
	s_cbranch_execz .LBB2_9205
; %bb.9192:                             ;   in Loop: Header=BB2_9143 Depth=3
	v_and_b32_e32 v18, 0x7fffffff, v44
	v_mov_b32_e32 v19, v3
	v_and_b32_e32 v17, 0x80, v17
                                        ; implicit-def: $vgpr30
	s_mov_b32 s14, exec_lo
	s_delay_alu instid0(VALU_DEP_2)
	v_cmpx_gt_u64_e32 0x47600001, v[18:19]
	s_xor_b32 s77, exec_lo, s14
	s_cbranch_execz .LBB2_9202
; %bb.9193:                             ;   in Loop: Header=BB2_9143 Depth=3
	v_mov_b32_e32 v30, 0
	s_mov_b32 s78, exec_lo
	v_cmpx_ne_u32_e32 0, v44
	s_cbranch_execz .LBB2_9201
; %bb.9194:                             ;   in Loop: Header=BB2_9143 Depth=3
	v_bfe_u32 v30, v44, 23, 8
	v_or_b32_e32 v44, 0x800000, v2
	s_delay_alu instid0(VALU_DEP_2) | instskip(SKIP_1) | instid1(VALU_DEP_2)
	v_dual_mov_b32 v45, v3 :: v_dual_sub_nc_u32 v18, 0x71, v30
	v_cmp_gt_u32_e32 vcc_lo, 0x72, v30
	v_cndmask_b32_e32 v18, 0, v18, vcc_lo
	v_cmp_eq_u32_e32 vcc_lo, 0, v30
	s_delay_alu instid0(VALU_DEP_2) | instskip(NEXT) | instid1(VALU_DEP_1)
	v_cndmask_b32_e64 v56, v18, 0x70, vcc_lo
	v_dual_cndmask_b32 v44, v44, v2, vcc_lo :: v_dual_add_nc_u32 v18, 21, v56
	v_add_nc_u32_e32 v46, 20, v56
	s_delay_alu instid0(VALU_DEP_2) | instskip(NEXT) | instid1(VALU_DEP_2)
	v_lshlrev_b64_e64 v[18:19], v18, -1
	v_lshlrev_b64_e64 v[46:47], v46, 1
	s_delay_alu instid0(VALU_DEP_2) | instskip(SKIP_1) | instid1(VALU_DEP_4)
	v_bfi_b32 v18, v18, 0, v44
	v_lshrrev_b64 v[44:45], v56, v[44:45]
	v_bfi_b32 v19, v19, 0, 0
	s_delay_alu instid0(VALU_DEP_1) | instskip(NEXT) | instid1(VALU_DEP_3)
	v_cmp_eq_u64_e64 s14, v[18:19], v[46:47]
	v_mov_b64_e32 v[46:47], v[44:45]
	s_and_saveexec_b32 s79, s14
; %bb.9195:                             ;   in Loop: Header=BB2_9143 Depth=3
	v_bfe_u32 v18, v44, 21, 1
	v_mov_b32_e32 v19, v3
	s_delay_alu instid0(VALU_DEP_1) | instskip(NEXT) | instid1(VALU_DEP_1)
	v_add_nc_u64_e32 v[18:19], v[44:45], v[18:19]
	v_add_nc_u64_e32 v[46:47], -1, v[18:19]
; %bb.9196:                             ;   in Loop: Header=BB2_9143 Depth=3
	s_or_b32 exec_lo, exec_lo, s79
	v_add_nc_u32_e32 v2, 0xffffff81, v30
	v_lshrrev_b32_e32 v18, 23, v44
	s_mov_b32 s14, exec_lo
                                        ; implicit-def: $vgpr30
	s_delay_alu instid0(VALU_DEP_2) | instskip(NEXT) | instid1(VALU_DEP_1)
	v_cndmask_b32_e64 v2, v2, 0xffffff82, vcc_lo
	v_add3_u32 v47, v56, v2, v18
	v_and_b32_e32 v2, 0x1fffff, v46
	s_delay_alu instid0(VALU_DEP_1) | instskip(NEXT) | instid1(VALU_DEP_1)
	v_dual_add_nc_u32 v46, 14, v47 :: v_dual_add_nc_u32 v2, v2, v44
                                        ; implicit-def: $vgpr44_vgpr45
	v_cmpx_ne_u32_e32 0, v46
	s_xor_b32 s14, exec_lo, s14
; %bb.9197:                             ;   in Loop: Header=BB2_9143 Depth=3
	s_delay_alu instid0(VALU_DEP_2) | instskip(SKIP_1) | instid1(VALU_DEP_1)
	v_cmp_lt_u64_e32 vcc_lo, 0xffffff, v[2:3]
	v_add_nc_u32_e32 v18, 15, v47
	v_cndmask_b32_e32 v30, v46, v18, vcc_lo
	v_cndmask_b32_e64 v18, 0, 1, vcc_lo
	s_delay_alu instid0(VALU_DEP_1)
	v_lshrrev_b64 v[44:45], v18, v[2:3]
; %bb.9198:                             ;   in Loop: Header=BB2_9143 Depth=3
	s_and_not1_saveexec_b32 s14, s14
; %bb.9199:                             ;   in Loop: Header=BB2_9143 Depth=3
	v_mov_b64_e32 v[44:45], v[2:3]
	v_bfe_u32 v30, v2, 23, 1
; %bb.9200:                             ;   in Loop: Header=BB2_9143 Depth=3
	s_or_b32 exec_lo, exec_lo, s14
	s_delay_alu instid0(VALU_DEP_2) | instskip(NEXT) | instid1(VALU_DEP_2)
	v_lshrrev_b64 v[18:19], 21, v[44:45]
	v_cmp_gt_i32_e32 vcc_lo, 32, v30
	v_min_i32_e32 v2, 31, v30
	v_cmp_eq_u32_e64 s14, 0, v30
	s_delay_alu instid0(VALU_DEP_2) | instskip(SKIP_1) | instid1(VALU_DEP_2)
	v_dual_cndmask_b32 v19, 0, v19 :: v_dual_lshlrev_b32 v2, 2, v2
	v_cndmask_b32_e32 v18, 3, v18, vcc_lo
	v_and_b32_e32 v2, 0xfc, v2
	s_delay_alu instid0(VALU_DEP_2) | instskip(NEXT) | instid1(VALU_DEP_2)
	v_cmp_eq_u64_e32 vcc_lo, 0, v[18:19]
	v_and_or_b32 v2, v18, 3, v2
	s_and_b32 s14, s14, vcc_lo
	s_delay_alu instid0(VALU_DEP_1) | instid1(SALU_CYCLE_1)
	v_cndmask_b32_e64 v2, v2, 0, s14
	s_delay_alu instid0(VALU_DEP_1)
	v_or_b32_e32 v30, v2, v17
.LBB2_9201:                             ;   in Loop: Header=BB2_9143 Depth=3
	s_or_b32 exec_lo, exec_lo, s78
                                        ; implicit-def: $vgpr17
.LBB2_9202:                             ;   in Loop: Header=BB2_9143 Depth=3
	s_and_not1_saveexec_b32 s14, s77
; %bb.9203:                             ;   in Loop: Header=BB2_9143 Depth=3
	v_or_b32_e32 v30, 0x7b, v17
; %bb.9204:                             ;   in Loop: Header=BB2_9143 Depth=3
	s_or_b32 exec_lo, exec_lo, s14
                                        ; implicit-def: $vgpr44
                                        ; implicit-def: $vgpr17
.LBB2_9205:                             ;   in Loop: Header=BB2_9143 Depth=3
	s_and_not1_saveexec_b32 s14, s76
	s_cbranch_execz .LBB2_9211
; %bb.9206:                             ;   in Loop: Header=BB2_9143 Depth=3
	s_mov_b32 s76, exec_lo
                                        ; implicit-def: $vgpr30
	v_cmpx_ne_u64_e32 0, v[2:3]
	s_xor_b32 s76, exec_lo, s76
; %bb.9207:                             ;   in Loop: Header=BB2_9143 Depth=3
	v_or_b32_e32 v30, 0x7f, v17
                                        ; implicit-def: $vgpr44
; %bb.9208:                             ;   in Loop: Header=BB2_9143 Depth=3
	s_and_not1_saveexec_b32 s76, s76
; %bb.9209:                             ;   in Loop: Header=BB2_9143 Depth=3
	v_cmp_lt_i32_e32 vcc_lo, -1, v44
	v_cndmask_b32_e32 v30, 0xfc, v120, vcc_lo
; %bb.9210:                             ;   in Loop: Header=BB2_9143 Depth=3
	s_or_b32 exec_lo, exec_lo, s76
.LBB2_9211:                             ;   in Loop: Header=BB2_9143 Depth=3
	s_delay_alu instid0(SALU_CYCLE_1) | instskip(SKIP_2) | instid1(VALU_DEP_1)
	s_or_b32 exec_lo, exec_lo, s14
	v_dual_mov_b32 v17, 0 :: v_dual_lshrrev_b32 v2, 16, v8
	s_mov_b32 s14, exec_lo
	v_and_b32_e32 v44, 0xff, v2
	s_delay_alu instid0(VALU_DEP_1)
	v_cmpx_ne_u16_e32 0, v44
	s_cbranch_execz .LBB2_9221
; %bb.9212:                             ;   in Loop: Header=BB2_9143 Depth=3
	v_bfrev_b32_e32 v17, 1
	s_mov_b32 s76, exec_lo
	v_cmpx_ne_u16_e32 0x80, v44
	s_cbranch_execz .LBB2_9220
; %bb.9213:                             ;   in Loop: Header=BB2_9143 Depth=3
	v_and_b32_e32 v17, 0x7c0000, v8
	v_bfe_u32 v44, v8, 16, 2
	s_delay_alu instid0(VALU_DEP_2) | instskip(SKIP_1) | instid1(SALU_CYCLE_1)
	v_cmp_ne_u32_e32 vcc_lo, 0x7c0000, v17
                                        ; implicit-def: $vgpr17
	s_and_saveexec_b32 s77, vcc_lo
	s_xor_b32 s77, exec_lo, s77
	s_cbranch_execz .LBB2_9217
; %bb.9214:                             ;   in Loop: Header=BB2_9143 Depth=3
	v_bfe_u32 v17, v8, 18, 5
	s_mov_b32 s78, exec_lo
	s_delay_alu instid0(VALU_DEP_1)
	v_cmpx_eq_u32_e32 0, v17
; %bb.9215:                             ;   in Loop: Header=BB2_9143 Depth=3
	v_clz_i32_u32_e32 v17, v44
	s_delay_alu instid0(VALU_DEP_1) | instskip(NEXT) | instid1(VALU_DEP_1)
	v_min_u32_e32 v17, 32, v17
	v_subrev_nc_u32_e32 v18, 29, v17
	s_delay_alu instid0(VALU_DEP_1) | instskip(NEXT) | instid1(VALU_DEP_1)
	v_lshlrev_b64_e32 v[18:19], v18, v[2:3]
	v_dual_sub_nc_u32 v17, 30, v17 :: v_dual_bitop2_b32 v44, 3, v18 bitop3:0x40
; %bb.9216:                             ;   in Loop: Header=BB2_9143 Depth=3
	s_or_b32 exec_lo, exec_lo, s78
	v_lshlrev_b32_e32 v2, 24, v2
	s_delay_alu instid0(VALU_DEP_1) | instskip(NEXT) | instid1(VALU_DEP_1)
	v_and_b32_e32 v2, 0x80000000, v2
	v_lshl_add_u32 v2, v17, 23, v2
	s_delay_alu instid0(VALU_DEP_1) | instskip(NEXT) | instid1(VALU_DEP_1)
	v_lshl_or_b32 v2, v44, 21, v2
                                        ; implicit-def: $vgpr44
	v_add_nc_u32_e32 v17, 0x38000000, v2
                                        ; implicit-def: $vgpr2
.LBB2_9217:                             ;   in Loop: Header=BB2_9143 Depth=3
	s_and_not1_saveexec_b32 s77, s77
; %bb.9218:                             ;   in Loop: Header=BB2_9143 Depth=3
	v_bfe_i32 v2, v2, 0, 8
	s_delay_alu instid0(VALU_DEP_1) | instskip(SKIP_2) | instid1(VALU_DEP_2)
	v_cmp_lt_i16_e32 vcc_lo, -1, v2
	v_cndmask_b32_e32 v2, 0xff800000, v111, vcc_lo
	v_cmp_eq_u32_e32 vcc_lo, 0, v44
	v_cndmask_b32_e32 v17, 0x7f800001, v2, vcc_lo
; %bb.9219:                             ;   in Loop: Header=BB2_9143 Depth=3
	s_or_b32 exec_lo, exec_lo, s77
.LBB2_9220:                             ;   in Loop: Header=BB2_9143 Depth=3
	s_delay_alu instid0(SALU_CYCLE_1)
	s_or_b32 exec_lo, exec_lo, s76
.LBB2_9221:                             ;   in Loop: Header=BB2_9143 Depth=3
	s_delay_alu instid0(SALU_CYCLE_1) | instskip(NEXT) | instid1(VALU_DEP_1)
	s_or_b32 exec_lo, exec_lo, s14
	v_dual_mul_f32 v44, s75, v17 :: v_dual_mov_b32 v19, v3
                                        ; implicit-def: $vgpr72
	s_mov_b32 s14, exec_lo
	s_delay_alu instid0(VALU_DEP_1) | instskip(SKIP_2) | instid1(VALU_DEP_3)
	v_and_b32_e32 v18, 0x7f800000, v44
	v_and_b32_e32 v2, 0x7fffff, v44
	v_lshrrev_b32_e32 v17, 24, v44
	v_cmpx_ne_u64_e32 0x7f800000, v[18:19]
	s_xor_b32 s76, exec_lo, s14
	s_cbranch_execz .LBB2_9235
; %bb.9222:                             ;   in Loop: Header=BB2_9143 Depth=3
	v_and_b32_e32 v18, 0x7fffffff, v44
	v_mov_b32_e32 v19, v3
	v_and_b32_e32 v17, 0x80, v17
                                        ; implicit-def: $vgpr72
	s_mov_b32 s14, exec_lo
	s_delay_alu instid0(VALU_DEP_2)
	v_cmpx_gt_u64_e32 0x47600001, v[18:19]
	s_xor_b32 s77, exec_lo, s14
	s_cbranch_execz .LBB2_9232
; %bb.9223:                             ;   in Loop: Header=BB2_9143 Depth=3
	v_mov_b32_e32 v72, 0
	s_mov_b32 s78, exec_lo
	v_cmpx_ne_u32_e32 0, v44
	s_cbranch_execz .LBB2_9231
; %bb.9224:                             ;   in Loop: Header=BB2_9143 Depth=3
	v_bfe_u32 v56, v44, 23, 8
	v_or_b32_e32 v44, 0x800000, v2
	s_delay_alu instid0(VALU_DEP_2) | instskip(SKIP_1) | instid1(VALU_DEP_2)
	v_dual_mov_b32 v45, v3 :: v_dual_sub_nc_u32 v18, 0x71, v56
	v_cmp_gt_u32_e32 vcc_lo, 0x72, v56
	v_cndmask_b32_e32 v18, 0, v18, vcc_lo
	v_cmp_eq_u32_e32 vcc_lo, 0, v56
	s_delay_alu instid0(VALU_DEP_2) | instskip(NEXT) | instid1(VALU_DEP_1)
	v_cndmask_b32_e64 v57, v18, 0x70, vcc_lo
	v_dual_cndmask_b32 v44, v44, v2, vcc_lo :: v_dual_add_nc_u32 v18, 21, v57
	v_add_nc_u32_e32 v46, 20, v57
	s_delay_alu instid0(VALU_DEP_2) | instskip(NEXT) | instid1(VALU_DEP_2)
	v_lshlrev_b64_e64 v[18:19], v18, -1
	v_lshlrev_b64_e64 v[46:47], v46, 1
	s_delay_alu instid0(VALU_DEP_2) | instskip(SKIP_1) | instid1(VALU_DEP_4)
	v_bfi_b32 v18, v18, 0, v44
	v_lshrrev_b64 v[44:45], v57, v[44:45]
	v_bfi_b32 v19, v19, 0, 0
	s_delay_alu instid0(VALU_DEP_1) | instskip(NEXT) | instid1(VALU_DEP_3)
	v_cmp_eq_u64_e64 s14, v[18:19], v[46:47]
	v_mov_b64_e32 v[46:47], v[44:45]
	s_and_saveexec_b32 s79, s14
; %bb.9225:                             ;   in Loop: Header=BB2_9143 Depth=3
	v_bfe_u32 v18, v44, 21, 1
	v_mov_b32_e32 v19, v3
	s_delay_alu instid0(VALU_DEP_1) | instskip(NEXT) | instid1(VALU_DEP_1)
	v_add_nc_u64_e32 v[18:19], v[44:45], v[18:19]
	v_add_nc_u64_e32 v[46:47], -1, v[18:19]
; %bb.9226:                             ;   in Loop: Header=BB2_9143 Depth=3
	s_or_b32 exec_lo, exec_lo, s79
	v_add_nc_u32_e32 v2, 0xffffff81, v56
	v_lshrrev_b32_e32 v18, 23, v44
	s_mov_b32 s14, exec_lo
	s_delay_alu instid0(VALU_DEP_2) | instskip(NEXT) | instid1(VALU_DEP_1)
	v_cndmask_b32_e64 v2, v2, 0xffffff82, vcc_lo
	v_add3_u32 v47, v57, v2, v18
	v_and_b32_e32 v2, 0x1fffff, v46
                                        ; implicit-def: $vgpr46
	s_delay_alu instid0(VALU_DEP_1) | instskip(NEXT) | instid1(VALU_DEP_1)
	v_dual_add_nc_u32 v56, 14, v47 :: v_dual_add_nc_u32 v2, v2, v44
                                        ; implicit-def: $vgpr44_vgpr45
	v_cmpx_ne_u32_e32 0, v56
	s_xor_b32 s14, exec_lo, s14
; %bb.9227:                             ;   in Loop: Header=BB2_9143 Depth=3
	s_delay_alu instid0(VALU_DEP_2) | instskip(SKIP_1) | instid1(VALU_DEP_1)
	v_cmp_lt_u64_e32 vcc_lo, 0xffffff, v[2:3]
	v_add_nc_u32_e32 v18, 15, v47
	v_cndmask_b32_e32 v46, v56, v18, vcc_lo
	v_cndmask_b32_e64 v18, 0, 1, vcc_lo
	s_delay_alu instid0(VALU_DEP_1)
	v_lshrrev_b64 v[44:45], v18, v[2:3]
; %bb.9228:                             ;   in Loop: Header=BB2_9143 Depth=3
	s_and_not1_saveexec_b32 s14, s14
; %bb.9229:                             ;   in Loop: Header=BB2_9143 Depth=3
	v_mov_b64_e32 v[44:45], v[2:3]
	v_bfe_u32 v46, v2, 23, 1
; %bb.9230:                             ;   in Loop: Header=BB2_9143 Depth=3
	s_or_b32 exec_lo, exec_lo, s14
	s_delay_alu instid0(VALU_DEP_2) | instskip(NEXT) | instid1(VALU_DEP_2)
	v_lshrrev_b64 v[18:19], 21, v[44:45]
	v_cmp_gt_i32_e32 vcc_lo, 32, v46
	v_min_i32_e32 v2, 31, v46
	v_cmp_eq_u32_e64 s14, 0, v46
	s_delay_alu instid0(VALU_DEP_2) | instskip(SKIP_1) | instid1(VALU_DEP_2)
	v_dual_cndmask_b32 v19, 0, v19 :: v_dual_lshlrev_b32 v2, 2, v2
	v_cndmask_b32_e32 v18, 3, v18, vcc_lo
	v_and_b32_e32 v2, 0xfc, v2
	s_delay_alu instid0(VALU_DEP_2) | instskip(NEXT) | instid1(VALU_DEP_2)
	v_cmp_eq_u64_e32 vcc_lo, 0, v[18:19]
	v_and_or_b32 v2, v18, 3, v2
	s_and_b32 s14, s14, vcc_lo
	s_delay_alu instid0(VALU_DEP_1) | instid1(SALU_CYCLE_1)
	v_cndmask_b32_e64 v2, v2, 0, s14
	s_delay_alu instid0(VALU_DEP_1)
	v_or_b32_e32 v72, v2, v17
.LBB2_9231:                             ;   in Loop: Header=BB2_9143 Depth=3
	s_or_b32 exec_lo, exec_lo, s78
                                        ; implicit-def: $vgpr17
.LBB2_9232:                             ;   in Loop: Header=BB2_9143 Depth=3
	s_and_not1_saveexec_b32 s14, s77
; %bb.9233:                             ;   in Loop: Header=BB2_9143 Depth=3
	v_or_b32_e32 v72, 0x7b, v17
; %bb.9234:                             ;   in Loop: Header=BB2_9143 Depth=3
	s_or_b32 exec_lo, exec_lo, s14
                                        ; implicit-def: $vgpr44
                                        ; implicit-def: $vgpr17
.LBB2_9235:                             ;   in Loop: Header=BB2_9143 Depth=3
	s_and_not1_saveexec_b32 s14, s76
	s_cbranch_execz .LBB2_9241
; %bb.9236:                             ;   in Loop: Header=BB2_9143 Depth=3
	s_mov_b32 s76, exec_lo
                                        ; implicit-def: $vgpr72
	v_cmpx_ne_u64_e32 0, v[2:3]
	s_xor_b32 s76, exec_lo, s76
; %bb.9237:                             ;   in Loop: Header=BB2_9143 Depth=3
	v_or_b32_e32 v72, 0x7f, v17
                                        ; implicit-def: $vgpr44
; %bb.9238:                             ;   in Loop: Header=BB2_9143 Depth=3
	s_and_not1_saveexec_b32 s76, s76
; %bb.9239:                             ;   in Loop: Header=BB2_9143 Depth=3
	v_cmp_lt_i32_e32 vcc_lo, -1, v44
	v_cndmask_b32_e32 v72, 0xfc, v120, vcc_lo
; %bb.9240:                             ;   in Loop: Header=BB2_9143 Depth=3
	s_or_b32 exec_lo, exec_lo, s76
.LBB2_9241:                             ;   in Loop: Header=BB2_9143 Depth=3
	s_delay_alu instid0(SALU_CYCLE_1)
	s_or_b32 exec_lo, exec_lo, s14
	v_mov_b32_e32 v17, 0
	s_mov_b32 s14, exec_lo
	v_cmpx_lt_u32_e32 0xffffff, v8
	s_cbranch_execz .LBB2_9251
; %bb.9242:                             ;   in Loop: Header=BB2_9143 Depth=3
	v_lshrrev_b32_e32 v2, 24, v8
	v_bfrev_b32_e32 v17, 1
	s_mov_b32 s76, exec_lo
	s_delay_alu instid0(VALU_DEP_2)
	v_cmpx_ne_u32_e32 0x80, v2
	s_cbranch_execz .LBB2_9250
; %bb.9243:                             ;   in Loop: Header=BB2_9143 Depth=3
	v_and_b32_e32 v17, 0x7c000000, v8
	v_bfe_u32 v44, v8, 24, 2
	s_delay_alu instid0(VALU_DEP_2) | instskip(SKIP_1) | instid1(SALU_CYCLE_1)
	v_cmp_ne_u32_e32 vcc_lo, 0x7c000000, v17
                                        ; implicit-def: $vgpr17
	s_and_saveexec_b32 s77, vcc_lo
	s_xor_b32 s77, exec_lo, s77
	s_cbranch_execz .LBB2_9247
; %bb.9244:                             ;   in Loop: Header=BB2_9143 Depth=3
	v_bfe_u32 v17, v8, 26, 5
	s_mov_b32 s78, exec_lo
	s_delay_alu instid0(VALU_DEP_1)
	v_cmpx_eq_u32_e32 0, v17
; %bb.9245:                             ;   in Loop: Header=BB2_9143 Depth=3
	v_clz_i32_u32_e32 v17, v44
	s_delay_alu instid0(VALU_DEP_1) | instskip(NEXT) | instid1(VALU_DEP_1)
	v_min_u32_e32 v17, 32, v17
	v_subrev_nc_u32_e32 v18, 29, v17
	s_delay_alu instid0(VALU_DEP_1) | instskip(NEXT) | instid1(VALU_DEP_1)
	v_lshlrev_b64_e32 v[18:19], v18, v[2:3]
	v_dual_sub_nc_u32 v17, 30, v17 :: v_dual_bitop2_b32 v44, 3, v18 bitop3:0x40
; %bb.9246:                             ;   in Loop: Header=BB2_9143 Depth=3
	s_or_b32 exec_lo, exec_lo, s78
	v_and_b32_e32 v2, 0x80000000, v8
	s_delay_alu instid0(VALU_DEP_1) | instskip(NEXT) | instid1(VALU_DEP_1)
	v_lshl_add_u32 v2, v17, 23, v2
	v_lshl_or_b32 v2, v44, 21, v2
                                        ; implicit-def: $vgpr44
	s_delay_alu instid0(VALU_DEP_1)
	v_add_nc_u32_e32 v17, 0x38000000, v2
.LBB2_9247:                             ;   in Loop: Header=BB2_9143 Depth=3
	s_and_not1_saveexec_b32 s77, s77
; %bb.9248:                             ;   in Loop: Header=BB2_9143 Depth=3
	v_cmp_lt_i32_e32 vcc_lo, -1, v8
	v_cndmask_b32_e32 v2, 0xff800000, v111, vcc_lo
	v_cmp_eq_u32_e32 vcc_lo, 0, v44
	s_delay_alu instid0(VALU_DEP_2)
	v_cndmask_b32_e32 v17, 0x7f800001, v2, vcc_lo
; %bb.9249:                             ;   in Loop: Header=BB2_9143 Depth=3
	s_or_b32 exec_lo, exec_lo, s77
.LBB2_9250:                             ;   in Loop: Header=BB2_9143 Depth=3
	s_delay_alu instid0(SALU_CYCLE_1)
	s_or_b32 exec_lo, exec_lo, s76
.LBB2_9251:                             ;   in Loop: Header=BB2_9143 Depth=3
	s_delay_alu instid0(SALU_CYCLE_1) | instskip(NEXT) | instid1(VALU_DEP_1)
	s_or_b32 exec_lo, exec_lo, s14
	v_dual_mul_f32 v44, s75, v17 :: v_dual_mov_b32 v19, v3
                                        ; implicit-def: $vgpr75
	s_mov_b32 s14, exec_lo
	s_delay_alu instid0(VALU_DEP_1) | instskip(SKIP_2) | instid1(VALU_DEP_3)
	v_and_b32_e32 v18, 0x7f800000, v44
	v_and_b32_e32 v2, 0x7fffff, v44
	v_lshrrev_b32_e32 v17, 24, v44
	v_cmpx_ne_u64_e32 0x7f800000, v[18:19]
	s_xor_b32 s76, exec_lo, s14
	s_cbranch_execz .LBB2_9265
; %bb.9252:                             ;   in Loop: Header=BB2_9143 Depth=3
	v_and_b32_e32 v18, 0x7fffffff, v44
	v_mov_b32_e32 v19, v3
	v_and_b32_e32 v17, 0x80, v17
                                        ; implicit-def: $vgpr75
	s_mov_b32 s14, exec_lo
	s_delay_alu instid0(VALU_DEP_2)
	v_cmpx_gt_u64_e32 0x47600001, v[18:19]
	s_xor_b32 s77, exec_lo, s14
	s_cbranch_execz .LBB2_9262
; %bb.9253:                             ;   in Loop: Header=BB2_9143 Depth=3
	v_mov_b32_e32 v75, 0
	s_mov_b32 s78, exec_lo
	v_cmpx_ne_u32_e32 0, v44
	s_cbranch_execz .LBB2_9261
; %bb.9254:                             ;   in Loop: Header=BB2_9143 Depth=3
	v_bfe_u32 v56, v44, 23, 8
	v_or_b32_e32 v44, 0x800000, v2
	s_delay_alu instid0(VALU_DEP_2) | instskip(SKIP_1) | instid1(VALU_DEP_2)
	v_dual_mov_b32 v45, v3 :: v_dual_sub_nc_u32 v18, 0x71, v56
	v_cmp_gt_u32_e32 vcc_lo, 0x72, v56
	v_cndmask_b32_e32 v18, 0, v18, vcc_lo
	v_cmp_eq_u32_e32 vcc_lo, 0, v56
	s_delay_alu instid0(VALU_DEP_2) | instskip(NEXT) | instid1(VALU_DEP_1)
	v_cndmask_b32_e64 v57, v18, 0x70, vcc_lo
	v_dual_cndmask_b32 v44, v44, v2, vcc_lo :: v_dual_add_nc_u32 v18, 21, v57
	v_add_nc_u32_e32 v46, 20, v57
	s_delay_alu instid0(VALU_DEP_2) | instskip(NEXT) | instid1(VALU_DEP_2)
	v_lshlrev_b64_e64 v[18:19], v18, -1
	v_lshlrev_b64_e64 v[46:47], v46, 1
	s_delay_alu instid0(VALU_DEP_2) | instskip(SKIP_1) | instid1(VALU_DEP_4)
	v_bfi_b32 v18, v18, 0, v44
	v_lshrrev_b64 v[44:45], v57, v[44:45]
	v_bfi_b32 v19, v19, 0, 0
	s_delay_alu instid0(VALU_DEP_1) | instskip(NEXT) | instid1(VALU_DEP_3)
	v_cmp_eq_u64_e64 s14, v[18:19], v[46:47]
	v_mov_b64_e32 v[46:47], v[44:45]
	s_and_saveexec_b32 s79, s14
; %bb.9255:                             ;   in Loop: Header=BB2_9143 Depth=3
	v_bfe_u32 v18, v44, 21, 1
	v_mov_b32_e32 v19, v3
	s_delay_alu instid0(VALU_DEP_1) | instskip(NEXT) | instid1(VALU_DEP_1)
	v_add_nc_u64_e32 v[18:19], v[44:45], v[18:19]
	v_add_nc_u64_e32 v[46:47], -1, v[18:19]
; %bb.9256:                             ;   in Loop: Header=BB2_9143 Depth=3
	s_or_b32 exec_lo, exec_lo, s79
	v_add_nc_u32_e32 v2, 0xffffff81, v56
	v_lshrrev_b32_e32 v18, 23, v44
	s_mov_b32 s14, exec_lo
	s_delay_alu instid0(VALU_DEP_2) | instskip(NEXT) | instid1(VALU_DEP_1)
	v_cndmask_b32_e64 v2, v2, 0xffffff82, vcc_lo
	v_add3_u32 v47, v57, v2, v18
	v_and_b32_e32 v2, 0x1fffff, v46
                                        ; implicit-def: $vgpr46
	s_delay_alu instid0(VALU_DEP_1) | instskip(NEXT) | instid1(VALU_DEP_1)
	v_dual_add_nc_u32 v56, 14, v47 :: v_dual_add_nc_u32 v2, v2, v44
                                        ; implicit-def: $vgpr44_vgpr45
	v_cmpx_ne_u32_e32 0, v56
	s_xor_b32 s14, exec_lo, s14
; %bb.9257:                             ;   in Loop: Header=BB2_9143 Depth=3
	s_delay_alu instid0(VALU_DEP_2) | instskip(SKIP_1) | instid1(VALU_DEP_1)
	v_cmp_lt_u64_e32 vcc_lo, 0xffffff, v[2:3]
	v_add_nc_u32_e32 v18, 15, v47
	v_cndmask_b32_e32 v46, v56, v18, vcc_lo
	v_cndmask_b32_e64 v18, 0, 1, vcc_lo
	s_delay_alu instid0(VALU_DEP_1)
	v_lshrrev_b64 v[44:45], v18, v[2:3]
; %bb.9258:                             ;   in Loop: Header=BB2_9143 Depth=3
	s_and_not1_saveexec_b32 s14, s14
; %bb.9259:                             ;   in Loop: Header=BB2_9143 Depth=3
	v_mov_b64_e32 v[44:45], v[2:3]
	v_bfe_u32 v46, v2, 23, 1
; %bb.9260:                             ;   in Loop: Header=BB2_9143 Depth=3
	s_or_b32 exec_lo, exec_lo, s14
	s_delay_alu instid0(VALU_DEP_2) | instskip(NEXT) | instid1(VALU_DEP_2)
	v_lshrrev_b64 v[18:19], 21, v[44:45]
	v_cmp_gt_i32_e32 vcc_lo, 32, v46
	v_min_i32_e32 v2, 31, v46
	v_cmp_eq_u32_e64 s14, 0, v46
	s_delay_alu instid0(VALU_DEP_2) | instskip(SKIP_1) | instid1(VALU_DEP_2)
	v_dual_cndmask_b32 v19, 0, v19 :: v_dual_lshlrev_b32 v2, 2, v2
	v_cndmask_b32_e32 v18, 3, v18, vcc_lo
	v_and_b32_e32 v2, 0xfc, v2
	s_delay_alu instid0(VALU_DEP_2) | instskip(NEXT) | instid1(VALU_DEP_2)
	v_cmp_eq_u64_e32 vcc_lo, 0, v[18:19]
	v_and_or_b32 v2, v18, 3, v2
	s_and_b32 s14, s14, vcc_lo
	s_delay_alu instid0(VALU_DEP_1) | instid1(SALU_CYCLE_1)
	v_cndmask_b32_e64 v2, v2, 0, s14
	s_delay_alu instid0(VALU_DEP_1)
	v_or_b32_e32 v75, v2, v17
.LBB2_9261:                             ;   in Loop: Header=BB2_9143 Depth=3
	s_or_b32 exec_lo, exec_lo, s78
                                        ; implicit-def: $vgpr17
.LBB2_9262:                             ;   in Loop: Header=BB2_9143 Depth=3
	s_and_not1_saveexec_b32 s14, s77
; %bb.9263:                             ;   in Loop: Header=BB2_9143 Depth=3
	v_or_b32_e32 v75, 0x7b, v17
; %bb.9264:                             ;   in Loop: Header=BB2_9143 Depth=3
	s_or_b32 exec_lo, exec_lo, s14
                                        ; implicit-def: $vgpr44
                                        ; implicit-def: $vgpr17
.LBB2_9265:                             ;   in Loop: Header=BB2_9143 Depth=3
	s_and_not1_saveexec_b32 s14, s76
	s_cbranch_execz .LBB2_9271
; %bb.9266:                             ;   in Loop: Header=BB2_9143 Depth=3
	s_mov_b32 s76, exec_lo
                                        ; implicit-def: $vgpr75
	v_cmpx_ne_u64_e32 0, v[2:3]
	s_xor_b32 s76, exec_lo, s76
; %bb.9267:                             ;   in Loop: Header=BB2_9143 Depth=3
	v_or_b32_e32 v75, 0x7f, v17
                                        ; implicit-def: $vgpr44
; %bb.9268:                             ;   in Loop: Header=BB2_9143 Depth=3
	s_and_not1_saveexec_b32 s76, s76
; %bb.9269:                             ;   in Loop: Header=BB2_9143 Depth=3
	v_cmp_lt_i32_e32 vcc_lo, -1, v44
	v_cndmask_b32_e32 v75, 0xfc, v120, vcc_lo
; %bb.9270:                             ;   in Loop: Header=BB2_9143 Depth=3
	s_or_b32 exec_lo, exec_lo, s76
.LBB2_9271:                             ;   in Loop: Header=BB2_9143 Depth=3
	s_delay_alu instid0(SALU_CYCLE_1) | instskip(SKIP_3) | instid1(VALU_DEP_2)
	s_or_b32 exec_lo, exec_lo, s14
	v_and_b32_e32 v44, 0xff, v9
	v_dual_mov_b32 v2, v9 :: v_dual_mov_b32 v17, 0
	s_mov_b32 s14, exec_lo
	v_cmpx_ne_u16_e32 0, v44
	s_cbranch_execz .LBB2_9281
; %bb.9272:                             ;   in Loop: Header=BB2_9143 Depth=3
	v_bfrev_b32_e32 v17, 1
	s_mov_b32 s76, exec_lo
	v_cmpx_ne_u16_e32 0x80, v44
	s_cbranch_execz .LBB2_9280
; %bb.9273:                             ;   in Loop: Header=BB2_9143 Depth=3
	v_and_b32_e32 v17, 0x7c, v9
	v_and_b32_e32 v44, 3, v9
	s_delay_alu instid0(VALU_DEP_2) | instskip(SKIP_1) | instid1(SALU_CYCLE_1)
	v_cmp_ne_u32_e32 vcc_lo, 0x7c, v17
                                        ; implicit-def: $vgpr17
	s_and_saveexec_b32 s77, vcc_lo
	s_xor_b32 s77, exec_lo, s77
	s_cbranch_execz .LBB2_9277
; %bb.9274:                             ;   in Loop: Header=BB2_9143 Depth=3
	v_bfe_u32 v17, v9, 2, 5
	s_mov_b32 s78, exec_lo
	s_delay_alu instid0(VALU_DEP_1)
	v_cmpx_eq_u32_e32 0, v17
; %bb.9275:                             ;   in Loop: Header=BB2_9143 Depth=3
	v_clz_i32_u32_e32 v17, v44
	s_delay_alu instid0(VALU_DEP_1) | instskip(NEXT) | instid1(VALU_DEP_1)
	v_min_u32_e32 v17, 32, v17
	v_subrev_nc_u32_e32 v18, 29, v17
	s_delay_alu instid0(VALU_DEP_1) | instskip(NEXT) | instid1(VALU_DEP_1)
	v_lshlrev_b64_e32 v[18:19], v18, v[2:3]
	v_dual_sub_nc_u32 v17, 30, v17 :: v_dual_bitop2_b32 v44, 3, v18 bitop3:0x40
; %bb.9276:                             ;   in Loop: Header=BB2_9143 Depth=3
	s_or_b32 exec_lo, exec_lo, s78
	v_lshlrev_b32_e32 v18, 24, v9
	s_delay_alu instid0(VALU_DEP_1) | instskip(NEXT) | instid1(VALU_DEP_1)
	v_and_b32_e32 v18, 0x80000000, v18
	v_lshl_add_u32 v17, v17, 23, v18
	s_delay_alu instid0(VALU_DEP_1) | instskip(NEXT) | instid1(VALU_DEP_1)
	v_lshl_or_b32 v17, v44, 21, v17
                                        ; implicit-def: $vgpr44
	v_add_nc_u32_e32 v17, 0x38000000, v17
.LBB2_9277:                             ;   in Loop: Header=BB2_9143 Depth=3
	s_and_not1_saveexec_b32 s77, s77
; %bb.9278:                             ;   in Loop: Header=BB2_9143 Depth=3
	v_bfe_i32 v17, v9, 0, 8
	s_delay_alu instid0(VALU_DEP_1) | instskip(SKIP_2) | instid1(VALU_DEP_2)
	v_cmp_lt_i16_e32 vcc_lo, -1, v17
	v_cndmask_b32_e32 v17, 0xff800000, v111, vcc_lo
	v_cmp_eq_u32_e32 vcc_lo, 0, v44
	v_cndmask_b32_e32 v17, 0x7f800001, v17, vcc_lo
; %bb.9279:                             ;   in Loop: Header=BB2_9143 Depth=3
	s_or_b32 exec_lo, exec_lo, s77
.LBB2_9280:                             ;   in Loop: Header=BB2_9143 Depth=3
	s_delay_alu instid0(SALU_CYCLE_1)
	s_or_b32 exec_lo, exec_lo, s76
.LBB2_9281:                             ;   in Loop: Header=BB2_9143 Depth=3
	s_delay_alu instid0(SALU_CYCLE_1) | instskip(NEXT) | instid1(VALU_DEP_1)
	s_or_b32 exec_lo, exec_lo, s14
	v_dual_mul_f32 v46, s75, v17 :: v_dual_mov_b32 v19, v3
	v_mov_b32_e32 v45, v3
                                        ; implicit-def: $vgpr56
	s_mov_b32 s14, exec_lo
	s_delay_alu instid0(VALU_DEP_2) | instskip(SKIP_2) | instid1(VALU_DEP_3)
	v_and_b32_e32 v18, 0x7f800000, v46
	v_and_b32_e32 v44, 0x7fffff, v46
	v_lshrrev_b32_e32 v17, 24, v46
	v_cmpx_ne_u64_e32 0x7f800000, v[18:19]
	s_xor_b32 s76, exec_lo, s14
	s_cbranch_execz .LBB2_9295
; %bb.9282:                             ;   in Loop: Header=BB2_9143 Depth=3
	v_and_b32_e32 v18, 0x7fffffff, v46
	v_mov_b32_e32 v19, v3
	v_and_b32_e32 v17, 0x80, v17
                                        ; implicit-def: $vgpr56
	s_mov_b32 s14, exec_lo
	s_delay_alu instid0(VALU_DEP_2)
	v_cmpx_gt_u64_e32 0x47600001, v[18:19]
	s_xor_b32 s77, exec_lo, s14
	s_cbranch_execz .LBB2_9292
; %bb.9283:                             ;   in Loop: Header=BB2_9143 Depth=3
	v_mov_b32_e32 v56, 0
	s_mov_b32 s78, exec_lo
	v_cmpx_ne_u32_e32 0, v46
	s_cbranch_execz .LBB2_9291
; %bb.9284:                             ;   in Loop: Header=BB2_9143 Depth=3
	v_bfe_u32 v56, v46, 23, 8
	v_or_b32_e32 v46, 0x800000, v44
	s_delay_alu instid0(VALU_DEP_2) | instskip(SKIP_1) | instid1(VALU_DEP_2)
	v_sub_nc_u32_e32 v18, 0x71, v56
	v_cmp_gt_u32_e32 vcc_lo, 0x72, v56
	v_cndmask_b32_e32 v18, 0, v18, vcc_lo
	v_cmp_eq_u32_e32 vcc_lo, 0, v56
	s_delay_alu instid0(VALU_DEP_2) | instskip(NEXT) | instid1(VALU_DEP_1)
	v_cndmask_b32_e64 v57, v18, 0x70, vcc_lo
	v_dual_cndmask_b32 v44, v46, v44, vcc_lo :: v_dual_add_nc_u32 v18, 21, v57
	v_add_nc_u32_e32 v47, 20, v57
	s_delay_alu instid0(VALU_DEP_2) | instskip(NEXT) | instid1(VALU_DEP_2)
	v_lshlrev_b64_e64 v[18:19], v18, -1
	v_lshlrev_b64_e64 v[46:47], v47, 1
	s_delay_alu instid0(VALU_DEP_2) | instskip(SKIP_1) | instid1(VALU_DEP_4)
	v_bfi_b32 v18, v18, 0, v44
	v_lshrrev_b64 v[44:45], v57, v[44:45]
	v_bfi_b32 v19, v19, 0, 0
	s_delay_alu instid0(VALU_DEP_1) | instskip(NEXT) | instid1(VALU_DEP_3)
	v_cmp_eq_u64_e64 s14, v[18:19], v[46:47]
	v_mov_b64_e32 v[46:47], v[44:45]
	s_and_saveexec_b32 s79, s14
; %bb.9285:                             ;   in Loop: Header=BB2_9143 Depth=3
	v_bfe_u32 v18, v44, 21, 1
	v_mov_b32_e32 v19, v3
	s_delay_alu instid0(VALU_DEP_1) | instskip(NEXT) | instid1(VALU_DEP_1)
	v_add_nc_u64_e32 v[18:19], v[44:45], v[18:19]
	v_add_nc_u64_e32 v[46:47], -1, v[18:19]
; %bb.9286:                             ;   in Loop: Header=BB2_9143 Depth=3
	s_or_b32 exec_lo, exec_lo, s79
	v_dual_mov_b32 v45, v3 :: v_dual_add_nc_u32 v18, 0xffffff81, v56
	v_lshrrev_b32_e32 v19, 23, v44
	s_mov_b32 s14, exec_lo
	s_delay_alu instid0(VALU_DEP_2) | instskip(NEXT) | instid1(VALU_DEP_1)
	v_cndmask_b32_e64 v18, v18, 0xffffff82, vcc_lo
	v_add3_u32 v47, v57, v18, v19
	v_and_b32_e32 v18, 0x1fffff, v46
                                        ; implicit-def: $vgpr46
	s_delay_alu instid0(VALU_DEP_1) | instskip(NEXT) | instid1(VALU_DEP_1)
	v_dual_add_nc_u32 v56, 14, v47 :: v_dual_add_nc_u32 v44, v18, v44
	v_cmpx_ne_u32_e32 0, v56
	s_xor_b32 s14, exec_lo, s14
; %bb.9287:                             ;   in Loop: Header=BB2_9143 Depth=3
	s_delay_alu instid0(VALU_DEP_2) | instskip(SKIP_1) | instid1(VALU_DEP_1)
	v_cmp_lt_u64_e32 vcc_lo, 0xffffff, v[44:45]
	v_add_nc_u32_e32 v18, 15, v47
	v_cndmask_b32_e32 v46, v56, v18, vcc_lo
	v_cndmask_b32_e64 v18, 0, 1, vcc_lo
	s_delay_alu instid0(VALU_DEP_1)
	v_lshrrev_b64 v[44:45], v18, v[44:45]
; %bb.9288:                             ;   in Loop: Header=BB2_9143 Depth=3
	s_and_not1_saveexec_b32 s14, s14
; %bb.9289:                             ;   in Loop: Header=BB2_9143 Depth=3
	s_delay_alu instid0(VALU_DEP_1)
	v_bfe_u32 v46, v44, 23, 1
; %bb.9290:                             ;   in Loop: Header=BB2_9143 Depth=3
	s_or_b32 exec_lo, exec_lo, s14
	s_delay_alu instid0(VALU_DEP_2) | instskip(NEXT) | instid1(VALU_DEP_2)
	v_lshrrev_b64 v[18:19], 21, v[44:45]
	v_cmp_gt_i32_e32 vcc_lo, 32, v46
	v_min_i32_e32 v44, 31, v46
	v_cmp_eq_u32_e64 s14, 0, v46
	s_delay_alu instid0(VALU_DEP_2) | instskip(SKIP_1) | instid1(VALU_DEP_2)
	v_dual_cndmask_b32 v19, 0, v19 :: v_dual_lshlrev_b32 v44, 2, v44
	v_cndmask_b32_e32 v18, 3, v18, vcc_lo
	v_and_b32_e32 v44, 0xfc, v44
	s_delay_alu instid0(VALU_DEP_2) | instskip(NEXT) | instid1(VALU_DEP_2)
	v_cmp_eq_u64_e32 vcc_lo, 0, v[18:19]
	v_and_or_b32 v18, v18, 3, v44
	s_and_b32 s14, s14, vcc_lo
	s_delay_alu instid0(VALU_DEP_1) | instid1(SALU_CYCLE_1)
	v_cndmask_b32_e64 v18, v18, 0, s14
	s_delay_alu instid0(VALU_DEP_1)
	v_or_b32_e32 v56, v18, v17
.LBB2_9291:                             ;   in Loop: Header=BB2_9143 Depth=3
	s_or_b32 exec_lo, exec_lo, s78
                                        ; implicit-def: $vgpr17
.LBB2_9292:                             ;   in Loop: Header=BB2_9143 Depth=3
	s_and_not1_saveexec_b32 s14, s77
; %bb.9293:                             ;   in Loop: Header=BB2_9143 Depth=3
	v_or_b32_e32 v56, 0x7b, v17
; %bb.9294:                             ;   in Loop: Header=BB2_9143 Depth=3
	s_or_b32 exec_lo, exec_lo, s14
                                        ; implicit-def: $vgpr46
                                        ; implicit-def: $vgpr44_vgpr45
                                        ; implicit-def: $vgpr17
.LBB2_9295:                             ;   in Loop: Header=BB2_9143 Depth=3
	s_and_not1_saveexec_b32 s14, s76
	s_cbranch_execz .LBB2_9301
; %bb.9296:                             ;   in Loop: Header=BB2_9143 Depth=3
	s_mov_b32 s76, exec_lo
                                        ; implicit-def: $vgpr56
	v_cmpx_ne_u64_e32 0, v[44:45]
	s_xor_b32 s76, exec_lo, s76
; %bb.9297:                             ;   in Loop: Header=BB2_9143 Depth=3
	v_or_b32_e32 v56, 0x7f, v17
                                        ; implicit-def: $vgpr46
; %bb.9298:                             ;   in Loop: Header=BB2_9143 Depth=3
	s_and_not1_saveexec_b32 s76, s76
; %bb.9299:                             ;   in Loop: Header=BB2_9143 Depth=3
	v_cmp_lt_i32_e32 vcc_lo, -1, v46
	v_cndmask_b32_e32 v56, 0xfc, v120, vcc_lo
; %bb.9300:                             ;   in Loop: Header=BB2_9143 Depth=3
	s_or_b32 exec_lo, exec_lo, s76
.LBB2_9301:                             ;   in Loop: Header=BB2_9143 Depth=3
	s_delay_alu instid0(SALU_CYCLE_1) | instskip(SKIP_3) | instid1(VALU_DEP_2)
	s_or_b32 exec_lo, exec_lo, s14
	v_lshrrev_b16 v44, 8, v2
	v_mov_b32_e32 v45, 0
	s_mov_b32 s14, exec_lo
	v_cmpx_ne_u16_e32 0, v44
	s_cbranch_execz .LBB2_9311
; %bb.9302:                             ;   in Loop: Header=BB2_9143 Depth=3
	v_bfrev_b32_e32 v45, 1
	s_mov_b32 s76, exec_lo
	v_cmpx_ne_u16_e32 0x80, v44
	s_cbranch_execz .LBB2_9310
; %bb.9303:                             ;   in Loop: Header=BB2_9143 Depth=3
	v_and_b32_e32 v46, 0xffff, v44
	s_mov_b32 s77, exec_lo
                                        ; implicit-def: $vgpr45
	s_delay_alu instid0(VALU_DEP_1) | instskip(SKIP_1) | instid1(VALU_DEP_2)
	v_and_b32_e32 v18, 0x7c, v46
	v_and_b32_e32 v17, 3, v46
	v_cmpx_ne_u32_e32 0x7c, v18
	s_xor_b32 s77, exec_lo, s77
	s_cbranch_execz .LBB2_9307
; %bb.9304:                             ;   in Loop: Header=BB2_9143 Depth=3
	v_bfe_u32 v45, v46, 2, 5
	s_mov_b32 s78, exec_lo
	s_delay_alu instid0(VALU_DEP_1)
	v_cmpx_eq_u32_e32 0, v45
; %bb.9305:                             ;   in Loop: Header=BB2_9143 Depth=3
	v_clz_i32_u32_e32 v17, v17
	v_mov_b32_e32 v45, v3
	s_delay_alu instid0(VALU_DEP_2) | instskip(NEXT) | instid1(VALU_DEP_1)
	v_min_u32_e32 v17, 32, v17
	v_subrev_nc_u32_e32 v18, 29, v17
	s_delay_alu instid0(VALU_DEP_1) | instskip(NEXT) | instid1(VALU_DEP_1)
	v_lshlrev_b64_e32 v[18:19], v18, v[44:45]
	v_dual_sub_nc_u32 v45, 30, v17 :: v_dual_bitop2_b32 v17, 3, v18 bitop3:0x40
; %bb.9306:                             ;   in Loop: Header=BB2_9143 Depth=3
	s_or_b32 exec_lo, exec_lo, s78
	v_lshlrev_b32_e32 v2, 16, v2
	s_delay_alu instid0(VALU_DEP_1) | instskip(NEXT) | instid1(VALU_DEP_1)
	v_and_b32_e32 v2, 0x80000000, v2
	v_lshl_add_u32 v2, v45, 23, v2
	s_delay_alu instid0(VALU_DEP_1) | instskip(NEXT) | instid1(VALU_DEP_1)
	v_lshl_or_b32 v2, v17, 21, v2
                                        ; implicit-def: $vgpr17
	v_add_nc_u32_e32 v45, 0x38000000, v2
.LBB2_9307:                             ;   in Loop: Header=BB2_9143 Depth=3
	s_and_not1_saveexec_b32 s77, s77
; %bb.9308:                             ;   in Loop: Header=BB2_9143 Depth=3
	v_cmp_lt_i16_e32 vcc_lo, -1, v2
	v_cndmask_b32_e32 v2, 0xff800000, v111, vcc_lo
	v_cmp_eq_u32_e32 vcc_lo, 0, v17
	s_delay_alu instid0(VALU_DEP_2)
	v_cndmask_b32_e32 v45, 0x7f800001, v2, vcc_lo
; %bb.9309:                             ;   in Loop: Header=BB2_9143 Depth=3
	s_or_b32 exec_lo, exec_lo, s77
.LBB2_9310:                             ;   in Loop: Header=BB2_9143 Depth=3
	s_delay_alu instid0(SALU_CYCLE_1)
	s_or_b32 exec_lo, exec_lo, s76
.LBB2_9311:                             ;   in Loop: Header=BB2_9143 Depth=3
	s_delay_alu instid0(SALU_CYCLE_1) | instskip(NEXT) | instid1(VALU_DEP_1)
	s_or_b32 exec_lo, exec_lo, s14
	v_dual_mul_f32 v44, s75, v45 :: v_dual_mov_b32 v19, v3
                                        ; implicit-def: $vgpr57
	s_mov_b32 s14, exec_lo
	s_delay_alu instid0(VALU_DEP_1) | instskip(SKIP_2) | instid1(VALU_DEP_3)
	v_and_b32_e32 v18, 0x7f800000, v44
	v_and_b32_e32 v2, 0x7fffff, v44
	v_lshrrev_b32_e32 v17, 24, v44
	v_cmpx_ne_u64_e32 0x7f800000, v[18:19]
	s_xor_b32 s76, exec_lo, s14
	s_cbranch_execz .LBB2_9325
; %bb.9312:                             ;   in Loop: Header=BB2_9143 Depth=3
	v_and_b32_e32 v18, 0x7fffffff, v44
	v_mov_b32_e32 v19, v3
	v_and_b32_e32 v17, 0x80, v17
                                        ; implicit-def: $vgpr57
	s_mov_b32 s14, exec_lo
	s_delay_alu instid0(VALU_DEP_2)
	v_cmpx_gt_u64_e32 0x47600001, v[18:19]
	s_xor_b32 s77, exec_lo, s14
	s_cbranch_execz .LBB2_9322
; %bb.9313:                             ;   in Loop: Header=BB2_9143 Depth=3
	v_mov_b32_e32 v57, 0
	s_mov_b32 s78, exec_lo
	v_cmpx_ne_u32_e32 0, v44
	s_cbranch_execz .LBB2_9321
; %bb.9314:                             ;   in Loop: Header=BB2_9143 Depth=3
	v_bfe_u32 v57, v44, 23, 8
	v_or_b32_e32 v44, 0x800000, v2
	s_delay_alu instid0(VALU_DEP_2) | instskip(SKIP_1) | instid1(VALU_DEP_2)
	v_dual_mov_b32 v45, v3 :: v_dual_sub_nc_u32 v18, 0x71, v57
	v_cmp_gt_u32_e32 vcc_lo, 0x72, v57
	v_cndmask_b32_e32 v18, 0, v18, vcc_lo
	v_cmp_eq_u32_e32 vcc_lo, 0, v57
	s_delay_alu instid0(VALU_DEP_2) | instskip(NEXT) | instid1(VALU_DEP_1)
	v_cndmask_b32_e64 v73, v18, 0x70, vcc_lo
	v_dual_cndmask_b32 v44, v44, v2, vcc_lo :: v_dual_add_nc_u32 v18, 21, v73
	v_add_nc_u32_e32 v46, 20, v73
	s_delay_alu instid0(VALU_DEP_2) | instskip(NEXT) | instid1(VALU_DEP_2)
	v_lshlrev_b64_e64 v[18:19], v18, -1
	v_lshlrev_b64_e64 v[46:47], v46, 1
	s_delay_alu instid0(VALU_DEP_2) | instskip(SKIP_1) | instid1(VALU_DEP_4)
	v_bfi_b32 v18, v18, 0, v44
	v_lshrrev_b64 v[44:45], v73, v[44:45]
	v_bfi_b32 v19, v19, 0, 0
	s_delay_alu instid0(VALU_DEP_1) | instskip(NEXT) | instid1(VALU_DEP_3)
	v_cmp_eq_u64_e64 s14, v[18:19], v[46:47]
	v_mov_b64_e32 v[46:47], v[44:45]
	s_and_saveexec_b32 s79, s14
; %bb.9315:                             ;   in Loop: Header=BB2_9143 Depth=3
	v_bfe_u32 v18, v44, 21, 1
	v_mov_b32_e32 v19, v3
	s_delay_alu instid0(VALU_DEP_1) | instskip(NEXT) | instid1(VALU_DEP_1)
	v_add_nc_u64_e32 v[18:19], v[44:45], v[18:19]
	v_add_nc_u64_e32 v[46:47], -1, v[18:19]
; %bb.9316:                             ;   in Loop: Header=BB2_9143 Depth=3
	s_or_b32 exec_lo, exec_lo, s79
	v_add_nc_u32_e32 v2, 0xffffff81, v57
	v_lshrrev_b32_e32 v18, 23, v44
	s_mov_b32 s14, exec_lo
	s_delay_alu instid0(VALU_DEP_2) | instskip(NEXT) | instid1(VALU_DEP_1)
	v_cndmask_b32_e64 v2, v2, 0xffffff82, vcc_lo
	v_add3_u32 v47, v73, v2, v18
	v_and_b32_e32 v2, 0x1fffff, v46
                                        ; implicit-def: $vgpr46
	s_delay_alu instid0(VALU_DEP_1) | instskip(NEXT) | instid1(VALU_DEP_1)
	v_dual_add_nc_u32 v57, 14, v47 :: v_dual_add_nc_u32 v2, v2, v44
                                        ; implicit-def: $vgpr44_vgpr45
	v_cmpx_ne_u32_e32 0, v57
	s_xor_b32 s14, exec_lo, s14
; %bb.9317:                             ;   in Loop: Header=BB2_9143 Depth=3
	s_delay_alu instid0(VALU_DEP_2) | instskip(SKIP_1) | instid1(VALU_DEP_1)
	v_cmp_lt_u64_e32 vcc_lo, 0xffffff, v[2:3]
	v_add_nc_u32_e32 v18, 15, v47
	v_cndmask_b32_e32 v46, v57, v18, vcc_lo
	v_cndmask_b32_e64 v18, 0, 1, vcc_lo
	s_delay_alu instid0(VALU_DEP_1)
	v_lshrrev_b64 v[44:45], v18, v[2:3]
; %bb.9318:                             ;   in Loop: Header=BB2_9143 Depth=3
	s_and_not1_saveexec_b32 s14, s14
; %bb.9319:                             ;   in Loop: Header=BB2_9143 Depth=3
	v_mov_b64_e32 v[44:45], v[2:3]
	v_bfe_u32 v46, v2, 23, 1
; %bb.9320:                             ;   in Loop: Header=BB2_9143 Depth=3
	s_or_b32 exec_lo, exec_lo, s14
	s_delay_alu instid0(VALU_DEP_2) | instskip(NEXT) | instid1(VALU_DEP_2)
	v_lshrrev_b64 v[18:19], 21, v[44:45]
	v_cmp_gt_i32_e32 vcc_lo, 32, v46
	v_min_i32_e32 v2, 31, v46
	v_cmp_eq_u32_e64 s14, 0, v46
	s_delay_alu instid0(VALU_DEP_2) | instskip(SKIP_1) | instid1(VALU_DEP_2)
	v_dual_cndmask_b32 v19, 0, v19 :: v_dual_lshlrev_b32 v2, 2, v2
	v_cndmask_b32_e32 v18, 3, v18, vcc_lo
	v_and_b32_e32 v2, 0xfc, v2
	s_delay_alu instid0(VALU_DEP_2) | instskip(NEXT) | instid1(VALU_DEP_2)
	v_cmp_eq_u64_e32 vcc_lo, 0, v[18:19]
	v_and_or_b32 v2, v18, 3, v2
	s_and_b32 s14, s14, vcc_lo
	s_delay_alu instid0(VALU_DEP_1) | instid1(SALU_CYCLE_1)
	v_cndmask_b32_e64 v2, v2, 0, s14
	s_delay_alu instid0(VALU_DEP_1)
	v_or_b32_e32 v57, v2, v17
.LBB2_9321:                             ;   in Loop: Header=BB2_9143 Depth=3
	s_or_b32 exec_lo, exec_lo, s78
                                        ; implicit-def: $vgpr17
.LBB2_9322:                             ;   in Loop: Header=BB2_9143 Depth=3
	s_and_not1_saveexec_b32 s14, s77
; %bb.9323:                             ;   in Loop: Header=BB2_9143 Depth=3
	v_or_b32_e32 v57, 0x7b, v17
; %bb.9324:                             ;   in Loop: Header=BB2_9143 Depth=3
	s_or_b32 exec_lo, exec_lo, s14
                                        ; implicit-def: $vgpr44
                                        ; implicit-def: $vgpr17
.LBB2_9325:                             ;   in Loop: Header=BB2_9143 Depth=3
	s_and_not1_saveexec_b32 s14, s76
	s_cbranch_execz .LBB2_9331
; %bb.9326:                             ;   in Loop: Header=BB2_9143 Depth=3
	s_mov_b32 s76, exec_lo
                                        ; implicit-def: $vgpr57
	v_cmpx_ne_u64_e32 0, v[2:3]
	s_xor_b32 s76, exec_lo, s76
; %bb.9327:                             ;   in Loop: Header=BB2_9143 Depth=3
	v_or_b32_e32 v57, 0x7f, v17
                                        ; implicit-def: $vgpr44
; %bb.9328:                             ;   in Loop: Header=BB2_9143 Depth=3
	s_and_not1_saveexec_b32 s76, s76
; %bb.9329:                             ;   in Loop: Header=BB2_9143 Depth=3
	v_cmp_lt_i32_e32 vcc_lo, -1, v44
	v_cndmask_b32_e32 v57, 0xfc, v120, vcc_lo
; %bb.9330:                             ;   in Loop: Header=BB2_9143 Depth=3
	s_or_b32 exec_lo, exec_lo, s76
.LBB2_9331:                             ;   in Loop: Header=BB2_9143 Depth=3
	s_delay_alu instid0(SALU_CYCLE_1) | instskip(SKIP_2) | instid1(VALU_DEP_1)
	s_or_b32 exec_lo, exec_lo, s14
	v_dual_mov_b32 v17, 0 :: v_dual_lshrrev_b32 v2, 16, v9
	s_mov_b32 s14, exec_lo
	v_and_b32_e32 v44, 0xff, v2
	s_delay_alu instid0(VALU_DEP_1)
	v_cmpx_ne_u16_e32 0, v44
	s_cbranch_execz .LBB2_9341
; %bb.9332:                             ;   in Loop: Header=BB2_9143 Depth=3
	v_bfrev_b32_e32 v17, 1
	s_mov_b32 s76, exec_lo
	v_cmpx_ne_u16_e32 0x80, v44
	s_cbranch_execz .LBB2_9340
; %bb.9333:                             ;   in Loop: Header=BB2_9143 Depth=3
	v_and_b32_e32 v17, 0x7c0000, v9
	v_bfe_u32 v44, v9, 16, 2
	s_delay_alu instid0(VALU_DEP_2) | instskip(SKIP_1) | instid1(SALU_CYCLE_1)
	v_cmp_ne_u32_e32 vcc_lo, 0x7c0000, v17
                                        ; implicit-def: $vgpr17
	s_and_saveexec_b32 s77, vcc_lo
	s_xor_b32 s77, exec_lo, s77
	s_cbranch_execz .LBB2_9337
; %bb.9334:                             ;   in Loop: Header=BB2_9143 Depth=3
	v_bfe_u32 v17, v9, 18, 5
	s_mov_b32 s78, exec_lo
	s_delay_alu instid0(VALU_DEP_1)
	v_cmpx_eq_u32_e32 0, v17
; %bb.9335:                             ;   in Loop: Header=BB2_9143 Depth=3
	v_clz_i32_u32_e32 v17, v44
	s_delay_alu instid0(VALU_DEP_1) | instskip(NEXT) | instid1(VALU_DEP_1)
	v_min_u32_e32 v17, 32, v17
	v_subrev_nc_u32_e32 v18, 29, v17
	s_delay_alu instid0(VALU_DEP_1) | instskip(NEXT) | instid1(VALU_DEP_1)
	v_lshlrev_b64_e32 v[18:19], v18, v[2:3]
	v_dual_sub_nc_u32 v17, 30, v17 :: v_dual_bitop2_b32 v44, 3, v18 bitop3:0x40
; %bb.9336:                             ;   in Loop: Header=BB2_9143 Depth=3
	s_or_b32 exec_lo, exec_lo, s78
	v_lshlrev_b32_e32 v2, 24, v2
	s_delay_alu instid0(VALU_DEP_1) | instskip(NEXT) | instid1(VALU_DEP_1)
	v_and_b32_e32 v2, 0x80000000, v2
	v_lshl_add_u32 v2, v17, 23, v2
	s_delay_alu instid0(VALU_DEP_1) | instskip(NEXT) | instid1(VALU_DEP_1)
	v_lshl_or_b32 v2, v44, 21, v2
                                        ; implicit-def: $vgpr44
	v_add_nc_u32_e32 v17, 0x38000000, v2
                                        ; implicit-def: $vgpr2
.LBB2_9337:                             ;   in Loop: Header=BB2_9143 Depth=3
	s_and_not1_saveexec_b32 s77, s77
; %bb.9338:                             ;   in Loop: Header=BB2_9143 Depth=3
	v_bfe_i32 v2, v2, 0, 8
	s_delay_alu instid0(VALU_DEP_1) | instskip(SKIP_2) | instid1(VALU_DEP_2)
	v_cmp_lt_i16_e32 vcc_lo, -1, v2
	v_cndmask_b32_e32 v2, 0xff800000, v111, vcc_lo
	v_cmp_eq_u32_e32 vcc_lo, 0, v44
	v_cndmask_b32_e32 v17, 0x7f800001, v2, vcc_lo
; %bb.9339:                             ;   in Loop: Header=BB2_9143 Depth=3
	s_or_b32 exec_lo, exec_lo, s77
.LBB2_9340:                             ;   in Loop: Header=BB2_9143 Depth=3
	s_delay_alu instid0(SALU_CYCLE_1)
	s_or_b32 exec_lo, exec_lo, s76
.LBB2_9341:                             ;   in Loop: Header=BB2_9143 Depth=3
	s_delay_alu instid0(SALU_CYCLE_1) | instskip(NEXT) | instid1(VALU_DEP_1)
	s_or_b32 exec_lo, exec_lo, s14
	v_dual_mul_f32 v44, s75, v17 :: v_dual_mov_b32 v19, v3
                                        ; implicit-def: $vgpr90
	s_mov_b32 s14, exec_lo
	s_delay_alu instid0(VALU_DEP_1) | instskip(SKIP_2) | instid1(VALU_DEP_3)
	v_and_b32_e32 v18, 0x7f800000, v44
	v_and_b32_e32 v2, 0x7fffff, v44
	v_lshrrev_b32_e32 v17, 24, v44
	v_cmpx_ne_u64_e32 0x7f800000, v[18:19]
	s_xor_b32 s76, exec_lo, s14
	s_cbranch_execz .LBB2_9355
; %bb.9342:                             ;   in Loop: Header=BB2_9143 Depth=3
	v_and_b32_e32 v18, 0x7fffffff, v44
	v_mov_b32_e32 v19, v3
	v_and_b32_e32 v17, 0x80, v17
                                        ; implicit-def: $vgpr90
	s_mov_b32 s14, exec_lo
	s_delay_alu instid0(VALU_DEP_2)
	v_cmpx_gt_u64_e32 0x47600001, v[18:19]
	s_xor_b32 s77, exec_lo, s14
	s_cbranch_execz .LBB2_9352
; %bb.9343:                             ;   in Loop: Header=BB2_9143 Depth=3
	v_mov_b32_e32 v90, 0
	s_mov_b32 s78, exec_lo
	v_cmpx_ne_u32_e32 0, v44
	s_cbranch_execz .LBB2_9351
; %bb.9344:                             ;   in Loop: Header=BB2_9143 Depth=3
	v_bfe_u32 v73, v44, 23, 8
	v_or_b32_e32 v44, 0x800000, v2
	s_delay_alu instid0(VALU_DEP_2) | instskip(SKIP_1) | instid1(VALU_DEP_2)
	v_dual_mov_b32 v45, v3 :: v_dual_sub_nc_u32 v18, 0x71, v73
	v_cmp_gt_u32_e32 vcc_lo, 0x72, v73
	v_cndmask_b32_e32 v18, 0, v18, vcc_lo
	v_cmp_eq_u32_e32 vcc_lo, 0, v73
	s_delay_alu instid0(VALU_DEP_2) | instskip(SKIP_1) | instid1(VALU_DEP_2)
	v_cndmask_b32_e64 v74, v18, 0x70, vcc_lo
	v_cndmask_b32_e32 v44, v44, v2, vcc_lo
	v_dual_add_nc_u32 v18, 21, v74 :: v_dual_add_nc_u32 v46, 20, v74
	s_delay_alu instid0(VALU_DEP_1) | instskip(NEXT) | instid1(VALU_DEP_2)
	v_lshlrev_b64_e64 v[18:19], v18, -1
	v_lshlrev_b64_e64 v[46:47], v46, 1
	s_delay_alu instid0(VALU_DEP_2) | instskip(SKIP_1) | instid1(VALU_DEP_4)
	v_bfi_b32 v18, v18, 0, v44
	v_lshrrev_b64 v[44:45], v74, v[44:45]
	v_bfi_b32 v19, v19, 0, 0
	s_delay_alu instid0(VALU_DEP_1) | instskip(NEXT) | instid1(VALU_DEP_3)
	v_cmp_eq_u64_e64 s14, v[18:19], v[46:47]
	v_mov_b64_e32 v[46:47], v[44:45]
	s_and_saveexec_b32 s79, s14
; %bb.9345:                             ;   in Loop: Header=BB2_9143 Depth=3
	v_bfe_u32 v18, v44, 21, 1
	v_mov_b32_e32 v19, v3
	s_delay_alu instid0(VALU_DEP_1) | instskip(NEXT) | instid1(VALU_DEP_1)
	v_add_nc_u64_e32 v[18:19], v[44:45], v[18:19]
	v_add_nc_u64_e32 v[46:47], -1, v[18:19]
; %bb.9346:                             ;   in Loop: Header=BB2_9143 Depth=3
	s_or_b32 exec_lo, exec_lo, s79
	v_add_nc_u32_e32 v2, 0xffffff81, v73
	v_lshrrev_b32_e32 v18, 23, v44
	s_mov_b32 s14, exec_lo
	s_delay_alu instid0(VALU_DEP_2) | instskip(NEXT) | instid1(VALU_DEP_1)
	v_cndmask_b32_e64 v2, v2, 0xffffff82, vcc_lo
	v_add3_u32 v47, v74, v2, v18
	v_and_b32_e32 v2, 0x1fffff, v46
                                        ; implicit-def: $vgpr46
	s_delay_alu instid0(VALU_DEP_1) | instskip(NEXT) | instid1(VALU_DEP_1)
	v_dual_add_nc_u32 v73, 14, v47 :: v_dual_add_nc_u32 v2, v2, v44
                                        ; implicit-def: $vgpr44_vgpr45
	v_cmpx_ne_u32_e32 0, v73
	s_xor_b32 s14, exec_lo, s14
; %bb.9347:                             ;   in Loop: Header=BB2_9143 Depth=3
	s_delay_alu instid0(VALU_DEP_2) | instskip(SKIP_1) | instid1(VALU_DEP_1)
	v_cmp_lt_u64_e32 vcc_lo, 0xffffff, v[2:3]
	v_add_nc_u32_e32 v18, 15, v47
	v_cndmask_b32_e32 v46, v73, v18, vcc_lo
	v_cndmask_b32_e64 v18, 0, 1, vcc_lo
	s_delay_alu instid0(VALU_DEP_1)
	v_lshrrev_b64 v[44:45], v18, v[2:3]
; %bb.9348:                             ;   in Loop: Header=BB2_9143 Depth=3
	s_and_not1_saveexec_b32 s14, s14
; %bb.9349:                             ;   in Loop: Header=BB2_9143 Depth=3
	v_mov_b64_e32 v[44:45], v[2:3]
	v_bfe_u32 v46, v2, 23, 1
; %bb.9350:                             ;   in Loop: Header=BB2_9143 Depth=3
	s_or_b32 exec_lo, exec_lo, s14
	s_delay_alu instid0(VALU_DEP_2) | instskip(NEXT) | instid1(VALU_DEP_2)
	v_lshrrev_b64 v[18:19], 21, v[44:45]
	v_cmp_gt_i32_e32 vcc_lo, 32, v46
	v_min_i32_e32 v2, 31, v46
	v_cmp_eq_u32_e64 s14, 0, v46
	s_delay_alu instid0(VALU_DEP_2) | instskip(SKIP_1) | instid1(VALU_DEP_2)
	v_dual_cndmask_b32 v19, 0, v19 :: v_dual_lshlrev_b32 v2, 2, v2
	v_cndmask_b32_e32 v18, 3, v18, vcc_lo
	v_and_b32_e32 v2, 0xfc, v2
	s_delay_alu instid0(VALU_DEP_2) | instskip(NEXT) | instid1(VALU_DEP_2)
	v_cmp_eq_u64_e32 vcc_lo, 0, v[18:19]
	v_and_or_b32 v2, v18, 3, v2
	s_and_b32 s14, s14, vcc_lo
	s_delay_alu instid0(VALU_DEP_1) | instid1(SALU_CYCLE_1)
	v_cndmask_b32_e64 v2, v2, 0, s14
	s_delay_alu instid0(VALU_DEP_1)
	v_or_b32_e32 v90, v2, v17
.LBB2_9351:                             ;   in Loop: Header=BB2_9143 Depth=3
	s_or_b32 exec_lo, exec_lo, s78
                                        ; implicit-def: $vgpr17
.LBB2_9352:                             ;   in Loop: Header=BB2_9143 Depth=3
	s_and_not1_saveexec_b32 s14, s77
; %bb.9353:                             ;   in Loop: Header=BB2_9143 Depth=3
	v_or_b32_e32 v90, 0x7b, v17
; %bb.9354:                             ;   in Loop: Header=BB2_9143 Depth=3
	s_or_b32 exec_lo, exec_lo, s14
                                        ; implicit-def: $vgpr44
                                        ; implicit-def: $vgpr17
.LBB2_9355:                             ;   in Loop: Header=BB2_9143 Depth=3
	s_and_not1_saveexec_b32 s14, s76
	s_cbranch_execz .LBB2_9361
; %bb.9356:                             ;   in Loop: Header=BB2_9143 Depth=3
	s_mov_b32 s76, exec_lo
                                        ; implicit-def: $vgpr90
	v_cmpx_ne_u64_e32 0, v[2:3]
	s_xor_b32 s76, exec_lo, s76
; %bb.9357:                             ;   in Loop: Header=BB2_9143 Depth=3
	v_or_b32_e32 v90, 0x7f, v17
                                        ; implicit-def: $vgpr44
; %bb.9358:                             ;   in Loop: Header=BB2_9143 Depth=3
	s_and_not1_saveexec_b32 s76, s76
; %bb.9359:                             ;   in Loop: Header=BB2_9143 Depth=3
	v_cmp_lt_i32_e32 vcc_lo, -1, v44
	v_cndmask_b32_e32 v90, 0xfc, v120, vcc_lo
; %bb.9360:                             ;   in Loop: Header=BB2_9143 Depth=3
	s_or_b32 exec_lo, exec_lo, s76
.LBB2_9361:                             ;   in Loop: Header=BB2_9143 Depth=3
	s_delay_alu instid0(SALU_CYCLE_1)
	s_or_b32 exec_lo, exec_lo, s14
	v_mov_b32_e32 v17, 0
	s_mov_b32 s14, exec_lo
	v_cmpx_lt_u64_e64 s[22:23], v[8:9]
	s_cbranch_execz .LBB2_9371
; %bb.9362:                             ;   in Loop: Header=BB2_9143 Depth=3
	v_lshrrev_b32_e32 v2, 24, v9
	v_bfrev_b32_e32 v17, 1
	s_mov_b32 s76, exec_lo
	s_delay_alu instid0(VALU_DEP_2)
	v_cmpx_ne_u32_e32 0x80, v2
	s_cbranch_execz .LBB2_9370
; %bb.9363:                             ;   in Loop: Header=BB2_9143 Depth=3
	v_and_b32_e32 v17, 0x7c000000, v9
	v_bfe_u32 v44, v9, 24, 2
	s_delay_alu instid0(VALU_DEP_2) | instskip(SKIP_1) | instid1(SALU_CYCLE_1)
	v_cmp_ne_u32_e32 vcc_lo, 0x7c000000, v17
                                        ; implicit-def: $vgpr17
	s_and_saveexec_b32 s77, vcc_lo
	s_xor_b32 s77, exec_lo, s77
	s_cbranch_execz .LBB2_9367
; %bb.9364:                             ;   in Loop: Header=BB2_9143 Depth=3
	v_bfe_u32 v17, v9, 26, 5
	s_mov_b32 s78, exec_lo
	s_delay_alu instid0(VALU_DEP_1)
	v_cmpx_eq_u32_e32 0, v17
; %bb.9365:                             ;   in Loop: Header=BB2_9143 Depth=3
	v_clz_i32_u32_e32 v17, v44
	s_delay_alu instid0(VALU_DEP_1) | instskip(NEXT) | instid1(VALU_DEP_1)
	v_min_u32_e32 v17, 32, v17
	v_subrev_nc_u32_e32 v18, 29, v17
	s_delay_alu instid0(VALU_DEP_1) | instskip(NEXT) | instid1(VALU_DEP_1)
	v_lshlrev_b64_e32 v[18:19], v18, v[2:3]
	v_dual_sub_nc_u32 v17, 30, v17 :: v_dual_bitop2_b32 v44, 3, v18 bitop3:0x40
; %bb.9366:                             ;   in Loop: Header=BB2_9143 Depth=3
	s_or_b32 exec_lo, exec_lo, s78
	v_and_b32_e32 v2, 0x80000000, v9
	s_delay_alu instid0(VALU_DEP_1) | instskip(NEXT) | instid1(VALU_DEP_1)
	v_lshl_add_u32 v2, v17, 23, v2
	v_lshl_or_b32 v2, v44, 21, v2
                                        ; implicit-def: $vgpr44
	s_delay_alu instid0(VALU_DEP_1)
	v_add_nc_u32_e32 v17, 0x38000000, v2
.LBB2_9367:                             ;   in Loop: Header=BB2_9143 Depth=3
	s_and_not1_saveexec_b32 s77, s77
; %bb.9368:                             ;   in Loop: Header=BB2_9143 Depth=3
	v_cmp_lt_i64_e32 vcc_lo, -1, v[8:9]
	v_cndmask_b32_e32 v2, 0xff800000, v111, vcc_lo
	v_cmp_eq_u32_e32 vcc_lo, 0, v44
	s_delay_alu instid0(VALU_DEP_2)
	v_cndmask_b32_e32 v17, 0x7f800001, v2, vcc_lo
; %bb.9369:                             ;   in Loop: Header=BB2_9143 Depth=3
	s_or_b32 exec_lo, exec_lo, s77
.LBB2_9370:                             ;   in Loop: Header=BB2_9143 Depth=3
	s_delay_alu instid0(SALU_CYCLE_1)
	s_or_b32 exec_lo, exec_lo, s76
.LBB2_9371:                             ;   in Loop: Header=BB2_9143 Depth=3
	s_delay_alu instid0(SALU_CYCLE_1) | instskip(NEXT) | instid1(VALU_DEP_1)
	s_or_b32 exec_lo, exec_lo, s14
	v_dual_mul_f32 v8, s75, v17 :: v_dual_mov_b32 v19, v3
                                        ; implicit-def: $vgpr91
	s_mov_b32 s14, exec_lo
	s_delay_alu instid0(VALU_DEP_1) | instskip(SKIP_2) | instid1(VALU_DEP_3)
	v_and_b32_e32 v18, 0x7f800000, v8
	v_and_b32_e32 v2, 0x7fffff, v8
	v_lshrrev_b32_e32 v9, 24, v8
	v_cmpx_ne_u64_e32 0x7f800000, v[18:19]
	s_xor_b32 s76, exec_lo, s14
	s_cbranch_execz .LBB2_9385
; %bb.9372:                             ;   in Loop: Header=BB2_9143 Depth=3
	v_and_b32_e32 v18, 0x7fffffff, v8
	v_mov_b32_e32 v19, v3
	v_and_b32_e32 v17, 0x80, v9
                                        ; implicit-def: $vgpr91
	s_mov_b32 s14, exec_lo
	s_delay_alu instid0(VALU_DEP_2)
	v_cmpx_gt_u64_e32 0x47600001, v[18:19]
	s_xor_b32 s77, exec_lo, s14
	s_cbranch_execz .LBB2_9382
; %bb.9373:                             ;   in Loop: Header=BB2_9143 Depth=3
	v_mov_b32_e32 v91, 0
	s_mov_b32 s78, exec_lo
	v_cmpx_ne_u32_e32 0, v8
	s_cbranch_execz .LBB2_9381
; %bb.9374:                             ;   in Loop: Header=BB2_9143 Depth=3
	v_bfe_u32 v46, v8, 23, 8
	v_or_b32_e32 v18, 0x800000, v2
	s_delay_alu instid0(VALU_DEP_2) | instskip(SKIP_1) | instid1(VALU_DEP_2)
	v_dual_mov_b32 v19, v3 :: v_dual_sub_nc_u32 v8, 0x71, v46
	v_cmp_gt_u32_e32 vcc_lo, 0x72, v46
	v_cndmask_b32_e32 v8, 0, v8, vcc_lo
	v_cmp_eq_u32_e32 vcc_lo, 0, v46
	s_delay_alu instid0(VALU_DEP_2) | instskip(NEXT) | instid1(VALU_DEP_1)
	v_cndmask_b32_e64 v47, v8, 0x70, vcc_lo
	v_dual_cndmask_b32 v18, v18, v2, vcc_lo :: v_dual_add_nc_u32 v8, 21, v47
	v_add_nc_u32_e32 v44, 20, v47
	s_delay_alu instid0(VALU_DEP_2) | instskip(NEXT) | instid1(VALU_DEP_2)
	v_lshlrev_b64_e64 v[8:9], v8, -1
	v_lshlrev_b64_e64 v[44:45], v44, 1
	s_delay_alu instid0(VALU_DEP_2) | instskip(NEXT) | instid1(VALU_DEP_3)
	v_bfi_b32 v77, v9, 0, 0
	v_bfi_b32 v76, v8, 0, v18
	v_lshrrev_b64 v[8:9], v47, v[18:19]
	s_delay_alu instid0(VALU_DEP_2) | instskip(NEXT) | instid1(VALU_DEP_2)
	v_cmp_eq_u64_e64 s14, v[76:77], v[44:45]
	v_mov_b64_e32 v[44:45], v[8:9]
	s_and_saveexec_b32 s79, s14
; %bb.9375:                             ;   in Loop: Header=BB2_9143 Depth=3
	v_bfe_u32 v18, v8, 21, 1
	v_mov_b32_e32 v19, v3
	s_delay_alu instid0(VALU_DEP_1) | instskip(NEXT) | instid1(VALU_DEP_1)
	v_add_nc_u64_e32 v[18:19], v[8:9], v[18:19]
	v_add_nc_u64_e32 v[44:45], -1, v[18:19]
; %bb.9376:                             ;   in Loop: Header=BB2_9143 Depth=3
	s_or_b32 exec_lo, exec_lo, s79
	v_add_nc_u32_e32 v2, 0xffffff81, v46
	v_lshrrev_b32_e32 v9, 23, v8
	s_mov_b32 s14, exec_lo
	s_delay_alu instid0(VALU_DEP_2) | instskip(NEXT) | instid1(VALU_DEP_1)
	v_cndmask_b32_e64 v2, v2, 0xffffff82, vcc_lo
	v_add3_u32 v45, v47, v2, v9
	v_and_b32_e32 v2, 0x1fffff, v44
                                        ; implicit-def: $vgpr44
	s_delay_alu instid0(VALU_DEP_1) | instskip(NEXT) | instid1(VALU_DEP_1)
	v_dual_add_nc_u32 v46, 14, v45 :: v_dual_add_nc_u32 v2, v2, v8
                                        ; implicit-def: $vgpr8_vgpr9
	v_cmpx_ne_u32_e32 0, v46
	s_xor_b32 s14, exec_lo, s14
; %bb.9377:                             ;   in Loop: Header=BB2_9143 Depth=3
	s_delay_alu instid0(VALU_DEP_2) | instskip(SKIP_1) | instid1(VALU_DEP_1)
	v_cmp_lt_u64_e32 vcc_lo, 0xffffff, v[2:3]
	v_add_nc_u32_e32 v8, 15, v45
	v_cndmask_b32_e32 v44, v46, v8, vcc_lo
	v_cndmask_b32_e64 v8, 0, 1, vcc_lo
	s_delay_alu instid0(VALU_DEP_1)
	v_lshrrev_b64 v[8:9], v8, v[2:3]
; %bb.9378:                             ;   in Loop: Header=BB2_9143 Depth=3
	s_and_not1_saveexec_b32 s14, s14
; %bb.9379:                             ;   in Loop: Header=BB2_9143 Depth=3
	v_mov_b64_e32 v[8:9], v[2:3]
	v_bfe_u32 v44, v2, 23, 1
; %bb.9380:                             ;   in Loop: Header=BB2_9143 Depth=3
	s_or_b32 exec_lo, exec_lo, s14
	s_delay_alu instid0(VALU_DEP_2) | instskip(NEXT) | instid1(VALU_DEP_2)
	v_lshrrev_b64 v[8:9], 21, v[8:9]
	v_cmp_gt_i32_e32 vcc_lo, 32, v44
	v_min_i32_e32 v2, 31, v44
	v_cmp_eq_u32_e64 s14, 0, v44
	s_delay_alu instid0(VALU_DEP_2) | instskip(SKIP_1) | instid1(VALU_DEP_2)
	v_dual_cndmask_b32 v9, 0, v9 :: v_dual_lshlrev_b32 v2, 2, v2
	v_cndmask_b32_e32 v8, 3, v8, vcc_lo
	v_and_b32_e32 v2, 0xfc, v2
	s_delay_alu instid0(VALU_DEP_2) | instskip(NEXT) | instid1(VALU_DEP_2)
	v_cmp_eq_u64_e32 vcc_lo, 0, v[8:9]
	v_and_or_b32 v2, v8, 3, v2
	s_and_b32 s14, s14, vcc_lo
	s_delay_alu instid0(VALU_DEP_1) | instid1(SALU_CYCLE_1)
	v_cndmask_b32_e64 v2, v2, 0, s14
	s_delay_alu instid0(VALU_DEP_1)
	v_or_b32_e32 v91, v2, v17
.LBB2_9381:                             ;   in Loop: Header=BB2_9143 Depth=3
	s_or_b32 exec_lo, exec_lo, s78
                                        ; implicit-def: $vgpr17
.LBB2_9382:                             ;   in Loop: Header=BB2_9143 Depth=3
	s_and_not1_saveexec_b32 s14, s77
; %bb.9383:                             ;   in Loop: Header=BB2_9143 Depth=3
	v_or_b32_e32 v91, 0x7b, v17
; %bb.9384:                             ;   in Loop: Header=BB2_9143 Depth=3
	s_or_b32 exec_lo, exec_lo, s14
                                        ; implicit-def: $vgpr8
                                        ; implicit-def: $vgpr9
.LBB2_9385:                             ;   in Loop: Header=BB2_9143 Depth=3
	s_and_not1_saveexec_b32 s14, s76
	s_cbranch_execz .LBB2_9391
; %bb.9386:                             ;   in Loop: Header=BB2_9143 Depth=3
	s_mov_b32 s76, exec_lo
                                        ; implicit-def: $vgpr91
	v_cmpx_ne_u64_e32 0, v[2:3]
	s_xor_b32 s76, exec_lo, s76
; %bb.9387:                             ;   in Loop: Header=BB2_9143 Depth=3
	v_or_b32_e32 v91, 0x7f, v9
                                        ; implicit-def: $vgpr8
; %bb.9388:                             ;   in Loop: Header=BB2_9143 Depth=3
	s_and_not1_saveexec_b32 s76, s76
; %bb.9389:                             ;   in Loop: Header=BB2_9143 Depth=3
	v_cmp_lt_i32_e32 vcc_lo, -1, v8
	v_cndmask_b32_e32 v91, 0xfc, v120, vcc_lo
; %bb.9390:                             ;   in Loop: Header=BB2_9143 Depth=3
	s_or_b32 exec_lo, exec_lo, s76
.LBB2_9391:                             ;   in Loop: Header=BB2_9143 Depth=3
	s_delay_alu instid0(SALU_CYCLE_1) | instskip(SKIP_1) | instid1(VALU_DEP_1)
	s_or_b32 exec_lo, exec_lo, s14
	v_and_b32_e32 v2, 0xff, v10
	v_cmp_ne_u16_e32 vcc_lo, 0, v2
	v_mov_b32_e32 v2, 0
	s_and_saveexec_b32 s14, vcc_lo
	s_cbranch_execz .LBB2_9401
; %bb.9392:                             ;   in Loop: Header=BB2_9143 Depth=3
	v_bfe_i32 v9, v10, 0, 8
	v_bfrev_b32_e32 v2, 1
	s_mov_b32 s76, exec_lo
	s_delay_alu instid0(VALU_DEP_2)
	v_cmpx_ne_u16_e32 0xff80, v9
	s_cbranch_execz .LBB2_9400
; %bb.9393:                             ;   in Loop: Header=BB2_9143 Depth=3
	v_and_b32_e32 v2, 0x7c, v10
	v_and_b32_e32 v8, 3, v10
	s_delay_alu instid0(VALU_DEP_2) | instskip(SKIP_1) | instid1(SALU_CYCLE_1)
	v_cmp_ne_u32_e32 vcc_lo, 0x7c, v2
                                        ; implicit-def: $vgpr2
	s_and_saveexec_b32 s77, vcc_lo
	s_xor_b32 s77, exec_lo, s77
	s_cbranch_execz .LBB2_9397
; %bb.9394:                             ;   in Loop: Header=BB2_9143 Depth=3
	v_bfe_u32 v2, v10, 2, 5
	s_mov_b32 s78, exec_lo
	s_delay_alu instid0(VALU_DEP_1)
	v_cmpx_eq_u32_e32 0, v2
; %bb.9395:                             ;   in Loop: Header=BB2_9143 Depth=3
	v_clz_i32_u32_e32 v2, v8
	s_delay_alu instid0(VALU_DEP_1) | instskip(NEXT) | instid1(VALU_DEP_1)
	v_min_u32_e32 v2, 32, v2
	v_subrev_nc_u32_e32 v8, 29, v2
	s_delay_alu instid0(VALU_DEP_1) | instskip(NEXT) | instid1(VALU_DEP_1)
	v_lshlrev_b64_e32 v[8:9], v8, v[10:11]
	v_dual_sub_nc_u32 v2, 30, v2 :: v_dual_bitop2_b32 v8, 3, v8 bitop3:0x40
; %bb.9396:                             ;   in Loop: Header=BB2_9143 Depth=3
	s_or_b32 exec_lo, exec_lo, s78
	v_lshlrev_b32_e32 v9, 24, v10
	s_delay_alu instid0(VALU_DEP_1) | instskip(NEXT) | instid1(VALU_DEP_1)
	v_and_b32_e32 v9, 0x80000000, v9
	v_lshl_add_u32 v2, v2, 23, v9
                                        ; implicit-def: $vgpr9
	s_delay_alu instid0(VALU_DEP_1) | instskip(NEXT) | instid1(VALU_DEP_1)
	v_lshl_or_b32 v2, v8, 21, v2
                                        ; implicit-def: $vgpr8
	v_add_nc_u32_e32 v2, 0x38000000, v2
.LBB2_9397:                             ;   in Loop: Header=BB2_9143 Depth=3
	s_and_not1_saveexec_b32 s77, s77
; %bb.9398:                             ;   in Loop: Header=BB2_9143 Depth=3
	v_cmp_lt_i16_e32 vcc_lo, -1, v9
	v_cndmask_b32_e32 v2, 0xff800000, v111, vcc_lo
	v_cmp_eq_u32_e32 vcc_lo, 0, v8
	s_delay_alu instid0(VALU_DEP_2)
	v_cndmask_b32_e32 v2, 0x7f800001, v2, vcc_lo
; %bb.9399:                             ;   in Loop: Header=BB2_9143 Depth=3
	s_or_b32 exec_lo, exec_lo, s77
.LBB2_9400:                             ;   in Loop: Header=BB2_9143 Depth=3
	s_delay_alu instid0(SALU_CYCLE_1)
	s_or_b32 exec_lo, exec_lo, s76
.LBB2_9401:                             ;   in Loop: Header=BB2_9143 Depth=3
	s_delay_alu instid0(SALU_CYCLE_1) | instskip(NEXT) | instid1(VALU_DEP_1)
	s_or_b32 exec_lo, exec_lo, s14
	v_dual_mul_f32 v8, s75, v2 :: v_dual_mov_b32 v19, v3
                                        ; implicit-def: $vgpr73
	s_mov_b32 s14, exec_lo
	s_delay_alu instid0(VALU_DEP_1) | instskip(SKIP_2) | instid1(VALU_DEP_3)
	v_and_b32_e32 v18, 0x7f800000, v8
	v_and_b32_e32 v2, 0x7fffff, v8
	v_lshrrev_b32_e32 v9, 24, v8
	v_cmpx_ne_u64_e32 0x7f800000, v[18:19]
	s_xor_b32 s76, exec_lo, s14
	s_cbranch_execz .LBB2_9415
; %bb.9402:                             ;   in Loop: Header=BB2_9143 Depth=3
	v_and_b32_e32 v18, 0x7fffffff, v8
	v_mov_b32_e32 v19, v3
	v_and_b32_e32 v17, 0x80, v9
                                        ; implicit-def: $vgpr73
	s_mov_b32 s14, exec_lo
	s_delay_alu instid0(VALU_DEP_2)
	v_cmpx_gt_u64_e32 0x47600001, v[18:19]
	s_xor_b32 s77, exec_lo, s14
	s_cbranch_execz .LBB2_9412
; %bb.9403:                             ;   in Loop: Header=BB2_9143 Depth=3
	v_mov_b32_e32 v73, 0
	s_mov_b32 s78, exec_lo
	v_cmpx_ne_u32_e32 0, v8
	s_cbranch_execz .LBB2_9411
; %bb.9404:                             ;   in Loop: Header=BB2_9143 Depth=3
	v_bfe_u32 v46, v8, 23, 8
	v_or_b32_e32 v18, 0x800000, v2
	s_delay_alu instid0(VALU_DEP_2) | instskip(SKIP_1) | instid1(VALU_DEP_2)
	v_dual_mov_b32 v19, v3 :: v_dual_sub_nc_u32 v8, 0x71, v46
	v_cmp_gt_u32_e32 vcc_lo, 0x72, v46
	v_cndmask_b32_e32 v8, 0, v8, vcc_lo
	v_cmp_eq_u32_e32 vcc_lo, 0, v46
	s_delay_alu instid0(VALU_DEP_2) | instskip(NEXT) | instid1(VALU_DEP_1)
	v_cndmask_b32_e64 v47, v8, 0x70, vcc_lo
	v_dual_cndmask_b32 v18, v18, v2, vcc_lo :: v_dual_add_nc_u32 v8, 21, v47
	v_add_nc_u32_e32 v44, 20, v47
	s_delay_alu instid0(VALU_DEP_2) | instskip(NEXT) | instid1(VALU_DEP_2)
	v_lshlrev_b64_e64 v[8:9], v8, -1
	v_lshlrev_b64_e64 v[44:45], v44, 1
	s_delay_alu instid0(VALU_DEP_2) | instskip(NEXT) | instid1(VALU_DEP_3)
	v_bfi_b32 v77, v9, 0, 0
	v_bfi_b32 v76, v8, 0, v18
	v_lshrrev_b64 v[8:9], v47, v[18:19]
	s_delay_alu instid0(VALU_DEP_2) | instskip(NEXT) | instid1(VALU_DEP_2)
	v_cmp_eq_u64_e64 s14, v[76:77], v[44:45]
	v_mov_b64_e32 v[44:45], v[8:9]
	s_and_saveexec_b32 s79, s14
; %bb.9405:                             ;   in Loop: Header=BB2_9143 Depth=3
	v_bfe_u32 v18, v8, 21, 1
	v_mov_b32_e32 v19, v3
	s_delay_alu instid0(VALU_DEP_1) | instskip(NEXT) | instid1(VALU_DEP_1)
	v_add_nc_u64_e32 v[18:19], v[8:9], v[18:19]
	v_add_nc_u64_e32 v[44:45], -1, v[18:19]
; %bb.9406:                             ;   in Loop: Header=BB2_9143 Depth=3
	s_or_b32 exec_lo, exec_lo, s79
	v_add_nc_u32_e32 v2, 0xffffff81, v46
	v_lshrrev_b32_e32 v9, 23, v8
	s_mov_b32 s14, exec_lo
	s_delay_alu instid0(VALU_DEP_2) | instskip(NEXT) | instid1(VALU_DEP_1)
	v_cndmask_b32_e64 v2, v2, 0xffffff82, vcc_lo
	v_add3_u32 v45, v47, v2, v9
	v_and_b32_e32 v2, 0x1fffff, v44
                                        ; implicit-def: $vgpr44
	s_delay_alu instid0(VALU_DEP_1) | instskip(NEXT) | instid1(VALU_DEP_1)
	v_dual_add_nc_u32 v46, 14, v45 :: v_dual_add_nc_u32 v2, v2, v8
                                        ; implicit-def: $vgpr8_vgpr9
	v_cmpx_ne_u32_e32 0, v46
	s_xor_b32 s14, exec_lo, s14
; %bb.9407:                             ;   in Loop: Header=BB2_9143 Depth=3
	s_delay_alu instid0(VALU_DEP_2) | instskip(SKIP_1) | instid1(VALU_DEP_1)
	v_cmp_lt_u64_e32 vcc_lo, 0xffffff, v[2:3]
	v_add_nc_u32_e32 v8, 15, v45
	v_cndmask_b32_e32 v44, v46, v8, vcc_lo
	v_cndmask_b32_e64 v8, 0, 1, vcc_lo
	s_delay_alu instid0(VALU_DEP_1)
	v_lshrrev_b64 v[8:9], v8, v[2:3]
; %bb.9408:                             ;   in Loop: Header=BB2_9143 Depth=3
	s_and_not1_saveexec_b32 s14, s14
; %bb.9409:                             ;   in Loop: Header=BB2_9143 Depth=3
	v_mov_b64_e32 v[8:9], v[2:3]
	v_bfe_u32 v44, v2, 23, 1
; %bb.9410:                             ;   in Loop: Header=BB2_9143 Depth=3
	s_or_b32 exec_lo, exec_lo, s14
	s_delay_alu instid0(VALU_DEP_2) | instskip(NEXT) | instid1(VALU_DEP_2)
	v_lshrrev_b64 v[8:9], 21, v[8:9]
	v_cmp_gt_i32_e32 vcc_lo, 32, v44
	v_min_i32_e32 v2, 31, v44
	v_cmp_eq_u32_e64 s14, 0, v44
	s_delay_alu instid0(VALU_DEP_2) | instskip(SKIP_1) | instid1(VALU_DEP_2)
	v_dual_cndmask_b32 v9, 0, v9 :: v_dual_lshlrev_b32 v2, 2, v2
	v_cndmask_b32_e32 v8, 3, v8, vcc_lo
	v_and_b32_e32 v2, 0xfc, v2
	s_delay_alu instid0(VALU_DEP_2) | instskip(NEXT) | instid1(VALU_DEP_2)
	v_cmp_eq_u64_e32 vcc_lo, 0, v[8:9]
	v_and_or_b32 v2, v8, 3, v2
	s_and_b32 s14, s14, vcc_lo
	s_delay_alu instid0(VALU_DEP_1) | instid1(SALU_CYCLE_1)
	v_cndmask_b32_e64 v2, v2, 0, s14
	s_delay_alu instid0(VALU_DEP_1)
	v_or_b32_e32 v73, v2, v17
.LBB2_9411:                             ;   in Loop: Header=BB2_9143 Depth=3
	s_or_b32 exec_lo, exec_lo, s78
                                        ; implicit-def: $vgpr17
.LBB2_9412:                             ;   in Loop: Header=BB2_9143 Depth=3
	s_and_not1_saveexec_b32 s14, s77
; %bb.9413:                             ;   in Loop: Header=BB2_9143 Depth=3
	v_or_b32_e32 v73, 0x7b, v17
; %bb.9414:                             ;   in Loop: Header=BB2_9143 Depth=3
	s_or_b32 exec_lo, exec_lo, s14
                                        ; implicit-def: $vgpr8
                                        ; implicit-def: $vgpr9
.LBB2_9415:                             ;   in Loop: Header=BB2_9143 Depth=3
	s_and_not1_saveexec_b32 s14, s76
	s_cbranch_execz .LBB2_9421
; %bb.9416:                             ;   in Loop: Header=BB2_9143 Depth=3
	s_mov_b32 s76, exec_lo
                                        ; implicit-def: $vgpr73
	v_cmpx_ne_u64_e32 0, v[2:3]
	s_xor_b32 s76, exec_lo, s76
; %bb.9417:                             ;   in Loop: Header=BB2_9143 Depth=3
	v_or_b32_e32 v73, 0x7f, v9
                                        ; implicit-def: $vgpr8
; %bb.9418:                             ;   in Loop: Header=BB2_9143 Depth=3
	s_and_not1_saveexec_b32 s76, s76
; %bb.9419:                             ;   in Loop: Header=BB2_9143 Depth=3
	v_cmp_lt_i32_e32 vcc_lo, -1, v8
	v_cndmask_b32_e32 v73, 0xfc, v120, vcc_lo
; %bb.9420:                             ;   in Loop: Header=BB2_9143 Depth=3
	s_or_b32 exec_lo, exec_lo, s76
.LBB2_9421:                             ;   in Loop: Header=BB2_9143 Depth=3
	s_delay_alu instid0(SALU_CYCLE_1) | instskip(SKIP_3) | instid1(VALU_DEP_2)
	s_or_b32 exec_lo, exec_lo, s14
	v_lshrrev_b16 v8, 8, v10
	v_mov_b32_e32 v9, 0
	s_mov_b32 s14, exec_lo
	v_cmpx_ne_u16_e32 0, v8
	s_cbranch_execz .LBB2_9431
; %bb.9422:                             ;   in Loop: Header=BB2_9143 Depth=3
	v_bfrev_b32_e32 v9, 1
	s_mov_b32 s76, exec_lo
	v_cmpx_ne_u16_e32 0x80, v8
	s_cbranch_execz .LBB2_9430
; %bb.9423:                             ;   in Loop: Header=BB2_9143 Depth=3
	v_and_b32_e32 v17, 0xffff, v8
	s_delay_alu instid0(VALU_DEP_1) | instskip(SKIP_1) | instid1(VALU_DEP_2)
	v_and_b32_e32 v9, 0x7c, v17
	v_and_b32_e32 v2, 3, v17
	v_cmp_ne_u32_e32 vcc_lo, 0x7c, v9
                                        ; implicit-def: $vgpr9
	s_and_saveexec_b32 s77, vcc_lo
	s_delay_alu instid0(SALU_CYCLE_1)
	s_xor_b32 s77, exec_lo, s77
	s_cbranch_execz .LBB2_9427
; %bb.9424:                             ;   in Loop: Header=BB2_9143 Depth=3
	v_bfe_u32 v9, v17, 2, 5
	s_mov_b32 s78, exec_lo
	s_delay_alu instid0(VALU_DEP_1)
	v_cmpx_eq_u32_e32 0, v9
; %bb.9425:                             ;   in Loop: Header=BB2_9143 Depth=3
	v_clz_i32_u32_e32 v2, v2
	v_mov_b32_e32 v9, v3
	s_delay_alu instid0(VALU_DEP_2) | instskip(NEXT) | instid1(VALU_DEP_1)
	v_min_u32_e32 v2, 32, v2
	v_subrev_nc_u32_e32 v17, 29, v2
	s_delay_alu instid0(VALU_DEP_1) | instskip(NEXT) | instid1(VALU_DEP_1)
	v_lshlrev_b64_e32 v[8:9], v17, v[8:9]
	v_dual_sub_nc_u32 v9, 30, v2 :: v_dual_bitop2_b32 v2, 3, v8 bitop3:0x40
; %bb.9426:                             ;   in Loop: Header=BB2_9143 Depth=3
	s_or_b32 exec_lo, exec_lo, s78
	v_lshlrev_b32_e32 v8, 16, v10
	s_delay_alu instid0(VALU_DEP_1) | instskip(NEXT) | instid1(VALU_DEP_1)
	v_and_b32_e32 v8, 0x80000000, v8
	v_lshl_add_u32 v8, v9, 23, v8
	s_delay_alu instid0(VALU_DEP_1) | instskip(NEXT) | instid1(VALU_DEP_1)
	v_lshl_or_b32 v2, v2, 21, v8
	v_add_nc_u32_e32 v9, 0x38000000, v2
                                        ; implicit-def: $vgpr2
.LBB2_9427:                             ;   in Loop: Header=BB2_9143 Depth=3
	s_and_not1_saveexec_b32 s77, s77
; %bb.9428:                             ;   in Loop: Header=BB2_9143 Depth=3
	v_cmp_lt_i16_e32 vcc_lo, -1, v10
	v_cndmask_b32_e32 v8, 0xff800000, v111, vcc_lo
	v_cmp_eq_u32_e32 vcc_lo, 0, v2
	s_delay_alu instid0(VALU_DEP_2)
	v_cndmask_b32_e32 v9, 0x7f800001, v8, vcc_lo
; %bb.9429:                             ;   in Loop: Header=BB2_9143 Depth=3
	s_or_b32 exec_lo, exec_lo, s77
.LBB2_9430:                             ;   in Loop: Header=BB2_9143 Depth=3
	s_delay_alu instid0(SALU_CYCLE_1)
	s_or_b32 exec_lo, exec_lo, s76
.LBB2_9431:                             ;   in Loop: Header=BB2_9143 Depth=3
	s_delay_alu instid0(SALU_CYCLE_1) | instskip(NEXT) | instid1(VALU_DEP_1)
	s_or_b32 exec_lo, exec_lo, s14
	v_dual_mul_f32 v8, s75, v9 :: v_dual_mov_b32 v19, v3
                                        ; implicit-def: $vgpr77
	s_mov_b32 s14, exec_lo
	s_delay_alu instid0(VALU_DEP_1) | instskip(SKIP_2) | instid1(VALU_DEP_3)
	v_and_b32_e32 v18, 0x7f800000, v8
	v_and_b32_e32 v2, 0x7fffff, v8
	v_lshrrev_b32_e32 v9, 24, v8
	v_cmpx_ne_u64_e32 0x7f800000, v[18:19]
	s_xor_b32 s76, exec_lo, s14
	s_cbranch_execz .LBB2_9445
; %bb.9432:                             ;   in Loop: Header=BB2_9143 Depth=3
	v_and_b32_e32 v18, 0x7fffffff, v8
	v_mov_b32_e32 v19, v3
	v_and_b32_e32 v17, 0x80, v9
                                        ; implicit-def: $vgpr77
	s_mov_b32 s14, exec_lo
	s_delay_alu instid0(VALU_DEP_2)
	v_cmpx_gt_u64_e32 0x47600001, v[18:19]
	s_xor_b32 s77, exec_lo, s14
	s_cbranch_execz .LBB2_9442
; %bb.9433:                             ;   in Loop: Header=BB2_9143 Depth=3
	v_mov_b32_e32 v77, 0
	s_mov_b32 s78, exec_lo
	v_cmpx_ne_u32_e32 0, v8
	s_cbranch_execz .LBB2_9441
; %bb.9434:                             ;   in Loop: Header=BB2_9143 Depth=3
	v_bfe_u32 v46, v8, 23, 8
	v_or_b32_e32 v18, 0x800000, v2
	s_delay_alu instid0(VALU_DEP_2) | instskip(SKIP_1) | instid1(VALU_DEP_2)
	v_dual_mov_b32 v19, v3 :: v_dual_sub_nc_u32 v8, 0x71, v46
	v_cmp_gt_u32_e32 vcc_lo, 0x72, v46
	v_cndmask_b32_e32 v8, 0, v8, vcc_lo
	v_cmp_eq_u32_e32 vcc_lo, 0, v46
	s_delay_alu instid0(VALU_DEP_2) | instskip(NEXT) | instid1(VALU_DEP_1)
	v_cndmask_b32_e64 v47, v8, 0x70, vcc_lo
	v_dual_cndmask_b32 v18, v18, v2, vcc_lo :: v_dual_add_nc_u32 v8, 21, v47
	v_add_nc_u32_e32 v44, 20, v47
	s_delay_alu instid0(VALU_DEP_2) | instskip(NEXT) | instid1(VALU_DEP_2)
	v_lshlrev_b64_e64 v[8:9], v8, -1
	v_lshlrev_b64_e64 v[44:45], v44, 1
	s_delay_alu instid0(VALU_DEP_2) | instskip(NEXT) | instid1(VALU_DEP_3)
	v_bfi_b32 v77, v9, 0, 0
	v_bfi_b32 v76, v8, 0, v18
	v_lshrrev_b64 v[8:9], v47, v[18:19]
	s_delay_alu instid0(VALU_DEP_2) | instskip(NEXT) | instid1(VALU_DEP_2)
	v_cmp_eq_u64_e64 s14, v[76:77], v[44:45]
	v_mov_b64_e32 v[44:45], v[8:9]
	s_and_saveexec_b32 s79, s14
; %bb.9435:                             ;   in Loop: Header=BB2_9143 Depth=3
	v_bfe_u32 v18, v8, 21, 1
	v_mov_b32_e32 v19, v3
	s_delay_alu instid0(VALU_DEP_1) | instskip(NEXT) | instid1(VALU_DEP_1)
	v_add_nc_u64_e32 v[18:19], v[8:9], v[18:19]
	v_add_nc_u64_e32 v[44:45], -1, v[18:19]
; %bb.9436:                             ;   in Loop: Header=BB2_9143 Depth=3
	s_or_b32 exec_lo, exec_lo, s79
	v_add_nc_u32_e32 v2, 0xffffff81, v46
	s_delay_alu instid0(VALU_DEP_2) | instskip(SKIP_2) | instid1(VALU_DEP_3)
	v_and_b32_e32 v18, 0x1fffff, v44
	v_lshrrev_b32_e32 v9, 23, v8
	s_mov_b32 s14, exec_lo
                                        ; implicit-def: $vgpr44
	v_cndmask_b32_e64 v2, v2, 0xffffff82, vcc_lo
	s_delay_alu instid0(VALU_DEP_1) | instskip(SKIP_1) | instid1(VALU_DEP_2)
	v_add3_u32 v45, v47, v2, v9
	v_add_nc_u32_e32 v2, v18, v8
                                        ; implicit-def: $vgpr8_vgpr9
	v_add_nc_u32_e32 v46, 14, v45
	s_delay_alu instid0(VALU_DEP_1)
	v_cmpx_ne_u32_e32 0, v46
	s_xor_b32 s14, exec_lo, s14
; %bb.9437:                             ;   in Loop: Header=BB2_9143 Depth=3
	s_delay_alu instid0(VALU_DEP_3) | instskip(SKIP_1) | instid1(VALU_DEP_1)
	v_cmp_lt_u64_e32 vcc_lo, 0xffffff, v[2:3]
	v_add_nc_u32_e32 v8, 15, v45
	v_cndmask_b32_e32 v44, v46, v8, vcc_lo
	v_cndmask_b32_e64 v8, 0, 1, vcc_lo
	s_delay_alu instid0(VALU_DEP_1)
	v_lshrrev_b64 v[8:9], v8, v[2:3]
; %bb.9438:                             ;   in Loop: Header=BB2_9143 Depth=3
	s_and_not1_saveexec_b32 s14, s14
; %bb.9439:                             ;   in Loop: Header=BB2_9143 Depth=3
	v_mov_b64_e32 v[8:9], v[2:3]
	v_bfe_u32 v44, v2, 23, 1
; %bb.9440:                             ;   in Loop: Header=BB2_9143 Depth=3
	s_or_b32 exec_lo, exec_lo, s14
	s_delay_alu instid0(VALU_DEP_2) | instskip(NEXT) | instid1(VALU_DEP_2)
	v_lshrrev_b64 v[8:9], 21, v[8:9]
	v_cmp_gt_i32_e32 vcc_lo, 32, v44
	v_min_i32_e32 v2, 31, v44
	v_cmp_eq_u32_e64 s14, 0, v44
	s_delay_alu instid0(VALU_DEP_2) | instskip(SKIP_1) | instid1(VALU_DEP_2)
	v_dual_cndmask_b32 v9, 0, v9 :: v_dual_lshlrev_b32 v2, 2, v2
	v_cndmask_b32_e32 v8, 3, v8, vcc_lo
	v_and_b32_e32 v2, 0xfc, v2
	s_delay_alu instid0(VALU_DEP_2) | instskip(NEXT) | instid1(VALU_DEP_2)
	v_cmp_eq_u64_e32 vcc_lo, 0, v[8:9]
	v_and_or_b32 v2, v8, 3, v2
	s_and_b32 s14, s14, vcc_lo
	s_delay_alu instid0(VALU_DEP_1) | instid1(SALU_CYCLE_1)
	v_cndmask_b32_e64 v2, v2, 0, s14
	s_delay_alu instid0(VALU_DEP_1)
	v_or_b32_e32 v77, v2, v17
.LBB2_9441:                             ;   in Loop: Header=BB2_9143 Depth=3
	s_or_b32 exec_lo, exec_lo, s78
                                        ; implicit-def: $vgpr17
.LBB2_9442:                             ;   in Loop: Header=BB2_9143 Depth=3
	s_and_not1_saveexec_b32 s14, s77
; %bb.9443:                             ;   in Loop: Header=BB2_9143 Depth=3
	v_or_b32_e32 v77, 0x7b, v17
; %bb.9444:                             ;   in Loop: Header=BB2_9143 Depth=3
	s_or_b32 exec_lo, exec_lo, s14
                                        ; implicit-def: $vgpr8
                                        ; implicit-def: $vgpr9
.LBB2_9445:                             ;   in Loop: Header=BB2_9143 Depth=3
	s_and_not1_saveexec_b32 s14, s76
	s_cbranch_execz .LBB2_9451
; %bb.9446:                             ;   in Loop: Header=BB2_9143 Depth=3
	s_mov_b32 s76, exec_lo
                                        ; implicit-def: $vgpr77
	v_cmpx_ne_u64_e32 0, v[2:3]
	s_xor_b32 s76, exec_lo, s76
; %bb.9447:                             ;   in Loop: Header=BB2_9143 Depth=3
	v_or_b32_e32 v77, 0x7f, v9
                                        ; implicit-def: $vgpr8
; %bb.9448:                             ;   in Loop: Header=BB2_9143 Depth=3
	s_and_not1_saveexec_b32 s76, s76
; %bb.9449:                             ;   in Loop: Header=BB2_9143 Depth=3
	v_cmp_lt_i32_e32 vcc_lo, -1, v8
	v_cndmask_b32_e32 v77, 0xfc, v120, vcc_lo
; %bb.9450:                             ;   in Loop: Header=BB2_9143 Depth=3
	s_or_b32 exec_lo, exec_lo, s76
.LBB2_9451:                             ;   in Loop: Header=BB2_9143 Depth=3
	s_delay_alu instid0(SALU_CYCLE_1) | instskip(SKIP_2) | instid1(VALU_DEP_1)
	s_or_b32 exec_lo, exec_lo, s14
	v_dual_lshrrev_b32 v2, 16, v10 :: v_dual_mov_b32 v8, 0
	s_mov_b32 s14, exec_lo
	v_and_b32_e32 v9, 0xff, v2
	s_delay_alu instid0(VALU_DEP_1)
	v_cmpx_ne_u16_e32 0, v9
	s_cbranch_execz .LBB2_9461
; %bb.9452:                             ;   in Loop: Header=BB2_9143 Depth=3
	v_bfrev_b32_e32 v8, 1
	s_mov_b32 s76, exec_lo
	v_cmpx_ne_u16_e32 0x80, v9
	s_cbranch_execz .LBB2_9460
; %bb.9453:                             ;   in Loop: Header=BB2_9143 Depth=3
	v_and_b32_e32 v8, 0x7c0000, v10
	v_bfe_u32 v9, v10, 16, 2
	s_delay_alu instid0(VALU_DEP_2) | instskip(SKIP_1) | instid1(SALU_CYCLE_1)
	v_cmp_ne_u32_e32 vcc_lo, 0x7c0000, v8
                                        ; implicit-def: $vgpr8
	s_and_saveexec_b32 s77, vcc_lo
	s_xor_b32 s77, exec_lo, s77
	s_cbranch_execz .LBB2_9457
; %bb.9454:                             ;   in Loop: Header=BB2_9143 Depth=3
	v_bfe_u32 v8, v10, 18, 5
	s_mov_b32 s78, exec_lo
	s_delay_alu instid0(VALU_DEP_1)
	v_cmpx_eq_u32_e32 0, v8
; %bb.9455:                             ;   in Loop: Header=BB2_9143 Depth=3
	v_clz_i32_u32_e32 v8, v9
	s_delay_alu instid0(VALU_DEP_1) | instskip(NEXT) | instid1(VALU_DEP_1)
	v_min_u32_e32 v8, 32, v8
	v_subrev_nc_u32_e32 v9, 29, v8
	s_delay_alu instid0(VALU_DEP_1) | instskip(NEXT) | instid1(VALU_DEP_1)
	v_lshlrev_b64_e32 v[18:19], v9, v[2:3]
	v_dual_sub_nc_u32 v8, 30, v8 :: v_dual_bitop2_b32 v9, 3, v18 bitop3:0x40
; %bb.9456:                             ;   in Loop: Header=BB2_9143 Depth=3
	s_or_b32 exec_lo, exec_lo, s78
	v_lshlrev_b32_e32 v2, 24, v2
	s_delay_alu instid0(VALU_DEP_1) | instskip(NEXT) | instid1(VALU_DEP_1)
	v_and_b32_e32 v2, 0x80000000, v2
	v_lshl_add_u32 v2, v8, 23, v2
	s_delay_alu instid0(VALU_DEP_1) | instskip(NEXT) | instid1(VALU_DEP_1)
	v_lshl_or_b32 v2, v9, 21, v2
                                        ; implicit-def: $vgpr9
	v_add_nc_u32_e32 v8, 0x38000000, v2
                                        ; implicit-def: $vgpr2
.LBB2_9457:                             ;   in Loop: Header=BB2_9143 Depth=3
	s_and_not1_saveexec_b32 s77, s77
; %bb.9458:                             ;   in Loop: Header=BB2_9143 Depth=3
	v_bfe_i32 v2, v2, 0, 8
	s_delay_alu instid0(VALU_DEP_1) | instskip(SKIP_2) | instid1(VALU_DEP_2)
	v_cmp_lt_i16_e32 vcc_lo, -1, v2
	v_cndmask_b32_e32 v2, 0xff800000, v111, vcc_lo
	v_cmp_eq_u32_e32 vcc_lo, 0, v9
	v_cndmask_b32_e32 v8, 0x7f800001, v2, vcc_lo
; %bb.9459:                             ;   in Loop: Header=BB2_9143 Depth=3
	s_or_b32 exec_lo, exec_lo, s77
.LBB2_9460:                             ;   in Loop: Header=BB2_9143 Depth=3
	s_delay_alu instid0(SALU_CYCLE_1)
	s_or_b32 exec_lo, exec_lo, s76
.LBB2_9461:                             ;   in Loop: Header=BB2_9143 Depth=3
	s_delay_alu instid0(SALU_CYCLE_1) | instskip(NEXT) | instid1(VALU_DEP_1)
	s_or_b32 exec_lo, exec_lo, s14
	v_dual_mul_f32 v8, s75, v8 :: v_dual_mov_b32 v19, v3
                                        ; implicit-def: $vgpr88
	s_mov_b32 s14, exec_lo
	s_delay_alu instid0(VALU_DEP_1) | instskip(SKIP_2) | instid1(VALU_DEP_3)
	v_and_b32_e32 v18, 0x7f800000, v8
	v_and_b32_e32 v2, 0x7fffff, v8
	v_lshrrev_b32_e32 v9, 24, v8
	v_cmpx_ne_u64_e32 0x7f800000, v[18:19]
	s_xor_b32 s76, exec_lo, s14
	s_cbranch_execz .LBB2_9475
; %bb.9462:                             ;   in Loop: Header=BB2_9143 Depth=3
	v_and_b32_e32 v18, 0x7fffffff, v8
	v_mov_b32_e32 v19, v3
	v_and_b32_e32 v17, 0x80, v9
                                        ; implicit-def: $vgpr88
	s_mov_b32 s14, exec_lo
	s_delay_alu instid0(VALU_DEP_2)
	v_cmpx_gt_u64_e32 0x47600001, v[18:19]
	s_xor_b32 s77, exec_lo, s14
	s_cbranch_execz .LBB2_9472
; %bb.9463:                             ;   in Loop: Header=BB2_9143 Depth=3
	v_mov_b32_e32 v88, 0
	s_mov_b32 s78, exec_lo
	v_cmpx_ne_u32_e32 0, v8
	s_cbranch_execz .LBB2_9471
; %bb.9464:                             ;   in Loop: Header=BB2_9143 Depth=3
	v_bfe_u32 v46, v8, 23, 8
	v_or_b32_e32 v18, 0x800000, v2
	s_delay_alu instid0(VALU_DEP_2) | instskip(SKIP_1) | instid1(VALU_DEP_2)
	v_dual_mov_b32 v19, v3 :: v_dual_sub_nc_u32 v8, 0x71, v46
	v_cmp_gt_u32_e32 vcc_lo, 0x72, v46
	v_cndmask_b32_e32 v8, 0, v8, vcc_lo
	v_cmp_eq_u32_e32 vcc_lo, 0, v46
	s_delay_alu instid0(VALU_DEP_2) | instskip(NEXT) | instid1(VALU_DEP_1)
	v_cndmask_b32_e64 v47, v8, 0x70, vcc_lo
	v_dual_cndmask_b32 v18, v18, v2, vcc_lo :: v_dual_add_nc_u32 v8, 21, v47
	v_add_nc_u32_e32 v44, 20, v47
	s_delay_alu instid0(VALU_DEP_2) | instskip(NEXT) | instid1(VALU_DEP_2)
	v_lshlrev_b64_e64 v[8:9], v8, -1
	v_lshlrev_b64_e64 v[44:45], v44, 1
	s_delay_alu instid0(VALU_DEP_2) | instskip(NEXT) | instid1(VALU_DEP_3)
	v_bfi_b32 v79, v9, 0, 0
	v_bfi_b32 v78, v8, 0, v18
	v_lshrrev_b64 v[8:9], v47, v[18:19]
	s_delay_alu instid0(VALU_DEP_2) | instskip(NEXT) | instid1(VALU_DEP_2)
	v_cmp_eq_u64_e64 s14, v[78:79], v[44:45]
	v_mov_b64_e32 v[44:45], v[8:9]
	s_and_saveexec_b32 s79, s14
; %bb.9465:                             ;   in Loop: Header=BB2_9143 Depth=3
	v_bfe_u32 v18, v8, 21, 1
	v_mov_b32_e32 v19, v3
	s_delay_alu instid0(VALU_DEP_1) | instskip(NEXT) | instid1(VALU_DEP_1)
	v_add_nc_u64_e32 v[18:19], v[8:9], v[18:19]
	v_add_nc_u64_e32 v[44:45], -1, v[18:19]
; %bb.9466:                             ;   in Loop: Header=BB2_9143 Depth=3
	s_or_b32 exec_lo, exec_lo, s79
	v_add_nc_u32_e32 v2, 0xffffff81, v46
	s_delay_alu instid0(VALU_DEP_2) | instskip(SKIP_2) | instid1(VALU_DEP_3)
	v_and_b32_e32 v18, 0x1fffff, v44
	v_lshrrev_b32_e32 v9, 23, v8
	s_mov_b32 s14, exec_lo
                                        ; implicit-def: $vgpr44
	v_cndmask_b32_e64 v2, v2, 0xffffff82, vcc_lo
	s_delay_alu instid0(VALU_DEP_1) | instskip(SKIP_1) | instid1(VALU_DEP_2)
	v_add3_u32 v45, v47, v2, v9
	v_add_nc_u32_e32 v2, v18, v8
                                        ; implicit-def: $vgpr8_vgpr9
	v_add_nc_u32_e32 v46, 14, v45
	s_delay_alu instid0(VALU_DEP_1)
	v_cmpx_ne_u32_e32 0, v46
	s_xor_b32 s14, exec_lo, s14
; %bb.9467:                             ;   in Loop: Header=BB2_9143 Depth=3
	s_delay_alu instid0(VALU_DEP_3) | instskip(SKIP_1) | instid1(VALU_DEP_1)
	v_cmp_lt_u64_e32 vcc_lo, 0xffffff, v[2:3]
	v_add_nc_u32_e32 v8, 15, v45
	v_cndmask_b32_e32 v44, v46, v8, vcc_lo
	v_cndmask_b32_e64 v8, 0, 1, vcc_lo
	s_delay_alu instid0(VALU_DEP_1)
	v_lshrrev_b64 v[8:9], v8, v[2:3]
; %bb.9468:                             ;   in Loop: Header=BB2_9143 Depth=3
	s_and_not1_saveexec_b32 s14, s14
; %bb.9469:                             ;   in Loop: Header=BB2_9143 Depth=3
	v_mov_b64_e32 v[8:9], v[2:3]
	v_bfe_u32 v44, v2, 23, 1
; %bb.9470:                             ;   in Loop: Header=BB2_9143 Depth=3
	s_or_b32 exec_lo, exec_lo, s14
	s_delay_alu instid0(VALU_DEP_2) | instskip(NEXT) | instid1(VALU_DEP_2)
	v_lshrrev_b64 v[8:9], 21, v[8:9]
	v_cmp_gt_i32_e32 vcc_lo, 32, v44
	v_min_i32_e32 v2, 31, v44
	v_cmp_eq_u32_e64 s14, 0, v44
	s_delay_alu instid0(VALU_DEP_2) | instskip(SKIP_1) | instid1(VALU_DEP_2)
	v_dual_cndmask_b32 v9, 0, v9 :: v_dual_lshlrev_b32 v2, 2, v2
	v_cndmask_b32_e32 v8, 3, v8, vcc_lo
	v_and_b32_e32 v2, 0xfc, v2
	s_delay_alu instid0(VALU_DEP_2) | instskip(NEXT) | instid1(VALU_DEP_2)
	v_cmp_eq_u64_e32 vcc_lo, 0, v[8:9]
	v_and_or_b32 v2, v8, 3, v2
	s_and_b32 s14, s14, vcc_lo
	s_delay_alu instid0(VALU_DEP_1) | instid1(SALU_CYCLE_1)
	v_cndmask_b32_e64 v2, v2, 0, s14
	s_delay_alu instid0(VALU_DEP_1)
	v_or_b32_e32 v88, v2, v17
.LBB2_9471:                             ;   in Loop: Header=BB2_9143 Depth=3
	s_or_b32 exec_lo, exec_lo, s78
                                        ; implicit-def: $vgpr17
.LBB2_9472:                             ;   in Loop: Header=BB2_9143 Depth=3
	s_and_not1_saveexec_b32 s14, s77
; %bb.9473:                             ;   in Loop: Header=BB2_9143 Depth=3
	v_or_b32_e32 v88, 0x7b, v17
; %bb.9474:                             ;   in Loop: Header=BB2_9143 Depth=3
	s_or_b32 exec_lo, exec_lo, s14
                                        ; implicit-def: $vgpr8
                                        ; implicit-def: $vgpr9
.LBB2_9475:                             ;   in Loop: Header=BB2_9143 Depth=3
	s_and_not1_saveexec_b32 s14, s76
	s_cbranch_execz .LBB2_9481
; %bb.9476:                             ;   in Loop: Header=BB2_9143 Depth=3
	s_mov_b32 s76, exec_lo
                                        ; implicit-def: $vgpr88
	v_cmpx_ne_u64_e32 0, v[2:3]
	s_xor_b32 s76, exec_lo, s76
; %bb.9477:                             ;   in Loop: Header=BB2_9143 Depth=3
	v_or_b32_e32 v88, 0x7f, v9
                                        ; implicit-def: $vgpr8
; %bb.9478:                             ;   in Loop: Header=BB2_9143 Depth=3
	s_and_not1_saveexec_b32 s76, s76
; %bb.9479:                             ;   in Loop: Header=BB2_9143 Depth=3
	v_cmp_lt_i32_e32 vcc_lo, -1, v8
	v_cndmask_b32_e32 v88, 0xfc, v120, vcc_lo
; %bb.9480:                             ;   in Loop: Header=BB2_9143 Depth=3
	s_or_b32 exec_lo, exec_lo, s76
.LBB2_9481:                             ;   in Loop: Header=BB2_9143 Depth=3
	s_delay_alu instid0(SALU_CYCLE_1)
	s_or_b32 exec_lo, exec_lo, s14
	v_mov_b32_e32 v8, 0
	s_mov_b32 s14, exec_lo
	v_cmpx_lt_u32_e32 0xffffff, v10
	s_cbranch_execz .LBB2_9491
; %bb.9482:                             ;   in Loop: Header=BB2_9143 Depth=3
	v_lshrrev_b32_e32 v2, 24, v10
	v_bfrev_b32_e32 v8, 1
	s_mov_b32 s76, exec_lo
	s_delay_alu instid0(VALU_DEP_2)
	v_cmpx_ne_u32_e32 0x80, v2
	s_cbranch_execz .LBB2_9490
; %bb.9483:                             ;   in Loop: Header=BB2_9143 Depth=3
	v_and_b32_e32 v8, 0x7c000000, v10
	v_bfe_u32 v9, v10, 24, 2
	s_delay_alu instid0(VALU_DEP_2) | instskip(SKIP_1) | instid1(SALU_CYCLE_1)
	v_cmp_ne_u32_e32 vcc_lo, 0x7c000000, v8
                                        ; implicit-def: $vgpr8
	s_and_saveexec_b32 s77, vcc_lo
	s_xor_b32 s77, exec_lo, s77
	s_cbranch_execz .LBB2_9487
; %bb.9484:                             ;   in Loop: Header=BB2_9143 Depth=3
	v_bfe_u32 v8, v10, 26, 5
	s_mov_b32 s78, exec_lo
	s_delay_alu instid0(VALU_DEP_1)
	v_cmpx_eq_u32_e32 0, v8
; %bb.9485:                             ;   in Loop: Header=BB2_9143 Depth=3
	v_clz_i32_u32_e32 v8, v9
	s_delay_alu instid0(VALU_DEP_1) | instskip(NEXT) | instid1(VALU_DEP_1)
	v_min_u32_e32 v8, 32, v8
	v_subrev_nc_u32_e32 v9, 29, v8
	s_delay_alu instid0(VALU_DEP_1) | instskip(NEXT) | instid1(VALU_DEP_1)
	v_lshlrev_b64_e32 v[18:19], v9, v[2:3]
	v_dual_sub_nc_u32 v8, 30, v8 :: v_dual_bitop2_b32 v9, 3, v18 bitop3:0x40
; %bb.9486:                             ;   in Loop: Header=BB2_9143 Depth=3
	s_or_b32 exec_lo, exec_lo, s78
	v_and_b32_e32 v2, 0x80000000, v10
	s_delay_alu instid0(VALU_DEP_1) | instskip(NEXT) | instid1(VALU_DEP_1)
	v_lshl_add_u32 v2, v8, 23, v2
	v_lshl_or_b32 v2, v9, 21, v2
                                        ; implicit-def: $vgpr9
	s_delay_alu instid0(VALU_DEP_1)
	v_add_nc_u32_e32 v8, 0x38000000, v2
.LBB2_9487:                             ;   in Loop: Header=BB2_9143 Depth=3
	s_and_not1_saveexec_b32 s77, s77
; %bb.9488:                             ;   in Loop: Header=BB2_9143 Depth=3
	v_cmp_lt_i32_e32 vcc_lo, -1, v10
	v_cndmask_b32_e32 v2, 0xff800000, v111, vcc_lo
	v_cmp_eq_u32_e32 vcc_lo, 0, v9
	s_delay_alu instid0(VALU_DEP_2)
	v_cndmask_b32_e32 v8, 0x7f800001, v2, vcc_lo
; %bb.9489:                             ;   in Loop: Header=BB2_9143 Depth=3
	s_or_b32 exec_lo, exec_lo, s77
.LBB2_9490:                             ;   in Loop: Header=BB2_9143 Depth=3
	s_delay_alu instid0(SALU_CYCLE_1)
	s_or_b32 exec_lo, exec_lo, s76
.LBB2_9491:                             ;   in Loop: Header=BB2_9143 Depth=3
	s_delay_alu instid0(SALU_CYCLE_1) | instskip(NEXT) | instid1(VALU_DEP_1)
	s_or_b32 exec_lo, exec_lo, s14
	v_dual_mul_f32 v8, s75, v8 :: v_dual_mov_b32 v19, v3
                                        ; implicit-def: $vgpr89
	s_mov_b32 s14, exec_lo
	s_delay_alu instid0(VALU_DEP_1) | instskip(SKIP_2) | instid1(VALU_DEP_3)
	v_and_b32_e32 v18, 0x7f800000, v8
	v_and_b32_e32 v2, 0x7fffff, v8
	v_lshrrev_b32_e32 v9, 24, v8
	v_cmpx_ne_u64_e32 0x7f800000, v[18:19]
	s_xor_b32 s76, exec_lo, s14
	s_cbranch_execz .LBB2_9505
; %bb.9492:                             ;   in Loop: Header=BB2_9143 Depth=3
	v_and_b32_e32 v18, 0x7fffffff, v8
	v_mov_b32_e32 v19, v3
	v_and_b32_e32 v17, 0x80, v9
                                        ; implicit-def: $vgpr89
	s_mov_b32 s14, exec_lo
	s_delay_alu instid0(VALU_DEP_2)
	v_cmpx_gt_u64_e32 0x47600001, v[18:19]
	s_xor_b32 s77, exec_lo, s14
	s_cbranch_execz .LBB2_9502
; %bb.9493:                             ;   in Loop: Header=BB2_9143 Depth=3
	v_mov_b32_e32 v89, 0
	s_mov_b32 s78, exec_lo
	v_cmpx_ne_u32_e32 0, v8
	s_cbranch_execz .LBB2_9501
; %bb.9494:                             ;   in Loop: Header=BB2_9143 Depth=3
	v_bfe_u32 v46, v8, 23, 8
	v_or_b32_e32 v18, 0x800000, v2
	s_delay_alu instid0(VALU_DEP_2) | instskip(SKIP_1) | instid1(VALU_DEP_2)
	v_dual_mov_b32 v19, v3 :: v_dual_sub_nc_u32 v8, 0x71, v46
	v_cmp_gt_u32_e32 vcc_lo, 0x72, v46
	v_cndmask_b32_e32 v8, 0, v8, vcc_lo
	v_cmp_eq_u32_e32 vcc_lo, 0, v46
	s_delay_alu instid0(VALU_DEP_2) | instskip(NEXT) | instid1(VALU_DEP_1)
	v_cndmask_b32_e64 v47, v8, 0x70, vcc_lo
	v_dual_cndmask_b32 v18, v18, v2, vcc_lo :: v_dual_add_nc_u32 v8, 21, v47
	v_add_nc_u32_e32 v44, 20, v47
	s_delay_alu instid0(VALU_DEP_2) | instskip(NEXT) | instid1(VALU_DEP_2)
	v_lshlrev_b64_e64 v[8:9], v8, -1
	v_lshlrev_b64_e64 v[44:45], v44, 1
	s_delay_alu instid0(VALU_DEP_2) | instskip(NEXT) | instid1(VALU_DEP_3)
	v_bfi_b32 v79, v9, 0, 0
	v_bfi_b32 v78, v8, 0, v18
	v_lshrrev_b64 v[8:9], v47, v[18:19]
	s_delay_alu instid0(VALU_DEP_2) | instskip(NEXT) | instid1(VALU_DEP_2)
	v_cmp_eq_u64_e64 s14, v[78:79], v[44:45]
	v_mov_b64_e32 v[44:45], v[8:9]
	s_and_saveexec_b32 s79, s14
; %bb.9495:                             ;   in Loop: Header=BB2_9143 Depth=3
	v_bfe_u32 v18, v8, 21, 1
	v_mov_b32_e32 v19, v3
	s_delay_alu instid0(VALU_DEP_1) | instskip(NEXT) | instid1(VALU_DEP_1)
	v_add_nc_u64_e32 v[18:19], v[8:9], v[18:19]
	v_add_nc_u64_e32 v[44:45], -1, v[18:19]
; %bb.9496:                             ;   in Loop: Header=BB2_9143 Depth=3
	s_or_b32 exec_lo, exec_lo, s79
	v_add_nc_u32_e32 v2, 0xffffff81, v46
	s_delay_alu instid0(VALU_DEP_2) | instskip(SKIP_2) | instid1(VALU_DEP_3)
	v_and_b32_e32 v18, 0x1fffff, v44
	v_lshrrev_b32_e32 v9, 23, v8
	s_mov_b32 s14, exec_lo
                                        ; implicit-def: $vgpr44
	v_cndmask_b32_e64 v2, v2, 0xffffff82, vcc_lo
	s_delay_alu instid0(VALU_DEP_1) | instskip(SKIP_1) | instid1(VALU_DEP_2)
	v_add3_u32 v45, v47, v2, v9
	v_add_nc_u32_e32 v2, v18, v8
                                        ; implicit-def: $vgpr8_vgpr9
	v_add_nc_u32_e32 v46, 14, v45
	s_delay_alu instid0(VALU_DEP_1)
	v_cmpx_ne_u32_e32 0, v46
	s_xor_b32 s14, exec_lo, s14
; %bb.9497:                             ;   in Loop: Header=BB2_9143 Depth=3
	s_delay_alu instid0(VALU_DEP_3) | instskip(SKIP_1) | instid1(VALU_DEP_1)
	v_cmp_lt_u64_e32 vcc_lo, 0xffffff, v[2:3]
	v_add_nc_u32_e32 v8, 15, v45
	v_cndmask_b32_e32 v44, v46, v8, vcc_lo
	v_cndmask_b32_e64 v8, 0, 1, vcc_lo
	s_delay_alu instid0(VALU_DEP_1)
	v_lshrrev_b64 v[8:9], v8, v[2:3]
; %bb.9498:                             ;   in Loop: Header=BB2_9143 Depth=3
	s_and_not1_saveexec_b32 s14, s14
; %bb.9499:                             ;   in Loop: Header=BB2_9143 Depth=3
	v_mov_b64_e32 v[8:9], v[2:3]
	v_bfe_u32 v44, v2, 23, 1
; %bb.9500:                             ;   in Loop: Header=BB2_9143 Depth=3
	s_or_b32 exec_lo, exec_lo, s14
	s_delay_alu instid0(VALU_DEP_2) | instskip(NEXT) | instid1(VALU_DEP_2)
	v_lshrrev_b64 v[8:9], 21, v[8:9]
	v_cmp_gt_i32_e32 vcc_lo, 32, v44
	v_min_i32_e32 v2, 31, v44
	v_cmp_eq_u32_e64 s14, 0, v44
	s_delay_alu instid0(VALU_DEP_2) | instskip(SKIP_1) | instid1(VALU_DEP_2)
	v_dual_cndmask_b32 v9, 0, v9 :: v_dual_lshlrev_b32 v2, 2, v2
	v_cndmask_b32_e32 v8, 3, v8, vcc_lo
	v_and_b32_e32 v2, 0xfc, v2
	s_delay_alu instid0(VALU_DEP_2) | instskip(NEXT) | instid1(VALU_DEP_2)
	v_cmp_eq_u64_e32 vcc_lo, 0, v[8:9]
	v_and_or_b32 v2, v8, 3, v2
	s_and_b32 s14, s14, vcc_lo
	s_delay_alu instid0(VALU_DEP_1) | instid1(SALU_CYCLE_1)
	v_cndmask_b32_e64 v2, v2, 0, s14
	s_delay_alu instid0(VALU_DEP_1)
	v_or_b32_e32 v89, v2, v17
.LBB2_9501:                             ;   in Loop: Header=BB2_9143 Depth=3
	s_or_b32 exec_lo, exec_lo, s78
                                        ; implicit-def: $vgpr17
.LBB2_9502:                             ;   in Loop: Header=BB2_9143 Depth=3
	s_and_not1_saveexec_b32 s14, s77
; %bb.9503:                             ;   in Loop: Header=BB2_9143 Depth=3
	v_or_b32_e32 v89, 0x7b, v17
; %bb.9504:                             ;   in Loop: Header=BB2_9143 Depth=3
	s_or_b32 exec_lo, exec_lo, s14
                                        ; implicit-def: $vgpr8
                                        ; implicit-def: $vgpr9
.LBB2_9505:                             ;   in Loop: Header=BB2_9143 Depth=3
	s_and_not1_saveexec_b32 s14, s76
	s_cbranch_execz .LBB2_9511
; %bb.9506:                             ;   in Loop: Header=BB2_9143 Depth=3
	s_mov_b32 s76, exec_lo
                                        ; implicit-def: $vgpr89
	v_cmpx_ne_u64_e32 0, v[2:3]
	s_xor_b32 s76, exec_lo, s76
; %bb.9507:                             ;   in Loop: Header=BB2_9143 Depth=3
	v_or_b32_e32 v89, 0x7f, v9
                                        ; implicit-def: $vgpr8
; %bb.9508:                             ;   in Loop: Header=BB2_9143 Depth=3
	s_and_not1_saveexec_b32 s76, s76
; %bb.9509:                             ;   in Loop: Header=BB2_9143 Depth=3
	v_cmp_lt_i32_e32 vcc_lo, -1, v8
	v_cndmask_b32_e32 v89, 0xfc, v120, vcc_lo
; %bb.9510:                             ;   in Loop: Header=BB2_9143 Depth=3
	s_or_b32 exec_lo, exec_lo, s76
.LBB2_9511:                             ;   in Loop: Header=BB2_9143 Depth=3
	s_delay_alu instid0(SALU_CYCLE_1) | instskip(SKIP_3) | instid1(VALU_DEP_2)
	s_or_b32 exec_lo, exec_lo, s14
	v_and_b32_e32 v9, 0xff, v11
	v_dual_mov_b32 v2, v11 :: v_dual_mov_b32 v8, 0
	s_mov_b32 s14, exec_lo
	v_cmpx_ne_u16_e32 0, v9
	s_cbranch_execz .LBB2_9521
; %bb.9512:                             ;   in Loop: Header=BB2_9143 Depth=3
	v_bfrev_b32_e32 v8, 1
	s_mov_b32 s76, exec_lo
	v_cmpx_ne_u16_e32 0x80, v9
	s_cbranch_execz .LBB2_9520
; %bb.9513:                             ;   in Loop: Header=BB2_9143 Depth=3
	v_and_b32_e32 v8, 0x7c, v11
	v_and_b32_e32 v9, 3, v11
	s_delay_alu instid0(VALU_DEP_2) | instskip(SKIP_1) | instid1(SALU_CYCLE_1)
	v_cmp_ne_u32_e32 vcc_lo, 0x7c, v8
                                        ; implicit-def: $vgpr8
	s_and_saveexec_b32 s77, vcc_lo
	s_xor_b32 s77, exec_lo, s77
	s_cbranch_execz .LBB2_9517
; %bb.9514:                             ;   in Loop: Header=BB2_9143 Depth=3
	v_bfe_u32 v8, v11, 2, 5
	s_mov_b32 s78, exec_lo
	s_delay_alu instid0(VALU_DEP_1)
	v_cmpx_eq_u32_e32 0, v8
; %bb.9515:                             ;   in Loop: Header=BB2_9143 Depth=3
	v_clz_i32_u32_e32 v8, v9
	s_delay_alu instid0(VALU_DEP_1) | instskip(NEXT) | instid1(VALU_DEP_1)
	v_min_u32_e32 v8, 32, v8
	v_subrev_nc_u32_e32 v9, 29, v8
	s_delay_alu instid0(VALU_DEP_1) | instskip(NEXT) | instid1(VALU_DEP_1)
	v_lshlrev_b64_e32 v[18:19], v9, v[2:3]
	v_dual_sub_nc_u32 v8, 30, v8 :: v_dual_bitop2_b32 v9, 3, v18 bitop3:0x40
; %bb.9516:                             ;   in Loop: Header=BB2_9143 Depth=3
	s_or_b32 exec_lo, exec_lo, s78
	v_lshlrev_b32_e32 v17, 24, v11
	s_delay_alu instid0(VALU_DEP_1) | instskip(NEXT) | instid1(VALU_DEP_1)
	v_and_b32_e32 v17, 0x80000000, v17
	v_lshl_add_u32 v8, v8, 23, v17
	s_delay_alu instid0(VALU_DEP_1) | instskip(NEXT) | instid1(VALU_DEP_1)
	v_lshl_or_b32 v8, v9, 21, v8
                                        ; implicit-def: $vgpr9
	v_add_nc_u32_e32 v8, 0x38000000, v8
.LBB2_9517:                             ;   in Loop: Header=BB2_9143 Depth=3
	s_and_not1_saveexec_b32 s77, s77
; %bb.9518:                             ;   in Loop: Header=BB2_9143 Depth=3
	v_bfe_i32 v8, v11, 0, 8
	s_delay_alu instid0(VALU_DEP_1) | instskip(SKIP_2) | instid1(VALU_DEP_2)
	v_cmp_lt_i16_e32 vcc_lo, -1, v8
	v_cndmask_b32_e32 v8, 0xff800000, v111, vcc_lo
	v_cmp_eq_u32_e32 vcc_lo, 0, v9
	v_cndmask_b32_e32 v8, 0x7f800001, v8, vcc_lo
; %bb.9519:                             ;   in Loop: Header=BB2_9143 Depth=3
	s_or_b32 exec_lo, exec_lo, s77
.LBB2_9520:                             ;   in Loop: Header=BB2_9143 Depth=3
	s_delay_alu instid0(SALU_CYCLE_1)
	s_or_b32 exec_lo, exec_lo, s76
.LBB2_9521:                             ;   in Loop: Header=BB2_9143 Depth=3
	s_delay_alu instid0(SALU_CYCLE_1) | instskip(NEXT) | instid1(VALU_DEP_1)
	s_or_b32 exec_lo, exec_lo, s14
	v_dual_mul_f32 v44, s75, v8 :: v_dual_mov_b32 v19, v3
	v_mov_b32_e32 v9, v3
                                        ; implicit-def: $vgpr17
	s_mov_b32 s14, exec_lo
	s_delay_alu instid0(VALU_DEP_2) | instskip(SKIP_2) | instid1(VALU_DEP_3)
	v_and_b32_e32 v18, 0x7f800000, v44
	v_and_b32_e32 v8, 0x7fffff, v44
	v_lshrrev_b32_e32 v45, 24, v44
	v_cmpx_ne_u64_e32 0x7f800000, v[18:19]
	s_xor_b32 s76, exec_lo, s14
	s_cbranch_execz .LBB2_9535
; %bb.9522:                             ;   in Loop: Header=BB2_9143 Depth=3
	v_and_b32_e32 v18, 0x7fffffff, v44
	v_mov_b32_e32 v19, v3
	v_and_b32_e32 v46, 0x80, v45
                                        ; implicit-def: $vgpr17
	s_mov_b32 s14, exec_lo
	s_delay_alu instid0(VALU_DEP_2)
	v_cmpx_gt_u64_e32 0x47600001, v[18:19]
	s_xor_b32 s77, exec_lo, s14
	s_cbranch_execz .LBB2_9532
; %bb.9523:                             ;   in Loop: Header=BB2_9143 Depth=3
	v_mov_b32_e32 v17, 0
	s_mov_b32 s78, exec_lo
	v_cmpx_ne_u32_e32 0, v44
	s_cbranch_execz .LBB2_9531
; %bb.9524:                             ;   in Loop: Header=BB2_9143 Depth=3
	v_bfe_u32 v17, v44, 23, 8
	v_or_b32_e32 v44, 0x800000, v8
	s_delay_alu instid0(VALU_DEP_2) | instskip(SKIP_1) | instid1(VALU_DEP_2)
	v_sub_nc_u32_e32 v18, 0x71, v17
	v_cmp_gt_u32_e32 vcc_lo, 0x72, v17
	v_cndmask_b32_e32 v18, 0, v18, vcc_lo
	v_cmp_eq_u32_e32 vcc_lo, 0, v17
	s_delay_alu instid0(VALU_DEP_2) | instskip(NEXT) | instid1(VALU_DEP_1)
	v_cndmask_b32_e64 v47, v18, 0x70, vcc_lo
	v_dual_cndmask_b32 v8, v44, v8, vcc_lo :: v_dual_add_nc_u32 v18, 21, v47
	v_add_nc_u32_e32 v45, 20, v47
	s_delay_alu instid0(VALU_DEP_2) | instskip(NEXT) | instid1(VALU_DEP_2)
	v_lshlrev_b64_e64 v[18:19], v18, -1
	v_lshlrev_b64_e64 v[44:45], v45, 1
	s_delay_alu instid0(VALU_DEP_2) | instskip(SKIP_1) | instid1(VALU_DEP_4)
	v_bfi_b32 v18, v18, 0, v8
	v_lshrrev_b64 v[8:9], v47, v[8:9]
	v_bfi_b32 v19, v19, 0, 0
	s_delay_alu instid0(VALU_DEP_1) | instskip(NEXT) | instid1(VALU_DEP_3)
	v_cmp_eq_u64_e64 s14, v[18:19], v[44:45]
	v_mov_b64_e32 v[44:45], v[8:9]
	s_and_saveexec_b32 s79, s14
; %bb.9525:                             ;   in Loop: Header=BB2_9143 Depth=3
	v_bfe_u32 v18, v8, 21, 1
	v_mov_b32_e32 v19, v3
	s_delay_alu instid0(VALU_DEP_1) | instskip(NEXT) | instid1(VALU_DEP_1)
	v_add_nc_u64_e32 v[18:19], v[8:9], v[18:19]
	v_add_nc_u64_e32 v[44:45], -1, v[18:19]
; %bb.9526:                             ;   in Loop: Header=BB2_9143 Depth=3
	s_or_b32 exec_lo, exec_lo, s79
	v_add_nc_u32_e32 v9, 0xffffff81, v17
	v_lshrrev_b32_e32 v17, 23, v8
	s_mov_b32 s14, exec_lo
	s_delay_alu instid0(VALU_DEP_2) | instskip(NEXT) | instid1(VALU_DEP_1)
	v_cndmask_b32_e64 v9, v9, 0xffffff82, vcc_lo
	v_add3_u32 v45, v47, v9, v17
	v_and_b32_e32 v9, 0x1fffff, v44
                                        ; implicit-def: $vgpr17
	s_delay_alu instid0(VALU_DEP_1) | instskip(SKIP_1) | instid1(VALU_DEP_2)
	v_dual_add_nc_u32 v44, 14, v45 :: v_dual_add_nc_u32 v8, v9, v8
	v_mov_b32_e32 v9, v3
	v_cmpx_ne_u32_e32 0, v44
	s_xor_b32 s14, exec_lo, s14
; %bb.9527:                             ;   in Loop: Header=BB2_9143 Depth=3
	s_delay_alu instid0(VALU_DEP_2) | instskip(SKIP_2) | instid1(VALU_DEP_2)
	v_cmp_lt_u64_e32 vcc_lo, 0xffffff, v[8:9]
	v_add_nc_u32_e32 v17, 15, v45
	v_cndmask_b32_e64 v18, 0, 1, vcc_lo
	v_cndmask_b32_e32 v17, v44, v17, vcc_lo
	s_delay_alu instid0(VALU_DEP_2)
	v_lshrrev_b64 v[8:9], v18, v[8:9]
; %bb.9528:                             ;   in Loop: Header=BB2_9143 Depth=3
	s_and_not1_saveexec_b32 s14, s14
; %bb.9529:                             ;   in Loop: Header=BB2_9143 Depth=3
	s_delay_alu instid0(VALU_DEP_1)
	v_bfe_u32 v17, v8, 23, 1
; %bb.9530:                             ;   in Loop: Header=BB2_9143 Depth=3
	s_or_b32 exec_lo, exec_lo, s14
	s_delay_alu instid0(VALU_DEP_2) | instskip(NEXT) | instid1(VALU_DEP_2)
	v_lshrrev_b64 v[8:9], 21, v[8:9]
	v_cmp_gt_i32_e32 vcc_lo, 32, v17
	v_min_i32_e32 v18, 31, v17
	v_cmp_eq_u32_e64 s14, 0, v17
	s_delay_alu instid0(VALU_DEP_2) | instskip(SKIP_1) | instid1(VALU_DEP_2)
	v_dual_cndmask_b32 v8, 3, v8, vcc_lo :: v_dual_lshlrev_b32 v18, 2, v18
	v_cndmask_b32_e32 v9, 0, v9, vcc_lo
	v_and_b32_e32 v18, 0xfc, v18
	s_delay_alu instid0(VALU_DEP_2) | instskip(NEXT) | instid1(VALU_DEP_2)
	v_cmp_eq_u64_e32 vcc_lo, 0, v[8:9]
	v_and_or_b32 v8, v8, 3, v18
	s_and_b32 s14, s14, vcc_lo
	s_delay_alu instid0(VALU_DEP_1) | instid1(SALU_CYCLE_1)
	v_cndmask_b32_e64 v8, v8, 0, s14
	s_delay_alu instid0(VALU_DEP_1)
	v_or_b32_e32 v17, v8, v46
.LBB2_9531:                             ;   in Loop: Header=BB2_9143 Depth=3
	s_or_b32 exec_lo, exec_lo, s78
                                        ; implicit-def: $vgpr46
.LBB2_9532:                             ;   in Loop: Header=BB2_9143 Depth=3
	s_and_not1_saveexec_b32 s14, s77
; %bb.9533:                             ;   in Loop: Header=BB2_9143 Depth=3
	v_or_b32_e32 v17, 0x7b, v46
; %bb.9534:                             ;   in Loop: Header=BB2_9143 Depth=3
	s_or_b32 exec_lo, exec_lo, s14
                                        ; implicit-def: $vgpr44
                                        ; implicit-def: $vgpr8_vgpr9
                                        ; implicit-def: $vgpr45
.LBB2_9535:                             ;   in Loop: Header=BB2_9143 Depth=3
	s_and_not1_saveexec_b32 s14, s76
	s_cbranch_execz .LBB2_9541
; %bb.9536:                             ;   in Loop: Header=BB2_9143 Depth=3
	s_mov_b32 s76, exec_lo
                                        ; implicit-def: $vgpr17
	v_cmpx_ne_u64_e32 0, v[8:9]
	s_xor_b32 s76, exec_lo, s76
; %bb.9537:                             ;   in Loop: Header=BB2_9143 Depth=3
	v_or_b32_e32 v17, 0x7f, v45
                                        ; implicit-def: $vgpr44
; %bb.9538:                             ;   in Loop: Header=BB2_9143 Depth=3
	s_and_not1_saveexec_b32 s76, s76
; %bb.9539:                             ;   in Loop: Header=BB2_9143 Depth=3
	v_cmp_lt_i32_e32 vcc_lo, -1, v44
	v_cndmask_b32_e32 v17, 0xfc, v120, vcc_lo
; %bb.9540:                             ;   in Loop: Header=BB2_9143 Depth=3
	s_or_b32 exec_lo, exec_lo, s76
.LBB2_9541:                             ;   in Loop: Header=BB2_9143 Depth=3
	s_delay_alu instid0(SALU_CYCLE_1) | instskip(SKIP_3) | instid1(VALU_DEP_2)
	s_or_b32 exec_lo, exec_lo, s14
	v_lshrrev_b16 v8, 8, v2
	v_mov_b32_e32 v44, 0
	s_mov_b32 s14, exec_lo
	v_cmpx_ne_u16_e32 0, v8
	s_cbranch_execz .LBB2_9551
; %bb.9542:                             ;   in Loop: Header=BB2_9143 Depth=3
	v_bfrev_b32_e32 v44, 1
	s_mov_b32 s76, exec_lo
	v_cmpx_ne_u16_e32 0x80, v8
	s_cbranch_execz .LBB2_9550
; %bb.9543:                             ;   in Loop: Header=BB2_9143 Depth=3
	v_and_b32_e32 v45, 0xffff, v8
	s_mov_b32 s77, exec_lo
                                        ; implicit-def: $vgpr44
	s_delay_alu instid0(VALU_DEP_1) | instskip(SKIP_1) | instid1(VALU_DEP_2)
	v_and_b32_e32 v18, 0x7c, v45
	v_and_b32_e32 v9, 3, v45
	v_cmpx_ne_u32_e32 0x7c, v18
	s_xor_b32 s77, exec_lo, s77
	s_cbranch_execz .LBB2_9547
; %bb.9544:                             ;   in Loop: Header=BB2_9143 Depth=3
	v_bfe_u32 v44, v45, 2, 5
	s_mov_b32 s78, exec_lo
	s_delay_alu instid0(VALU_DEP_1)
	v_cmpx_eq_u32_e32 0, v44
; %bb.9545:                             ;   in Loop: Header=BB2_9143 Depth=3
	v_clz_i32_u32_e32 v9, v9
	s_delay_alu instid0(VALU_DEP_1) | instskip(NEXT) | instid1(VALU_DEP_1)
	v_min_u32_e32 v18, 32, v9
	v_dual_mov_b32 v9, v3 :: v_dual_sub_nc_u32 v44, 30, v18
	v_subrev_nc_u32_e32 v19, 29, v18
	s_delay_alu instid0(VALU_DEP_1) | instskip(NEXT) | instid1(VALU_DEP_1)
	v_lshlrev_b64_e32 v[8:9], v19, v[8:9]
	v_and_b32_e32 v9, 3, v8
; %bb.9546:                             ;   in Loop: Header=BB2_9143 Depth=3
	s_or_b32 exec_lo, exec_lo, s78
	v_lshlrev_b32_e32 v2, 16, v2
	s_delay_alu instid0(VALU_DEP_1) | instskip(NEXT) | instid1(VALU_DEP_1)
	v_and_b32_e32 v2, 0x80000000, v2
	v_lshl_add_u32 v2, v44, 23, v2
	s_delay_alu instid0(VALU_DEP_1) | instskip(NEXT) | instid1(VALU_DEP_1)
	v_lshl_or_b32 v2, v9, 21, v2
                                        ; implicit-def: $vgpr9
	v_add_nc_u32_e32 v44, 0x38000000, v2
.LBB2_9547:                             ;   in Loop: Header=BB2_9143 Depth=3
	s_and_not1_saveexec_b32 s77, s77
; %bb.9548:                             ;   in Loop: Header=BB2_9143 Depth=3
	v_cmp_lt_i16_e32 vcc_lo, -1, v2
	v_cndmask_b32_e32 v2, 0xff800000, v111, vcc_lo
	v_cmp_eq_u32_e32 vcc_lo, 0, v9
	s_delay_alu instid0(VALU_DEP_2)
	v_cndmask_b32_e32 v44, 0x7f800001, v2, vcc_lo
; %bb.9549:                             ;   in Loop: Header=BB2_9143 Depth=3
	s_or_b32 exec_lo, exec_lo, s77
.LBB2_9550:                             ;   in Loop: Header=BB2_9143 Depth=3
	s_delay_alu instid0(SALU_CYCLE_1)
	s_or_b32 exec_lo, exec_lo, s76
.LBB2_9551:                             ;   in Loop: Header=BB2_9143 Depth=3
	s_delay_alu instid0(SALU_CYCLE_1) | instskip(NEXT) | instid1(VALU_DEP_1)
	s_or_b32 exec_lo, exec_lo, s14
	v_dual_mul_f32 v8, s75, v44 :: v_dual_mov_b32 v19, v3
                                        ; implicit-def: $vgpr74
	s_mov_b32 s14, exec_lo
	s_delay_alu instid0(VALU_DEP_1) | instskip(SKIP_2) | instid1(VALU_DEP_3)
	v_and_b32_e32 v18, 0x7f800000, v8
	v_and_b32_e32 v2, 0x7fffff, v8
	v_lshrrev_b32_e32 v9, 24, v8
	v_cmpx_ne_u64_e32 0x7f800000, v[18:19]
	s_xor_b32 s76, exec_lo, s14
	s_cbranch_execz .LBB2_9565
; %bb.9552:                             ;   in Loop: Header=BB2_9143 Depth=3
	v_and_b32_e32 v18, 0x7fffffff, v8
	v_mov_b32_e32 v19, v3
	v_and_b32_e32 v46, 0x80, v9
                                        ; implicit-def: $vgpr74
	s_mov_b32 s14, exec_lo
	s_delay_alu instid0(VALU_DEP_2)
	v_cmpx_gt_u64_e32 0x47600001, v[18:19]
	s_xor_b32 s77, exec_lo, s14
	s_cbranch_execz .LBB2_9562
; %bb.9553:                             ;   in Loop: Header=BB2_9143 Depth=3
	v_mov_b32_e32 v74, 0
	s_mov_b32 s78, exec_lo
	v_cmpx_ne_u32_e32 0, v8
	s_cbranch_execz .LBB2_9561
; %bb.9554:                             ;   in Loop: Header=BB2_9143 Depth=3
	v_bfe_u32 v47, v8, 23, 8
	v_or_b32_e32 v18, 0x800000, v2
	s_delay_alu instid0(VALU_DEP_2) | instskip(SKIP_1) | instid1(VALU_DEP_2)
	v_dual_mov_b32 v19, v3 :: v_dual_sub_nc_u32 v8, 0x71, v47
	v_cmp_gt_u32_e32 vcc_lo, 0x72, v47
	v_cndmask_b32_e32 v8, 0, v8, vcc_lo
	v_cmp_eq_u32_e32 vcc_lo, 0, v47
	s_delay_alu instid0(VALU_DEP_2) | instskip(SKIP_1) | instid1(VALU_DEP_2)
	v_cndmask_b32_e64 v74, v8, 0x70, vcc_lo
	v_cndmask_b32_e32 v18, v18, v2, vcc_lo
	v_dual_add_nc_u32 v8, 21, v74 :: v_dual_add_nc_u32 v44, 20, v74
	s_delay_alu instid0(VALU_DEP_1) | instskip(NEXT) | instid1(VALU_DEP_2)
	v_lshlrev_b64_e64 v[8:9], v8, -1
	v_lshlrev_b64_e64 v[44:45], v44, 1
	s_delay_alu instid0(VALU_DEP_2) | instskip(NEXT) | instid1(VALU_DEP_3)
	v_bfi_b32 v79, v9, 0, 0
	v_bfi_b32 v78, v8, 0, v18
	v_lshrrev_b64 v[8:9], v74, v[18:19]
	s_delay_alu instid0(VALU_DEP_2) | instskip(NEXT) | instid1(VALU_DEP_2)
	v_cmp_eq_u64_e64 s14, v[78:79], v[44:45]
	v_mov_b64_e32 v[44:45], v[8:9]
	s_and_saveexec_b32 s79, s14
; %bb.9555:                             ;   in Loop: Header=BB2_9143 Depth=3
	v_bfe_u32 v18, v8, 21, 1
	v_mov_b32_e32 v19, v3
	s_delay_alu instid0(VALU_DEP_1) | instskip(NEXT) | instid1(VALU_DEP_1)
	v_add_nc_u64_e32 v[18:19], v[8:9], v[18:19]
	v_add_nc_u64_e32 v[44:45], -1, v[18:19]
; %bb.9556:                             ;   in Loop: Header=BB2_9143 Depth=3
	s_or_b32 exec_lo, exec_lo, s79
	v_add_nc_u32_e32 v2, 0xffffff81, v47
	s_delay_alu instid0(VALU_DEP_2) | instskip(SKIP_2) | instid1(VALU_DEP_3)
	v_and_b32_e32 v18, 0x1fffff, v44
	v_lshrrev_b32_e32 v9, 23, v8
	s_mov_b32 s14, exec_lo
                                        ; implicit-def: $vgpr44
	v_cndmask_b32_e64 v2, v2, 0xffffff82, vcc_lo
	s_delay_alu instid0(VALU_DEP_1) | instskip(SKIP_1) | instid1(VALU_DEP_2)
	v_add3_u32 v45, v74, v2, v9
	v_add_nc_u32_e32 v2, v18, v8
                                        ; implicit-def: $vgpr8_vgpr9
	v_add_nc_u32_e32 v47, 14, v45
	s_delay_alu instid0(VALU_DEP_1)
	v_cmpx_ne_u32_e32 0, v47
	s_xor_b32 s14, exec_lo, s14
; %bb.9557:                             ;   in Loop: Header=BB2_9143 Depth=3
	s_delay_alu instid0(VALU_DEP_3) | instskip(SKIP_1) | instid1(VALU_DEP_1)
	v_cmp_lt_u64_e32 vcc_lo, 0xffffff, v[2:3]
	v_add_nc_u32_e32 v8, 15, v45
	v_cndmask_b32_e32 v44, v47, v8, vcc_lo
	v_cndmask_b32_e64 v8, 0, 1, vcc_lo
	s_delay_alu instid0(VALU_DEP_1)
	v_lshrrev_b64 v[8:9], v8, v[2:3]
; %bb.9558:                             ;   in Loop: Header=BB2_9143 Depth=3
	s_and_not1_saveexec_b32 s14, s14
; %bb.9559:                             ;   in Loop: Header=BB2_9143 Depth=3
	v_mov_b64_e32 v[8:9], v[2:3]
	v_bfe_u32 v44, v2, 23, 1
; %bb.9560:                             ;   in Loop: Header=BB2_9143 Depth=3
	s_or_b32 exec_lo, exec_lo, s14
	s_delay_alu instid0(VALU_DEP_2) | instskip(NEXT) | instid1(VALU_DEP_2)
	v_lshrrev_b64 v[8:9], 21, v[8:9]
	v_cmp_gt_i32_e32 vcc_lo, 32, v44
	v_min_i32_e32 v2, 31, v44
	v_cmp_eq_u32_e64 s14, 0, v44
	s_delay_alu instid0(VALU_DEP_2) | instskip(SKIP_1) | instid1(VALU_DEP_2)
	v_dual_cndmask_b32 v9, 0, v9 :: v_dual_lshlrev_b32 v2, 2, v2
	v_cndmask_b32_e32 v8, 3, v8, vcc_lo
	v_and_b32_e32 v2, 0xfc, v2
	s_delay_alu instid0(VALU_DEP_2) | instskip(NEXT) | instid1(VALU_DEP_2)
	v_cmp_eq_u64_e32 vcc_lo, 0, v[8:9]
	v_and_or_b32 v2, v8, 3, v2
	s_and_b32 s14, s14, vcc_lo
	s_delay_alu instid0(VALU_DEP_1) | instid1(SALU_CYCLE_1)
	v_cndmask_b32_e64 v2, v2, 0, s14
	s_delay_alu instid0(VALU_DEP_1)
	v_or_b32_e32 v74, v2, v46
.LBB2_9561:                             ;   in Loop: Header=BB2_9143 Depth=3
	s_or_b32 exec_lo, exec_lo, s78
                                        ; implicit-def: $vgpr46
.LBB2_9562:                             ;   in Loop: Header=BB2_9143 Depth=3
	s_and_not1_saveexec_b32 s14, s77
; %bb.9563:                             ;   in Loop: Header=BB2_9143 Depth=3
	v_or_b32_e32 v74, 0x7b, v46
; %bb.9564:                             ;   in Loop: Header=BB2_9143 Depth=3
	s_or_b32 exec_lo, exec_lo, s14
                                        ; implicit-def: $vgpr8
                                        ; implicit-def: $vgpr9
.LBB2_9565:                             ;   in Loop: Header=BB2_9143 Depth=3
	s_and_not1_saveexec_b32 s14, s76
	s_cbranch_execz .LBB2_9571
; %bb.9566:                             ;   in Loop: Header=BB2_9143 Depth=3
	s_mov_b32 s76, exec_lo
                                        ; implicit-def: $vgpr74
	v_cmpx_ne_u64_e32 0, v[2:3]
	s_xor_b32 s76, exec_lo, s76
; %bb.9567:                             ;   in Loop: Header=BB2_9143 Depth=3
	v_or_b32_e32 v74, 0x7f, v9
                                        ; implicit-def: $vgpr8
; %bb.9568:                             ;   in Loop: Header=BB2_9143 Depth=3
	s_and_not1_saveexec_b32 s76, s76
; %bb.9569:                             ;   in Loop: Header=BB2_9143 Depth=3
	v_cmp_lt_i32_e32 vcc_lo, -1, v8
	v_cndmask_b32_e32 v74, 0xfc, v120, vcc_lo
; %bb.9570:                             ;   in Loop: Header=BB2_9143 Depth=3
	s_or_b32 exec_lo, exec_lo, s76
.LBB2_9571:                             ;   in Loop: Header=BB2_9143 Depth=3
	s_delay_alu instid0(SALU_CYCLE_1) | instskip(SKIP_2) | instid1(VALU_DEP_1)
	s_or_b32 exec_lo, exec_lo, s14
	v_dual_lshrrev_b32 v2, 16, v11 :: v_dual_mov_b32 v8, 0
	s_mov_b32 s14, exec_lo
	v_and_b32_e32 v9, 0xff, v2
	s_delay_alu instid0(VALU_DEP_1)
	v_cmpx_ne_u16_e32 0, v9
	s_cbranch_execz .LBB2_9581
; %bb.9572:                             ;   in Loop: Header=BB2_9143 Depth=3
	v_bfrev_b32_e32 v8, 1
	s_mov_b32 s76, exec_lo
	v_cmpx_ne_u16_e32 0x80, v9
	s_cbranch_execz .LBB2_9580
; %bb.9573:                             ;   in Loop: Header=BB2_9143 Depth=3
	v_and_b32_e32 v8, 0x7c0000, v11
	v_bfe_u32 v9, v11, 16, 2
	s_delay_alu instid0(VALU_DEP_2) | instskip(SKIP_1) | instid1(SALU_CYCLE_1)
	v_cmp_ne_u32_e32 vcc_lo, 0x7c0000, v8
                                        ; implicit-def: $vgpr8
	s_and_saveexec_b32 s77, vcc_lo
	s_xor_b32 s77, exec_lo, s77
	s_cbranch_execz .LBB2_9577
; %bb.9574:                             ;   in Loop: Header=BB2_9143 Depth=3
	v_bfe_u32 v8, v11, 18, 5
	s_mov_b32 s78, exec_lo
	s_delay_alu instid0(VALU_DEP_1)
	v_cmpx_eq_u32_e32 0, v8
; %bb.9575:                             ;   in Loop: Header=BB2_9143 Depth=3
	v_clz_i32_u32_e32 v8, v9
	s_delay_alu instid0(VALU_DEP_1) | instskip(NEXT) | instid1(VALU_DEP_1)
	v_min_u32_e32 v8, 32, v8
	v_subrev_nc_u32_e32 v9, 29, v8
	s_delay_alu instid0(VALU_DEP_1) | instskip(NEXT) | instid1(VALU_DEP_1)
	v_lshlrev_b64_e32 v[18:19], v9, v[2:3]
	v_dual_sub_nc_u32 v8, 30, v8 :: v_dual_bitop2_b32 v9, 3, v18 bitop3:0x40
; %bb.9576:                             ;   in Loop: Header=BB2_9143 Depth=3
	s_or_b32 exec_lo, exec_lo, s78
	v_lshlrev_b32_e32 v2, 24, v2
	s_delay_alu instid0(VALU_DEP_1) | instskip(NEXT) | instid1(VALU_DEP_1)
	v_and_b32_e32 v2, 0x80000000, v2
	v_lshl_add_u32 v2, v8, 23, v2
	s_delay_alu instid0(VALU_DEP_1) | instskip(NEXT) | instid1(VALU_DEP_1)
	v_lshl_or_b32 v2, v9, 21, v2
                                        ; implicit-def: $vgpr9
	v_add_nc_u32_e32 v8, 0x38000000, v2
                                        ; implicit-def: $vgpr2
.LBB2_9577:                             ;   in Loop: Header=BB2_9143 Depth=3
	s_and_not1_saveexec_b32 s77, s77
; %bb.9578:                             ;   in Loop: Header=BB2_9143 Depth=3
	v_bfe_i32 v2, v2, 0, 8
	s_delay_alu instid0(VALU_DEP_1) | instskip(SKIP_2) | instid1(VALU_DEP_2)
	v_cmp_lt_i16_e32 vcc_lo, -1, v2
	v_cndmask_b32_e32 v2, 0xff800000, v111, vcc_lo
	v_cmp_eq_u32_e32 vcc_lo, 0, v9
	v_cndmask_b32_e32 v8, 0x7f800001, v2, vcc_lo
; %bb.9579:                             ;   in Loop: Header=BB2_9143 Depth=3
	s_or_b32 exec_lo, exec_lo, s77
.LBB2_9580:                             ;   in Loop: Header=BB2_9143 Depth=3
	s_delay_alu instid0(SALU_CYCLE_1)
	s_or_b32 exec_lo, exec_lo, s76
.LBB2_9581:                             ;   in Loop: Header=BB2_9143 Depth=3
	s_delay_alu instid0(SALU_CYCLE_1) | instskip(NEXT) | instid1(VALU_DEP_1)
	s_or_b32 exec_lo, exec_lo, s14
	v_dual_mul_f32 v8, s75, v8 :: v_dual_mov_b32 v19, v3
                                        ; implicit-def: $vgpr76
	s_mov_b32 s14, exec_lo
	s_delay_alu instid0(VALU_DEP_1) | instskip(SKIP_2) | instid1(VALU_DEP_3)
	v_and_b32_e32 v18, 0x7f800000, v8
	v_and_b32_e32 v2, 0x7fffff, v8
	v_lshrrev_b32_e32 v9, 24, v8
	v_cmpx_ne_u64_e32 0x7f800000, v[18:19]
	s_xor_b32 s76, exec_lo, s14
	s_cbranch_execz .LBB2_9595
; %bb.9582:                             ;   in Loop: Header=BB2_9143 Depth=3
	v_and_b32_e32 v18, 0x7fffffff, v8
	v_mov_b32_e32 v19, v3
	v_and_b32_e32 v46, 0x80, v9
                                        ; implicit-def: $vgpr76
	s_mov_b32 s14, exec_lo
	s_delay_alu instid0(VALU_DEP_2)
	v_cmpx_gt_u64_e32 0x47600001, v[18:19]
	s_xor_b32 s77, exec_lo, s14
	s_cbranch_execz .LBB2_9592
; %bb.9583:                             ;   in Loop: Header=BB2_9143 Depth=3
	v_mov_b32_e32 v76, 0
	s_mov_b32 s78, exec_lo
	v_cmpx_ne_u32_e32 0, v8
	s_cbranch_execz .LBB2_9591
; %bb.9584:                             ;   in Loop: Header=BB2_9143 Depth=3
	v_bfe_u32 v47, v8, 23, 8
	v_or_b32_e32 v18, 0x800000, v2
	s_delay_alu instid0(VALU_DEP_2) | instskip(SKIP_1) | instid1(VALU_DEP_2)
	v_dual_mov_b32 v19, v3 :: v_dual_sub_nc_u32 v8, 0x71, v47
	v_cmp_gt_u32_e32 vcc_lo, 0x72, v47
	v_cndmask_b32_e32 v8, 0, v8, vcc_lo
	v_cmp_eq_u32_e32 vcc_lo, 0, v47
	v_cndmask_b32_e32 v18, v18, v2, vcc_lo
	s_delay_alu instid0(VALU_DEP_3) | instskip(NEXT) | instid1(VALU_DEP_1)
	v_cndmask_b32_e64 v76, v8, 0x70, vcc_lo
	v_dual_add_nc_u32 v8, 21, v76 :: v_dual_add_nc_u32 v44, 20, v76
	s_delay_alu instid0(VALU_DEP_1) | instskip(NEXT) | instid1(VALU_DEP_2)
	v_lshlrev_b64_e64 v[8:9], v8, -1
	v_lshlrev_b64_e64 v[44:45], v44, 1
	s_delay_alu instid0(VALU_DEP_2) | instskip(NEXT) | instid1(VALU_DEP_3)
	v_bfi_b32 v79, v9, 0, 0
	v_bfi_b32 v78, v8, 0, v18
	v_lshrrev_b64 v[8:9], v76, v[18:19]
	s_delay_alu instid0(VALU_DEP_2) | instskip(NEXT) | instid1(VALU_DEP_2)
	v_cmp_eq_u64_e64 s14, v[78:79], v[44:45]
	v_mov_b64_e32 v[44:45], v[8:9]
	s_and_saveexec_b32 s79, s14
; %bb.9585:                             ;   in Loop: Header=BB2_9143 Depth=3
	v_bfe_u32 v18, v8, 21, 1
	v_mov_b32_e32 v19, v3
	s_delay_alu instid0(VALU_DEP_1) | instskip(NEXT) | instid1(VALU_DEP_1)
	v_add_nc_u64_e32 v[18:19], v[8:9], v[18:19]
	v_add_nc_u64_e32 v[44:45], -1, v[18:19]
; %bb.9586:                             ;   in Loop: Header=BB2_9143 Depth=3
	s_or_b32 exec_lo, exec_lo, s79
	v_add_nc_u32_e32 v2, 0xffffff81, v47
	s_delay_alu instid0(VALU_DEP_2) | instskip(SKIP_2) | instid1(VALU_DEP_3)
	v_and_b32_e32 v18, 0x1fffff, v44
	v_lshrrev_b32_e32 v9, 23, v8
	s_mov_b32 s14, exec_lo
                                        ; implicit-def: $vgpr44
	v_cndmask_b32_e64 v2, v2, 0xffffff82, vcc_lo
	s_delay_alu instid0(VALU_DEP_1) | instskip(SKIP_1) | instid1(VALU_DEP_2)
	v_add3_u32 v45, v76, v2, v9
	v_add_nc_u32_e32 v2, v18, v8
                                        ; implicit-def: $vgpr8_vgpr9
	v_add_nc_u32_e32 v47, 14, v45
	s_delay_alu instid0(VALU_DEP_1)
	v_cmpx_ne_u32_e32 0, v47
	s_xor_b32 s14, exec_lo, s14
; %bb.9587:                             ;   in Loop: Header=BB2_9143 Depth=3
	s_delay_alu instid0(VALU_DEP_3) | instskip(SKIP_1) | instid1(VALU_DEP_1)
	v_cmp_lt_u64_e32 vcc_lo, 0xffffff, v[2:3]
	v_add_nc_u32_e32 v8, 15, v45
	v_cndmask_b32_e32 v44, v47, v8, vcc_lo
	v_cndmask_b32_e64 v8, 0, 1, vcc_lo
	s_delay_alu instid0(VALU_DEP_1)
	v_lshrrev_b64 v[8:9], v8, v[2:3]
; %bb.9588:                             ;   in Loop: Header=BB2_9143 Depth=3
	s_and_not1_saveexec_b32 s14, s14
; %bb.9589:                             ;   in Loop: Header=BB2_9143 Depth=3
	v_mov_b64_e32 v[8:9], v[2:3]
	v_bfe_u32 v44, v2, 23, 1
; %bb.9590:                             ;   in Loop: Header=BB2_9143 Depth=3
	s_or_b32 exec_lo, exec_lo, s14
	s_delay_alu instid0(VALU_DEP_2) | instskip(NEXT) | instid1(VALU_DEP_2)
	v_lshrrev_b64 v[8:9], 21, v[8:9]
	v_cmp_gt_i32_e32 vcc_lo, 32, v44
	v_min_i32_e32 v2, 31, v44
	v_cmp_eq_u32_e64 s14, 0, v44
	s_delay_alu instid0(VALU_DEP_2) | instskip(SKIP_1) | instid1(VALU_DEP_2)
	v_dual_cndmask_b32 v9, 0, v9 :: v_dual_lshlrev_b32 v2, 2, v2
	v_cndmask_b32_e32 v8, 3, v8, vcc_lo
	v_and_b32_e32 v2, 0xfc, v2
	s_delay_alu instid0(VALU_DEP_2) | instskip(NEXT) | instid1(VALU_DEP_2)
	v_cmp_eq_u64_e32 vcc_lo, 0, v[8:9]
	v_and_or_b32 v2, v8, 3, v2
	s_and_b32 s14, s14, vcc_lo
	s_delay_alu instid0(VALU_DEP_1) | instid1(SALU_CYCLE_1)
	v_cndmask_b32_e64 v2, v2, 0, s14
	s_delay_alu instid0(VALU_DEP_1)
	v_or_b32_e32 v76, v2, v46
.LBB2_9591:                             ;   in Loop: Header=BB2_9143 Depth=3
	s_or_b32 exec_lo, exec_lo, s78
                                        ; implicit-def: $vgpr46
.LBB2_9592:                             ;   in Loop: Header=BB2_9143 Depth=3
	s_and_not1_saveexec_b32 s14, s77
; %bb.9593:                             ;   in Loop: Header=BB2_9143 Depth=3
	v_or_b32_e32 v76, 0x7b, v46
; %bb.9594:                             ;   in Loop: Header=BB2_9143 Depth=3
	s_or_b32 exec_lo, exec_lo, s14
                                        ; implicit-def: $vgpr8
                                        ; implicit-def: $vgpr9
.LBB2_9595:                             ;   in Loop: Header=BB2_9143 Depth=3
	s_and_not1_saveexec_b32 s14, s76
	s_cbranch_execz .LBB2_9601
; %bb.9596:                             ;   in Loop: Header=BB2_9143 Depth=3
	s_mov_b32 s76, exec_lo
                                        ; implicit-def: $vgpr76
	v_cmpx_ne_u64_e32 0, v[2:3]
	s_xor_b32 s76, exec_lo, s76
; %bb.9597:                             ;   in Loop: Header=BB2_9143 Depth=3
	v_or_b32_e32 v76, 0x7f, v9
                                        ; implicit-def: $vgpr8
; %bb.9598:                             ;   in Loop: Header=BB2_9143 Depth=3
	s_and_not1_saveexec_b32 s76, s76
; %bb.9599:                             ;   in Loop: Header=BB2_9143 Depth=3
	v_cmp_lt_i32_e32 vcc_lo, -1, v8
	v_cndmask_b32_e32 v76, 0xfc, v120, vcc_lo
; %bb.9600:                             ;   in Loop: Header=BB2_9143 Depth=3
	s_or_b32 exec_lo, exec_lo, s76
.LBB2_9601:                             ;   in Loop: Header=BB2_9143 Depth=3
	s_delay_alu instid0(SALU_CYCLE_1)
	s_or_b32 exec_lo, exec_lo, s14
	v_mov_b32_e32 v8, 0
	s_mov_b32 s14, exec_lo
	v_cmpx_lt_u64_e64 s[22:23], v[10:11]
	s_cbranch_execz .LBB2_9611
; %bb.9602:                             ;   in Loop: Header=BB2_9143 Depth=3
	v_lshrrev_b32_e32 v2, 24, v11
	v_bfrev_b32_e32 v8, 1
	s_mov_b32 s76, exec_lo
	s_delay_alu instid0(VALU_DEP_2)
	v_cmpx_ne_u32_e32 0x80, v2
	s_cbranch_execz .LBB2_9610
; %bb.9603:                             ;   in Loop: Header=BB2_9143 Depth=3
	v_and_b32_e32 v8, 0x7c000000, v11
	v_bfe_u32 v9, v11, 24, 2
	s_delay_alu instid0(VALU_DEP_2) | instskip(SKIP_1) | instid1(SALU_CYCLE_1)
	v_cmp_ne_u32_e32 vcc_lo, 0x7c000000, v8
                                        ; implicit-def: $vgpr8
	s_and_saveexec_b32 s77, vcc_lo
	s_xor_b32 s77, exec_lo, s77
	s_cbranch_execz .LBB2_9607
; %bb.9604:                             ;   in Loop: Header=BB2_9143 Depth=3
	v_bfe_u32 v8, v11, 26, 5
	s_mov_b32 s78, exec_lo
	s_delay_alu instid0(VALU_DEP_1)
	v_cmpx_eq_u32_e32 0, v8
; %bb.9605:                             ;   in Loop: Header=BB2_9143 Depth=3
	v_clz_i32_u32_e32 v8, v9
	s_delay_alu instid0(VALU_DEP_1) | instskip(NEXT) | instid1(VALU_DEP_1)
	v_min_u32_e32 v8, 32, v8
	v_subrev_nc_u32_e32 v9, 29, v8
	s_delay_alu instid0(VALU_DEP_1) | instskip(NEXT) | instid1(VALU_DEP_1)
	v_lshlrev_b64_e32 v[18:19], v9, v[2:3]
	v_dual_sub_nc_u32 v8, 30, v8 :: v_dual_bitop2_b32 v9, 3, v18 bitop3:0x40
; %bb.9606:                             ;   in Loop: Header=BB2_9143 Depth=3
	s_or_b32 exec_lo, exec_lo, s78
	v_and_b32_e32 v2, 0x80000000, v11
                                        ; implicit-def: $vgpr10_vgpr11
	s_delay_alu instid0(VALU_DEP_1) | instskip(NEXT) | instid1(VALU_DEP_1)
	v_lshl_add_u32 v2, v8, 23, v2
	v_lshl_or_b32 v2, v9, 21, v2
                                        ; implicit-def: $vgpr9
	s_delay_alu instid0(VALU_DEP_1)
	v_add_nc_u32_e32 v8, 0x38000000, v2
.LBB2_9607:                             ;   in Loop: Header=BB2_9143 Depth=3
	s_and_not1_saveexec_b32 s77, s77
; %bb.9608:                             ;   in Loop: Header=BB2_9143 Depth=3
	v_cmp_lt_i64_e32 vcc_lo, -1, v[10:11]
	v_cndmask_b32_e32 v2, 0xff800000, v111, vcc_lo
	v_cmp_eq_u32_e32 vcc_lo, 0, v9
	s_delay_alu instid0(VALU_DEP_2)
	v_cndmask_b32_e32 v8, 0x7f800001, v2, vcc_lo
; %bb.9609:                             ;   in Loop: Header=BB2_9143 Depth=3
	s_or_b32 exec_lo, exec_lo, s77
.LBB2_9610:                             ;   in Loop: Header=BB2_9143 Depth=3
	s_delay_alu instid0(SALU_CYCLE_1)
	s_or_b32 exec_lo, exec_lo, s76
.LBB2_9611:                             ;   in Loop: Header=BB2_9143 Depth=3
	s_delay_alu instid0(SALU_CYCLE_1) | instskip(NEXT) | instid1(VALU_DEP_1)
	s_or_b32 exec_lo, exec_lo, s14
	v_dual_mul_f32 v8, s75, v8 :: v_dual_mov_b32 v11, v3
                                        ; implicit-def: $vgpr79
	s_mov_b32 s14, exec_lo
	s_delay_alu instid0(VALU_DEP_1) | instskip(SKIP_2) | instid1(VALU_DEP_3)
	v_and_b32_e32 v10, 0x7f800000, v8
	v_and_b32_e32 v2, 0x7fffff, v8
	v_lshrrev_b32_e32 v9, 24, v8
	v_cmpx_ne_u64_e32 0x7f800000, v[10:11]
	s_xor_b32 s75, exec_lo, s14
	s_cbranch_execz .LBB2_9625
; %bb.9612:                             ;   in Loop: Header=BB2_9143 Depth=3
	v_and_b32_e32 v10, 0x7fffffff, v8
	v_mov_b32_e32 v11, v3
	v_and_b32_e32 v44, 0x80, v9
                                        ; implicit-def: $vgpr79
	s_mov_b32 s14, exec_lo
	s_delay_alu instid0(VALU_DEP_2)
	v_cmpx_gt_u64_e32 0x47600001, v[10:11]
	s_xor_b32 s76, exec_lo, s14
	s_cbranch_execz .LBB2_9622
; %bb.9613:                             ;   in Loop: Header=BB2_9143 Depth=3
	v_mov_b32_e32 v79, 0
	s_mov_b32 s77, exec_lo
	v_cmpx_ne_u32_e32 0, v8
	s_cbranch_execz .LBB2_9621
; %bb.9614:                             ;   in Loop: Header=BB2_9143 Depth=3
	v_bfe_u32 v45, v8, 23, 8
	v_or_b32_e32 v10, 0x800000, v2
	s_mov_b32 s78, exec_lo
	s_delay_alu instid0(VALU_DEP_2) | instskip(SKIP_1) | instid1(VALU_DEP_2)
	v_dual_mov_b32 v11, v3 :: v_dual_sub_nc_u32 v8, 0x71, v45
	v_cmp_gt_u32_e32 vcc_lo, 0x72, v45
	v_cndmask_b32_e32 v8, 0, v8, vcc_lo
	v_cmp_eq_u32_e32 vcc_lo, 0, v45
	s_delay_alu instid0(VALU_DEP_2) | instskip(SKIP_1) | instid1(VALU_DEP_2)
	v_cndmask_b32_e64 v46, v8, 0x70, vcc_lo
	v_cndmask_b32_e32 v10, v10, v2, vcc_lo
	v_dual_add_nc_u32 v8, 21, v46 :: v_dual_add_nc_u32 v18, 20, v46
	s_delay_alu instid0(VALU_DEP_1) | instskip(NEXT) | instid1(VALU_DEP_2)
	v_lshlrev_b64_e64 v[8:9], v8, -1
	v_lshlrev_b64_e64 v[18:19], v18, 1
	s_delay_alu instid0(VALU_DEP_2) | instskip(NEXT) | instid1(VALU_DEP_3)
	v_bfi_b32 v79, v9, 0, 0
	v_bfi_b32 v78, v8, 0, v10
	v_lshrrev_b64 v[8:9], v46, v[10:11]
	s_delay_alu instid0(VALU_DEP_1) | instskip(NEXT) | instid1(VALU_DEP_3)
	v_mov_b64_e32 v[10:11], v[8:9]
	v_cmpx_eq_u64_e64 v[78:79], v[18:19]
; %bb.9615:                             ;   in Loop: Header=BB2_9143 Depth=3
	v_bfe_u32 v10, v8, 21, 1
	v_mov_b32_e32 v11, v3
	s_delay_alu instid0(VALU_DEP_1) | instskip(NEXT) | instid1(VALU_DEP_1)
	v_add_nc_u64_e32 v[10:11], v[8:9], v[10:11]
	v_add_nc_u64_e32 v[10:11], -1, v[10:11]
; %bb.9616:                             ;   in Loop: Header=BB2_9143 Depth=3
	s_or_b32 exec_lo, exec_lo, s78
	v_add_nc_u32_e32 v2, 0xffffff81, v45
	s_delay_alu instid0(VALU_DEP_2) | instskip(SKIP_2) | instid1(VALU_DEP_3)
	v_and_b32_e32 v10, 0x1fffff, v10
	v_lshrrev_b32_e32 v9, 23, v8
	s_mov_b32 s14, exec_lo
	v_cndmask_b32_e64 v2, v2, 0xffffff82, vcc_lo
	s_delay_alu instid0(VALU_DEP_1) | instskip(SKIP_1) | instid1(VALU_DEP_2)
	v_add3_u32 v11, v46, v2, v9
	v_add_nc_u32_e32 v2, v10, v8
                                        ; implicit-def: $vgpr8_vgpr9
                                        ; implicit-def: $vgpr10
	v_add_nc_u32_e32 v45, 14, v11
	s_delay_alu instid0(VALU_DEP_1)
	v_cmpx_ne_u32_e32 0, v45
	s_xor_b32 s14, exec_lo, s14
; %bb.9617:                             ;   in Loop: Header=BB2_9143 Depth=3
	s_delay_alu instid0(VALU_DEP_3) | instskip(SKIP_1) | instid1(VALU_DEP_1)
	v_cmp_lt_u64_e32 vcc_lo, 0xffffff, v[2:3]
	v_add_nc_u32_e32 v8, 15, v11
	v_cndmask_b32_e32 v10, v45, v8, vcc_lo
	v_cndmask_b32_e64 v8, 0, 1, vcc_lo
	s_delay_alu instid0(VALU_DEP_1)
	v_lshrrev_b64 v[8:9], v8, v[2:3]
; %bb.9618:                             ;   in Loop: Header=BB2_9143 Depth=3
	s_and_not1_saveexec_b32 s14, s14
; %bb.9619:                             ;   in Loop: Header=BB2_9143 Depth=3
	v_mov_b64_e32 v[8:9], v[2:3]
	v_bfe_u32 v10, v2, 23, 1
; %bb.9620:                             ;   in Loop: Header=BB2_9143 Depth=3
	s_or_b32 exec_lo, exec_lo, s14
	s_delay_alu instid0(VALU_DEP_2) | instskip(NEXT) | instid1(VALU_DEP_2)
	v_lshrrev_b64 v[8:9], 21, v[8:9]
	v_cmp_gt_i32_e32 vcc_lo, 32, v10
	v_min_i32_e32 v2, 31, v10
	v_cmp_eq_u32_e64 s14, 0, v10
	s_delay_alu instid0(VALU_DEP_2) | instskip(SKIP_1) | instid1(VALU_DEP_2)
	v_dual_cndmask_b32 v9, 0, v9 :: v_dual_lshlrev_b32 v2, 2, v2
	v_cndmask_b32_e32 v8, 3, v8, vcc_lo
	v_and_b32_e32 v2, 0xfc, v2
	s_delay_alu instid0(VALU_DEP_2) | instskip(NEXT) | instid1(VALU_DEP_2)
	v_cmp_eq_u64_e32 vcc_lo, 0, v[8:9]
	v_and_or_b32 v2, v8, 3, v2
	s_and_b32 s14, s14, vcc_lo
	s_delay_alu instid0(VALU_DEP_1) | instid1(SALU_CYCLE_1)
	v_cndmask_b32_e64 v2, v2, 0, s14
	s_delay_alu instid0(VALU_DEP_1)
	v_or_b32_e32 v79, v2, v44
.LBB2_9621:                             ;   in Loop: Header=BB2_9143 Depth=3
	s_or_b32 exec_lo, exec_lo, s77
                                        ; implicit-def: $vgpr44
.LBB2_9622:                             ;   in Loop: Header=BB2_9143 Depth=3
	s_and_not1_saveexec_b32 s14, s76
; %bb.9623:                             ;   in Loop: Header=BB2_9143 Depth=3
	v_or_b32_e32 v79, 0x7b, v44
; %bb.9624:                             ;   in Loop: Header=BB2_9143 Depth=3
	s_or_b32 exec_lo, exec_lo, s14
                                        ; implicit-def: $vgpr8
                                        ; implicit-def: $vgpr9
.LBB2_9625:                             ;   in Loop: Header=BB2_9143 Depth=3
	s_and_not1_saveexec_b32 s14, s75
	s_cbranch_execz .LBB2_9631
; %bb.9626:                             ;   in Loop: Header=BB2_9143 Depth=3
	s_mov_b32 s75, exec_lo
                                        ; implicit-def: $vgpr79
	v_cmpx_ne_u64_e32 0, v[2:3]
	s_xor_b32 s75, exec_lo, s75
; %bb.9627:                             ;   in Loop: Header=BB2_9143 Depth=3
	v_or_b32_e32 v79, 0x7f, v9
                                        ; implicit-def: $vgpr8
; %bb.9628:                             ;   in Loop: Header=BB2_9143 Depth=3
	s_and_not1_saveexec_b32 s75, s75
; %bb.9629:                             ;   in Loop: Header=BB2_9143 Depth=3
	v_cmp_lt_i32_e32 vcc_lo, -1, v8
	v_cndmask_b32_e32 v79, 0xfc, v120, vcc_lo
; %bb.9630:                             ;   in Loop: Header=BB2_9143 Depth=3
	s_or_b32 exec_lo, exec_lo, s75
.LBB2_9631:                             ;   in Loop: Header=BB2_9143 Depth=3
	s_delay_alu instid0(SALU_CYCLE_1)
	s_or_b32 exec_lo, exec_lo, s14
	global_load_b128 v[8:11], v[42:43], off th:TH_LOAD_NT
	v_lshl_or_b32 v30, v30, 8, v16
	v_dual_lshlrev_b32 v2, 16, v72 :: v_dual_lshlrev_b32 v18, 24, v75
	v_mov_b32_e32 v44, 0
	s_mov_b32 s14, exec_lo
	s_delay_alu instid0(VALU_DEP_2)
	v_or3_b32 v2, v2, v18, v30
	s_wait_xcnt 0x0
	v_cmpx_ne_u32_e32 0, v16
	s_cbranch_execz .LBB2_9641
; %bb.9632:                             ;   in Loop: Header=BB2_9143 Depth=3
	v_bfrev_b32_e32 v44, 1
	s_mov_b32 s75, exec_lo
	v_cmpx_ne_u32_e32 0x80, v16
	s_cbranch_execz .LBB2_9640
; %bb.9633:                             ;   in Loop: Header=BB2_9143 Depth=3
	v_and_b32_e32 v18, 0x7c, v16
	v_and_b32_e32 v45, 3, v16
	s_mov_b32 s76, exec_lo
                                        ; implicit-def: $vgpr44
	s_delay_alu instid0(VALU_DEP_2)
	v_cmpx_ne_u32_e32 0x7c, v18
	s_xor_b32 s76, exec_lo, s76
	s_cbranch_execz .LBB2_9637
; %bb.9634:                             ;   in Loop: Header=BB2_9143 Depth=3
	v_bfe_u32 v44, v16, 2, 5
	s_mov_b32 s77, exec_lo
	s_delay_alu instid0(VALU_DEP_1)
	v_cmpx_eq_u32_e32 0, v44
; %bb.9635:                             ;   in Loop: Header=BB2_9143 Depth=3
	v_clz_i32_u32_e32 v18, v45
	s_delay_alu instid0(VALU_DEP_1) | instskip(NEXT) | instid1(VALU_DEP_1)
	v_min_u32_e32 v44, 32, v18
	v_subrev_nc_u32_e32 v18, 29, v44
	s_delay_alu instid0(VALU_DEP_1) | instskip(NEXT) | instid1(VALU_DEP_1)
	v_lshlrev_b64_e32 v[18:19], v18, v[2:3]
	v_dual_sub_nc_u32 v44, 30, v44 :: v_dual_bitop2_b32 v45, 3, v18 bitop3:0x40
; %bb.9636:                             ;   in Loop: Header=BB2_9143 Depth=3
	s_or_b32 exec_lo, exec_lo, s77
	v_lshlrev_b32_e32 v16, 24, v16
	s_delay_alu instid0(VALU_DEP_1) | instskip(NEXT) | instid1(VALU_DEP_1)
	v_and_b32_e32 v16, 0x80000000, v16
	v_lshl_add_u32 v16, v44, 23, v16
	s_delay_alu instid0(VALU_DEP_1) | instskip(NEXT) | instid1(VALU_DEP_1)
	v_lshl_or_b32 v16, v45, 21, v16
                                        ; implicit-def: $vgpr45
	v_add_nc_u32_e32 v44, 0x38000000, v16
                                        ; implicit-def: $vgpr16
.LBB2_9637:                             ;   in Loop: Header=BB2_9143 Depth=3
	s_and_not1_saveexec_b32 s76, s76
; %bb.9638:                             ;   in Loop: Header=BB2_9143 Depth=3
	v_and_b32_e32 v16, 0x80, v16
	s_delay_alu instid0(VALU_DEP_1) | instskip(SKIP_2) | instid1(VALU_DEP_2)
	v_cmp_eq_u32_e32 vcc_lo, 0, v16
	v_cndmask_b32_e32 v16, 0xff800000, v111, vcc_lo
	v_cmp_eq_u32_e32 vcc_lo, 0, v45
	v_cndmask_b32_e32 v44, 0x7f800001, v16, vcc_lo
; %bb.9639:                             ;   in Loop: Header=BB2_9143 Depth=3
	s_or_b32 exec_lo, exec_lo, s76
.LBB2_9640:                             ;   in Loop: Header=BB2_9143 Depth=3
	s_delay_alu instid0(SALU_CYCLE_1)
	s_or_b32 exec_lo, exec_lo, s75
.LBB2_9641:                             ;   in Loop: Header=BB2_9143 Depth=3
	s_delay_alu instid0(SALU_CYCLE_1) | instskip(SKIP_4) | instid1(VALU_DEP_1)
	s_or_b32 exec_lo, exec_lo, s14
	s_wait_loadcnt 0x0
	v_and_b32_e32 v45, 0xff, v8
	s_mov_b32 s75, 0
	s_mov_b32 s14, exec_lo
	v_cmpx_lt_i16_e32 0x7f, v45
	s_xor_b32 s14, exec_lo, s14
	s_cbranch_execz .LBB2_10182
; %bb.9642:                             ;   in Loop: Header=BB2_9143 Depth=3
	s_mov_b32 s75, -1
	s_mov_b32 s76, exec_lo
	v_cmpx_eq_u16_e32 0x80, v45
; %bb.9643:                             ;   in Loop: Header=BB2_9143 Depth=3
	s_xor_b32 s75, exec_lo, -1
; %bb.9644:                             ;   in Loop: Header=BB2_9143 Depth=3
	s_or_b32 exec_lo, exec_lo, s76
	s_delay_alu instid0(SALU_CYCLE_1)
	s_and_b32 s75, s75, exec_lo
                                        ; implicit-def: $vgpr45
	s_or_saveexec_b32 s14, s14
	v_bfrev_b32_e32 v16, 1
	s_xor_b32 exec_lo, exec_lo, s14
	s_cbranch_execnz .LBB2_10183
.LBB2_9645:                             ;   in Loop: Header=BB2_9143 Depth=3
	s_or_b32 exec_lo, exec_lo, s14
	s_and_saveexec_b32 s14, s75
	s_cbranch_execz .LBB2_9647
.LBB2_9646:                             ;   in Loop: Header=BB2_9143 Depth=3
	v_and_b32_e32 v16, 3, v8
	v_bfe_u32 v46, v8, 2, 5
	s_delay_alu instid0(VALU_DEP_2) | instskip(NEXT) | instid1(VALU_DEP_2)
	v_clz_i32_u32_e32 v18, v16
	v_cmp_eq_u32_e32 vcc_lo, 0, v46
	s_delay_alu instid0(VALU_DEP_2) | instskip(NEXT) | instid1(VALU_DEP_1)
	v_min_u32_e32 v45, 32, v18
	v_subrev_nc_u32_e32 v18, 29, v45
	s_delay_alu instid0(VALU_DEP_1) | instskip(SKIP_1) | instid1(VALU_DEP_1)
	v_lshlrev_b64_e32 v[18:19], v18, v[8:9]
	v_dual_lshlrev_b32 v19, 24, v8 :: v_dual_sub_nc_u32 v45, 30, v45
	v_and_b32_e32 v19, 0x80000000, v19
	s_delay_alu instid0(VALU_DEP_2) | instskip(SKIP_1) | instid1(VALU_DEP_2)
	v_dual_cndmask_b32 v45, v46, v45, vcc_lo :: v_dual_bitop2_b32 v18, 3, v18 bitop3:0x40
	v_bfe_i32 v46, v8, 0, 8
	v_cndmask_b32_e32 v18, v16, v18, vcc_lo
	s_delay_alu instid0(VALU_DEP_3) | instskip(NEXT) | instid1(VALU_DEP_3)
	v_lshl_add_u32 v19, v45, 23, v19
	v_cmp_lt_i16_e32 vcc_lo, -1, v46
	s_delay_alu instid0(VALU_DEP_2) | instskip(SKIP_3) | instid1(VALU_DEP_4)
	v_lshl_or_b32 v18, v18, 21, v19
	v_cndmask_b32_e32 v45, 0xff800000, v111, vcc_lo
	v_and_b32_e32 v19, 0x7c, v8
	v_cmp_eq_u32_e32 vcc_lo, 0, v16
	v_add_nc_u32_e32 v18, 0x38000000, v18
	s_delay_alu instid0(VALU_DEP_4) | instskip(NEXT) | instid1(VALU_DEP_4)
	v_cndmask_b32_e32 v16, 0x7f800001, v45, vcc_lo
	v_cmp_eq_u32_e32 vcc_lo, 0x7c, v19
	s_delay_alu instid0(VALU_DEP_2)
	v_cndmask_b32_e32 v16, v18, v16, vcc_lo
.LBB2_9647:                             ;   in Loop: Header=BB2_9143 Depth=3
	s_or_b32 exec_lo, exec_lo, s14
	s_delay_alu instid0(VALU_DEP_1) | instskip(SKIP_2) | instid1(VALU_DEP_2)
	v_dual_add_f32 v46, v44, v16 :: v_dual_mov_b32 v19, v3
	v_mov_b32_e32 v45, v3
                                        ; implicit-def: $vgpr16
	s_mov_b32 s14, exec_lo
	v_and_b32_e32 v18, 0x7f800000, v46
	v_and_b32_e32 v44, 0x7fffff, v46
	v_lshrrev_b32_e32 v47, 24, v46
	s_delay_alu instid0(VALU_DEP_3)
	v_cmpx_ne_u64_e32 0x7f800000, v[18:19]
	s_xor_b32 s75, exec_lo, s14
	s_cbranch_execz .LBB2_9661
; %bb.9648:                             ;   in Loop: Header=BB2_9143 Depth=3
	v_and_b32_e32 v18, 0x7fffffff, v46
	v_mov_b32_e32 v19, v3
	v_and_b32_e32 v72, 0x80, v47
                                        ; implicit-def: $vgpr16
	s_mov_b32 s14, exec_lo
	s_delay_alu instid0(VALU_DEP_2)
	v_cmpx_gt_u64_e32 0x47600001, v[18:19]
	s_xor_b32 s76, exec_lo, s14
	s_cbranch_execz .LBB2_9658
; %bb.9649:                             ;   in Loop: Header=BB2_9143 Depth=3
	v_mov_b32_e32 v16, 0
	s_mov_b32 s77, exec_lo
	v_cmpx_ne_u32_e32 0, v46
	s_cbranch_execz .LBB2_9657
; %bb.9650:                             ;   in Loop: Header=BB2_9143 Depth=3
	v_bfe_u32 v16, v46, 23, 8
	v_or_b32_e32 v46, 0x800000, v44
	s_delay_alu instid0(VALU_DEP_2) | instskip(SKIP_1) | instid1(VALU_DEP_2)
	v_sub_nc_u32_e32 v18, 0x71, v16
	v_cmp_gt_u32_e32 vcc_lo, 0x72, v16
	v_cndmask_b32_e32 v18, 0, v18, vcc_lo
	v_cmp_eq_u32_e32 vcc_lo, 0, v16
	s_delay_alu instid0(VALU_DEP_2) | instskip(NEXT) | instid1(VALU_DEP_1)
	v_cndmask_b32_e64 v75, v18, 0x70, vcc_lo
	v_dual_cndmask_b32 v44, v46, v44, vcc_lo :: v_dual_add_nc_u32 v18, 21, v75
	v_add_nc_u32_e32 v47, 20, v75
	s_delay_alu instid0(VALU_DEP_2) | instskip(NEXT) | instid1(VALU_DEP_2)
	v_lshlrev_b64_e64 v[18:19], v18, -1
	v_lshlrev_b64_e64 v[46:47], v47, 1
	s_delay_alu instid0(VALU_DEP_2) | instskip(SKIP_1) | instid1(VALU_DEP_4)
	v_bfi_b32 v18, v18, 0, v44
	v_lshrrev_b64 v[44:45], v75, v[44:45]
	v_bfi_b32 v19, v19, 0, 0
	s_delay_alu instid0(VALU_DEP_1) | instskip(NEXT) | instid1(VALU_DEP_3)
	v_cmp_eq_u64_e64 s14, v[18:19], v[46:47]
	v_mov_b64_e32 v[46:47], v[44:45]
	s_and_saveexec_b32 s78, s14
; %bb.9651:                             ;   in Loop: Header=BB2_9143 Depth=3
	v_bfe_u32 v18, v44, 21, 1
	v_mov_b32_e32 v19, v3
	s_delay_alu instid0(VALU_DEP_1) | instskip(NEXT) | instid1(VALU_DEP_1)
	v_add_nc_u64_e32 v[18:19], v[44:45], v[18:19]
	v_add_nc_u64_e32 v[46:47], -1, v[18:19]
; %bb.9652:                             ;   in Loop: Header=BB2_9143 Depth=3
	s_or_b32 exec_lo, exec_lo, s78
	v_dual_mov_b32 v45, v3 :: v_dual_add_nc_u32 v16, 0xffffff81, v16
	v_lshrrev_b32_e32 v18, 23, v44
	s_mov_b32 s14, exec_lo
	s_delay_alu instid0(VALU_DEP_2) | instskip(NEXT) | instid1(VALU_DEP_1)
	v_cndmask_b32_e64 v16, v16, 0xffffff82, vcc_lo
	v_add3_u32 v47, v75, v16, v18
	v_and_b32_e32 v16, 0x1fffff, v46
	s_delay_alu instid0(VALU_DEP_1) | instskip(NEXT) | instid1(VALU_DEP_1)
	v_dual_add_nc_u32 v46, 14, v47 :: v_dual_add_nc_u32 v44, v16, v44
                                        ; implicit-def: $vgpr16
	v_cmpx_ne_u32_e32 0, v46
	s_xor_b32 s14, exec_lo, s14
; %bb.9653:                             ;   in Loop: Header=BB2_9143 Depth=3
	s_delay_alu instid0(VALU_DEP_2) | instskip(SKIP_2) | instid1(VALU_DEP_2)
	v_cmp_lt_u64_e32 vcc_lo, 0xffffff, v[44:45]
	v_add_nc_u32_e32 v16, 15, v47
	v_cndmask_b32_e64 v18, 0, 1, vcc_lo
	v_cndmask_b32_e32 v16, v46, v16, vcc_lo
	s_delay_alu instid0(VALU_DEP_2)
	v_lshrrev_b64 v[44:45], v18, v[44:45]
; %bb.9654:                             ;   in Loop: Header=BB2_9143 Depth=3
	s_and_not1_saveexec_b32 s14, s14
; %bb.9655:                             ;   in Loop: Header=BB2_9143 Depth=3
	s_delay_alu instid0(VALU_DEP_1)
	v_bfe_u32 v16, v44, 23, 1
; %bb.9656:                             ;   in Loop: Header=BB2_9143 Depth=3
	s_or_b32 exec_lo, exec_lo, s14
	s_delay_alu instid0(VALU_DEP_2) | instskip(NEXT) | instid1(VALU_DEP_2)
	v_lshrrev_b64 v[18:19], 21, v[44:45]
	v_cmp_gt_i32_e32 vcc_lo, 32, v16
	v_min_i32_e32 v44, 31, v16
	v_cmp_eq_u32_e64 s14, 0, v16
	s_delay_alu instid0(VALU_DEP_2) | instskip(SKIP_1) | instid1(VALU_DEP_2)
	v_dual_cndmask_b32 v19, 0, v19 :: v_dual_lshlrev_b32 v44, 2, v44
	v_cndmask_b32_e32 v18, 3, v18, vcc_lo
	v_and_b32_e32 v44, 0xfc, v44
	s_delay_alu instid0(VALU_DEP_2) | instskip(NEXT) | instid1(VALU_DEP_2)
	v_cmp_eq_u64_e32 vcc_lo, 0, v[18:19]
	v_and_or_b32 v16, v18, 3, v44
	s_and_b32 s14, s14, vcc_lo
	s_delay_alu instid0(VALU_DEP_1) | instid1(SALU_CYCLE_1)
	v_cndmask_b32_e64 v16, v16, 0, s14
	s_delay_alu instid0(VALU_DEP_1)
	v_or_b32_e32 v16, v16, v72
.LBB2_9657:                             ;   in Loop: Header=BB2_9143 Depth=3
	s_or_b32 exec_lo, exec_lo, s77
                                        ; implicit-def: $vgpr72
.LBB2_9658:                             ;   in Loop: Header=BB2_9143 Depth=3
	s_and_not1_saveexec_b32 s14, s76
; %bb.9659:                             ;   in Loop: Header=BB2_9143 Depth=3
	v_or_b32_e32 v16, 0x7b, v72
; %bb.9660:                             ;   in Loop: Header=BB2_9143 Depth=3
	s_or_b32 exec_lo, exec_lo, s14
                                        ; implicit-def: $vgpr46
                                        ; implicit-def: $vgpr44_vgpr45
                                        ; implicit-def: $vgpr47
.LBB2_9661:                             ;   in Loop: Header=BB2_9143 Depth=3
	s_and_not1_saveexec_b32 s14, s75
	s_cbranch_execz .LBB2_9667
; %bb.9662:                             ;   in Loop: Header=BB2_9143 Depth=3
	s_mov_b32 s75, exec_lo
                                        ; implicit-def: $vgpr16
	v_cmpx_ne_u64_e32 0, v[44:45]
	s_xor_b32 s75, exec_lo, s75
; %bb.9663:                             ;   in Loop: Header=BB2_9143 Depth=3
	v_or_b32_e32 v16, 0x7f, v47
                                        ; implicit-def: $vgpr46
; %bb.9664:                             ;   in Loop: Header=BB2_9143 Depth=3
	s_and_not1_saveexec_b32 s75, s75
; %bb.9665:                             ;   in Loop: Header=BB2_9143 Depth=3
	v_cmp_lt_i32_e32 vcc_lo, -1, v46
	v_cndmask_b32_e32 v16, 0xfc, v120, vcc_lo
; %bb.9666:                             ;   in Loop: Header=BB2_9143 Depth=3
	s_or_b32 exec_lo, exec_lo, s75
.LBB2_9667:                             ;   in Loop: Header=BB2_9143 Depth=3
	s_delay_alu instid0(SALU_CYCLE_1) | instskip(SKIP_3) | instid1(VALU_DEP_2)
	s_or_b32 exec_lo, exec_lo, s14
	v_lshrrev_b16 v44, 8, v30
	v_mov_b32_e32 v46, 0
	s_mov_b32 s14, exec_lo
	v_cmpx_ne_u16_e32 0, v44
	s_cbranch_execz .LBB2_9677
; %bb.9668:                             ;   in Loop: Header=BB2_9143 Depth=3
	v_bfrev_b32_e32 v46, 1
	s_mov_b32 s75, exec_lo
	v_cmpx_ne_u16_e32 0x80, v44
	s_cbranch_execz .LBB2_9676
; %bb.9669:                             ;   in Loop: Header=BB2_9143 Depth=3
	v_and_b32_e32 v47, 0xffff, v44
	s_mov_b32 s76, exec_lo
                                        ; implicit-def: $vgpr46
	s_delay_alu instid0(VALU_DEP_1) | instskip(SKIP_1) | instid1(VALU_DEP_2)
	v_and_b32_e32 v18, 0x7c, v47
	v_and_b32_e32 v45, 3, v47
	v_cmpx_ne_u32_e32 0x7c, v18
	s_xor_b32 s76, exec_lo, s76
	s_cbranch_execz .LBB2_9673
; %bb.9670:                             ;   in Loop: Header=BB2_9143 Depth=3
	v_bfe_u32 v46, v47, 2, 5
	s_mov_b32 s77, exec_lo
	s_delay_alu instid0(VALU_DEP_1)
	v_cmpx_eq_u32_e32 0, v46
	s_cbranch_execz .LBB2_9672
; %bb.9671:                             ;   in Loop: Header=BB2_9143 Depth=3
	v_clz_i32_u32_e32 v18, v45
	s_delay_alu instid0(VALU_DEP_1) | instskip(SKIP_1) | instid1(VALU_DEP_2)
	v_min_u32_e32 v46, 32, v18
	v_mov_b32_e32 v45, v3
	v_subrev_nc_u32_e32 v18, 29, v46
	v_sub_nc_u32_e32 v46, 30, v46
	s_delay_alu instid0(VALU_DEP_2) | instskip(NEXT) | instid1(VALU_DEP_1)
	v_lshlrev_b64_e32 v[18:19], v18, v[44:45]
	v_and_b32_e32 v45, 3, v18
.LBB2_9672:                             ;   in Loop: Header=BB2_9143 Depth=3
	s_or_b32 exec_lo, exec_lo, s77
	v_lshlrev_b32_e32 v18, 16, v30
                                        ; implicit-def: $vgpr30
	s_delay_alu instid0(VALU_DEP_1) | instskip(NEXT) | instid1(VALU_DEP_1)
	v_and_b32_e32 v18, 0x80000000, v18
	v_lshl_add_u32 v18, v46, 23, v18
	s_delay_alu instid0(VALU_DEP_1) | instskip(NEXT) | instid1(VALU_DEP_1)
	v_lshl_or_b32 v18, v45, 21, v18
                                        ; implicit-def: $vgpr45
	v_add_nc_u32_e32 v46, 0x38000000, v18
.LBB2_9673:                             ;   in Loop: Header=BB2_9143 Depth=3
	s_and_not1_saveexec_b32 s76, s76
; %bb.9674:                             ;   in Loop: Header=BB2_9143 Depth=3
	v_cmp_lt_i16_e32 vcc_lo, -1, v30
	v_cndmask_b32_e32 v18, 0xff800000, v111, vcc_lo
	v_cmp_eq_u32_e32 vcc_lo, 0, v45
	s_delay_alu instid0(VALU_DEP_2)
	v_cndmask_b32_e32 v46, 0x7f800001, v18, vcc_lo
; %bb.9675:                             ;   in Loop: Header=BB2_9143 Depth=3
	s_or_b32 exec_lo, exec_lo, s76
.LBB2_9676:                             ;   in Loop: Header=BB2_9143 Depth=3
	s_delay_alu instid0(SALU_CYCLE_1)
	s_or_b32 exec_lo, exec_lo, s75
.LBB2_9677:                             ;   in Loop: Header=BB2_9143 Depth=3
	s_delay_alu instid0(SALU_CYCLE_1) | instskip(SKIP_3) | instid1(VALU_DEP_1)
	s_or_b32 exec_lo, exec_lo, s14
	v_lshrrev_b16 v44, 8, v8
	s_mov_b32 s75, 0
	s_mov_b32 s14, exec_lo
	v_cmpx_lt_i16_e32 0x7f, v44
	s_xor_b32 s14, exec_lo, s14
	s_cbranch_execz .LBB2_10184
; %bb.9678:                             ;   in Loop: Header=BB2_9143 Depth=3
	s_mov_b32 s75, -1
	s_mov_b32 s76, exec_lo
	v_cmpx_eq_u16_e32 0x80, v44
; %bb.9679:                             ;   in Loop: Header=BB2_9143 Depth=3
	s_xor_b32 s75, exec_lo, -1
; %bb.9680:                             ;   in Loop: Header=BB2_9143 Depth=3
	s_or_b32 exec_lo, exec_lo, s76
	s_delay_alu instid0(SALU_CYCLE_1)
	s_and_b32 s75, s75, exec_lo
	s_or_saveexec_b32 s14, s14
	v_bfrev_b32_e32 v30, 1
	s_xor_b32 exec_lo, exec_lo, s14
	s_cbranch_execnz .LBB2_10185
.LBB2_9681:                             ;   in Loop: Header=BB2_9143 Depth=3
	s_or_b32 exec_lo, exec_lo, s14
	s_and_saveexec_b32 s14, s75
	s_cbranch_execz .LBB2_9683
.LBB2_9682:                             ;   in Loop: Header=BB2_9143 Depth=3
	v_and_b32_e32 v30, 0xffff, v44
	s_delay_alu instid0(VALU_DEP_1) | instskip(NEXT) | instid1(VALU_DEP_1)
	v_dual_mov_b32 v45, v3 :: v_dual_bitop2_b32 v47, 3, v30 bitop3:0x40
	v_clz_i32_u32_e32 v18, v47
	s_delay_alu instid0(VALU_DEP_1) | instskip(NEXT) | instid1(VALU_DEP_1)
	v_min_u32_e32 v72, 32, v18
	v_subrev_nc_u32_e32 v18, 29, v72
	s_delay_alu instid0(VALU_DEP_1) | instskip(SKIP_2) | instid1(VALU_DEP_1)
	v_lshlrev_b64_e32 v[18:19], v18, v[44:45]
	v_lshlrev_b32_e32 v19, 24, v44
	v_bfe_u32 v44, v30, 2, 5
	v_cmp_eq_u32_e32 vcc_lo, 0, v44
	s_delay_alu instid0(VALU_DEP_4) | instskip(NEXT) | instid1(VALU_DEP_4)
	v_dual_sub_nc_u32 v45, 30, v72 :: v_dual_bitop2_b32 v18, 3, v18 bitop3:0x40
	v_and_b32_e32 v19, 0x80000000, v19
	s_delay_alu instid0(VALU_DEP_2) | instskip(SKIP_1) | instid1(VALU_DEP_2)
	v_dual_cndmask_b32 v18, v47, v18, vcc_lo :: v_dual_cndmask_b32 v44, v44, v45, vcc_lo
	v_cmp_lt_i16_e32 vcc_lo, -1, v8
	v_lshl_add_u32 v19, v44, 23, v19
	v_cndmask_b32_e32 v44, 0xff800000, v111, vcc_lo
	v_cmp_eq_u32_e32 vcc_lo, 0, v47
	s_delay_alu instid0(VALU_DEP_3) | instskip(SKIP_1) | instid1(VALU_DEP_4)
	v_lshl_or_b32 v18, v18, 21, v19
	v_and_b32_e32 v19, 0x7c, v30
	v_cndmask_b32_e32 v30, 0x7f800001, v44, vcc_lo
	s_delay_alu instid0(VALU_DEP_3) | instskip(NEXT) | instid1(VALU_DEP_3)
	v_add_nc_u32_e32 v18, 0x38000000, v18
	v_cmp_eq_u32_e32 vcc_lo, 0x7c, v19
	s_delay_alu instid0(VALU_DEP_2)
	v_cndmask_b32_e32 v30, v18, v30, vcc_lo
.LBB2_9683:                             ;   in Loop: Header=BB2_9143 Depth=3
	s_or_b32 exec_lo, exec_lo, s14
	s_delay_alu instid0(VALU_DEP_1) | instskip(SKIP_2) | instid1(VALU_DEP_2)
	v_dual_add_f32 v46, v46, v30 :: v_dual_mov_b32 v19, v3
	v_mov_b32_e32 v45, v3
                                        ; implicit-def: $vgpr72
	s_mov_b32 s14, exec_lo
	v_and_b32_e32 v18, 0x7f800000, v46
	v_and_b32_e32 v44, 0x7fffff, v46
	v_lshrrev_b32_e32 v30, 24, v46
	s_delay_alu instid0(VALU_DEP_3)
	v_cmpx_ne_u64_e32 0x7f800000, v[18:19]
	s_xor_b32 s75, exec_lo, s14
	s_cbranch_execz .LBB2_9697
; %bb.9684:                             ;   in Loop: Header=BB2_9143 Depth=3
	v_and_b32_e32 v18, 0x7fffffff, v46
	v_mov_b32_e32 v19, v3
	v_and_b32_e32 v30, 0x80, v30
                                        ; implicit-def: $vgpr72
	s_mov_b32 s14, exec_lo
	s_delay_alu instid0(VALU_DEP_2)
	v_cmpx_gt_u64_e32 0x47600001, v[18:19]
	s_xor_b32 s76, exec_lo, s14
	s_cbranch_execz .LBB2_9694
; %bb.9685:                             ;   in Loop: Header=BB2_9143 Depth=3
	v_mov_b32_e32 v72, 0
	s_mov_b32 s77, exec_lo
	v_cmpx_ne_u32_e32 0, v46
	s_cbranch_execz .LBB2_9693
; %bb.9686:                             ;   in Loop: Header=BB2_9143 Depth=3
	v_bfe_u32 v72, v46, 23, 8
	v_or_b32_e32 v46, 0x800000, v44
	s_delay_alu instid0(VALU_DEP_2) | instskip(SKIP_1) | instid1(VALU_DEP_2)
	v_sub_nc_u32_e32 v18, 0x71, v72
	v_cmp_gt_u32_e32 vcc_lo, 0x72, v72
	v_cndmask_b32_e32 v18, 0, v18, vcc_lo
	v_cmp_eq_u32_e32 vcc_lo, 0, v72
	s_delay_alu instid0(VALU_DEP_2) | instskip(NEXT) | instid1(VALU_DEP_1)
	v_cndmask_b32_e64 v75, v18, 0x70, vcc_lo
	v_dual_cndmask_b32 v44, v46, v44, vcc_lo :: v_dual_add_nc_u32 v18, 21, v75
	v_add_nc_u32_e32 v47, 20, v75
	s_delay_alu instid0(VALU_DEP_2) | instskip(NEXT) | instid1(VALU_DEP_2)
	v_lshlrev_b64_e64 v[18:19], v18, -1
	v_lshlrev_b64_e64 v[46:47], v47, 1
	s_delay_alu instid0(VALU_DEP_2) | instskip(SKIP_1) | instid1(VALU_DEP_4)
	v_bfi_b32 v18, v18, 0, v44
	v_lshrrev_b64 v[44:45], v75, v[44:45]
	v_bfi_b32 v19, v19, 0, 0
	s_delay_alu instid0(VALU_DEP_1) | instskip(NEXT) | instid1(VALU_DEP_3)
	v_cmp_eq_u64_e64 s14, v[18:19], v[46:47]
	v_mov_b64_e32 v[46:47], v[44:45]
	s_and_saveexec_b32 s78, s14
; %bb.9687:                             ;   in Loop: Header=BB2_9143 Depth=3
	v_bfe_u32 v18, v44, 21, 1
	v_mov_b32_e32 v19, v3
	s_delay_alu instid0(VALU_DEP_1) | instskip(NEXT) | instid1(VALU_DEP_1)
	v_add_nc_u64_e32 v[18:19], v[44:45], v[18:19]
	v_add_nc_u64_e32 v[46:47], -1, v[18:19]
; %bb.9688:                             ;   in Loop: Header=BB2_9143 Depth=3
	s_or_b32 exec_lo, exec_lo, s78
	v_dual_mov_b32 v45, v3 :: v_dual_add_nc_u32 v18, 0xffffff81, v72
	v_lshrrev_b32_e32 v19, 23, v44
	s_mov_b32 s14, exec_lo
	s_delay_alu instid0(VALU_DEP_2) | instskip(NEXT) | instid1(VALU_DEP_1)
	v_cndmask_b32_e64 v18, v18, 0xffffff82, vcc_lo
	v_add3_u32 v47, v75, v18, v19
	v_and_b32_e32 v18, 0x1fffff, v46
                                        ; implicit-def: $vgpr46
	s_delay_alu instid0(VALU_DEP_1) | instskip(NEXT) | instid1(VALU_DEP_1)
	v_dual_add_nc_u32 v72, 14, v47 :: v_dual_add_nc_u32 v44, v18, v44
	v_cmpx_ne_u32_e32 0, v72
	s_xor_b32 s14, exec_lo, s14
; %bb.9689:                             ;   in Loop: Header=BB2_9143 Depth=3
	s_delay_alu instid0(VALU_DEP_2) | instskip(SKIP_1) | instid1(VALU_DEP_1)
	v_cmp_lt_u64_e32 vcc_lo, 0xffffff, v[44:45]
	v_add_nc_u32_e32 v18, 15, v47
	v_cndmask_b32_e32 v46, v72, v18, vcc_lo
	v_cndmask_b32_e64 v18, 0, 1, vcc_lo
	s_delay_alu instid0(VALU_DEP_1)
	v_lshrrev_b64 v[44:45], v18, v[44:45]
; %bb.9690:                             ;   in Loop: Header=BB2_9143 Depth=3
	s_and_not1_saveexec_b32 s14, s14
; %bb.9691:                             ;   in Loop: Header=BB2_9143 Depth=3
	s_delay_alu instid0(VALU_DEP_1)
	v_bfe_u32 v46, v44, 23, 1
; %bb.9692:                             ;   in Loop: Header=BB2_9143 Depth=3
	s_or_b32 exec_lo, exec_lo, s14
	s_delay_alu instid0(VALU_DEP_2) | instskip(NEXT) | instid1(VALU_DEP_2)
	v_lshrrev_b64 v[18:19], 21, v[44:45]
	v_cmp_gt_i32_e32 vcc_lo, 32, v46
	v_min_i32_e32 v44, 31, v46
	v_cmp_eq_u32_e64 s14, 0, v46
	s_delay_alu instid0(VALU_DEP_2) | instskip(SKIP_1) | instid1(VALU_DEP_2)
	v_dual_cndmask_b32 v19, 0, v19 :: v_dual_lshlrev_b32 v44, 2, v44
	v_cndmask_b32_e32 v18, 3, v18, vcc_lo
	v_and_b32_e32 v44, 0xfc, v44
	s_delay_alu instid0(VALU_DEP_2) | instskip(NEXT) | instid1(VALU_DEP_2)
	v_cmp_eq_u64_e32 vcc_lo, 0, v[18:19]
	v_and_or_b32 v18, v18, 3, v44
	s_and_b32 s14, s14, vcc_lo
	s_delay_alu instid0(VALU_DEP_1) | instid1(SALU_CYCLE_1)
	v_cndmask_b32_e64 v18, v18, 0, s14
	s_delay_alu instid0(VALU_DEP_1)
	v_or_b32_e32 v72, v18, v30
.LBB2_9693:                             ;   in Loop: Header=BB2_9143 Depth=3
	s_or_b32 exec_lo, exec_lo, s77
                                        ; implicit-def: $vgpr30
.LBB2_9694:                             ;   in Loop: Header=BB2_9143 Depth=3
	s_and_not1_saveexec_b32 s14, s76
; %bb.9695:                             ;   in Loop: Header=BB2_9143 Depth=3
	v_or_b32_e32 v72, 0x7b, v30
; %bb.9696:                             ;   in Loop: Header=BB2_9143 Depth=3
	s_or_b32 exec_lo, exec_lo, s14
                                        ; implicit-def: $vgpr46
                                        ; implicit-def: $vgpr44_vgpr45
                                        ; implicit-def: $vgpr30
.LBB2_9697:                             ;   in Loop: Header=BB2_9143 Depth=3
	s_and_not1_saveexec_b32 s14, s75
	s_cbranch_execz .LBB2_9703
; %bb.9698:                             ;   in Loop: Header=BB2_9143 Depth=3
	s_mov_b32 s75, exec_lo
                                        ; implicit-def: $vgpr72
	v_cmpx_ne_u64_e32 0, v[44:45]
	s_xor_b32 s75, exec_lo, s75
; %bb.9699:                             ;   in Loop: Header=BB2_9143 Depth=3
	v_or_b32_e32 v72, 0x7f, v30
                                        ; implicit-def: $vgpr46
; %bb.9700:                             ;   in Loop: Header=BB2_9143 Depth=3
	s_and_not1_saveexec_b32 s75, s75
; %bb.9701:                             ;   in Loop: Header=BB2_9143 Depth=3
	v_cmp_lt_i32_e32 vcc_lo, -1, v46
	v_cndmask_b32_e32 v72, 0xfc, v120, vcc_lo
; %bb.9702:                             ;   in Loop: Header=BB2_9143 Depth=3
	s_or_b32 exec_lo, exec_lo, s75
.LBB2_9703:                             ;   in Loop: Header=BB2_9143 Depth=3
	s_delay_alu instid0(SALU_CYCLE_1) | instskip(SKIP_2) | instid1(VALU_DEP_1)
	s_or_b32 exec_lo, exec_lo, s14
	v_dual_lshrrev_b32 v30, 16, v2 :: v_dual_mov_b32 v44, 0
	s_mov_b32 s14, exec_lo
	v_and_b32_e32 v45, 0xff, v30
	s_delay_alu instid0(VALU_DEP_1)
	v_cmpx_ne_u16_e32 0, v45
	s_cbranch_execz .LBB2_9713
; %bb.9704:                             ;   in Loop: Header=BB2_9143 Depth=3
	v_bfrev_b32_e32 v44, 1
	s_mov_b32 s75, exec_lo
	v_cmpx_ne_u16_e32 0x80, v45
	s_cbranch_execz .LBB2_9712
; %bb.9705:                             ;   in Loop: Header=BB2_9143 Depth=3
	v_and_b32_e32 v18, 0x7c0000, v2
	v_bfe_u32 v45, v2, 16, 2
	s_mov_b32 s76, exec_lo
                                        ; implicit-def: $vgpr44
	s_delay_alu instid0(VALU_DEP_2)
	v_cmpx_ne_u32_e32 0x7c0000, v18
	s_xor_b32 s76, exec_lo, s76
	s_cbranch_execz .LBB2_9709
; %bb.9706:                             ;   in Loop: Header=BB2_9143 Depth=3
	v_bfe_u32 v44, v2, 18, 5
	v_lshrrev_b32_e32 v30, 16, v2
	s_mov_b32 s77, exec_lo
	s_delay_alu instid0(VALU_DEP_2)
	v_cmpx_eq_u32_e32 0, v44
; %bb.9707:                             ;   in Loop: Header=BB2_9143 Depth=3
	v_clz_i32_u32_e32 v18, v45
	s_delay_alu instid0(VALU_DEP_1) | instskip(NEXT) | instid1(VALU_DEP_1)
	v_min_u32_e32 v44, 32, v18
	v_subrev_nc_u32_e32 v18, 29, v44
	s_delay_alu instid0(VALU_DEP_1) | instskip(NEXT) | instid1(VALU_DEP_1)
	v_lshlrev_b64_e32 v[18:19], v18, v[30:31]
	v_dual_sub_nc_u32 v44, 30, v44 :: v_dual_bitop2_b32 v45, 3, v18 bitop3:0x40
; %bb.9708:                             ;   in Loop: Header=BB2_9143 Depth=3
	s_or_b32 exec_lo, exec_lo, s77
	v_lshlrev_b32_e32 v18, 24, v30
                                        ; implicit-def: $vgpr30
	s_delay_alu instid0(VALU_DEP_1) | instskip(NEXT) | instid1(VALU_DEP_1)
	v_and_b32_e32 v18, 0x80000000, v18
	v_lshl_add_u32 v18, v44, 23, v18
	s_delay_alu instid0(VALU_DEP_1) | instskip(NEXT) | instid1(VALU_DEP_1)
	v_lshl_or_b32 v18, v45, 21, v18
                                        ; implicit-def: $vgpr45
	v_add_nc_u32_e32 v44, 0x38000000, v18
.LBB2_9709:                             ;   in Loop: Header=BB2_9143 Depth=3
	s_and_not1_saveexec_b32 s76, s76
; %bb.9710:                             ;   in Loop: Header=BB2_9143 Depth=3
	v_bfe_i32 v18, v30, 0, 8
	s_delay_alu instid0(VALU_DEP_1) | instskip(SKIP_2) | instid1(VALU_DEP_2)
	v_cmp_lt_i16_e32 vcc_lo, -1, v18
	v_cndmask_b32_e32 v18, 0xff800000, v111, vcc_lo
	v_cmp_eq_u32_e32 vcc_lo, 0, v45
	v_cndmask_b32_e32 v44, 0x7f800001, v18, vcc_lo
; %bb.9711:                             ;   in Loop: Header=BB2_9143 Depth=3
	s_or_b32 exec_lo, exec_lo, s76
.LBB2_9712:                             ;   in Loop: Header=BB2_9143 Depth=3
	s_delay_alu instid0(SALU_CYCLE_1)
	s_or_b32 exec_lo, exec_lo, s75
.LBB2_9713:                             ;   in Loop: Header=BB2_9143 Depth=3
	s_delay_alu instid0(SALU_CYCLE_1) | instskip(SKIP_3) | instid1(VALU_DEP_1)
	s_or_b32 exec_lo, exec_lo, s14
	v_lshrrev_b32_e32 v30, 16, v8
	s_mov_b32 s75, 0
	s_mov_b32 s14, exec_lo
	v_and_b32_e32 v46, 0xff, v30
	s_delay_alu instid0(VALU_DEP_1)
	v_cmpx_lt_i16_e32 0x7f, v46
	s_xor_b32 s14, exec_lo, s14
	s_cbranch_execz .LBB2_10186
; %bb.9714:                             ;   in Loop: Header=BB2_9143 Depth=3
	s_mov_b32 s75, -1
	s_mov_b32 s76, exec_lo
	v_cmpx_eq_u16_e32 0x80, v46
; %bb.9715:                             ;   in Loop: Header=BB2_9143 Depth=3
	s_xor_b32 s75, exec_lo, -1
; %bb.9716:                             ;   in Loop: Header=BB2_9143 Depth=3
	s_or_b32 exec_lo, exec_lo, s76
	s_delay_alu instid0(SALU_CYCLE_1)
	s_and_b32 s75, s75, exec_lo
                                        ; implicit-def: $vgpr46
	s_or_saveexec_b32 s14, s14
	v_bfrev_b32_e32 v45, 1
	s_xor_b32 exec_lo, exec_lo, s14
	s_cbranch_execnz .LBB2_10187
.LBB2_9717:                             ;   in Loop: Header=BB2_9143 Depth=3
	s_or_b32 exec_lo, exec_lo, s14
	s_and_saveexec_b32 s14, s75
	s_cbranch_execz .LBB2_9719
.LBB2_9718:                             ;   in Loop: Header=BB2_9143 Depth=3
	v_and_b32_e32 v45, 3, v30
	v_bfe_u32 v47, v8, 18, 5
	s_delay_alu instid0(VALU_DEP_2) | instskip(NEXT) | instid1(VALU_DEP_2)
	v_clz_i32_u32_e32 v18, v45
	v_cmp_eq_u32_e32 vcc_lo, 0, v47
	s_delay_alu instid0(VALU_DEP_2) | instskip(NEXT) | instid1(VALU_DEP_1)
	v_min_u32_e32 v46, 32, v18
	v_subrev_nc_u32_e32 v18, 29, v46
	v_sub_nc_u32_e32 v46, 30, v46
	s_delay_alu instid0(VALU_DEP_2) | instskip(SKIP_1) | instid1(VALU_DEP_3)
	v_lshlrev_b64_e32 v[18:19], v18, v[30:31]
	v_lshlrev_b32_e32 v19, 24, v30
	v_cndmask_b32_e32 v46, v47, v46, vcc_lo
	v_bfe_i32 v30, v30, 0, 8
	s_delay_alu instid0(VALU_DEP_3) | instskip(SKIP_1) | instid1(VALU_DEP_2)
	v_and_b32_e32 v19, 0x80000000, v19
	v_and_b32_e32 v18, 3, v18
	v_lshl_add_u32 v19, v46, 23, v19
	s_delay_alu instid0(VALU_DEP_2) | instskip(SKIP_1) | instid1(VALU_DEP_2)
	v_cndmask_b32_e32 v18, v45, v18, vcc_lo
	v_cmp_lt_i16_e32 vcc_lo, -1, v30
	v_lshl_or_b32 v18, v18, 21, v19
	v_cndmask_b32_e32 v30, 0xff800000, v111, vcc_lo
	v_and_b32_e32 v19, 0x7c0000, v8
	v_cmp_eq_u32_e32 vcc_lo, 0, v45
	s_delay_alu instid0(VALU_DEP_4) | instskip(NEXT) | instid1(VALU_DEP_4)
	v_add_nc_u32_e32 v18, 0x38000000, v18
	v_cndmask_b32_e32 v30, 0x7f800001, v30, vcc_lo
	s_delay_alu instid0(VALU_DEP_4) | instskip(NEXT) | instid1(VALU_DEP_2)
	v_cmp_eq_u32_e32 vcc_lo, 0x7c0000, v19
	v_cndmask_b32_e32 v45, v18, v30, vcc_lo
.LBB2_9719:                             ;   in Loop: Header=BB2_9143 Depth=3
	s_or_b32 exec_lo, exec_lo, s14
	s_delay_alu instid0(VALU_DEP_1) | instskip(SKIP_2) | instid1(VALU_DEP_2)
	v_dual_add_f32 v46, v44, v45 :: v_dual_mov_b32 v19, v3
	v_mov_b32_e32 v45, v3
                                        ; implicit-def: $vgpr75
	s_mov_b32 s14, exec_lo
	v_and_b32_e32 v18, 0x7f800000, v46
	v_and_b32_e32 v44, 0x7fffff, v46
	v_lshrrev_b32_e32 v30, 24, v46
	s_delay_alu instid0(VALU_DEP_3)
	v_cmpx_ne_u64_e32 0x7f800000, v[18:19]
	s_xor_b32 s75, exec_lo, s14
	s_cbranch_execz .LBB2_9733
; %bb.9720:                             ;   in Loop: Header=BB2_9143 Depth=3
	v_and_b32_e32 v18, 0x7fffffff, v46
	v_mov_b32_e32 v19, v3
	v_and_b32_e32 v30, 0x80, v30
                                        ; implicit-def: $vgpr75
	s_mov_b32 s14, exec_lo
	s_delay_alu instid0(VALU_DEP_2)
	v_cmpx_gt_u64_e32 0x47600001, v[18:19]
	s_xor_b32 s76, exec_lo, s14
	s_cbranch_execz .LBB2_9730
; %bb.9721:                             ;   in Loop: Header=BB2_9143 Depth=3
	v_mov_b32_e32 v75, 0
	s_mov_b32 s77, exec_lo
	v_cmpx_ne_u32_e32 0, v46
	s_cbranch_execz .LBB2_9729
; %bb.9722:                             ;   in Loop: Header=BB2_9143 Depth=3
	v_bfe_u32 v75, v46, 23, 8
	v_or_b32_e32 v46, 0x800000, v44
	s_delay_alu instid0(VALU_DEP_2) | instskip(SKIP_1) | instid1(VALU_DEP_2)
	v_sub_nc_u32_e32 v18, 0x71, v75
	v_cmp_gt_u32_e32 vcc_lo, 0x72, v75
	v_cndmask_b32_e32 v18, 0, v18, vcc_lo
	v_cmp_eq_u32_e32 vcc_lo, 0, v75
	v_cndmask_b32_e32 v44, v46, v44, vcc_lo
	s_delay_alu instid0(VALU_DEP_3) | instskip(NEXT) | instid1(VALU_DEP_1)
	v_cndmask_b32_e64 v78, v18, 0x70, vcc_lo
	v_dual_add_nc_u32 v18, 21, v78 :: v_dual_add_nc_u32 v47, 20, v78
	s_delay_alu instid0(VALU_DEP_1) | instskip(NEXT) | instid1(VALU_DEP_2)
	v_lshlrev_b64_e64 v[18:19], v18, -1
	v_lshlrev_b64_e64 v[46:47], v47, 1
	s_delay_alu instid0(VALU_DEP_2) | instskip(SKIP_1) | instid1(VALU_DEP_4)
	v_bfi_b32 v18, v18, 0, v44
	v_lshrrev_b64 v[44:45], v78, v[44:45]
	v_bfi_b32 v19, v19, 0, 0
	s_delay_alu instid0(VALU_DEP_1) | instskip(NEXT) | instid1(VALU_DEP_3)
	v_cmp_eq_u64_e64 s14, v[18:19], v[46:47]
	v_mov_b64_e32 v[46:47], v[44:45]
	s_and_saveexec_b32 s78, s14
; %bb.9723:                             ;   in Loop: Header=BB2_9143 Depth=3
	v_bfe_u32 v18, v44, 21, 1
	v_mov_b32_e32 v19, v3
	s_delay_alu instid0(VALU_DEP_1) | instskip(NEXT) | instid1(VALU_DEP_1)
	v_add_nc_u64_e32 v[18:19], v[44:45], v[18:19]
	v_add_nc_u64_e32 v[46:47], -1, v[18:19]
; %bb.9724:                             ;   in Loop: Header=BB2_9143 Depth=3
	s_or_b32 exec_lo, exec_lo, s78
	v_dual_mov_b32 v45, v3 :: v_dual_add_nc_u32 v18, 0xffffff81, v75
	v_lshrrev_b32_e32 v19, 23, v44
	s_mov_b32 s14, exec_lo
	s_delay_alu instid0(VALU_DEP_2) | instskip(NEXT) | instid1(VALU_DEP_1)
	v_cndmask_b32_e64 v18, v18, 0xffffff82, vcc_lo
	v_add3_u32 v47, v78, v18, v19
	v_and_b32_e32 v18, 0x1fffff, v46
                                        ; implicit-def: $vgpr46
	s_delay_alu instid0(VALU_DEP_1) | instskip(NEXT) | instid1(VALU_DEP_1)
	v_dual_add_nc_u32 v75, 14, v47 :: v_dual_add_nc_u32 v44, v18, v44
	v_cmpx_ne_u32_e32 0, v75
	s_xor_b32 s14, exec_lo, s14
; %bb.9725:                             ;   in Loop: Header=BB2_9143 Depth=3
	s_delay_alu instid0(VALU_DEP_2) | instskip(SKIP_1) | instid1(VALU_DEP_1)
	v_cmp_lt_u64_e32 vcc_lo, 0xffffff, v[44:45]
	v_add_nc_u32_e32 v18, 15, v47
	v_cndmask_b32_e32 v46, v75, v18, vcc_lo
	v_cndmask_b32_e64 v18, 0, 1, vcc_lo
	s_delay_alu instid0(VALU_DEP_1)
	v_lshrrev_b64 v[44:45], v18, v[44:45]
; %bb.9726:                             ;   in Loop: Header=BB2_9143 Depth=3
	s_and_not1_saveexec_b32 s14, s14
; %bb.9727:                             ;   in Loop: Header=BB2_9143 Depth=3
	s_delay_alu instid0(VALU_DEP_1)
	v_bfe_u32 v46, v44, 23, 1
; %bb.9728:                             ;   in Loop: Header=BB2_9143 Depth=3
	s_or_b32 exec_lo, exec_lo, s14
	s_delay_alu instid0(VALU_DEP_2) | instskip(NEXT) | instid1(VALU_DEP_2)
	v_lshrrev_b64 v[18:19], 21, v[44:45]
	v_cmp_gt_i32_e32 vcc_lo, 32, v46
	v_min_i32_e32 v44, 31, v46
	v_cmp_eq_u32_e64 s14, 0, v46
	s_delay_alu instid0(VALU_DEP_2) | instskip(SKIP_1) | instid1(VALU_DEP_2)
	v_dual_cndmask_b32 v19, 0, v19 :: v_dual_lshlrev_b32 v44, 2, v44
	v_cndmask_b32_e32 v18, 3, v18, vcc_lo
	v_and_b32_e32 v44, 0xfc, v44
	s_delay_alu instid0(VALU_DEP_2) | instskip(NEXT) | instid1(VALU_DEP_2)
	v_cmp_eq_u64_e32 vcc_lo, 0, v[18:19]
	v_and_or_b32 v18, v18, 3, v44
	s_and_b32 s14, s14, vcc_lo
	s_delay_alu instid0(VALU_DEP_1) | instid1(SALU_CYCLE_1)
	v_cndmask_b32_e64 v18, v18, 0, s14
	s_delay_alu instid0(VALU_DEP_1)
	v_or_b32_e32 v75, v18, v30
.LBB2_9729:                             ;   in Loop: Header=BB2_9143 Depth=3
	s_or_b32 exec_lo, exec_lo, s77
                                        ; implicit-def: $vgpr30
.LBB2_9730:                             ;   in Loop: Header=BB2_9143 Depth=3
	s_and_not1_saveexec_b32 s14, s76
; %bb.9731:                             ;   in Loop: Header=BB2_9143 Depth=3
	v_or_b32_e32 v75, 0x7b, v30
; %bb.9732:                             ;   in Loop: Header=BB2_9143 Depth=3
	s_or_b32 exec_lo, exec_lo, s14
                                        ; implicit-def: $vgpr46
                                        ; implicit-def: $vgpr44_vgpr45
                                        ; implicit-def: $vgpr30
.LBB2_9733:                             ;   in Loop: Header=BB2_9143 Depth=3
	s_and_not1_saveexec_b32 s14, s75
	s_cbranch_execz .LBB2_9739
; %bb.9734:                             ;   in Loop: Header=BB2_9143 Depth=3
	s_mov_b32 s75, exec_lo
                                        ; implicit-def: $vgpr75
	v_cmpx_ne_u64_e32 0, v[44:45]
	s_xor_b32 s75, exec_lo, s75
; %bb.9735:                             ;   in Loop: Header=BB2_9143 Depth=3
	v_or_b32_e32 v75, 0x7f, v30
                                        ; implicit-def: $vgpr46
; %bb.9736:                             ;   in Loop: Header=BB2_9143 Depth=3
	s_and_not1_saveexec_b32 s75, s75
; %bb.9737:                             ;   in Loop: Header=BB2_9143 Depth=3
	v_cmp_lt_i32_e32 vcc_lo, -1, v46
	v_cndmask_b32_e32 v75, 0xfc, v120, vcc_lo
; %bb.9738:                             ;   in Loop: Header=BB2_9143 Depth=3
	s_or_b32 exec_lo, exec_lo, s75
.LBB2_9739:                             ;   in Loop: Header=BB2_9143 Depth=3
	s_delay_alu instid0(SALU_CYCLE_1)
	s_or_b32 exec_lo, exec_lo, s14
	v_mov_b32_e32 v44, 0
	s_mov_b32 s14, exec_lo
	v_cmpx_lt_u32_e32 0xffffff, v2
	s_cbranch_execz .LBB2_9749
; %bb.9740:                             ;   in Loop: Header=BB2_9143 Depth=3
	v_lshrrev_b32_e32 v30, 24, v2
	v_bfrev_b32_e32 v44, 1
	s_mov_b32 s75, exec_lo
	s_delay_alu instid0(VALU_DEP_2)
	v_cmpx_ne_u32_e32 0x80, v30
	s_cbranch_execz .LBB2_9748
; %bb.9741:                             ;   in Loop: Header=BB2_9143 Depth=3
	v_and_b32_e32 v18, 0x7c000000, v2
	v_bfe_u32 v45, v2, 24, 2
	s_mov_b32 s76, exec_lo
                                        ; implicit-def: $vgpr44
	s_delay_alu instid0(VALU_DEP_2)
	v_cmpx_ne_u32_e32 0x7c000000, v18
	s_xor_b32 s76, exec_lo, s76
	s_cbranch_execz .LBB2_9745
; %bb.9742:                             ;   in Loop: Header=BB2_9143 Depth=3
	v_bfe_u32 v44, v2, 26, 5
	s_mov_b32 s77, exec_lo
	s_delay_alu instid0(VALU_DEP_1)
	v_cmpx_eq_u32_e32 0, v44
; %bb.9743:                             ;   in Loop: Header=BB2_9143 Depth=3
	v_clz_i32_u32_e32 v18, v45
	s_delay_alu instid0(VALU_DEP_1) | instskip(NEXT) | instid1(VALU_DEP_1)
	v_min_u32_e32 v44, 32, v18
	v_subrev_nc_u32_e32 v18, 29, v44
	s_delay_alu instid0(VALU_DEP_1) | instskip(NEXT) | instid1(VALU_DEP_1)
	v_lshlrev_b64_e32 v[18:19], v18, v[30:31]
	v_dual_sub_nc_u32 v44, 30, v44 :: v_dual_bitop2_b32 v45, 3, v18 bitop3:0x40
; %bb.9744:                             ;   in Loop: Header=BB2_9143 Depth=3
	s_or_b32 exec_lo, exec_lo, s77
	v_and_b32_e32 v2, 0x80000000, v2
	s_delay_alu instid0(VALU_DEP_1) | instskip(NEXT) | instid1(VALU_DEP_1)
	v_lshl_add_u32 v2, v44, 23, v2
	v_lshl_or_b32 v2, v45, 21, v2
                                        ; implicit-def: $vgpr45
	s_delay_alu instid0(VALU_DEP_1)
	v_add_nc_u32_e32 v44, 0x38000000, v2
.LBB2_9745:                             ;   in Loop: Header=BB2_9143 Depth=3
	s_and_not1_saveexec_b32 s76, s76
; %bb.9746:                             ;   in Loop: Header=BB2_9143 Depth=3
	v_cmp_lt_i32_e32 vcc_lo, -1, v2
	v_cndmask_b32_e32 v2, 0xff800000, v111, vcc_lo
	v_cmp_eq_u32_e32 vcc_lo, 0, v45
	s_delay_alu instid0(VALU_DEP_2)
	v_cndmask_b32_e32 v44, 0x7f800001, v2, vcc_lo
; %bb.9747:                             ;   in Loop: Header=BB2_9143 Depth=3
	s_or_b32 exec_lo, exec_lo, s76
.LBB2_9748:                             ;   in Loop: Header=BB2_9143 Depth=3
	s_delay_alu instid0(SALU_CYCLE_1)
	s_or_b32 exec_lo, exec_lo, s75
.LBB2_9749:                             ;   in Loop: Header=BB2_9143 Depth=3
	s_delay_alu instid0(SALU_CYCLE_1) | instskip(SKIP_3) | instid1(VALU_DEP_2)
	s_or_b32 exec_lo, exec_lo, s14
	v_bfe_u32 v30, v8, 24, 2
	v_bfe_u32 v46, v8, 26, 5
                                        ; implicit-def: $vgpr78
	s_mov_b32 s14, exec_lo
	v_clz_i32_u32_e32 v2, v30
	s_delay_alu instid0(VALU_DEP_2) | instskip(NEXT) | instid1(VALU_DEP_2)
	v_cmp_eq_u32_e32 vcc_lo, 0, v46
	v_min_u32_e32 v45, 32, v2
	v_lshrrev_b32_e32 v2, 24, v8
	s_delay_alu instid0(VALU_DEP_2) | instskip(NEXT) | instid1(VALU_DEP_1)
	v_subrev_nc_u32_e32 v18, 29, v45
	v_lshlrev_b64_e32 v[18:19], v18, v[2:3]
	v_sub_nc_u32_e32 v19, 30, v45
	v_and_b32_e32 v45, 0x80000000, v8
	s_delay_alu instid0(VALU_DEP_2) | instskip(NEXT) | instid1(VALU_DEP_1)
	v_dual_cndmask_b32 v19, v46, v19, vcc_lo :: v_dual_bitop2_b32 v18, 3, v18 bitop3:0x40
	v_lshl_add_u32 v19, v19, 23, v45
	s_delay_alu instid0(VALU_DEP_2) | instskip(SKIP_1) | instid1(VALU_DEP_2)
	v_cndmask_b32_e32 v18, v30, v18, vcc_lo
	v_cmp_lt_i32_e32 vcc_lo, -1, v8
	v_lshl_or_b32 v18, v18, 21, v19
	v_cndmask_b32_e32 v45, 0xff800000, v111, vcc_lo
	v_and_b32_e32 v19, 0x7c000000, v8
	v_cmp_eq_u32_e32 vcc_lo, 0, v30
	s_delay_alu instid0(VALU_DEP_4) | instskip(NEXT) | instid1(VALU_DEP_4)
	v_add_nc_u32_e32 v18, 0x38000000, v18
	v_cndmask_b32_e32 v30, 0x7f800001, v45, vcc_lo
	s_delay_alu instid0(VALU_DEP_4) | instskip(NEXT) | instid1(VALU_DEP_2)
	v_cmp_eq_u32_e32 vcc_lo, 0x7c000000, v19
	v_dual_mov_b32 v19, v3 :: v_dual_cndmask_b32 v18, v18, v30
	v_cmp_ne_u32_e32 vcc_lo, 0x80, v2
	s_delay_alu instid0(VALU_DEP_2) | instskip(SKIP_1) | instid1(VALU_DEP_2)
	v_cndmask_b32_e32 v2, 0x80000000, v18, vcc_lo
	v_cmp_lt_u32_e32 vcc_lo, 0xffffff, v8
	v_cndmask_b32_e32 v2, 0, v2, vcc_lo
	s_delay_alu instid0(VALU_DEP_1) | instskip(NEXT) | instid1(VALU_DEP_1)
	v_add_f32_e32 v44, v2, v44
	v_and_b32_e32 v18, 0x7f800000, v44
	v_and_b32_e32 v2, 0x7fffff, v44
	v_lshrrev_b32_e32 v30, 24, v44
	s_delay_alu instid0(VALU_DEP_3)
	v_cmpx_ne_u64_e32 0x7f800000, v[18:19]
	s_xor_b32 s75, exec_lo, s14
	s_cbranch_execz .LBB2_9763
; %bb.9750:                             ;   in Loop: Header=BB2_9143 Depth=3
	v_and_b32_e32 v18, 0x7fffffff, v44
	v_mov_b32_e32 v19, v3
	v_and_b32_e32 v30, 0x80, v30
                                        ; implicit-def: $vgpr78
	s_mov_b32 s14, exec_lo
	s_delay_alu instid0(VALU_DEP_2)
	v_cmpx_gt_u64_e32 0x47600001, v[18:19]
	s_xor_b32 s76, exec_lo, s14
	s_cbranch_execz .LBB2_9760
; %bb.9751:                             ;   in Loop: Header=BB2_9143 Depth=3
	v_mov_b32_e32 v78, 0
	s_mov_b32 s77, exec_lo
	v_cmpx_ne_u32_e32 0, v44
	s_cbranch_execz .LBB2_9759
; %bb.9752:                             ;   in Loop: Header=BB2_9143 Depth=3
	v_bfe_u32 v78, v44, 23, 8
	v_or_b32_e32 v44, 0x800000, v2
	s_delay_alu instid0(VALU_DEP_2) | instskip(SKIP_1) | instid1(VALU_DEP_2)
	v_dual_mov_b32 v45, v3 :: v_dual_sub_nc_u32 v18, 0x71, v78
	v_cmp_gt_u32_e32 vcc_lo, 0x72, v78
	v_cndmask_b32_e32 v18, 0, v18, vcc_lo
	v_cmp_eq_u32_e32 vcc_lo, 0, v78
	s_delay_alu instid0(VALU_DEP_2) | instskip(NEXT) | instid1(VALU_DEP_1)
	v_cndmask_b32_e64 v92, v18, 0x70, vcc_lo
	v_dual_cndmask_b32 v44, v44, v2, vcc_lo :: v_dual_add_nc_u32 v18, 21, v92
	v_add_nc_u32_e32 v46, 20, v92
	s_delay_alu instid0(VALU_DEP_2) | instskip(NEXT) | instid1(VALU_DEP_2)
	v_lshlrev_b64_e64 v[18:19], v18, -1
	v_lshlrev_b64_e64 v[46:47], v46, 1
	s_delay_alu instid0(VALU_DEP_2) | instskip(SKIP_1) | instid1(VALU_DEP_4)
	v_bfi_b32 v18, v18, 0, v44
	v_lshrrev_b64 v[44:45], v92, v[44:45]
	v_bfi_b32 v19, v19, 0, 0
	s_delay_alu instid0(VALU_DEP_1) | instskip(NEXT) | instid1(VALU_DEP_3)
	v_cmp_eq_u64_e64 s14, v[18:19], v[46:47]
	v_mov_b64_e32 v[46:47], v[44:45]
	s_and_saveexec_b32 s78, s14
; %bb.9753:                             ;   in Loop: Header=BB2_9143 Depth=3
	v_bfe_u32 v18, v44, 21, 1
	v_mov_b32_e32 v19, v3
	s_delay_alu instid0(VALU_DEP_1) | instskip(NEXT) | instid1(VALU_DEP_1)
	v_add_nc_u64_e32 v[18:19], v[44:45], v[18:19]
	v_add_nc_u64_e32 v[46:47], -1, v[18:19]
; %bb.9754:                             ;   in Loop: Header=BB2_9143 Depth=3
	s_or_b32 exec_lo, exec_lo, s78
	v_add_nc_u32_e32 v2, 0xffffff81, v78
	s_delay_alu instid0(VALU_DEP_2) | instskip(SKIP_2) | instid1(VALU_DEP_3)
	v_and_b32_e32 v19, 0x1fffff, v46
	v_lshrrev_b32_e32 v18, 23, v44
	s_mov_b32 s14, exec_lo
                                        ; implicit-def: $vgpr46
	v_cndmask_b32_e64 v2, v2, 0xffffff82, vcc_lo
	s_delay_alu instid0(VALU_DEP_1) | instskip(SKIP_1) | instid1(VALU_DEP_2)
	v_add3_u32 v47, v92, v2, v18
	v_add_nc_u32_e32 v2, v19, v44
                                        ; implicit-def: $vgpr44_vgpr45
	v_add_nc_u32_e32 v78, 14, v47
	s_delay_alu instid0(VALU_DEP_1)
	v_cmpx_ne_u32_e32 0, v78
	s_xor_b32 s14, exec_lo, s14
; %bb.9755:                             ;   in Loop: Header=BB2_9143 Depth=3
	s_delay_alu instid0(VALU_DEP_3) | instskip(SKIP_1) | instid1(VALU_DEP_1)
	v_cmp_lt_u64_e32 vcc_lo, 0xffffff, v[2:3]
	v_add_nc_u32_e32 v18, 15, v47
	v_cndmask_b32_e32 v46, v78, v18, vcc_lo
	v_cndmask_b32_e64 v18, 0, 1, vcc_lo
	s_delay_alu instid0(VALU_DEP_1)
	v_lshrrev_b64 v[44:45], v18, v[2:3]
; %bb.9756:                             ;   in Loop: Header=BB2_9143 Depth=3
	s_and_not1_saveexec_b32 s14, s14
; %bb.9757:                             ;   in Loop: Header=BB2_9143 Depth=3
	v_mov_b64_e32 v[44:45], v[2:3]
	v_bfe_u32 v46, v2, 23, 1
; %bb.9758:                             ;   in Loop: Header=BB2_9143 Depth=3
	s_or_b32 exec_lo, exec_lo, s14
	s_delay_alu instid0(VALU_DEP_2) | instskip(NEXT) | instid1(VALU_DEP_2)
	v_lshrrev_b64 v[18:19], 21, v[44:45]
	v_cmp_gt_i32_e32 vcc_lo, 32, v46
	v_min_i32_e32 v2, 31, v46
	v_cmp_eq_u32_e64 s14, 0, v46
	s_delay_alu instid0(VALU_DEP_2) | instskip(SKIP_1) | instid1(VALU_DEP_2)
	v_dual_cndmask_b32 v19, 0, v19 :: v_dual_lshlrev_b32 v2, 2, v2
	v_cndmask_b32_e32 v18, 3, v18, vcc_lo
	v_and_b32_e32 v2, 0xfc, v2
	s_delay_alu instid0(VALU_DEP_2) | instskip(NEXT) | instid1(VALU_DEP_2)
	v_cmp_eq_u64_e32 vcc_lo, 0, v[18:19]
	v_and_or_b32 v2, v18, 3, v2
	s_and_b32 s14, s14, vcc_lo
	s_delay_alu instid0(VALU_DEP_1) | instid1(SALU_CYCLE_1)
	v_cndmask_b32_e64 v2, v2, 0, s14
	s_delay_alu instid0(VALU_DEP_1)
	v_or_b32_e32 v78, v2, v30
.LBB2_9759:                             ;   in Loop: Header=BB2_9143 Depth=3
	s_or_b32 exec_lo, exec_lo, s77
                                        ; implicit-def: $vgpr30
.LBB2_9760:                             ;   in Loop: Header=BB2_9143 Depth=3
	s_and_not1_saveexec_b32 s14, s76
; %bb.9761:                             ;   in Loop: Header=BB2_9143 Depth=3
	v_or_b32_e32 v78, 0x7b, v30
; %bb.9762:                             ;   in Loop: Header=BB2_9143 Depth=3
	s_or_b32 exec_lo, exec_lo, s14
                                        ; implicit-def: $vgpr44
                                        ; implicit-def: $vgpr30
.LBB2_9763:                             ;   in Loop: Header=BB2_9143 Depth=3
	s_and_not1_saveexec_b32 s14, s75
	s_cbranch_execz .LBB2_9769
; %bb.9764:                             ;   in Loop: Header=BB2_9143 Depth=3
	s_mov_b32 s75, exec_lo
                                        ; implicit-def: $vgpr78
	v_cmpx_ne_u64_e32 0, v[2:3]
	s_xor_b32 s75, exec_lo, s75
; %bb.9765:                             ;   in Loop: Header=BB2_9143 Depth=3
	v_or_b32_e32 v78, 0x7f, v30
                                        ; implicit-def: $vgpr44
; %bb.9766:                             ;   in Loop: Header=BB2_9143 Depth=3
	s_and_not1_saveexec_b32 s75, s75
; %bb.9767:                             ;   in Loop: Header=BB2_9143 Depth=3
	v_cmp_lt_i32_e32 vcc_lo, -1, v44
	v_cndmask_b32_e32 v78, 0xfc, v120, vcc_lo
; %bb.9768:                             ;   in Loop: Header=BB2_9143 Depth=3
	s_or_b32 exec_lo, exec_lo, s75
.LBB2_9769:                             ;   in Loop: Header=BB2_9143 Depth=3
	s_delay_alu instid0(SALU_CYCLE_1) | instskip(SKIP_4) | instid1(VALU_DEP_2)
	s_or_b32 exec_lo, exec_lo, s14
	v_lshl_or_b32 v30, v57, 8, v56
	v_dual_lshlrev_b32 v2, 16, v90 :: v_dual_lshlrev_b32 v18, 24, v91
	v_mov_b32_e32 v46, 0
	s_mov_b32 s14, exec_lo
	v_or3_b32 v2, v2, v18, v30
	v_cmpx_ne_u32_e32 0, v56
	s_cbranch_execz .LBB2_9779
; %bb.9770:                             ;   in Loop: Header=BB2_9143 Depth=3
	v_bfrev_b32_e32 v46, 1
	s_mov_b32 s75, exec_lo
	v_cmpx_ne_u32_e32 0x80, v56
	s_cbranch_execz .LBB2_9778
; %bb.9771:                             ;   in Loop: Header=BB2_9143 Depth=3
	v_and_b32_e32 v18, 0x7c, v56
	v_and_b32_e32 v44, 3, v56
	s_mov_b32 s76, exec_lo
                                        ; implicit-def: $vgpr46
	s_delay_alu instid0(VALU_DEP_2)
	v_cmpx_ne_u32_e32 0x7c, v18
	s_xor_b32 s76, exec_lo, s76
	s_cbranch_execz .LBB2_9775
; %bb.9772:                             ;   in Loop: Header=BB2_9143 Depth=3
	v_bfe_u32 v45, v56, 2, 5
	s_mov_b32 s77, exec_lo
	s_delay_alu instid0(VALU_DEP_1)
	v_cmpx_eq_u32_e32 0, v45
; %bb.9773:                             ;   in Loop: Header=BB2_9143 Depth=3
	v_clz_i32_u32_e32 v18, v44
	s_delay_alu instid0(VALU_DEP_1) | instskip(NEXT) | instid1(VALU_DEP_1)
	v_min_u32_e32 v44, 32, v18
	v_subrev_nc_u32_e32 v18, 29, v44
	s_delay_alu instid0(VALU_DEP_1) | instskip(NEXT) | instid1(VALU_DEP_1)
	v_lshlrev_b64_e32 v[18:19], v18, v[2:3]
	v_dual_sub_nc_u32 v45, 30, v44 :: v_dual_bitop2_b32 v44, 3, v18 bitop3:0x40
; %bb.9774:                             ;   in Loop: Header=BB2_9143 Depth=3
	s_or_b32 exec_lo, exec_lo, s77
	v_lshlrev_b32_e32 v18, 24, v56
                                        ; implicit-def: $vgpr56
	s_delay_alu instid0(VALU_DEP_1) | instskip(NEXT) | instid1(VALU_DEP_1)
	v_and_b32_e32 v18, 0x80000000, v18
	v_lshl_add_u32 v18, v45, 23, v18
	s_delay_alu instid0(VALU_DEP_1) | instskip(NEXT) | instid1(VALU_DEP_1)
	v_lshl_or_b32 v18, v44, 21, v18
                                        ; implicit-def: $vgpr44
	v_add_nc_u32_e32 v46, 0x38000000, v18
.LBB2_9775:                             ;   in Loop: Header=BB2_9143 Depth=3
	s_and_not1_saveexec_b32 s76, s76
; %bb.9776:                             ;   in Loop: Header=BB2_9143 Depth=3
	v_and_b32_e32 v18, 0x80, v56
	s_delay_alu instid0(VALU_DEP_1) | instskip(SKIP_2) | instid1(VALU_DEP_2)
	v_cmp_eq_u32_e32 vcc_lo, 0, v18
	v_cndmask_b32_e32 v18, 0xff800000, v111, vcc_lo
	v_cmp_eq_u32_e32 vcc_lo, 0, v44
	v_cndmask_b32_e32 v46, 0x7f800001, v18, vcc_lo
; %bb.9777:                             ;   in Loop: Header=BB2_9143 Depth=3
	s_or_b32 exec_lo, exec_lo, s76
.LBB2_9778:                             ;   in Loop: Header=BB2_9143 Depth=3
	s_delay_alu instid0(SALU_CYCLE_1)
	s_or_b32 exec_lo, exec_lo, s75
.LBB2_9779:                             ;   in Loop: Header=BB2_9143 Depth=3
	s_delay_alu instid0(SALU_CYCLE_1) | instskip(SKIP_4) | instid1(VALU_DEP_2)
	s_or_b32 exec_lo, exec_lo, s14
	v_and_b32_e32 v45, 0xff, v9
	v_mov_b32_e32 v44, v9
	s_mov_b32 s75, 0
	s_mov_b32 s14, exec_lo
	v_cmpx_lt_i16_e32 0x7f, v45
	s_xor_b32 s14, exec_lo, s14
	s_cbranch_execz .LBB2_10188
; %bb.9780:                             ;   in Loop: Header=BB2_9143 Depth=3
	s_mov_b32 s75, -1
	s_mov_b32 s76, exec_lo
	v_cmpx_eq_u16_e32 0x80, v45
; %bb.9781:                             ;   in Loop: Header=BB2_9143 Depth=3
	s_xor_b32 s75, exec_lo, -1
; %bb.9782:                             ;   in Loop: Header=BB2_9143 Depth=3
	s_or_b32 exec_lo, exec_lo, s76
	s_delay_alu instid0(SALU_CYCLE_1)
	s_and_b32 s75, s75, exec_lo
                                        ; implicit-def: $vgpr45
	s_or_saveexec_b32 s14, s14
	v_bfrev_b32_e32 v47, 1
	s_xor_b32 exec_lo, exec_lo, s14
	s_cbranch_execnz .LBB2_10189
.LBB2_9783:                             ;   in Loop: Header=BB2_9143 Depth=3
	s_or_b32 exec_lo, exec_lo, s14
	v_mov_b32_e32 v45, v3
	s_and_saveexec_b32 s14, s75
	s_cbranch_execz .LBB2_9785
.LBB2_9784:                             ;   in Loop: Header=BB2_9143 Depth=3
	v_and_b32_e32 v47, 3, v9
	s_delay_alu instid0(VALU_DEP_1) | instskip(NEXT) | instid1(VALU_DEP_1)
	v_clz_i32_u32_e32 v18, v47
	v_min_u32_e32 v56, 32, v18
	s_delay_alu instid0(VALU_DEP_1) | instskip(NEXT) | instid1(VALU_DEP_1)
	v_subrev_nc_u32_e32 v18, 29, v56
	v_lshlrev_b64_e32 v[18:19], v18, v[44:45]
	v_bfe_u32 v45, v9, 2, 5
	v_dual_lshlrev_b32 v19, 24, v9 :: v_dual_sub_nc_u32 v56, 30, v56
	s_delay_alu instid0(VALU_DEP_2) | instskip(NEXT) | instid1(VALU_DEP_2)
	v_cmp_eq_u32_e32 vcc_lo, 0, v45
	v_and_b32_e32 v19, 0x80000000, v19
	s_delay_alu instid0(VALU_DEP_3) | instskip(SKIP_1) | instid1(VALU_DEP_2)
	v_dual_cndmask_b32 v45, v45, v56, vcc_lo :: v_dual_bitop2_b32 v18, 3, v18 bitop3:0x40
	v_bfe_i32 v56, v9, 0, 8
	v_cndmask_b32_e32 v18, v47, v18, vcc_lo
	s_delay_alu instid0(VALU_DEP_3) | instskip(NEXT) | instid1(VALU_DEP_3)
	v_lshl_add_u32 v19, v45, 23, v19
	v_cmp_lt_i16_e32 vcc_lo, -1, v56
	s_delay_alu instid0(VALU_DEP_2) | instskip(SKIP_3) | instid1(VALU_DEP_4)
	v_lshl_or_b32 v18, v18, 21, v19
	v_cndmask_b32_e32 v45, 0xff800000, v111, vcc_lo
	v_and_b32_e32 v19, 0x7c, v9
	v_cmp_eq_u32_e32 vcc_lo, 0, v47
	v_add_nc_u32_e32 v18, 0x38000000, v18
	s_delay_alu instid0(VALU_DEP_4) | instskip(NEXT) | instid1(VALU_DEP_4)
	v_cndmask_b32_e32 v45, 0x7f800001, v45, vcc_lo
	v_cmp_eq_u32_e32 vcc_lo, 0x7c, v19
	s_delay_alu instid0(VALU_DEP_2)
	v_cndmask_b32_e32 v47, v18, v45, vcc_lo
.LBB2_9785:                             ;   in Loop: Header=BB2_9143 Depth=3
	s_or_b32 exec_lo, exec_lo, s14
	s_delay_alu instid0(VALU_DEP_1) | instskip(SKIP_2) | instid1(VALU_DEP_2)
	v_dual_add_f32 v57, v46, v47 :: v_dual_mov_b32 v19, v3
	v_mov_b32_e32 v47, v3
                                        ; implicit-def: $vgpr56
	s_mov_b32 s14, exec_lo
	v_and_b32_e32 v18, 0x7f800000, v57
	v_and_b32_e32 v46, 0x7fffff, v57
	v_lshrrev_b32_e32 v45, 24, v57
	s_delay_alu instid0(VALU_DEP_3)
	v_cmpx_ne_u64_e32 0x7f800000, v[18:19]
	s_xor_b32 s75, exec_lo, s14
	s_cbranch_execz .LBB2_9799
; %bb.9786:                             ;   in Loop: Header=BB2_9143 Depth=3
	v_and_b32_e32 v18, 0x7fffffff, v57
	v_mov_b32_e32 v19, v3
	v_and_b32_e32 v45, 0x80, v45
                                        ; implicit-def: $vgpr56
	s_mov_b32 s14, exec_lo
	s_delay_alu instid0(VALU_DEP_2)
	v_cmpx_gt_u64_e32 0x47600001, v[18:19]
	s_xor_b32 s76, exec_lo, s14
	s_cbranch_execz .LBB2_9796
; %bb.9787:                             ;   in Loop: Header=BB2_9143 Depth=3
	v_mov_b32_e32 v56, 0
	s_mov_b32 s77, exec_lo
	v_cmpx_ne_u32_e32 0, v57
	s_cbranch_execz .LBB2_9795
; %bb.9788:                             ;   in Loop: Header=BB2_9143 Depth=3
	v_bfe_u32 v90, v57, 23, 8
	v_or_b32_e32 v56, 0x800000, v46
	s_delay_alu instid0(VALU_DEP_2) | instskip(SKIP_1) | instid1(VALU_DEP_2)
	v_sub_nc_u32_e32 v18, 0x71, v90
	v_cmp_gt_u32_e32 vcc_lo, 0x72, v90
	v_cndmask_b32_e32 v18, 0, v18, vcc_lo
	v_cmp_eq_u32_e32 vcc_lo, 0, v90
	s_delay_alu instid0(VALU_DEP_2) | instskip(NEXT) | instid1(VALU_DEP_1)
	v_cndmask_b32_e64 v91, v18, 0x70, vcc_lo
	v_dual_cndmask_b32 v46, v56, v46, vcc_lo :: v_dual_add_nc_u32 v18, 21, v91
	v_add_nc_u32_e32 v57, 20, v91
	s_delay_alu instid0(VALU_DEP_2) | instskip(NEXT) | instid1(VALU_DEP_2)
	v_lshlrev_b64_e64 v[18:19], v18, -1
	v_lshlrev_b64_e64 v[56:57], v57, 1
	s_delay_alu instid0(VALU_DEP_2) | instskip(SKIP_1) | instid1(VALU_DEP_4)
	v_bfi_b32 v18, v18, 0, v46
	v_lshrrev_b64 v[46:47], v91, v[46:47]
	v_bfi_b32 v19, v19, 0, 0
	s_delay_alu instid0(VALU_DEP_1) | instskip(NEXT) | instid1(VALU_DEP_3)
	v_cmp_eq_u64_e64 s14, v[18:19], v[56:57]
	v_mov_b64_e32 v[56:57], v[46:47]
	s_and_saveexec_b32 s78, s14
; %bb.9789:                             ;   in Loop: Header=BB2_9143 Depth=3
	v_bfe_u32 v18, v46, 21, 1
	v_mov_b32_e32 v19, v3
	s_delay_alu instid0(VALU_DEP_1) | instskip(NEXT) | instid1(VALU_DEP_1)
	v_add_nc_u64_e32 v[18:19], v[46:47], v[18:19]
	v_add_nc_u64_e32 v[56:57], -1, v[18:19]
; %bb.9790:                             ;   in Loop: Header=BB2_9143 Depth=3
	s_or_b32 exec_lo, exec_lo, s78
	v_dual_mov_b32 v47, v3 :: v_dual_add_nc_u32 v18, 0xffffff81, v90
	v_lshrrev_b32_e32 v19, 23, v46
	s_mov_b32 s14, exec_lo
	s_delay_alu instid0(VALU_DEP_2) | instskip(NEXT) | instid1(VALU_DEP_1)
	v_cndmask_b32_e64 v18, v18, 0xffffff82, vcc_lo
	v_add3_u32 v57, v91, v18, v19
	v_and_b32_e32 v18, 0x1fffff, v56
                                        ; implicit-def: $vgpr56
	s_delay_alu instid0(VALU_DEP_1) | instskip(NEXT) | instid1(VALU_DEP_1)
	v_dual_add_nc_u32 v90, 14, v57 :: v_dual_add_nc_u32 v46, v18, v46
	v_cmpx_ne_u32_e32 0, v90
	s_xor_b32 s14, exec_lo, s14
; %bb.9791:                             ;   in Loop: Header=BB2_9143 Depth=3
	s_delay_alu instid0(VALU_DEP_2) | instskip(SKIP_1) | instid1(VALU_DEP_1)
	v_cmp_lt_u64_e32 vcc_lo, 0xffffff, v[46:47]
	v_add_nc_u32_e32 v18, 15, v57
	v_cndmask_b32_e32 v56, v90, v18, vcc_lo
	v_cndmask_b32_e64 v18, 0, 1, vcc_lo
	s_delay_alu instid0(VALU_DEP_1)
	v_lshrrev_b64 v[46:47], v18, v[46:47]
; %bb.9792:                             ;   in Loop: Header=BB2_9143 Depth=3
	s_and_not1_saveexec_b32 s14, s14
; %bb.9793:                             ;   in Loop: Header=BB2_9143 Depth=3
	s_delay_alu instid0(VALU_DEP_1)
	v_bfe_u32 v56, v46, 23, 1
; %bb.9794:                             ;   in Loop: Header=BB2_9143 Depth=3
	s_or_b32 exec_lo, exec_lo, s14
	s_delay_alu instid0(VALU_DEP_2) | instskip(NEXT) | instid1(VALU_DEP_2)
	v_lshrrev_b64 v[18:19], 21, v[46:47]
	v_cmp_gt_i32_e32 vcc_lo, 32, v56
	v_min_i32_e32 v46, 31, v56
	v_cmp_eq_u32_e64 s14, 0, v56
	s_delay_alu instid0(VALU_DEP_2) | instskip(SKIP_1) | instid1(VALU_DEP_2)
	v_dual_cndmask_b32 v19, 0, v19 :: v_dual_lshlrev_b32 v46, 2, v46
	v_cndmask_b32_e32 v18, 3, v18, vcc_lo
	v_and_b32_e32 v46, 0xfc, v46
	s_delay_alu instid0(VALU_DEP_2) | instskip(NEXT) | instid1(VALU_DEP_2)
	v_cmp_eq_u64_e32 vcc_lo, 0, v[18:19]
	v_and_or_b32 v18, v18, 3, v46
	s_and_b32 s14, s14, vcc_lo
	s_delay_alu instid0(VALU_DEP_1) | instid1(SALU_CYCLE_1)
	v_cndmask_b32_e64 v18, v18, 0, s14
	s_delay_alu instid0(VALU_DEP_1)
	v_or_b32_e32 v56, v18, v45
.LBB2_9795:                             ;   in Loop: Header=BB2_9143 Depth=3
	s_or_b32 exec_lo, exec_lo, s77
                                        ; implicit-def: $vgpr45
.LBB2_9796:                             ;   in Loop: Header=BB2_9143 Depth=3
	s_and_not1_saveexec_b32 s14, s76
; %bb.9797:                             ;   in Loop: Header=BB2_9143 Depth=3
	v_or_b32_e32 v56, 0x7b, v45
; %bb.9798:                             ;   in Loop: Header=BB2_9143 Depth=3
	s_or_b32 exec_lo, exec_lo, s14
                                        ; implicit-def: $vgpr57
                                        ; implicit-def: $vgpr46_vgpr47
                                        ; implicit-def: $vgpr45
.LBB2_9799:                             ;   in Loop: Header=BB2_9143 Depth=3
	s_and_not1_saveexec_b32 s14, s75
	s_cbranch_execz .LBB2_9805
; %bb.9800:                             ;   in Loop: Header=BB2_9143 Depth=3
	s_mov_b32 s75, exec_lo
                                        ; implicit-def: $vgpr56
	v_cmpx_ne_u64_e32 0, v[46:47]
	s_xor_b32 s75, exec_lo, s75
; %bb.9801:                             ;   in Loop: Header=BB2_9143 Depth=3
	v_or_b32_e32 v56, 0x7f, v45
                                        ; implicit-def: $vgpr57
; %bb.9802:                             ;   in Loop: Header=BB2_9143 Depth=3
	s_and_not1_saveexec_b32 s75, s75
; %bb.9803:                             ;   in Loop: Header=BB2_9143 Depth=3
	v_cmp_lt_i32_e32 vcc_lo, -1, v57
	v_cndmask_b32_e32 v56, 0xfc, v120, vcc_lo
; %bb.9804:                             ;   in Loop: Header=BB2_9143 Depth=3
	s_or_b32 exec_lo, exec_lo, s75
.LBB2_9805:                             ;   in Loop: Header=BB2_9143 Depth=3
	s_delay_alu instid0(SALU_CYCLE_1) | instskip(SKIP_3) | instid1(VALU_DEP_2)
	s_or_b32 exec_lo, exec_lo, s14
	v_lshrrev_b16 v46, 8, v30
	v_mov_b32_e32 v45, 0
	s_mov_b32 s14, exec_lo
	v_cmpx_ne_u16_e32 0, v46
	s_cbranch_execz .LBB2_9815
; %bb.9806:                             ;   in Loop: Header=BB2_9143 Depth=3
	v_bfrev_b32_e32 v45, 1
	s_mov_b32 s75, exec_lo
	v_cmpx_ne_u16_e32 0x80, v46
	s_cbranch_execz .LBB2_9814
; %bb.9807:                             ;   in Loop: Header=BB2_9143 Depth=3
	v_and_b32_e32 v57, 0xffff, v46
	s_mov_b32 s76, exec_lo
                                        ; implicit-def: $vgpr45
	s_delay_alu instid0(VALU_DEP_1) | instskip(SKIP_1) | instid1(VALU_DEP_2)
	v_and_b32_e32 v18, 0x7c, v57
	v_and_b32_e32 v47, 3, v57
	v_cmpx_ne_u32_e32 0x7c, v18
	s_xor_b32 s76, exec_lo, s76
	s_cbranch_execz .LBB2_9811
; %bb.9808:                             ;   in Loop: Header=BB2_9143 Depth=3
	v_bfe_u32 v45, v57, 2, 5
	s_mov_b32 s77, exec_lo
	s_delay_alu instid0(VALU_DEP_1)
	v_cmpx_eq_u32_e32 0, v45
	s_cbranch_execz .LBB2_9810
; %bb.9809:                             ;   in Loop: Header=BB2_9143 Depth=3
	v_clz_i32_u32_e32 v18, v47
	s_delay_alu instid0(VALU_DEP_1) | instskip(SKIP_1) | instid1(VALU_DEP_2)
	v_min_u32_e32 v45, 32, v18
	v_mov_b32_e32 v47, v3
	v_subrev_nc_u32_e32 v18, 29, v45
	v_sub_nc_u32_e32 v45, 30, v45
	s_delay_alu instid0(VALU_DEP_2) | instskip(NEXT) | instid1(VALU_DEP_1)
	v_lshlrev_b64_e32 v[18:19], v18, v[46:47]
	v_and_b32_e32 v47, 3, v18
.LBB2_9810:                             ;   in Loop: Header=BB2_9143 Depth=3
	s_or_b32 exec_lo, exec_lo, s77
	v_lshlrev_b32_e32 v18, 16, v30
                                        ; implicit-def: $vgpr30
	s_delay_alu instid0(VALU_DEP_1) | instskip(NEXT) | instid1(VALU_DEP_1)
	v_and_b32_e32 v18, 0x80000000, v18
	v_lshl_add_u32 v18, v45, 23, v18
	s_delay_alu instid0(VALU_DEP_1) | instskip(NEXT) | instid1(VALU_DEP_1)
	v_lshl_or_b32 v18, v47, 21, v18
                                        ; implicit-def: $vgpr47
	v_add_nc_u32_e32 v45, 0x38000000, v18
.LBB2_9811:                             ;   in Loop: Header=BB2_9143 Depth=3
	s_and_not1_saveexec_b32 s76, s76
; %bb.9812:                             ;   in Loop: Header=BB2_9143 Depth=3
	v_cmp_lt_i16_e32 vcc_lo, -1, v30
	v_cndmask_b32_e32 v18, 0xff800000, v111, vcc_lo
	v_cmp_eq_u32_e32 vcc_lo, 0, v47
	s_delay_alu instid0(VALU_DEP_2)
	v_cndmask_b32_e32 v45, 0x7f800001, v18, vcc_lo
; %bb.9813:                             ;   in Loop: Header=BB2_9143 Depth=3
	s_or_b32 exec_lo, exec_lo, s76
.LBB2_9814:                             ;   in Loop: Header=BB2_9143 Depth=3
	s_delay_alu instid0(SALU_CYCLE_1)
	s_or_b32 exec_lo, exec_lo, s75
.LBB2_9815:                             ;   in Loop: Header=BB2_9143 Depth=3
	s_delay_alu instid0(SALU_CYCLE_1) | instskip(SKIP_3) | instid1(VALU_DEP_1)
	s_or_b32 exec_lo, exec_lo, s14
	v_lshrrev_b16 v46, 8, v44
	s_mov_b32 s75, 0
	s_mov_b32 s14, exec_lo
	v_cmpx_lt_i16_e32 0x7f, v46
	s_xor_b32 s14, exec_lo, s14
	s_cbranch_execz .LBB2_10190
; %bb.9816:                             ;   in Loop: Header=BB2_9143 Depth=3
	s_mov_b32 s75, -1
	s_mov_b32 s76, exec_lo
	v_cmpx_eq_u16_e32 0x80, v46
; %bb.9817:                             ;   in Loop: Header=BB2_9143 Depth=3
	s_xor_b32 s75, exec_lo, -1
; %bb.9818:                             ;   in Loop: Header=BB2_9143 Depth=3
	s_or_b32 exec_lo, exec_lo, s76
	s_delay_alu instid0(SALU_CYCLE_1)
	s_and_b32 s75, s75, exec_lo
	s_or_saveexec_b32 s14, s14
	v_bfrev_b32_e32 v30, 1
	s_xor_b32 exec_lo, exec_lo, s14
	s_cbranch_execnz .LBB2_10191
.LBB2_9819:                             ;   in Loop: Header=BB2_9143 Depth=3
	s_or_b32 exec_lo, exec_lo, s14
	s_and_saveexec_b32 s14, s75
	s_cbranch_execz .LBB2_9821
.LBB2_9820:                             ;   in Loop: Header=BB2_9143 Depth=3
	v_and_b32_e32 v30, 0xffff, v46
	s_delay_alu instid0(VALU_DEP_1) | instskip(NEXT) | instid1(VALU_DEP_1)
	v_dual_mov_b32 v47, v3 :: v_dual_bitop2_b32 v57, 3, v30 bitop3:0x40
	v_clz_i32_u32_e32 v18, v57
	s_delay_alu instid0(VALU_DEP_1) | instskip(NEXT) | instid1(VALU_DEP_1)
	v_min_u32_e32 v90, 32, v18
	v_subrev_nc_u32_e32 v18, 29, v90
	s_delay_alu instid0(VALU_DEP_1) | instskip(SKIP_3) | instid1(VALU_DEP_4)
	v_lshlrev_b64_e32 v[18:19], v18, v[46:47]
	v_sub_nc_u32_e32 v47, 30, v90
	v_lshlrev_b32_e32 v19, 24, v46
	v_bfe_u32 v46, v30, 2, 5
	v_and_b32_e32 v18, 3, v18
	s_delay_alu instid0(VALU_DEP_2) | instskip(SKIP_2) | instid1(VALU_DEP_4)
	v_cmp_eq_u32_e32 vcc_lo, 0, v46
	v_cndmask_b32_e32 v46, v46, v47, vcc_lo
	v_and_b32_e32 v19, 0x80000000, v19
	v_cndmask_b32_e32 v18, v57, v18, vcc_lo
	v_cmp_lt_i16_e32 vcc_lo, -1, v44
	s_delay_alu instid0(VALU_DEP_3) | instskip(SKIP_2) | instid1(VALU_DEP_3)
	v_lshl_add_u32 v19, v46, 23, v19
	v_cndmask_b32_e32 v44, 0xff800000, v111, vcc_lo
	v_cmp_eq_u32_e32 vcc_lo, 0, v57
	v_lshl_or_b32 v18, v18, 21, v19
	v_and_b32_e32 v19, 0x7c, v30
	s_delay_alu instid0(VALU_DEP_4) | instskip(NEXT) | instid1(VALU_DEP_3)
	v_cndmask_b32_e32 v30, 0x7f800001, v44, vcc_lo
	v_add_nc_u32_e32 v18, 0x38000000, v18
	s_delay_alu instid0(VALU_DEP_3) | instskip(NEXT) | instid1(VALU_DEP_2)
	v_cmp_eq_u32_e32 vcc_lo, 0x7c, v19
	v_cndmask_b32_e32 v30, v18, v30, vcc_lo
.LBB2_9821:                             ;   in Loop: Header=BB2_9143 Depth=3
	s_or_b32 exec_lo, exec_lo, s14
	s_delay_alu instid0(VALU_DEP_1) | instskip(SKIP_2) | instid1(VALU_DEP_2)
	v_dual_add_f32 v46, v45, v30 :: v_dual_mov_b32 v19, v3
	v_mov_b32_e32 v45, v3
                                        ; implicit-def: $vgpr57
	s_mov_b32 s14, exec_lo
	v_and_b32_e32 v18, 0x7f800000, v46
	v_and_b32_e32 v44, 0x7fffff, v46
	v_lshrrev_b32_e32 v30, 24, v46
	s_delay_alu instid0(VALU_DEP_3)
	v_cmpx_ne_u64_e32 0x7f800000, v[18:19]
	s_xor_b32 s75, exec_lo, s14
	s_cbranch_execz .LBB2_9835
; %bb.9822:                             ;   in Loop: Header=BB2_9143 Depth=3
	v_and_b32_e32 v18, 0x7fffffff, v46
	v_mov_b32_e32 v19, v3
	v_and_b32_e32 v30, 0x80, v30
                                        ; implicit-def: $vgpr57
	s_mov_b32 s14, exec_lo
	s_delay_alu instid0(VALU_DEP_2)
	v_cmpx_gt_u64_e32 0x47600001, v[18:19]
	s_xor_b32 s76, exec_lo, s14
	s_cbranch_execz .LBB2_9832
; %bb.9823:                             ;   in Loop: Header=BB2_9143 Depth=3
	v_mov_b32_e32 v57, 0
	s_mov_b32 s77, exec_lo
	v_cmpx_ne_u32_e32 0, v46
	s_cbranch_execz .LBB2_9831
; %bb.9824:                             ;   in Loop: Header=BB2_9143 Depth=3
	v_bfe_u32 v57, v46, 23, 8
	v_or_b32_e32 v46, 0x800000, v44
	s_delay_alu instid0(VALU_DEP_2) | instskip(SKIP_1) | instid1(VALU_DEP_2)
	v_sub_nc_u32_e32 v18, 0x71, v57
	v_cmp_gt_u32_e32 vcc_lo, 0x72, v57
	v_cndmask_b32_e32 v18, 0, v18, vcc_lo
	v_cmp_eq_u32_e32 vcc_lo, 0, v57
	v_cndmask_b32_e32 v44, v46, v44, vcc_lo
	s_delay_alu instid0(VALU_DEP_3) | instskip(NEXT) | instid1(VALU_DEP_1)
	v_cndmask_b32_e64 v90, v18, 0x70, vcc_lo
	v_dual_add_nc_u32 v18, 21, v90 :: v_dual_add_nc_u32 v47, 20, v90
	s_delay_alu instid0(VALU_DEP_1) | instskip(NEXT) | instid1(VALU_DEP_2)
	v_lshlrev_b64_e64 v[18:19], v18, -1
	v_lshlrev_b64_e64 v[46:47], v47, 1
	s_delay_alu instid0(VALU_DEP_2) | instskip(SKIP_1) | instid1(VALU_DEP_4)
	v_bfi_b32 v18, v18, 0, v44
	v_lshrrev_b64 v[44:45], v90, v[44:45]
	v_bfi_b32 v19, v19, 0, 0
	s_delay_alu instid0(VALU_DEP_1) | instskip(NEXT) | instid1(VALU_DEP_3)
	v_cmp_eq_u64_e64 s14, v[18:19], v[46:47]
	v_mov_b64_e32 v[46:47], v[44:45]
	s_and_saveexec_b32 s78, s14
; %bb.9825:                             ;   in Loop: Header=BB2_9143 Depth=3
	v_bfe_u32 v18, v44, 21, 1
	v_mov_b32_e32 v19, v3
	s_delay_alu instid0(VALU_DEP_1) | instskip(NEXT) | instid1(VALU_DEP_1)
	v_add_nc_u64_e32 v[18:19], v[44:45], v[18:19]
	v_add_nc_u64_e32 v[46:47], -1, v[18:19]
; %bb.9826:                             ;   in Loop: Header=BB2_9143 Depth=3
	s_or_b32 exec_lo, exec_lo, s78
	v_dual_mov_b32 v45, v3 :: v_dual_add_nc_u32 v18, 0xffffff81, v57
	v_lshrrev_b32_e32 v19, 23, v44
	s_mov_b32 s14, exec_lo
	s_delay_alu instid0(VALU_DEP_2) | instskip(NEXT) | instid1(VALU_DEP_1)
	v_cndmask_b32_e64 v18, v18, 0xffffff82, vcc_lo
	v_add3_u32 v47, v90, v18, v19
	v_and_b32_e32 v18, 0x1fffff, v46
                                        ; implicit-def: $vgpr46
	s_delay_alu instid0(VALU_DEP_1) | instskip(NEXT) | instid1(VALU_DEP_1)
	v_dual_add_nc_u32 v57, 14, v47 :: v_dual_add_nc_u32 v44, v18, v44
	v_cmpx_ne_u32_e32 0, v57
	s_xor_b32 s14, exec_lo, s14
; %bb.9827:                             ;   in Loop: Header=BB2_9143 Depth=3
	s_delay_alu instid0(VALU_DEP_2) | instskip(SKIP_1) | instid1(VALU_DEP_1)
	v_cmp_lt_u64_e32 vcc_lo, 0xffffff, v[44:45]
	v_add_nc_u32_e32 v18, 15, v47
	v_cndmask_b32_e32 v46, v57, v18, vcc_lo
	v_cndmask_b32_e64 v18, 0, 1, vcc_lo
	s_delay_alu instid0(VALU_DEP_1)
	v_lshrrev_b64 v[44:45], v18, v[44:45]
; %bb.9828:                             ;   in Loop: Header=BB2_9143 Depth=3
	s_and_not1_saveexec_b32 s14, s14
; %bb.9829:                             ;   in Loop: Header=BB2_9143 Depth=3
	s_delay_alu instid0(VALU_DEP_1)
	v_bfe_u32 v46, v44, 23, 1
; %bb.9830:                             ;   in Loop: Header=BB2_9143 Depth=3
	s_or_b32 exec_lo, exec_lo, s14
	s_delay_alu instid0(VALU_DEP_2) | instskip(NEXT) | instid1(VALU_DEP_2)
	v_lshrrev_b64 v[18:19], 21, v[44:45]
	v_cmp_gt_i32_e32 vcc_lo, 32, v46
	v_min_i32_e32 v44, 31, v46
	v_cmp_eq_u32_e64 s14, 0, v46
	s_delay_alu instid0(VALU_DEP_2) | instskip(SKIP_1) | instid1(VALU_DEP_2)
	v_dual_cndmask_b32 v19, 0, v19 :: v_dual_lshlrev_b32 v44, 2, v44
	v_cndmask_b32_e32 v18, 3, v18, vcc_lo
	v_and_b32_e32 v44, 0xfc, v44
	s_delay_alu instid0(VALU_DEP_2) | instskip(NEXT) | instid1(VALU_DEP_2)
	v_cmp_eq_u64_e32 vcc_lo, 0, v[18:19]
	v_and_or_b32 v18, v18, 3, v44
	s_and_b32 s14, s14, vcc_lo
	s_delay_alu instid0(VALU_DEP_1) | instid1(SALU_CYCLE_1)
	v_cndmask_b32_e64 v18, v18, 0, s14
	s_delay_alu instid0(VALU_DEP_1)
	v_or_b32_e32 v57, v18, v30
.LBB2_9831:                             ;   in Loop: Header=BB2_9143 Depth=3
	s_or_b32 exec_lo, exec_lo, s77
                                        ; implicit-def: $vgpr30
.LBB2_9832:                             ;   in Loop: Header=BB2_9143 Depth=3
	s_and_not1_saveexec_b32 s14, s76
; %bb.9833:                             ;   in Loop: Header=BB2_9143 Depth=3
	v_or_b32_e32 v57, 0x7b, v30
; %bb.9834:                             ;   in Loop: Header=BB2_9143 Depth=3
	s_or_b32 exec_lo, exec_lo, s14
                                        ; implicit-def: $vgpr46
                                        ; implicit-def: $vgpr44_vgpr45
                                        ; implicit-def: $vgpr30
.LBB2_9835:                             ;   in Loop: Header=BB2_9143 Depth=3
	s_and_not1_saveexec_b32 s14, s75
	s_cbranch_execz .LBB2_9841
; %bb.9836:                             ;   in Loop: Header=BB2_9143 Depth=3
	s_mov_b32 s75, exec_lo
                                        ; implicit-def: $vgpr57
	v_cmpx_ne_u64_e32 0, v[44:45]
	s_xor_b32 s75, exec_lo, s75
; %bb.9837:                             ;   in Loop: Header=BB2_9143 Depth=3
	v_or_b32_e32 v57, 0x7f, v30
                                        ; implicit-def: $vgpr46
; %bb.9838:                             ;   in Loop: Header=BB2_9143 Depth=3
	s_and_not1_saveexec_b32 s75, s75
; %bb.9839:                             ;   in Loop: Header=BB2_9143 Depth=3
	v_cmp_lt_i32_e32 vcc_lo, -1, v46
	v_cndmask_b32_e32 v57, 0xfc, v120, vcc_lo
; %bb.9840:                             ;   in Loop: Header=BB2_9143 Depth=3
	s_or_b32 exec_lo, exec_lo, s75
.LBB2_9841:                             ;   in Loop: Header=BB2_9143 Depth=3
	s_delay_alu instid0(SALU_CYCLE_1) | instskip(SKIP_2) | instid1(VALU_DEP_1)
	s_or_b32 exec_lo, exec_lo, s14
	v_dual_lshrrev_b32 v30, 16, v2 :: v_dual_mov_b32 v44, 0
	s_mov_b32 s14, exec_lo
	v_and_b32_e32 v45, 0xff, v30
	s_delay_alu instid0(VALU_DEP_1)
	v_cmpx_ne_u16_e32 0, v45
	s_cbranch_execz .LBB2_9851
; %bb.9842:                             ;   in Loop: Header=BB2_9143 Depth=3
	v_bfrev_b32_e32 v44, 1
	s_mov_b32 s75, exec_lo
	v_cmpx_ne_u16_e32 0x80, v45
	s_cbranch_execz .LBB2_9850
; %bb.9843:                             ;   in Loop: Header=BB2_9143 Depth=3
	v_and_b32_e32 v18, 0x7c0000, v2
	v_bfe_u32 v45, v2, 16, 2
	s_mov_b32 s76, exec_lo
                                        ; implicit-def: $vgpr44
	s_delay_alu instid0(VALU_DEP_2)
	v_cmpx_ne_u32_e32 0x7c0000, v18
	s_xor_b32 s76, exec_lo, s76
	s_cbranch_execz .LBB2_9847
; %bb.9844:                             ;   in Loop: Header=BB2_9143 Depth=3
	v_bfe_u32 v44, v2, 18, 5
	s_mov_b32 s77, exec_lo
	s_delay_alu instid0(VALU_DEP_1)
	v_cmpx_eq_u32_e32 0, v44
; %bb.9845:                             ;   in Loop: Header=BB2_9143 Depth=3
	v_clz_i32_u32_e32 v18, v45
	s_delay_alu instid0(VALU_DEP_1) | instskip(NEXT) | instid1(VALU_DEP_1)
	v_min_u32_e32 v44, 32, v18
	v_subrev_nc_u32_e32 v18, 29, v44
	s_delay_alu instid0(VALU_DEP_1) | instskip(NEXT) | instid1(VALU_DEP_1)
	v_lshlrev_b64_e32 v[18:19], v18, v[30:31]
	v_dual_sub_nc_u32 v44, 30, v44 :: v_dual_bitop2_b32 v45, 3, v18 bitop3:0x40
; %bb.9846:                             ;   in Loop: Header=BB2_9143 Depth=3
	s_or_b32 exec_lo, exec_lo, s77
	v_lshlrev_b32_e32 v18, 24, v30
                                        ; implicit-def: $vgpr30
	s_delay_alu instid0(VALU_DEP_1) | instskip(NEXT) | instid1(VALU_DEP_1)
	v_and_b32_e32 v18, 0x80000000, v18
	v_lshl_add_u32 v18, v44, 23, v18
	s_delay_alu instid0(VALU_DEP_1) | instskip(NEXT) | instid1(VALU_DEP_1)
	v_lshl_or_b32 v18, v45, 21, v18
                                        ; implicit-def: $vgpr45
	v_add_nc_u32_e32 v44, 0x38000000, v18
.LBB2_9847:                             ;   in Loop: Header=BB2_9143 Depth=3
	s_and_not1_saveexec_b32 s76, s76
; %bb.9848:                             ;   in Loop: Header=BB2_9143 Depth=3
	v_bfe_i32 v18, v30, 0, 8
	s_delay_alu instid0(VALU_DEP_1) | instskip(SKIP_2) | instid1(VALU_DEP_2)
	v_cmp_lt_i16_e32 vcc_lo, -1, v18
	v_cndmask_b32_e32 v18, 0xff800000, v111, vcc_lo
	v_cmp_eq_u32_e32 vcc_lo, 0, v45
	v_cndmask_b32_e32 v44, 0x7f800001, v18, vcc_lo
; %bb.9849:                             ;   in Loop: Header=BB2_9143 Depth=3
	s_or_b32 exec_lo, exec_lo, s76
.LBB2_9850:                             ;   in Loop: Header=BB2_9143 Depth=3
	s_delay_alu instid0(SALU_CYCLE_1)
	s_or_b32 exec_lo, exec_lo, s75
.LBB2_9851:                             ;   in Loop: Header=BB2_9143 Depth=3
	s_delay_alu instid0(SALU_CYCLE_1) | instskip(SKIP_3) | instid1(VALU_DEP_1)
	s_or_b32 exec_lo, exec_lo, s14
	v_lshrrev_b32_e32 v30, 16, v9
	s_mov_b32 s75, 0
	s_mov_b32 s14, exec_lo
	v_and_b32_e32 v46, 0xff, v30
	s_delay_alu instid0(VALU_DEP_1)
	v_cmpx_lt_i16_e32 0x7f, v46
	s_xor_b32 s14, exec_lo, s14
	s_cbranch_execz .LBB2_10192
; %bb.9852:                             ;   in Loop: Header=BB2_9143 Depth=3
	s_mov_b32 s75, -1
	s_mov_b32 s76, exec_lo
	v_cmpx_eq_u16_e32 0x80, v46
; %bb.9853:                             ;   in Loop: Header=BB2_9143 Depth=3
	s_xor_b32 s75, exec_lo, -1
; %bb.9854:                             ;   in Loop: Header=BB2_9143 Depth=3
	s_or_b32 exec_lo, exec_lo, s76
	s_delay_alu instid0(SALU_CYCLE_1)
	s_and_b32 s75, s75, exec_lo
                                        ; implicit-def: $vgpr46
	s_or_saveexec_b32 s14, s14
	v_bfrev_b32_e32 v45, 1
	s_xor_b32 exec_lo, exec_lo, s14
	s_cbranch_execnz .LBB2_10193
.LBB2_9855:                             ;   in Loop: Header=BB2_9143 Depth=3
	s_or_b32 exec_lo, exec_lo, s14
	s_and_saveexec_b32 s14, s75
	s_cbranch_execz .LBB2_9857
.LBB2_9856:                             ;   in Loop: Header=BB2_9143 Depth=3
	v_and_b32_e32 v45, 3, v30
	v_bfe_u32 v47, v9, 18, 5
	s_delay_alu instid0(VALU_DEP_2) | instskip(NEXT) | instid1(VALU_DEP_2)
	v_clz_i32_u32_e32 v18, v45
	v_cmp_eq_u32_e32 vcc_lo, 0, v47
	s_delay_alu instid0(VALU_DEP_2) | instskip(NEXT) | instid1(VALU_DEP_1)
	v_min_u32_e32 v46, 32, v18
	v_subrev_nc_u32_e32 v18, 29, v46
	v_sub_nc_u32_e32 v46, 30, v46
	s_delay_alu instid0(VALU_DEP_2) | instskip(SKIP_1) | instid1(VALU_DEP_3)
	v_lshlrev_b64_e32 v[18:19], v18, v[30:31]
	v_lshlrev_b32_e32 v19, 24, v30
	v_cndmask_b32_e32 v46, v47, v46, vcc_lo
	v_bfe_i32 v30, v30, 0, 8
	s_delay_alu instid0(VALU_DEP_3) | instskip(SKIP_1) | instid1(VALU_DEP_2)
	v_and_b32_e32 v19, 0x80000000, v19
	v_and_b32_e32 v18, 3, v18
	v_lshl_add_u32 v19, v46, 23, v19
	s_delay_alu instid0(VALU_DEP_2) | instskip(SKIP_1) | instid1(VALU_DEP_2)
	v_cndmask_b32_e32 v18, v45, v18, vcc_lo
	v_cmp_lt_i16_e32 vcc_lo, -1, v30
	v_lshl_or_b32 v18, v18, 21, v19
	v_cndmask_b32_e32 v30, 0xff800000, v111, vcc_lo
	v_and_b32_e32 v19, 0x7c0000, v9
	v_cmp_eq_u32_e32 vcc_lo, 0, v45
	s_delay_alu instid0(VALU_DEP_4) | instskip(NEXT) | instid1(VALU_DEP_4)
	v_add_nc_u32_e32 v18, 0x38000000, v18
	v_cndmask_b32_e32 v30, 0x7f800001, v30, vcc_lo
	s_delay_alu instid0(VALU_DEP_4) | instskip(NEXT) | instid1(VALU_DEP_2)
	v_cmp_eq_u32_e32 vcc_lo, 0x7c0000, v19
	v_cndmask_b32_e32 v45, v18, v30, vcc_lo
.LBB2_9857:                             ;   in Loop: Header=BB2_9143 Depth=3
	s_or_b32 exec_lo, exec_lo, s14
	s_delay_alu instid0(VALU_DEP_1) | instskip(SKIP_2) | instid1(VALU_DEP_2)
	v_dual_add_f32 v46, v44, v45 :: v_dual_mov_b32 v19, v3
	v_mov_b32_e32 v45, v3
                                        ; implicit-def: $vgpr90
	s_mov_b32 s14, exec_lo
	v_and_b32_e32 v18, 0x7f800000, v46
	v_and_b32_e32 v44, 0x7fffff, v46
	v_lshrrev_b32_e32 v30, 24, v46
	s_delay_alu instid0(VALU_DEP_3)
	v_cmpx_ne_u64_e32 0x7f800000, v[18:19]
	s_xor_b32 s75, exec_lo, s14
	s_cbranch_execz .LBB2_9871
; %bb.9858:                             ;   in Loop: Header=BB2_9143 Depth=3
	v_and_b32_e32 v18, 0x7fffffff, v46
	v_mov_b32_e32 v19, v3
	v_and_b32_e32 v30, 0x80, v30
                                        ; implicit-def: $vgpr90
	s_mov_b32 s14, exec_lo
	s_delay_alu instid0(VALU_DEP_2)
	v_cmpx_gt_u64_e32 0x47600001, v[18:19]
	s_xor_b32 s76, exec_lo, s14
	s_cbranch_execz .LBB2_9868
; %bb.9859:                             ;   in Loop: Header=BB2_9143 Depth=3
	v_mov_b32_e32 v90, 0
	s_mov_b32 s77, exec_lo
	v_cmpx_ne_u32_e32 0, v46
	s_cbranch_execz .LBB2_9867
; %bb.9860:                             ;   in Loop: Header=BB2_9143 Depth=3
	v_bfe_u32 v90, v46, 23, 8
	v_or_b32_e32 v46, 0x800000, v44
	s_delay_alu instid0(VALU_DEP_2) | instskip(SKIP_1) | instid1(VALU_DEP_2)
	v_sub_nc_u32_e32 v18, 0x71, v90
	v_cmp_gt_u32_e32 vcc_lo, 0x72, v90
	v_cndmask_b32_e32 v18, 0, v18, vcc_lo
	v_cmp_eq_u32_e32 vcc_lo, 0, v90
	s_delay_alu instid0(VALU_DEP_2) | instskip(NEXT) | instid1(VALU_DEP_1)
	v_cndmask_b32_e64 v91, v18, 0x70, vcc_lo
	v_dual_cndmask_b32 v44, v46, v44, vcc_lo :: v_dual_add_nc_u32 v18, 21, v91
	v_add_nc_u32_e32 v47, 20, v91
	s_delay_alu instid0(VALU_DEP_2) | instskip(NEXT) | instid1(VALU_DEP_2)
	v_lshlrev_b64_e64 v[18:19], v18, -1
	v_lshlrev_b64_e64 v[46:47], v47, 1
	s_delay_alu instid0(VALU_DEP_2) | instskip(SKIP_1) | instid1(VALU_DEP_4)
	v_bfi_b32 v18, v18, 0, v44
	v_lshrrev_b64 v[44:45], v91, v[44:45]
	v_bfi_b32 v19, v19, 0, 0
	s_delay_alu instid0(VALU_DEP_1) | instskip(NEXT) | instid1(VALU_DEP_3)
	v_cmp_eq_u64_e64 s14, v[18:19], v[46:47]
	v_mov_b64_e32 v[46:47], v[44:45]
	s_and_saveexec_b32 s78, s14
; %bb.9861:                             ;   in Loop: Header=BB2_9143 Depth=3
	v_bfe_u32 v18, v44, 21, 1
	v_mov_b32_e32 v19, v3
	s_delay_alu instid0(VALU_DEP_1) | instskip(NEXT) | instid1(VALU_DEP_1)
	v_add_nc_u64_e32 v[18:19], v[44:45], v[18:19]
	v_add_nc_u64_e32 v[46:47], -1, v[18:19]
; %bb.9862:                             ;   in Loop: Header=BB2_9143 Depth=3
	s_or_b32 exec_lo, exec_lo, s78
	v_dual_mov_b32 v45, v3 :: v_dual_add_nc_u32 v18, 0xffffff81, v90
	v_lshrrev_b32_e32 v19, 23, v44
	s_mov_b32 s14, exec_lo
	s_delay_alu instid0(VALU_DEP_2) | instskip(NEXT) | instid1(VALU_DEP_1)
	v_cndmask_b32_e64 v18, v18, 0xffffff82, vcc_lo
	v_add3_u32 v47, v91, v18, v19
	v_and_b32_e32 v18, 0x1fffff, v46
                                        ; implicit-def: $vgpr46
	s_delay_alu instid0(VALU_DEP_1) | instskip(NEXT) | instid1(VALU_DEP_1)
	v_dual_add_nc_u32 v90, 14, v47 :: v_dual_add_nc_u32 v44, v18, v44
	v_cmpx_ne_u32_e32 0, v90
	s_xor_b32 s14, exec_lo, s14
; %bb.9863:                             ;   in Loop: Header=BB2_9143 Depth=3
	s_delay_alu instid0(VALU_DEP_2) | instskip(SKIP_1) | instid1(VALU_DEP_1)
	v_cmp_lt_u64_e32 vcc_lo, 0xffffff, v[44:45]
	v_add_nc_u32_e32 v18, 15, v47
	v_cndmask_b32_e32 v46, v90, v18, vcc_lo
	v_cndmask_b32_e64 v18, 0, 1, vcc_lo
	s_delay_alu instid0(VALU_DEP_1)
	v_lshrrev_b64 v[44:45], v18, v[44:45]
; %bb.9864:                             ;   in Loop: Header=BB2_9143 Depth=3
	s_and_not1_saveexec_b32 s14, s14
; %bb.9865:                             ;   in Loop: Header=BB2_9143 Depth=3
	s_delay_alu instid0(VALU_DEP_1)
	v_bfe_u32 v46, v44, 23, 1
; %bb.9866:                             ;   in Loop: Header=BB2_9143 Depth=3
	s_or_b32 exec_lo, exec_lo, s14
	s_delay_alu instid0(VALU_DEP_2) | instskip(NEXT) | instid1(VALU_DEP_2)
	v_lshrrev_b64 v[18:19], 21, v[44:45]
	v_cmp_gt_i32_e32 vcc_lo, 32, v46
	v_min_i32_e32 v44, 31, v46
	v_cmp_eq_u32_e64 s14, 0, v46
	s_delay_alu instid0(VALU_DEP_2) | instskip(SKIP_1) | instid1(VALU_DEP_2)
	v_dual_cndmask_b32 v19, 0, v19 :: v_dual_lshlrev_b32 v44, 2, v44
	v_cndmask_b32_e32 v18, 3, v18, vcc_lo
	v_and_b32_e32 v44, 0xfc, v44
	s_delay_alu instid0(VALU_DEP_2) | instskip(NEXT) | instid1(VALU_DEP_2)
	v_cmp_eq_u64_e32 vcc_lo, 0, v[18:19]
	v_and_or_b32 v18, v18, 3, v44
	s_and_b32 s14, s14, vcc_lo
	s_delay_alu instid0(VALU_DEP_1) | instid1(SALU_CYCLE_1)
	v_cndmask_b32_e64 v18, v18, 0, s14
	s_delay_alu instid0(VALU_DEP_1)
	v_or_b32_e32 v90, v18, v30
.LBB2_9867:                             ;   in Loop: Header=BB2_9143 Depth=3
	s_or_b32 exec_lo, exec_lo, s77
                                        ; implicit-def: $vgpr30
.LBB2_9868:                             ;   in Loop: Header=BB2_9143 Depth=3
	s_and_not1_saveexec_b32 s14, s76
; %bb.9869:                             ;   in Loop: Header=BB2_9143 Depth=3
	v_or_b32_e32 v90, 0x7b, v30
; %bb.9870:                             ;   in Loop: Header=BB2_9143 Depth=3
	s_or_b32 exec_lo, exec_lo, s14
                                        ; implicit-def: $vgpr46
                                        ; implicit-def: $vgpr44_vgpr45
                                        ; implicit-def: $vgpr30
.LBB2_9871:                             ;   in Loop: Header=BB2_9143 Depth=3
	s_and_not1_saveexec_b32 s14, s75
	s_cbranch_execz .LBB2_9877
; %bb.9872:                             ;   in Loop: Header=BB2_9143 Depth=3
	s_mov_b32 s75, exec_lo
                                        ; implicit-def: $vgpr90
	v_cmpx_ne_u64_e32 0, v[44:45]
	s_xor_b32 s75, exec_lo, s75
; %bb.9873:                             ;   in Loop: Header=BB2_9143 Depth=3
	v_or_b32_e32 v90, 0x7f, v30
                                        ; implicit-def: $vgpr46
; %bb.9874:                             ;   in Loop: Header=BB2_9143 Depth=3
	s_and_not1_saveexec_b32 s75, s75
; %bb.9875:                             ;   in Loop: Header=BB2_9143 Depth=3
	v_cmp_lt_i32_e32 vcc_lo, -1, v46
	v_cndmask_b32_e32 v90, 0xfc, v120, vcc_lo
; %bb.9876:                             ;   in Loop: Header=BB2_9143 Depth=3
	s_or_b32 exec_lo, exec_lo, s75
.LBB2_9877:                             ;   in Loop: Header=BB2_9143 Depth=3
	s_delay_alu instid0(SALU_CYCLE_1)
	s_or_b32 exec_lo, exec_lo, s14
	v_mov_b32_e32 v44, 0
	s_mov_b32 s14, exec_lo
	v_cmpx_lt_u32_e32 0xffffff, v2
	s_cbranch_execz .LBB2_9887
; %bb.9878:                             ;   in Loop: Header=BB2_9143 Depth=3
	v_lshrrev_b32_e32 v30, 24, v2
	v_bfrev_b32_e32 v44, 1
	s_mov_b32 s75, exec_lo
	s_delay_alu instid0(VALU_DEP_2)
	v_cmpx_ne_u32_e32 0x80, v30
	s_cbranch_execz .LBB2_9886
; %bb.9879:                             ;   in Loop: Header=BB2_9143 Depth=3
	v_and_b32_e32 v18, 0x7c000000, v2
	v_bfe_u32 v45, v2, 24, 2
	s_mov_b32 s76, exec_lo
                                        ; implicit-def: $vgpr44
	s_delay_alu instid0(VALU_DEP_2)
	v_cmpx_ne_u32_e32 0x7c000000, v18
	s_xor_b32 s76, exec_lo, s76
	s_cbranch_execz .LBB2_9883
; %bb.9880:                             ;   in Loop: Header=BB2_9143 Depth=3
	v_bfe_u32 v44, v2, 26, 5
	s_mov_b32 s77, exec_lo
	s_delay_alu instid0(VALU_DEP_1)
	v_cmpx_eq_u32_e32 0, v44
; %bb.9881:                             ;   in Loop: Header=BB2_9143 Depth=3
	v_clz_i32_u32_e32 v18, v45
	s_delay_alu instid0(VALU_DEP_1) | instskip(NEXT) | instid1(VALU_DEP_1)
	v_min_u32_e32 v44, 32, v18
	v_subrev_nc_u32_e32 v18, 29, v44
	s_delay_alu instid0(VALU_DEP_1) | instskip(NEXT) | instid1(VALU_DEP_1)
	v_lshlrev_b64_e32 v[18:19], v18, v[30:31]
	v_dual_sub_nc_u32 v44, 30, v44 :: v_dual_bitop2_b32 v45, 3, v18 bitop3:0x40
; %bb.9882:                             ;   in Loop: Header=BB2_9143 Depth=3
	s_or_b32 exec_lo, exec_lo, s77
	v_and_b32_e32 v2, 0x80000000, v2
	s_delay_alu instid0(VALU_DEP_1) | instskip(NEXT) | instid1(VALU_DEP_1)
	v_lshl_add_u32 v2, v44, 23, v2
	v_lshl_or_b32 v2, v45, 21, v2
                                        ; implicit-def: $vgpr45
	s_delay_alu instid0(VALU_DEP_1)
	v_add_nc_u32_e32 v44, 0x38000000, v2
.LBB2_9883:                             ;   in Loop: Header=BB2_9143 Depth=3
	s_and_not1_saveexec_b32 s76, s76
; %bb.9884:                             ;   in Loop: Header=BB2_9143 Depth=3
	v_cmp_lt_i32_e32 vcc_lo, -1, v2
	v_cndmask_b32_e32 v2, 0xff800000, v111, vcc_lo
	v_cmp_eq_u32_e32 vcc_lo, 0, v45
	s_delay_alu instid0(VALU_DEP_2)
	v_cndmask_b32_e32 v44, 0x7f800001, v2, vcc_lo
; %bb.9885:                             ;   in Loop: Header=BB2_9143 Depth=3
	s_or_b32 exec_lo, exec_lo, s76
.LBB2_9886:                             ;   in Loop: Header=BB2_9143 Depth=3
	s_delay_alu instid0(SALU_CYCLE_1)
	s_or_b32 exec_lo, exec_lo, s75
.LBB2_9887:                             ;   in Loop: Header=BB2_9143 Depth=3
	s_delay_alu instid0(SALU_CYCLE_1) | instskip(SKIP_3) | instid1(VALU_DEP_2)
	s_or_b32 exec_lo, exec_lo, s14
	v_bfe_u32 v30, v9, 24, 2
	v_bfe_u32 v46, v9, 26, 5
	s_mov_b32 s14, exec_lo
	v_clz_i32_u32_e32 v2, v30
	s_delay_alu instid0(VALU_DEP_2) | instskip(NEXT) | instid1(VALU_DEP_2)
	v_cmp_eq_u32_e32 vcc_lo, 0, v46
	v_min_u32_e32 v45, 32, v2
	v_lshrrev_b32_e32 v2, 24, v9
	s_delay_alu instid0(VALU_DEP_2) | instskip(NEXT) | instid1(VALU_DEP_1)
	v_subrev_nc_u32_e32 v18, 29, v45
	v_lshlrev_b64_e32 v[18:19], v18, v[2:3]
	v_sub_nc_u32_e32 v19, 30, v45
	v_and_b32_e32 v45, 0x80000000, v9
	s_delay_alu instid0(VALU_DEP_2) | instskip(NEXT) | instid1(VALU_DEP_1)
	v_dual_cndmask_b32 v19, v46, v19, vcc_lo :: v_dual_bitop2_b32 v18, 3, v18 bitop3:0x40
	v_cndmask_b32_e32 v18, v30, v18, vcc_lo
	v_cmp_lt_i64_e32 vcc_lo, -1, v[8:9]
	s_delay_alu instid0(VALU_DEP_3) | instskip(NEXT) | instid1(VALU_DEP_1)
	v_lshl_add_u32 v19, v19, 23, v45
	v_lshl_or_b32 v18, v18, 21, v19
	v_cndmask_b32_e32 v45, 0xff800000, v111, vcc_lo
	v_and_b32_e32 v19, 0x7c000000, v9
	v_cmp_eq_u32_e32 vcc_lo, 0, v30
	s_delay_alu instid0(VALU_DEP_4) | instskip(NEXT) | instid1(VALU_DEP_4)
	v_add_nc_u32_e32 v18, 0x38000000, v18
	v_cndmask_b32_e32 v30, 0x7f800001, v45, vcc_lo
	s_delay_alu instid0(VALU_DEP_4) | instskip(NEXT) | instid1(VALU_DEP_2)
	v_cmp_eq_u32_e32 vcc_lo, 0x7c000000, v19
	v_dual_mov_b32 v19, v3 :: v_dual_cndmask_b32 v18, v18, v30
	v_cmp_ne_u32_e32 vcc_lo, 0x80, v2
                                        ; implicit-def: $vgpr30
	s_delay_alu instid0(VALU_DEP_2) | instskip(SKIP_1) | instid1(VALU_DEP_2)
	v_cndmask_b32_e32 v2, 0x80000000, v18, vcc_lo
	v_cmp_lt_u64_e32 vcc_lo, s[22:23], v[8:9]
	v_cndmask_b32_e32 v2, 0, v2, vcc_lo
	s_delay_alu instid0(VALU_DEP_1) | instskip(NEXT) | instid1(VALU_DEP_1)
	v_add_f32_e32 v8, v2, v44
	v_and_b32_e32 v18, 0x7f800000, v8
	v_and_b32_e32 v2, 0x7fffff, v8
	v_lshrrev_b32_e32 v9, 24, v8
	s_delay_alu instid0(VALU_DEP_3)
	v_cmpx_ne_u64_e32 0x7f800000, v[18:19]
	s_xor_b32 s75, exec_lo, s14
	s_cbranch_execz .LBB2_9901
; %bb.9888:                             ;   in Loop: Header=BB2_9143 Depth=3
	v_and_b32_e32 v18, 0x7fffffff, v8
	v_mov_b32_e32 v19, v3
	v_and_b32_e32 v46, 0x80, v9
                                        ; implicit-def: $vgpr30
	s_mov_b32 s14, exec_lo
	s_delay_alu instid0(VALU_DEP_2)
	v_cmpx_gt_u64_e32 0x47600001, v[18:19]
	s_xor_b32 s76, exec_lo, s14
	s_cbranch_execz .LBB2_9898
; %bb.9889:                             ;   in Loop: Header=BB2_9143 Depth=3
	v_mov_b32_e32 v30, 0
	s_mov_b32 s77, exec_lo
	v_cmpx_ne_u32_e32 0, v8
	s_cbranch_execz .LBB2_9897
; %bb.9890:                             ;   in Loop: Header=BB2_9143 Depth=3
	v_bfe_u32 v30, v8, 23, 8
	v_or_b32_e32 v18, 0x800000, v2
	s_delay_alu instid0(VALU_DEP_2) | instskip(SKIP_1) | instid1(VALU_DEP_2)
	v_dual_mov_b32 v19, v3 :: v_dual_sub_nc_u32 v8, 0x71, v30
	v_cmp_gt_u32_e32 vcc_lo, 0x72, v30
	v_cndmask_b32_e32 v8, 0, v8, vcc_lo
	v_cmp_eq_u32_e32 vcc_lo, 0, v30
	s_delay_alu instid0(VALU_DEP_2) | instskip(NEXT) | instid1(VALU_DEP_1)
	v_cndmask_b32_e64 v47, v8, 0x70, vcc_lo
	v_dual_cndmask_b32 v18, v18, v2, vcc_lo :: v_dual_add_nc_u32 v8, 21, v47
	v_add_nc_u32_e32 v44, 20, v47
	s_delay_alu instid0(VALU_DEP_2) | instskip(NEXT) | instid1(VALU_DEP_2)
	v_lshlrev_b64_e64 v[8:9], v8, -1
	v_lshlrev_b64_e64 v[44:45], v44, 1
	s_delay_alu instid0(VALU_DEP_2) | instskip(NEXT) | instid1(VALU_DEP_3)
	v_bfi_b32 v93, v9, 0, 0
	v_bfi_b32 v92, v8, 0, v18
	v_lshrrev_b64 v[8:9], v47, v[18:19]
	s_delay_alu instid0(VALU_DEP_2) | instskip(NEXT) | instid1(VALU_DEP_2)
	v_cmp_eq_u64_e64 s14, v[92:93], v[44:45]
	v_mov_b64_e32 v[44:45], v[8:9]
	s_and_saveexec_b32 s78, s14
; %bb.9891:                             ;   in Loop: Header=BB2_9143 Depth=3
	v_bfe_u32 v18, v8, 21, 1
	v_mov_b32_e32 v19, v3
	s_delay_alu instid0(VALU_DEP_1) | instskip(NEXT) | instid1(VALU_DEP_1)
	v_add_nc_u64_e32 v[18:19], v[8:9], v[18:19]
	v_add_nc_u64_e32 v[44:45], -1, v[18:19]
; %bb.9892:                             ;   in Loop: Header=BB2_9143 Depth=3
	s_or_b32 exec_lo, exec_lo, s78
	v_add_nc_u32_e32 v2, 0xffffff81, v30
	s_delay_alu instid0(VALU_DEP_2) | instskip(SKIP_2) | instid1(VALU_DEP_3)
	v_and_b32_e32 v18, 0x1fffff, v44
	v_lshrrev_b32_e32 v9, 23, v8
	s_mov_b32 s14, exec_lo
                                        ; implicit-def: $vgpr30
	v_cndmask_b32_e64 v2, v2, 0xffffff82, vcc_lo
	s_delay_alu instid0(VALU_DEP_1) | instskip(SKIP_1) | instid1(VALU_DEP_2)
	v_add3_u32 v44, v47, v2, v9
	v_add_nc_u32_e32 v2, v18, v8
                                        ; implicit-def: $vgpr8_vgpr9
	v_add_nc_u32_e32 v45, 14, v44
	s_delay_alu instid0(VALU_DEP_1)
	v_cmpx_ne_u32_e32 0, v45
	s_xor_b32 s14, exec_lo, s14
; %bb.9893:                             ;   in Loop: Header=BB2_9143 Depth=3
	s_delay_alu instid0(VALU_DEP_3) | instskip(SKIP_1) | instid1(VALU_DEP_1)
	v_cmp_lt_u64_e32 vcc_lo, 0xffffff, v[2:3]
	v_add_nc_u32_e32 v8, 15, v44
	v_cndmask_b32_e32 v30, v45, v8, vcc_lo
	v_cndmask_b32_e64 v8, 0, 1, vcc_lo
	s_delay_alu instid0(VALU_DEP_1)
	v_lshrrev_b64 v[8:9], v8, v[2:3]
; %bb.9894:                             ;   in Loop: Header=BB2_9143 Depth=3
	s_and_not1_saveexec_b32 s14, s14
; %bb.9895:                             ;   in Loop: Header=BB2_9143 Depth=3
	v_mov_b64_e32 v[8:9], v[2:3]
	v_bfe_u32 v30, v2, 23, 1
; %bb.9896:                             ;   in Loop: Header=BB2_9143 Depth=3
	s_or_b32 exec_lo, exec_lo, s14
	s_delay_alu instid0(VALU_DEP_2) | instskip(NEXT) | instid1(VALU_DEP_2)
	v_lshrrev_b64 v[8:9], 21, v[8:9]
	v_cmp_gt_i32_e32 vcc_lo, 32, v30
	v_min_i32_e32 v2, 31, v30
	v_cmp_eq_u32_e64 s14, 0, v30
	s_delay_alu instid0(VALU_DEP_2) | instskip(SKIP_1) | instid1(VALU_DEP_2)
	v_dual_cndmask_b32 v9, 0, v9 :: v_dual_lshlrev_b32 v2, 2, v2
	v_cndmask_b32_e32 v8, 3, v8, vcc_lo
	v_and_b32_e32 v2, 0xfc, v2
	s_delay_alu instid0(VALU_DEP_2) | instskip(NEXT) | instid1(VALU_DEP_2)
	v_cmp_eq_u64_e32 vcc_lo, 0, v[8:9]
	v_and_or_b32 v2, v8, 3, v2
	s_and_b32 s14, s14, vcc_lo
	s_delay_alu instid0(VALU_DEP_1) | instid1(SALU_CYCLE_1)
	v_cndmask_b32_e64 v2, v2, 0, s14
	s_delay_alu instid0(VALU_DEP_1)
	v_or_b32_e32 v30, v2, v46
.LBB2_9897:                             ;   in Loop: Header=BB2_9143 Depth=3
	s_or_b32 exec_lo, exec_lo, s77
                                        ; implicit-def: $vgpr46
.LBB2_9898:                             ;   in Loop: Header=BB2_9143 Depth=3
	s_and_not1_saveexec_b32 s14, s76
; %bb.9899:                             ;   in Loop: Header=BB2_9143 Depth=3
	v_or_b32_e32 v30, 0x7b, v46
; %bb.9900:                             ;   in Loop: Header=BB2_9143 Depth=3
	s_or_b32 exec_lo, exec_lo, s14
                                        ; implicit-def: $vgpr8
                                        ; implicit-def: $vgpr9
.LBB2_9901:                             ;   in Loop: Header=BB2_9143 Depth=3
	s_and_not1_saveexec_b32 s14, s75
	s_cbranch_execz .LBB2_9907
; %bb.9902:                             ;   in Loop: Header=BB2_9143 Depth=3
	s_mov_b32 s75, exec_lo
                                        ; implicit-def: $vgpr30
	v_cmpx_ne_u64_e32 0, v[2:3]
	s_xor_b32 s75, exec_lo, s75
; %bb.9903:                             ;   in Loop: Header=BB2_9143 Depth=3
	v_or_b32_e32 v30, 0x7f, v9
                                        ; implicit-def: $vgpr8
; %bb.9904:                             ;   in Loop: Header=BB2_9143 Depth=3
	s_and_not1_saveexec_b32 s75, s75
; %bb.9905:                             ;   in Loop: Header=BB2_9143 Depth=3
	v_cmp_lt_i32_e32 vcc_lo, -1, v8
	v_cndmask_b32_e32 v30, 0xfc, v120, vcc_lo
; %bb.9906:                             ;   in Loop: Header=BB2_9143 Depth=3
	s_or_b32 exec_lo, exec_lo, s75
.LBB2_9907:                             ;   in Loop: Header=BB2_9143 Depth=3
	s_delay_alu instid0(SALU_CYCLE_1) | instskip(SKIP_3) | instid1(VALU_DEP_1)
	s_or_b32 exec_lo, exec_lo, s14
	v_lshl_or_b32 v46, v77, 8, v73
	v_dual_lshlrev_b32 v2, 16, v88 :: v_dual_lshlrev_b32 v8, 24, v89
	s_mov_b32 s14, exec_lo
	v_or3_b32 v2, v2, v8, v46
	v_mov_b32_e32 v8, 0
	v_cmpx_ne_u32_e32 0, v73
	s_cbranch_execz .LBB2_9917
; %bb.9908:                             ;   in Loop: Header=BB2_9143 Depth=3
	v_bfrev_b32_e32 v8, 1
	s_mov_b32 s75, exec_lo
	v_cmpx_ne_u32_e32 0x80, v73
	s_cbranch_execz .LBB2_9916
; %bb.9909:                             ;   in Loop: Header=BB2_9143 Depth=3
	v_and_b32_e32 v8, 0x7c, v73
	v_and_b32_e32 v9, 3, v73
	s_delay_alu instid0(VALU_DEP_2) | instskip(SKIP_1) | instid1(SALU_CYCLE_1)
	v_cmp_ne_u32_e32 vcc_lo, 0x7c, v8
                                        ; implicit-def: $vgpr8
	s_and_saveexec_b32 s76, vcc_lo
	s_xor_b32 s76, exec_lo, s76
	s_cbranch_execz .LBB2_9913
; %bb.9910:                             ;   in Loop: Header=BB2_9143 Depth=3
	v_bfe_u32 v8, v73, 2, 5
	s_mov_b32 s77, exec_lo
	s_delay_alu instid0(VALU_DEP_1)
	v_cmpx_eq_u32_e32 0, v8
; %bb.9911:                             ;   in Loop: Header=BB2_9143 Depth=3
	v_clz_i32_u32_e32 v8, v9
	s_delay_alu instid0(VALU_DEP_1) | instskip(NEXT) | instid1(VALU_DEP_1)
	v_min_u32_e32 v8, 32, v8
	v_subrev_nc_u32_e32 v9, 29, v8
	s_delay_alu instid0(VALU_DEP_1) | instskip(NEXT) | instid1(VALU_DEP_1)
	v_lshlrev_b64_e32 v[18:19], v9, v[2:3]
	v_dual_sub_nc_u32 v8, 30, v8 :: v_dual_bitop2_b32 v9, 3, v18 bitop3:0x40
; %bb.9912:                             ;   in Loop: Header=BB2_9143 Depth=3
	s_or_b32 exec_lo, exec_lo, s77
	v_lshlrev_b32_e32 v18, 24, v73
                                        ; implicit-def: $vgpr73
	s_delay_alu instid0(VALU_DEP_1) | instskip(NEXT) | instid1(VALU_DEP_1)
	v_and_b32_e32 v18, 0x80000000, v18
	v_lshl_add_u32 v8, v8, 23, v18
	s_delay_alu instid0(VALU_DEP_1) | instskip(NEXT) | instid1(VALU_DEP_1)
	v_lshl_or_b32 v8, v9, 21, v8
                                        ; implicit-def: $vgpr9
	v_add_nc_u32_e32 v8, 0x38000000, v8
.LBB2_9913:                             ;   in Loop: Header=BB2_9143 Depth=3
	s_and_not1_saveexec_b32 s76, s76
; %bb.9914:                             ;   in Loop: Header=BB2_9143 Depth=3
	v_and_b32_e32 v8, 0x80, v73
	s_delay_alu instid0(VALU_DEP_1) | instskip(SKIP_2) | instid1(VALU_DEP_2)
	v_cmp_eq_u32_e32 vcc_lo, 0, v8
	v_cndmask_b32_e32 v8, 0xff800000, v111, vcc_lo
	v_cmp_eq_u32_e32 vcc_lo, 0, v9
	v_cndmask_b32_e32 v8, 0x7f800001, v8, vcc_lo
; %bb.9915:                             ;   in Loop: Header=BB2_9143 Depth=3
	s_or_b32 exec_lo, exec_lo, s76
.LBB2_9916:                             ;   in Loop: Header=BB2_9143 Depth=3
	s_delay_alu instid0(SALU_CYCLE_1)
	s_or_b32 exec_lo, exec_lo, s75
.LBB2_9917:                             ;   in Loop: Header=BB2_9143 Depth=3
	s_delay_alu instid0(SALU_CYCLE_1) | instskip(SKIP_3) | instid1(VALU_DEP_1)
	s_or_b32 exec_lo, exec_lo, s14
	v_and_b32_e32 v44, 0xff, v10
	s_mov_b32 s75, 0
	s_mov_b32 s14, exec_lo
	v_cmpx_lt_i16_e32 0x7f, v44
	s_xor_b32 s14, exec_lo, s14
	s_cbranch_execz .LBB2_10194
; %bb.9918:                             ;   in Loop: Header=BB2_9143 Depth=3
	s_mov_b32 s75, -1
	s_mov_b32 s76, exec_lo
	v_cmpx_eq_u16_e32 0x80, v44
; %bb.9919:                             ;   in Loop: Header=BB2_9143 Depth=3
	s_xor_b32 s75, exec_lo, -1
; %bb.9920:                             ;   in Loop: Header=BB2_9143 Depth=3
	s_or_b32 exec_lo, exec_lo, s76
	s_delay_alu instid0(SALU_CYCLE_1)
	s_and_b32 s75, s75, exec_lo
                                        ; implicit-def: $vgpr44
	s_or_saveexec_b32 s14, s14
	v_bfrev_b32_e32 v9, 1
	s_xor_b32 exec_lo, exec_lo, s14
	s_cbranch_execnz .LBB2_10195
.LBB2_9921:                             ;   in Loop: Header=BB2_9143 Depth=3
	s_or_b32 exec_lo, exec_lo, s14
	s_and_saveexec_b32 s14, s75
	s_cbranch_execz .LBB2_9923
.LBB2_9922:                             ;   in Loop: Header=BB2_9143 Depth=3
	v_and_b32_e32 v9, 3, v10
	v_bfe_u32 v45, v10, 2, 5
	s_delay_alu instid0(VALU_DEP_2) | instskip(NEXT) | instid1(VALU_DEP_2)
	v_clz_i32_u32_e32 v18, v9
	v_cmp_eq_u32_e32 vcc_lo, 0, v45
	s_delay_alu instid0(VALU_DEP_2) | instskip(NEXT) | instid1(VALU_DEP_1)
	v_min_u32_e32 v44, 32, v18
	v_subrev_nc_u32_e32 v18, 29, v44
	s_delay_alu instid0(VALU_DEP_1) | instskip(SKIP_1) | instid1(VALU_DEP_1)
	v_lshlrev_b64_e32 v[18:19], v18, v[10:11]
	v_dual_lshlrev_b32 v19, 24, v10 :: v_dual_sub_nc_u32 v44, 30, v44
	v_and_b32_e32 v19, 0x80000000, v19
	s_delay_alu instid0(VALU_DEP_2) | instskip(SKIP_1) | instid1(VALU_DEP_2)
	v_dual_cndmask_b32 v44, v45, v44, vcc_lo :: v_dual_bitop2_b32 v18, 3, v18 bitop3:0x40
	v_bfe_i32 v45, v10, 0, 8
	v_cndmask_b32_e32 v18, v9, v18, vcc_lo
	s_delay_alu instid0(VALU_DEP_3) | instskip(NEXT) | instid1(VALU_DEP_3)
	v_lshl_add_u32 v19, v44, 23, v19
	v_cmp_lt_i16_e32 vcc_lo, -1, v45
	s_delay_alu instid0(VALU_DEP_2) | instskip(SKIP_3) | instid1(VALU_DEP_4)
	v_lshl_or_b32 v18, v18, 21, v19
	v_cndmask_b32_e32 v44, 0xff800000, v111, vcc_lo
	v_and_b32_e32 v19, 0x7c, v10
	v_cmp_eq_u32_e32 vcc_lo, 0, v9
	v_add_nc_u32_e32 v18, 0x38000000, v18
	s_delay_alu instid0(VALU_DEP_4) | instskip(NEXT) | instid1(VALU_DEP_4)
	v_cndmask_b32_e32 v9, 0x7f800001, v44, vcc_lo
	v_cmp_eq_u32_e32 vcc_lo, 0x7c, v19
	s_delay_alu instid0(VALU_DEP_2)
	v_cndmask_b32_e32 v9, v18, v9, vcc_lo
.LBB2_9923:                             ;   in Loop: Header=BB2_9143 Depth=3
	s_or_b32 exec_lo, exec_lo, s14
	s_delay_alu instid0(VALU_DEP_1) | instskip(SKIP_2) | instid1(VALU_DEP_2)
	v_dual_add_f32 v44, v8, v9 :: v_dual_mov_b32 v19, v3
	v_mov_b32_e32 v9, v3
                                        ; implicit-def: $vgpr73
	s_mov_b32 s14, exec_lo
	v_and_b32_e32 v18, 0x7f800000, v44
	v_and_b32_e32 v8, 0x7fffff, v44
	v_lshrrev_b32_e32 v45, 24, v44
	s_delay_alu instid0(VALU_DEP_3)
	v_cmpx_ne_u64_e32 0x7f800000, v[18:19]
	s_xor_b32 s75, exec_lo, s14
	s_cbranch_execz .LBB2_9937
; %bb.9924:                             ;   in Loop: Header=BB2_9143 Depth=3
	v_and_b32_e32 v18, 0x7fffffff, v44
	v_mov_b32_e32 v19, v3
	v_and_b32_e32 v47, 0x80, v45
                                        ; implicit-def: $vgpr73
	s_mov_b32 s14, exec_lo
	s_delay_alu instid0(VALU_DEP_2)
	v_cmpx_gt_u64_e32 0x47600001, v[18:19]
	s_xor_b32 s76, exec_lo, s14
	s_cbranch_execz .LBB2_9934
; %bb.9925:                             ;   in Loop: Header=BB2_9143 Depth=3
	v_mov_b32_e32 v73, 0
	s_mov_b32 s77, exec_lo
	v_cmpx_ne_u32_e32 0, v44
	s_cbranch_execz .LBB2_9933
; %bb.9926:                             ;   in Loop: Header=BB2_9143 Depth=3
	v_bfe_u32 v73, v44, 23, 8
	v_or_b32_e32 v44, 0x800000, v8
	s_delay_alu instid0(VALU_DEP_2) | instskip(SKIP_1) | instid1(VALU_DEP_2)
	v_sub_nc_u32_e32 v18, 0x71, v73
	v_cmp_gt_u32_e32 vcc_lo, 0x72, v73
	v_cndmask_b32_e32 v18, 0, v18, vcc_lo
	v_cmp_eq_u32_e32 vcc_lo, 0, v73
	s_delay_alu instid0(VALU_DEP_2) | instskip(NEXT) | instid1(VALU_DEP_1)
	v_cndmask_b32_e64 v77, v18, 0x70, vcc_lo
	v_dual_cndmask_b32 v8, v44, v8, vcc_lo :: v_dual_add_nc_u32 v18, 21, v77
	v_add_nc_u32_e32 v45, 20, v77
	s_delay_alu instid0(VALU_DEP_2) | instskip(NEXT) | instid1(VALU_DEP_2)
	v_lshlrev_b64_e64 v[18:19], v18, -1
	v_lshlrev_b64_e64 v[44:45], v45, 1
	s_delay_alu instid0(VALU_DEP_2) | instskip(SKIP_1) | instid1(VALU_DEP_4)
	v_bfi_b32 v18, v18, 0, v8
	v_lshrrev_b64 v[8:9], v77, v[8:9]
	v_bfi_b32 v19, v19, 0, 0
	s_delay_alu instid0(VALU_DEP_1) | instskip(NEXT) | instid1(VALU_DEP_3)
	v_cmp_eq_u64_e64 s14, v[18:19], v[44:45]
	v_mov_b64_e32 v[44:45], v[8:9]
	s_and_saveexec_b32 s78, s14
; %bb.9927:                             ;   in Loop: Header=BB2_9143 Depth=3
	v_bfe_u32 v18, v8, 21, 1
	v_mov_b32_e32 v19, v3
	s_delay_alu instid0(VALU_DEP_1) | instskip(NEXT) | instid1(VALU_DEP_1)
	v_add_nc_u64_e32 v[18:19], v[8:9], v[18:19]
	v_add_nc_u64_e32 v[44:45], -1, v[18:19]
; %bb.9928:                             ;   in Loop: Header=BB2_9143 Depth=3
	s_or_b32 exec_lo, exec_lo, s78
	v_add_nc_u32_e32 v9, 0xffffff81, v73
	v_lshrrev_b32_e32 v18, 23, v8
	s_mov_b32 s14, exec_lo
	s_delay_alu instid0(VALU_DEP_2) | instskip(NEXT) | instid1(VALU_DEP_1)
	v_cndmask_b32_e64 v9, v9, 0xffffff82, vcc_lo
	v_add3_u32 v45, v77, v9, v18
	v_and_b32_e32 v9, 0x1fffff, v44
                                        ; implicit-def: $vgpr44
	s_delay_alu instid0(VALU_DEP_1) | instskip(SKIP_1) | instid1(VALU_DEP_2)
	v_dual_add_nc_u32 v73, 14, v45 :: v_dual_add_nc_u32 v8, v9, v8
	v_mov_b32_e32 v9, v3
	v_cmpx_ne_u32_e32 0, v73
	s_xor_b32 s14, exec_lo, s14
; %bb.9929:                             ;   in Loop: Header=BB2_9143 Depth=3
	s_delay_alu instid0(VALU_DEP_2) | instskip(SKIP_1) | instid1(VALU_DEP_1)
	v_cmp_lt_u64_e32 vcc_lo, 0xffffff, v[8:9]
	v_add_nc_u32_e32 v18, 15, v45
	v_cndmask_b32_e32 v44, v73, v18, vcc_lo
	v_cndmask_b32_e64 v18, 0, 1, vcc_lo
	s_delay_alu instid0(VALU_DEP_1)
	v_lshrrev_b64 v[8:9], v18, v[8:9]
; %bb.9930:                             ;   in Loop: Header=BB2_9143 Depth=3
	s_and_not1_saveexec_b32 s14, s14
; %bb.9931:                             ;   in Loop: Header=BB2_9143 Depth=3
	s_delay_alu instid0(VALU_DEP_1)
	v_bfe_u32 v44, v8, 23, 1
; %bb.9932:                             ;   in Loop: Header=BB2_9143 Depth=3
	s_or_b32 exec_lo, exec_lo, s14
	s_delay_alu instid0(VALU_DEP_2) | instskip(NEXT) | instid1(VALU_DEP_2)
	v_lshrrev_b64 v[8:9], 21, v[8:9]
	v_cmp_gt_i32_e32 vcc_lo, 32, v44
	v_min_i32_e32 v18, 31, v44
	v_cmp_eq_u32_e64 s14, 0, v44
	s_delay_alu instid0(VALU_DEP_2) | instskip(SKIP_1) | instid1(VALU_DEP_2)
	v_dual_cndmask_b32 v9, 0, v9 :: v_dual_lshlrev_b32 v18, 2, v18
	v_cndmask_b32_e32 v8, 3, v8, vcc_lo
	v_and_b32_e32 v18, 0xfc, v18
	s_delay_alu instid0(VALU_DEP_2) | instskip(NEXT) | instid1(VALU_DEP_2)
	v_cmp_eq_u64_e32 vcc_lo, 0, v[8:9]
	v_and_or_b32 v8, v8, 3, v18
	s_and_b32 s14, s14, vcc_lo
	s_delay_alu instid0(VALU_DEP_1) | instid1(SALU_CYCLE_1)
	v_cndmask_b32_e64 v8, v8, 0, s14
	s_delay_alu instid0(VALU_DEP_1)
	v_or_b32_e32 v73, v8, v47
.LBB2_9933:                             ;   in Loop: Header=BB2_9143 Depth=3
	s_or_b32 exec_lo, exec_lo, s77
                                        ; implicit-def: $vgpr47
.LBB2_9934:                             ;   in Loop: Header=BB2_9143 Depth=3
	s_and_not1_saveexec_b32 s14, s76
; %bb.9935:                             ;   in Loop: Header=BB2_9143 Depth=3
	v_or_b32_e32 v73, 0x7b, v47
; %bb.9936:                             ;   in Loop: Header=BB2_9143 Depth=3
	s_or_b32 exec_lo, exec_lo, s14
                                        ; implicit-def: $vgpr44
                                        ; implicit-def: $vgpr8_vgpr9
                                        ; implicit-def: $vgpr45
.LBB2_9937:                             ;   in Loop: Header=BB2_9143 Depth=3
	s_and_not1_saveexec_b32 s14, s75
	s_cbranch_execz .LBB2_9943
; %bb.9938:                             ;   in Loop: Header=BB2_9143 Depth=3
	s_mov_b32 s75, exec_lo
                                        ; implicit-def: $vgpr73
	v_cmpx_ne_u64_e32 0, v[8:9]
	s_xor_b32 s75, exec_lo, s75
; %bb.9939:                             ;   in Loop: Header=BB2_9143 Depth=3
	v_or_b32_e32 v73, 0x7f, v45
                                        ; implicit-def: $vgpr44
; %bb.9940:                             ;   in Loop: Header=BB2_9143 Depth=3
	s_and_not1_saveexec_b32 s75, s75
; %bb.9941:                             ;   in Loop: Header=BB2_9143 Depth=3
	v_cmp_lt_i32_e32 vcc_lo, -1, v44
	v_cndmask_b32_e32 v73, 0xfc, v120, vcc_lo
; %bb.9942:                             ;   in Loop: Header=BB2_9143 Depth=3
	s_or_b32 exec_lo, exec_lo, s75
.LBB2_9943:                             ;   in Loop: Header=BB2_9143 Depth=3
	s_delay_alu instid0(SALU_CYCLE_1) | instskip(SKIP_3) | instid1(VALU_DEP_2)
	s_or_b32 exec_lo, exec_lo, s14
	v_lshrrev_b16 v8, 8, v46
	v_mov_b32_e32 v44, 0
	s_mov_b32 s14, exec_lo
	v_cmpx_ne_u16_e32 0, v8
	s_cbranch_execz .LBB2_9953
; %bb.9944:                             ;   in Loop: Header=BB2_9143 Depth=3
	v_bfrev_b32_e32 v44, 1
	s_mov_b32 s75, exec_lo
	v_cmpx_ne_u16_e32 0x80, v8
	s_cbranch_execz .LBB2_9952
; %bb.9945:                             ;   in Loop: Header=BB2_9143 Depth=3
	v_and_b32_e32 v45, 0xffff, v8
	s_mov_b32 s76, exec_lo
                                        ; implicit-def: $vgpr44
	s_delay_alu instid0(VALU_DEP_1) | instskip(SKIP_1) | instid1(VALU_DEP_2)
	v_and_b32_e32 v18, 0x7c, v45
	v_and_b32_e32 v9, 3, v45
	v_cmpx_ne_u32_e32 0x7c, v18
	s_xor_b32 s76, exec_lo, s76
	s_cbranch_execz .LBB2_9949
; %bb.9946:                             ;   in Loop: Header=BB2_9143 Depth=3
	v_bfe_u32 v44, v45, 2, 5
	s_mov_b32 s77, exec_lo
	s_delay_alu instid0(VALU_DEP_1)
	v_cmpx_eq_u32_e32 0, v44
; %bb.9947:                             ;   in Loop: Header=BB2_9143 Depth=3
	v_clz_i32_u32_e32 v9, v9
	s_delay_alu instid0(VALU_DEP_1) | instskip(NEXT) | instid1(VALU_DEP_1)
	v_min_u32_e32 v18, 32, v9
	v_dual_mov_b32 v9, v3 :: v_dual_sub_nc_u32 v44, 30, v18
	v_subrev_nc_u32_e32 v19, 29, v18
	s_delay_alu instid0(VALU_DEP_1) | instskip(NEXT) | instid1(VALU_DEP_1)
	v_lshlrev_b64_e32 v[8:9], v19, v[8:9]
	v_and_b32_e32 v9, 3, v8
; %bb.9948:                             ;   in Loop: Header=BB2_9143 Depth=3
	s_or_b32 exec_lo, exec_lo, s77
	v_lshlrev_b32_e32 v8, 16, v46
                                        ; implicit-def: $vgpr46
	s_delay_alu instid0(VALU_DEP_1) | instskip(NEXT) | instid1(VALU_DEP_1)
	v_and_b32_e32 v8, 0x80000000, v8
	v_lshl_add_u32 v8, v44, 23, v8
	s_delay_alu instid0(VALU_DEP_1) | instskip(NEXT) | instid1(VALU_DEP_1)
	v_lshl_or_b32 v8, v9, 21, v8
                                        ; implicit-def: $vgpr9
	v_add_nc_u32_e32 v44, 0x38000000, v8
.LBB2_9949:                             ;   in Loop: Header=BB2_9143 Depth=3
	s_and_not1_saveexec_b32 s76, s76
; %bb.9950:                             ;   in Loop: Header=BB2_9143 Depth=3
	v_cmp_lt_i16_e32 vcc_lo, -1, v46
	v_cndmask_b32_e32 v8, 0xff800000, v111, vcc_lo
	v_cmp_eq_u32_e32 vcc_lo, 0, v9
	s_delay_alu instid0(VALU_DEP_2)
	v_cndmask_b32_e32 v44, 0x7f800001, v8, vcc_lo
; %bb.9951:                             ;   in Loop: Header=BB2_9143 Depth=3
	s_or_b32 exec_lo, exec_lo, s76
.LBB2_9952:                             ;   in Loop: Header=BB2_9143 Depth=3
	s_delay_alu instid0(SALU_CYCLE_1)
	s_or_b32 exec_lo, exec_lo, s75
.LBB2_9953:                             ;   in Loop: Header=BB2_9143 Depth=3
	s_delay_alu instid0(SALU_CYCLE_1) | instskip(SKIP_3) | instid1(VALU_DEP_1)
	s_or_b32 exec_lo, exec_lo, s14
	v_lshrrev_b16 v8, 8, v10
	s_mov_b32 s75, 0
	s_mov_b32 s14, exec_lo
	v_cmpx_lt_i16_e32 0x7f, v8
	s_xor_b32 s14, exec_lo, s14
	s_cbranch_execz .LBB2_10196
; %bb.9954:                             ;   in Loop: Header=BB2_9143 Depth=3
	s_mov_b32 s75, -1
	s_mov_b32 s76, exec_lo
	v_cmpx_eq_u16_e32 0x80, v8
; %bb.9955:                             ;   in Loop: Header=BB2_9143 Depth=3
	s_xor_b32 s75, exec_lo, -1
; %bb.9956:                             ;   in Loop: Header=BB2_9143 Depth=3
	s_or_b32 exec_lo, exec_lo, s76
	s_delay_alu instid0(SALU_CYCLE_1)
	s_and_b32 s75, s75, exec_lo
	s_or_saveexec_b32 s14, s14
	v_bfrev_b32_e32 v9, 1
	s_xor_b32 exec_lo, exec_lo, s14
	s_cbranch_execnz .LBB2_10197
.LBB2_9957:                             ;   in Loop: Header=BB2_9143 Depth=3
	s_or_b32 exec_lo, exec_lo, s14
	s_and_saveexec_b32 s14, s75
	s_cbranch_execz .LBB2_9959
.LBB2_9958:                             ;   in Loop: Header=BB2_9143 Depth=3
	v_and_b32_e32 v45, 0xffff, v8
	s_delay_alu instid0(VALU_DEP_1) | instskip(NEXT) | instid1(VALU_DEP_1)
	v_and_b32_e32 v46, 3, v45
	v_clz_i32_u32_e32 v9, v46
	s_delay_alu instid0(VALU_DEP_1) | instskip(SKIP_1) | instid1(VALU_DEP_2)
	v_min_u32_e32 v47, 32, v9
	v_mov_b32_e32 v9, v3
	v_subrev_nc_u32_e32 v18, 29, v47
	s_delay_alu instid0(VALU_DEP_1) | instskip(SKIP_2) | instid1(VALU_DEP_2)
	v_lshlrev_b64_e32 v[18:19], v18, v[8:9]
	v_bfe_u32 v9, v45, 2, 5
	v_dual_lshlrev_b32 v8, 24, v8 :: v_dual_sub_nc_u32 v19, 30, v47
	v_cmp_eq_u32_e32 vcc_lo, 0, v9
	s_delay_alu instid0(VALU_DEP_2) | instskip(NEXT) | instid1(VALU_DEP_3)
	v_and_b32_e32 v8, 0x80000000, v8
	v_dual_cndmask_b32 v9, v9, v19, vcc_lo :: v_dual_bitop2_b32 v18, 3, v18 bitop3:0x40
	s_delay_alu instid0(VALU_DEP_1) | instskip(SKIP_1) | instid1(VALU_DEP_3)
	v_cndmask_b32_e32 v18, v46, v18, vcc_lo
	v_cmp_lt_i16_e32 vcc_lo, -1, v10
	v_lshl_add_u32 v8, v9, 23, v8
	v_cndmask_b32_e32 v9, 0xff800000, v111, vcc_lo
	v_cmp_eq_u32_e32 vcc_lo, 0, v46
	s_delay_alu instid0(VALU_DEP_3) | instskip(SKIP_1) | instid1(VALU_DEP_4)
	v_lshl_or_b32 v8, v18, 21, v8
	v_and_b32_e32 v18, 0x7c, v45
	v_cndmask_b32_e32 v9, 0x7f800001, v9, vcc_lo
	s_delay_alu instid0(VALU_DEP_3) | instskip(NEXT) | instid1(VALU_DEP_3)
	v_add_nc_u32_e32 v8, 0x38000000, v8
	v_cmp_eq_u32_e32 vcc_lo, 0x7c, v18
	s_delay_alu instid0(VALU_DEP_2)
	v_cndmask_b32_e32 v9, v8, v9, vcc_lo
.LBB2_9959:                             ;   in Loop: Header=BB2_9143 Depth=3
	s_or_b32 exec_lo, exec_lo, s14
	s_delay_alu instid0(VALU_DEP_1) | instskip(SKIP_2) | instid1(VALU_DEP_2)
	v_dual_add_f32 v44, v44, v9 :: v_dual_mov_b32 v19, v3
	v_mov_b32_e32 v9, v3
                                        ; implicit-def: $vgpr77
	s_mov_b32 s14, exec_lo
	v_and_b32_e32 v18, 0x7f800000, v44
	v_and_b32_e32 v8, 0x7fffff, v44
	v_lshrrev_b32_e32 v45, 24, v44
	s_delay_alu instid0(VALU_DEP_3)
	v_cmpx_ne_u64_e32 0x7f800000, v[18:19]
	s_xor_b32 s75, exec_lo, s14
	s_cbranch_execz .LBB2_9973
; %bb.9960:                             ;   in Loop: Header=BB2_9143 Depth=3
	v_and_b32_e32 v18, 0x7fffffff, v44
	v_mov_b32_e32 v19, v3
	v_and_b32_e32 v46, 0x80, v45
                                        ; implicit-def: $vgpr77
	s_mov_b32 s14, exec_lo
	s_delay_alu instid0(VALU_DEP_2)
	v_cmpx_gt_u64_e32 0x47600001, v[18:19]
	s_xor_b32 s76, exec_lo, s14
	s_cbranch_execz .LBB2_9970
; %bb.9961:                             ;   in Loop: Header=BB2_9143 Depth=3
	v_mov_b32_e32 v77, 0
	s_mov_b32 s77, exec_lo
	v_cmpx_ne_u32_e32 0, v44
	s_cbranch_execz .LBB2_9969
; %bb.9962:                             ;   in Loop: Header=BB2_9143 Depth=3
	v_bfe_u32 v47, v44, 23, 8
	v_or_b32_e32 v44, 0x800000, v8
	s_delay_alu instid0(VALU_DEP_2) | instskip(SKIP_1) | instid1(VALU_DEP_2)
	v_sub_nc_u32_e32 v18, 0x71, v47
	v_cmp_gt_u32_e32 vcc_lo, 0x72, v47
	v_cndmask_b32_e32 v18, 0, v18, vcc_lo
	v_cmp_eq_u32_e32 vcc_lo, 0, v47
	s_delay_alu instid0(VALU_DEP_2) | instskip(NEXT) | instid1(VALU_DEP_1)
	v_cndmask_b32_e64 v77, v18, 0x70, vcc_lo
	v_dual_cndmask_b32 v8, v44, v8, vcc_lo :: v_dual_add_nc_u32 v18, 21, v77
	v_add_nc_u32_e32 v45, 20, v77
	s_delay_alu instid0(VALU_DEP_2) | instskip(NEXT) | instid1(VALU_DEP_2)
	v_lshlrev_b64_e64 v[18:19], v18, -1
	v_lshlrev_b64_e64 v[44:45], v45, 1
	s_delay_alu instid0(VALU_DEP_2) | instskip(SKIP_1) | instid1(VALU_DEP_4)
	v_bfi_b32 v18, v18, 0, v8
	v_lshrrev_b64 v[8:9], v77, v[8:9]
	v_bfi_b32 v19, v19, 0, 0
	s_delay_alu instid0(VALU_DEP_1) | instskip(NEXT) | instid1(VALU_DEP_3)
	v_cmp_eq_u64_e64 s14, v[18:19], v[44:45]
	v_mov_b64_e32 v[44:45], v[8:9]
	s_and_saveexec_b32 s78, s14
; %bb.9963:                             ;   in Loop: Header=BB2_9143 Depth=3
	v_bfe_u32 v18, v8, 21, 1
	v_mov_b32_e32 v19, v3
	s_delay_alu instid0(VALU_DEP_1) | instskip(NEXT) | instid1(VALU_DEP_1)
	v_add_nc_u64_e32 v[18:19], v[8:9], v[18:19]
	v_add_nc_u64_e32 v[44:45], -1, v[18:19]
; %bb.9964:                             ;   in Loop: Header=BB2_9143 Depth=3
	s_or_b32 exec_lo, exec_lo, s78
	v_add_nc_u32_e32 v9, 0xffffff81, v47
	v_lshrrev_b32_e32 v18, 23, v8
	s_mov_b32 s14, exec_lo
	s_delay_alu instid0(VALU_DEP_2) | instskip(NEXT) | instid1(VALU_DEP_1)
	v_cndmask_b32_e64 v9, v9, 0xffffff82, vcc_lo
	v_add3_u32 v45, v77, v9, v18
	v_and_b32_e32 v9, 0x1fffff, v44
                                        ; implicit-def: $vgpr44
	s_delay_alu instid0(VALU_DEP_1) | instskip(SKIP_1) | instid1(VALU_DEP_2)
	v_dual_add_nc_u32 v47, 14, v45 :: v_dual_add_nc_u32 v8, v9, v8
	v_mov_b32_e32 v9, v3
	v_cmpx_ne_u32_e32 0, v47
	s_xor_b32 s14, exec_lo, s14
; %bb.9965:                             ;   in Loop: Header=BB2_9143 Depth=3
	s_delay_alu instid0(VALU_DEP_2) | instskip(SKIP_1) | instid1(VALU_DEP_1)
	v_cmp_lt_u64_e32 vcc_lo, 0xffffff, v[8:9]
	v_add_nc_u32_e32 v18, 15, v45
	v_cndmask_b32_e32 v44, v47, v18, vcc_lo
	v_cndmask_b32_e64 v18, 0, 1, vcc_lo
	s_delay_alu instid0(VALU_DEP_1)
	v_lshrrev_b64 v[8:9], v18, v[8:9]
; %bb.9966:                             ;   in Loop: Header=BB2_9143 Depth=3
	s_and_not1_saveexec_b32 s14, s14
; %bb.9967:                             ;   in Loop: Header=BB2_9143 Depth=3
	s_delay_alu instid0(VALU_DEP_1)
	v_bfe_u32 v44, v8, 23, 1
; %bb.9968:                             ;   in Loop: Header=BB2_9143 Depth=3
	s_or_b32 exec_lo, exec_lo, s14
	s_delay_alu instid0(VALU_DEP_2) | instskip(NEXT) | instid1(VALU_DEP_2)
	v_lshrrev_b64 v[8:9], 21, v[8:9]
	v_cmp_gt_i32_e32 vcc_lo, 32, v44
	v_min_i32_e32 v18, 31, v44
	v_cmp_eq_u32_e64 s14, 0, v44
	s_delay_alu instid0(VALU_DEP_2) | instskip(SKIP_1) | instid1(VALU_DEP_2)
	v_dual_cndmask_b32 v9, 0, v9 :: v_dual_lshlrev_b32 v18, 2, v18
	v_cndmask_b32_e32 v8, 3, v8, vcc_lo
	v_and_b32_e32 v18, 0xfc, v18
	s_delay_alu instid0(VALU_DEP_2) | instskip(NEXT) | instid1(VALU_DEP_2)
	v_cmp_eq_u64_e32 vcc_lo, 0, v[8:9]
	v_and_or_b32 v8, v8, 3, v18
	s_and_b32 s14, s14, vcc_lo
	s_delay_alu instid0(VALU_DEP_1) | instid1(SALU_CYCLE_1)
	v_cndmask_b32_e64 v8, v8, 0, s14
	s_delay_alu instid0(VALU_DEP_1)
	v_or_b32_e32 v77, v8, v46
.LBB2_9969:                             ;   in Loop: Header=BB2_9143 Depth=3
	s_or_b32 exec_lo, exec_lo, s77
                                        ; implicit-def: $vgpr46
.LBB2_9970:                             ;   in Loop: Header=BB2_9143 Depth=3
	s_and_not1_saveexec_b32 s14, s76
; %bb.9971:                             ;   in Loop: Header=BB2_9143 Depth=3
	v_or_b32_e32 v77, 0x7b, v46
; %bb.9972:                             ;   in Loop: Header=BB2_9143 Depth=3
	s_or_b32 exec_lo, exec_lo, s14
                                        ; implicit-def: $vgpr44
                                        ; implicit-def: $vgpr8_vgpr9
                                        ; implicit-def: $vgpr45
.LBB2_9973:                             ;   in Loop: Header=BB2_9143 Depth=3
	s_and_not1_saveexec_b32 s14, s75
	s_cbranch_execz .LBB2_9979
; %bb.9974:                             ;   in Loop: Header=BB2_9143 Depth=3
	s_mov_b32 s75, exec_lo
                                        ; implicit-def: $vgpr77
	v_cmpx_ne_u64_e32 0, v[8:9]
	s_xor_b32 s75, exec_lo, s75
; %bb.9975:                             ;   in Loop: Header=BB2_9143 Depth=3
	v_or_b32_e32 v77, 0x7f, v45
                                        ; implicit-def: $vgpr44
; %bb.9976:                             ;   in Loop: Header=BB2_9143 Depth=3
	s_and_not1_saveexec_b32 s75, s75
; %bb.9977:                             ;   in Loop: Header=BB2_9143 Depth=3
	v_cmp_lt_i32_e32 vcc_lo, -1, v44
	v_cndmask_b32_e32 v77, 0xfc, v120, vcc_lo
; %bb.9978:                             ;   in Loop: Header=BB2_9143 Depth=3
	s_or_b32 exec_lo, exec_lo, s75
.LBB2_9979:                             ;   in Loop: Header=BB2_9143 Depth=3
	s_delay_alu instid0(SALU_CYCLE_1) | instskip(SKIP_2) | instid1(VALU_DEP_1)
	s_or_b32 exec_lo, exec_lo, s14
	v_dual_mov_b32 v9, 0 :: v_dual_lshrrev_b32 v8, 16, v2
	s_mov_b32 s14, exec_lo
	v_and_b32_e32 v44, 0xff, v8
	s_delay_alu instid0(VALU_DEP_1)
	v_cmpx_ne_u16_e32 0, v44
	s_cbranch_execz .LBB2_9989
; %bb.9980:                             ;   in Loop: Header=BB2_9143 Depth=3
	v_bfrev_b32_e32 v9, 1
	s_mov_b32 s75, exec_lo
	v_cmpx_ne_u16_e32 0x80, v44
	s_cbranch_execz .LBB2_9988
; %bb.9981:                             ;   in Loop: Header=BB2_9143 Depth=3
	v_and_b32_e32 v9, 0x7c0000, v2
	v_bfe_u32 v44, v2, 16, 2
	s_delay_alu instid0(VALU_DEP_2) | instskip(SKIP_1) | instid1(SALU_CYCLE_1)
	v_cmp_ne_u32_e32 vcc_lo, 0x7c0000, v9
                                        ; implicit-def: $vgpr9
	s_and_saveexec_b32 s76, vcc_lo
	s_xor_b32 s76, exec_lo, s76
	s_cbranch_execz .LBB2_9985
; %bb.9982:                             ;   in Loop: Header=BB2_9143 Depth=3
	v_bfe_u32 v9, v2, 18, 5
	s_mov_b32 s77, exec_lo
	s_delay_alu instid0(VALU_DEP_1)
	v_cmpx_eq_u32_e32 0, v9
; %bb.9983:                             ;   in Loop: Header=BB2_9143 Depth=3
	v_clz_i32_u32_e32 v9, v44
	s_delay_alu instid0(VALU_DEP_1) | instskip(NEXT) | instid1(VALU_DEP_1)
	v_min_u32_e32 v9, 32, v9
	v_subrev_nc_u32_e32 v18, 29, v9
	s_delay_alu instid0(VALU_DEP_1) | instskip(NEXT) | instid1(VALU_DEP_1)
	v_lshlrev_b64_e32 v[18:19], v18, v[8:9]
	v_dual_sub_nc_u32 v9, 30, v9 :: v_dual_bitop2_b32 v44, 3, v18 bitop3:0x40
; %bb.9984:                             ;   in Loop: Header=BB2_9143 Depth=3
	s_or_b32 exec_lo, exec_lo, s77
	v_lshlrev_b32_e32 v8, 24, v8
	s_delay_alu instid0(VALU_DEP_1) | instskip(NEXT) | instid1(VALU_DEP_1)
	v_and_b32_e32 v8, 0x80000000, v8
	v_lshl_add_u32 v8, v9, 23, v8
	s_delay_alu instid0(VALU_DEP_1) | instskip(NEXT) | instid1(VALU_DEP_1)
	v_lshl_or_b32 v8, v44, 21, v8
                                        ; implicit-def: $vgpr44
	v_add_nc_u32_e32 v9, 0x38000000, v8
                                        ; implicit-def: $vgpr8
.LBB2_9985:                             ;   in Loop: Header=BB2_9143 Depth=3
	s_and_not1_saveexec_b32 s76, s76
; %bb.9986:                             ;   in Loop: Header=BB2_9143 Depth=3
	v_bfe_i32 v8, v8, 0, 8
	s_delay_alu instid0(VALU_DEP_1) | instskip(SKIP_2) | instid1(VALU_DEP_2)
	v_cmp_lt_i16_e32 vcc_lo, -1, v8
	v_cndmask_b32_e32 v8, 0xff800000, v111, vcc_lo
	v_cmp_eq_u32_e32 vcc_lo, 0, v44
	v_cndmask_b32_e32 v9, 0x7f800001, v8, vcc_lo
; %bb.9987:                             ;   in Loop: Header=BB2_9143 Depth=3
	s_or_b32 exec_lo, exec_lo, s76
.LBB2_9988:                             ;   in Loop: Header=BB2_9143 Depth=3
	s_delay_alu instid0(SALU_CYCLE_1)
	s_or_b32 exec_lo, exec_lo, s75
.LBB2_9989:                             ;   in Loop: Header=BB2_9143 Depth=3
	s_delay_alu instid0(SALU_CYCLE_1) | instskip(SKIP_3) | instid1(VALU_DEP_1)
	s_or_b32 exec_lo, exec_lo, s14
	v_lshrrev_b32_e32 v8, 16, v10
	s_mov_b32 s75, 0
	s_mov_b32 s14, exec_lo
	v_and_b32_e32 v45, 0xff, v8
	s_delay_alu instid0(VALU_DEP_1)
	v_cmpx_lt_i16_e32 0x7f, v45
	s_xor_b32 s14, exec_lo, s14
	s_cbranch_execz .LBB2_10198
; %bb.9990:                             ;   in Loop: Header=BB2_9143 Depth=3
	s_mov_b32 s75, -1
	s_mov_b32 s76, exec_lo
	v_cmpx_eq_u16_e32 0x80, v45
; %bb.9991:                             ;   in Loop: Header=BB2_9143 Depth=3
	s_xor_b32 s75, exec_lo, -1
; %bb.9992:                             ;   in Loop: Header=BB2_9143 Depth=3
	s_or_b32 exec_lo, exec_lo, s76
	s_delay_alu instid0(SALU_CYCLE_1)
	s_and_b32 s75, s75, exec_lo
                                        ; implicit-def: $vgpr45
	s_or_saveexec_b32 s14, s14
	v_bfrev_b32_e32 v44, 1
	s_xor_b32 exec_lo, exec_lo, s14
	s_cbranch_execnz .LBB2_10199
.LBB2_9993:                             ;   in Loop: Header=BB2_9143 Depth=3
	s_or_b32 exec_lo, exec_lo, s14
	s_and_saveexec_b32 s14, s75
	s_cbranch_execz .LBB2_9995
.LBB2_9994:                             ;   in Loop: Header=BB2_9143 Depth=3
	v_and_b32_e32 v44, 3, v8
	v_bfe_u32 v46, v10, 18, 5
	s_delay_alu instid0(VALU_DEP_2) | instskip(NEXT) | instid1(VALU_DEP_2)
	v_clz_i32_u32_e32 v18, v44
	v_cmp_eq_u32_e32 vcc_lo, 0, v46
	s_delay_alu instid0(VALU_DEP_2) | instskip(NEXT) | instid1(VALU_DEP_1)
	v_min_u32_e32 v45, 32, v18
	v_subrev_nc_u32_e32 v18, 29, v45
	s_delay_alu instid0(VALU_DEP_1) | instskip(SKIP_2) | instid1(VALU_DEP_2)
	v_lshlrev_b64_e32 v[18:19], v18, v[8:9]
	v_dual_lshlrev_b32 v19, 24, v8 :: v_dual_sub_nc_u32 v45, 30, v45
	v_bfe_i32 v8, v8, 0, 8
	v_and_b32_e32 v19, 0x80000000, v19
	s_delay_alu instid0(VALU_DEP_3) | instskip(NEXT) | instid1(VALU_DEP_1)
	v_dual_cndmask_b32 v45, v46, v45, vcc_lo :: v_dual_bitop2_b32 v18, 3, v18 bitop3:0x40
	v_cndmask_b32_e32 v18, v44, v18, vcc_lo
	s_delay_alu instid0(VALU_DEP_2) | instskip(SKIP_1) | instid1(VALU_DEP_2)
	v_lshl_add_u32 v19, v45, 23, v19
	v_cmp_lt_i16_e32 vcc_lo, -1, v8
	v_lshl_or_b32 v18, v18, 21, v19
	v_cndmask_b32_e32 v8, 0xff800000, v111, vcc_lo
	v_and_b32_e32 v19, 0x7c0000, v10
	v_cmp_eq_u32_e32 vcc_lo, 0, v44
	s_delay_alu instid0(VALU_DEP_4) | instskip(NEXT) | instid1(VALU_DEP_4)
	v_add_nc_u32_e32 v18, 0x38000000, v18
	v_cndmask_b32_e32 v8, 0x7f800001, v8, vcc_lo
	s_delay_alu instid0(VALU_DEP_4) | instskip(NEXT) | instid1(VALU_DEP_2)
	v_cmp_eq_u32_e32 vcc_lo, 0x7c0000, v19
	v_cndmask_b32_e32 v44, v18, v8, vcc_lo
.LBB2_9995:                             ;   in Loop: Header=BB2_9143 Depth=3
	s_or_b32 exec_lo, exec_lo, s14
	s_delay_alu instid0(VALU_DEP_1) | instskip(SKIP_2) | instid1(VALU_DEP_2)
	v_dual_add_f32 v44, v9, v44 :: v_dual_mov_b32 v19, v3
	v_mov_b32_e32 v9, v3
                                        ; implicit-def: $vgpr88
	s_mov_b32 s14, exec_lo
	v_and_b32_e32 v18, 0x7f800000, v44
	v_and_b32_e32 v8, 0x7fffff, v44
	v_lshrrev_b32_e32 v45, 24, v44
	s_delay_alu instid0(VALU_DEP_3)
	v_cmpx_ne_u64_e32 0x7f800000, v[18:19]
	s_xor_b32 s75, exec_lo, s14
	s_cbranch_execz .LBB2_10009
; %bb.9996:                             ;   in Loop: Header=BB2_9143 Depth=3
	v_and_b32_e32 v18, 0x7fffffff, v44
	v_mov_b32_e32 v19, v3
	v_and_b32_e32 v46, 0x80, v45
                                        ; implicit-def: $vgpr88
	s_mov_b32 s14, exec_lo
	s_delay_alu instid0(VALU_DEP_2)
	v_cmpx_gt_u64_e32 0x47600001, v[18:19]
	s_xor_b32 s76, exec_lo, s14
	s_cbranch_execz .LBB2_10006
; %bb.9997:                             ;   in Loop: Header=BB2_9143 Depth=3
	v_mov_b32_e32 v88, 0
	s_mov_b32 s77, exec_lo
	v_cmpx_ne_u32_e32 0, v44
	s_cbranch_execz .LBB2_10005
; %bb.9998:                             ;   in Loop: Header=BB2_9143 Depth=3
	v_bfe_u32 v47, v44, 23, 8
	v_or_b32_e32 v44, 0x800000, v8
	s_delay_alu instid0(VALU_DEP_2) | instskip(SKIP_1) | instid1(VALU_DEP_2)
	v_sub_nc_u32_e32 v18, 0x71, v47
	v_cmp_gt_u32_e32 vcc_lo, 0x72, v47
	v_cndmask_b32_e32 v18, 0, v18, vcc_lo
	v_cmp_eq_u32_e32 vcc_lo, 0, v47
	s_delay_alu instid0(VALU_DEP_2) | instskip(SKIP_1) | instid1(VALU_DEP_2)
	v_cndmask_b32_e64 v88, v18, 0x70, vcc_lo
	v_cndmask_b32_e32 v8, v44, v8, vcc_lo
	v_dual_add_nc_u32 v18, 21, v88 :: v_dual_add_nc_u32 v45, 20, v88
	s_delay_alu instid0(VALU_DEP_1) | instskip(NEXT) | instid1(VALU_DEP_2)
	v_lshlrev_b64_e64 v[18:19], v18, -1
	v_lshlrev_b64_e64 v[44:45], v45, 1
	s_delay_alu instid0(VALU_DEP_2) | instskip(SKIP_1) | instid1(VALU_DEP_4)
	v_bfi_b32 v18, v18, 0, v8
	v_lshrrev_b64 v[8:9], v88, v[8:9]
	v_bfi_b32 v19, v19, 0, 0
	s_delay_alu instid0(VALU_DEP_1) | instskip(NEXT) | instid1(VALU_DEP_3)
	v_cmp_eq_u64_e64 s14, v[18:19], v[44:45]
	v_mov_b64_e32 v[44:45], v[8:9]
	s_and_saveexec_b32 s78, s14
; %bb.9999:                             ;   in Loop: Header=BB2_9143 Depth=3
	v_bfe_u32 v18, v8, 21, 1
	v_mov_b32_e32 v19, v3
	s_delay_alu instid0(VALU_DEP_1) | instskip(NEXT) | instid1(VALU_DEP_1)
	v_add_nc_u64_e32 v[18:19], v[8:9], v[18:19]
	v_add_nc_u64_e32 v[44:45], -1, v[18:19]
; %bb.10000:                            ;   in Loop: Header=BB2_9143 Depth=3
	s_or_b32 exec_lo, exec_lo, s78
	v_add_nc_u32_e32 v9, 0xffffff81, v47
	v_lshrrev_b32_e32 v18, 23, v8
	s_mov_b32 s14, exec_lo
	s_delay_alu instid0(VALU_DEP_2) | instskip(NEXT) | instid1(VALU_DEP_1)
	v_cndmask_b32_e64 v9, v9, 0xffffff82, vcc_lo
	v_add3_u32 v45, v88, v9, v18
	v_and_b32_e32 v9, 0x1fffff, v44
                                        ; implicit-def: $vgpr44
	s_delay_alu instid0(VALU_DEP_1) | instskip(SKIP_1) | instid1(VALU_DEP_2)
	v_dual_add_nc_u32 v47, 14, v45 :: v_dual_add_nc_u32 v8, v9, v8
	v_mov_b32_e32 v9, v3
	v_cmpx_ne_u32_e32 0, v47
	s_xor_b32 s14, exec_lo, s14
; %bb.10001:                            ;   in Loop: Header=BB2_9143 Depth=3
	s_delay_alu instid0(VALU_DEP_2) | instskip(SKIP_1) | instid1(VALU_DEP_1)
	v_cmp_lt_u64_e32 vcc_lo, 0xffffff, v[8:9]
	v_add_nc_u32_e32 v18, 15, v45
	v_cndmask_b32_e32 v44, v47, v18, vcc_lo
	v_cndmask_b32_e64 v18, 0, 1, vcc_lo
	s_delay_alu instid0(VALU_DEP_1)
	v_lshrrev_b64 v[8:9], v18, v[8:9]
; %bb.10002:                            ;   in Loop: Header=BB2_9143 Depth=3
	s_and_not1_saveexec_b32 s14, s14
; %bb.10003:                            ;   in Loop: Header=BB2_9143 Depth=3
	s_delay_alu instid0(VALU_DEP_1)
	v_bfe_u32 v44, v8, 23, 1
; %bb.10004:                            ;   in Loop: Header=BB2_9143 Depth=3
	s_or_b32 exec_lo, exec_lo, s14
	s_delay_alu instid0(VALU_DEP_2) | instskip(NEXT) | instid1(VALU_DEP_2)
	v_lshrrev_b64 v[8:9], 21, v[8:9]
	v_cmp_gt_i32_e32 vcc_lo, 32, v44
	v_min_i32_e32 v18, 31, v44
	v_cmp_eq_u32_e64 s14, 0, v44
	s_delay_alu instid0(VALU_DEP_2) | instskip(SKIP_1) | instid1(VALU_DEP_2)
	v_dual_cndmask_b32 v9, 0, v9 :: v_dual_lshlrev_b32 v18, 2, v18
	v_cndmask_b32_e32 v8, 3, v8, vcc_lo
	v_and_b32_e32 v18, 0xfc, v18
	s_delay_alu instid0(VALU_DEP_2) | instskip(NEXT) | instid1(VALU_DEP_2)
	v_cmp_eq_u64_e32 vcc_lo, 0, v[8:9]
	v_and_or_b32 v8, v8, 3, v18
	s_and_b32 s14, s14, vcc_lo
	s_delay_alu instid0(VALU_DEP_1) | instid1(SALU_CYCLE_1)
	v_cndmask_b32_e64 v8, v8, 0, s14
	s_delay_alu instid0(VALU_DEP_1)
	v_or_b32_e32 v88, v8, v46
.LBB2_10005:                            ;   in Loop: Header=BB2_9143 Depth=3
	s_or_b32 exec_lo, exec_lo, s77
                                        ; implicit-def: $vgpr46
.LBB2_10006:                            ;   in Loop: Header=BB2_9143 Depth=3
	s_and_not1_saveexec_b32 s14, s76
; %bb.10007:                            ;   in Loop: Header=BB2_9143 Depth=3
	v_or_b32_e32 v88, 0x7b, v46
; %bb.10008:                            ;   in Loop: Header=BB2_9143 Depth=3
	s_or_b32 exec_lo, exec_lo, s14
                                        ; implicit-def: $vgpr44
                                        ; implicit-def: $vgpr8_vgpr9
                                        ; implicit-def: $vgpr45
.LBB2_10009:                            ;   in Loop: Header=BB2_9143 Depth=3
	s_and_not1_saveexec_b32 s14, s75
	s_cbranch_execz .LBB2_10015
; %bb.10010:                            ;   in Loop: Header=BB2_9143 Depth=3
	s_mov_b32 s75, exec_lo
                                        ; implicit-def: $vgpr88
	v_cmpx_ne_u64_e32 0, v[8:9]
	s_xor_b32 s75, exec_lo, s75
; %bb.10011:                            ;   in Loop: Header=BB2_9143 Depth=3
	v_or_b32_e32 v88, 0x7f, v45
                                        ; implicit-def: $vgpr44
; %bb.10012:                            ;   in Loop: Header=BB2_9143 Depth=3
	s_and_not1_saveexec_b32 s75, s75
; %bb.10013:                            ;   in Loop: Header=BB2_9143 Depth=3
	v_cmp_lt_i32_e32 vcc_lo, -1, v44
	v_cndmask_b32_e32 v88, 0xfc, v120, vcc_lo
; %bb.10014:                            ;   in Loop: Header=BB2_9143 Depth=3
	s_or_b32 exec_lo, exec_lo, s75
.LBB2_10015:                            ;   in Loop: Header=BB2_9143 Depth=3
	s_delay_alu instid0(SALU_CYCLE_1)
	s_or_b32 exec_lo, exec_lo, s14
	v_mov_b32_e32 v9, 0
	s_mov_b32 s14, exec_lo
	v_cmpx_lt_u32_e32 0xffffff, v2
	s_cbranch_execz .LBB2_10025
; %bb.10016:                            ;   in Loop: Header=BB2_9143 Depth=3
	v_lshrrev_b32_e32 v8, 24, v2
	v_bfrev_b32_e32 v9, 1
	s_mov_b32 s75, exec_lo
	s_delay_alu instid0(VALU_DEP_2)
	v_cmpx_ne_u32_e32 0x80, v8
	s_cbranch_execz .LBB2_10024
; %bb.10017:                            ;   in Loop: Header=BB2_9143 Depth=3
	v_and_b32_e32 v9, 0x7c000000, v2
	v_bfe_u32 v44, v2, 24, 2
	s_delay_alu instid0(VALU_DEP_2) | instskip(SKIP_1) | instid1(SALU_CYCLE_1)
	v_cmp_ne_u32_e32 vcc_lo, 0x7c000000, v9
                                        ; implicit-def: $vgpr9
	s_and_saveexec_b32 s76, vcc_lo
	s_xor_b32 s76, exec_lo, s76
	s_cbranch_execz .LBB2_10021
; %bb.10018:                            ;   in Loop: Header=BB2_9143 Depth=3
	v_bfe_u32 v9, v2, 26, 5
	s_mov_b32 s77, exec_lo
	s_delay_alu instid0(VALU_DEP_1)
	v_cmpx_eq_u32_e32 0, v9
; %bb.10019:                            ;   in Loop: Header=BB2_9143 Depth=3
	v_clz_i32_u32_e32 v9, v44
	s_delay_alu instid0(VALU_DEP_1) | instskip(NEXT) | instid1(VALU_DEP_1)
	v_min_u32_e32 v18, 32, v9
	v_subrev_nc_u32_e32 v9, 29, v18
	s_delay_alu instid0(VALU_DEP_1) | instskip(NEXT) | instid1(VALU_DEP_1)
	v_lshlrev_b64_e32 v[8:9], v9, v[8:9]
	v_dual_sub_nc_u32 v9, 30, v18 :: v_dual_bitop2_b32 v44, 3, v8 bitop3:0x40
; %bb.10020:                            ;   in Loop: Header=BB2_9143 Depth=3
	s_or_b32 exec_lo, exec_lo, s77
	v_and_b32_e32 v2, 0x80000000, v2
	s_delay_alu instid0(VALU_DEP_1) | instskip(NEXT) | instid1(VALU_DEP_1)
	v_lshl_add_u32 v2, v9, 23, v2
	v_lshl_or_b32 v2, v44, 21, v2
                                        ; implicit-def: $vgpr44
	s_delay_alu instid0(VALU_DEP_1)
	v_add_nc_u32_e32 v9, 0x38000000, v2
.LBB2_10021:                            ;   in Loop: Header=BB2_9143 Depth=3
	s_and_not1_saveexec_b32 s76, s76
; %bb.10022:                            ;   in Loop: Header=BB2_9143 Depth=3
	v_cmp_lt_i32_e32 vcc_lo, -1, v2
	v_cndmask_b32_e32 v2, 0xff800000, v111, vcc_lo
	v_cmp_eq_u32_e32 vcc_lo, 0, v44
	s_delay_alu instid0(VALU_DEP_2)
	v_cndmask_b32_e32 v9, 0x7f800001, v2, vcc_lo
; %bb.10023:                            ;   in Loop: Header=BB2_9143 Depth=3
	s_or_b32 exec_lo, exec_lo, s76
.LBB2_10024:                            ;   in Loop: Header=BB2_9143 Depth=3
	s_delay_alu instid0(SALU_CYCLE_1)
	s_or_b32 exec_lo, exec_lo, s75
.LBB2_10025:                            ;   in Loop: Header=BB2_9143 Depth=3
	s_delay_alu instid0(SALU_CYCLE_1) | instskip(SKIP_3) | instid1(VALU_DEP_2)
	s_or_b32 exec_lo, exec_lo, s14
	v_bfe_u32 v8, v10, 24, 2
	v_bfe_u32 v45, v10, 26, 5
                                        ; implicit-def: $vgpr89
	s_mov_b32 s14, exec_lo
	v_clz_i32_u32_e32 v2, v8
	s_delay_alu instid0(VALU_DEP_2) | instskip(NEXT) | instid1(VALU_DEP_2)
	v_cmp_eq_u32_e32 vcc_lo, 0, v45
	v_min_u32_e32 v44, 32, v2
	v_lshrrev_b32_e32 v2, 24, v10
	s_delay_alu instid0(VALU_DEP_2) | instskip(NEXT) | instid1(VALU_DEP_1)
	v_subrev_nc_u32_e32 v18, 29, v44
	v_lshlrev_b64_e32 v[18:19], v18, v[2:3]
	v_sub_nc_u32_e32 v19, 30, v44
	v_and_b32_e32 v44, 0x80000000, v10
	s_delay_alu instid0(VALU_DEP_2) | instskip(NEXT) | instid1(VALU_DEP_1)
	v_dual_cndmask_b32 v19, v45, v19, vcc_lo :: v_dual_bitop2_b32 v18, 3, v18 bitop3:0x40
	v_lshl_add_u32 v19, v19, 23, v44
	s_delay_alu instid0(VALU_DEP_2) | instskip(SKIP_1) | instid1(VALU_DEP_2)
	v_cndmask_b32_e32 v18, v8, v18, vcc_lo
	v_cmp_lt_i32_e32 vcc_lo, -1, v10
	v_lshl_or_b32 v18, v18, 21, v19
	v_cndmask_b32_e32 v44, 0xff800000, v111, vcc_lo
	v_and_b32_e32 v19, 0x7c000000, v10
	v_cmp_eq_u32_e32 vcc_lo, 0, v8
	s_delay_alu instid0(VALU_DEP_4) | instskip(NEXT) | instid1(VALU_DEP_4)
	v_add_nc_u32_e32 v18, 0x38000000, v18
	v_cndmask_b32_e32 v8, 0x7f800001, v44, vcc_lo
	s_delay_alu instid0(VALU_DEP_4) | instskip(NEXT) | instid1(VALU_DEP_2)
	v_cmp_eq_u32_e32 vcc_lo, 0x7c000000, v19
	v_dual_mov_b32 v19, v3 :: v_dual_cndmask_b32 v8, v18, v8
	v_cmp_ne_u32_e32 vcc_lo, 0x80, v2
	s_delay_alu instid0(VALU_DEP_2) | instskip(SKIP_1) | instid1(VALU_DEP_2)
	v_cndmask_b32_e32 v2, 0x80000000, v8, vcc_lo
	v_cmp_lt_u32_e32 vcc_lo, 0xffffff, v10
	v_cndmask_b32_e32 v2, 0, v2, vcc_lo
	s_delay_alu instid0(VALU_DEP_1) | instskip(NEXT) | instid1(VALU_DEP_1)
	v_add_f32_e32 v8, v2, v9
	v_and_b32_e32 v18, 0x7f800000, v8
	v_and_b32_e32 v2, 0x7fffff, v8
	v_lshrrev_b32_e32 v9, 24, v8
	s_delay_alu instid0(VALU_DEP_3)
	v_cmpx_ne_u64_e32 0x7f800000, v[18:19]
	s_xor_b32 s75, exec_lo, s14
	s_cbranch_execz .LBB2_10039
; %bb.10026:                            ;   in Loop: Header=BB2_9143 Depth=3
	v_and_b32_e32 v18, 0x7fffffff, v8
	v_mov_b32_e32 v19, v3
	v_and_b32_e32 v46, 0x80, v9
                                        ; implicit-def: $vgpr89
	s_mov_b32 s14, exec_lo
	s_delay_alu instid0(VALU_DEP_2)
	v_cmpx_gt_u64_e32 0x47600001, v[18:19]
	s_xor_b32 s76, exec_lo, s14
	s_cbranch_execz .LBB2_10036
; %bb.10027:                            ;   in Loop: Header=BB2_9143 Depth=3
	v_mov_b32_e32 v89, 0
	s_mov_b32 s77, exec_lo
	v_cmpx_ne_u32_e32 0, v8
	s_cbranch_execz .LBB2_10035
; %bb.10028:                            ;   in Loop: Header=BB2_9143 Depth=3
	v_bfe_u32 v47, v8, 23, 8
	v_or_b32_e32 v18, 0x800000, v2
	s_delay_alu instid0(VALU_DEP_2) | instskip(SKIP_1) | instid1(VALU_DEP_2)
	v_dual_mov_b32 v19, v3 :: v_dual_sub_nc_u32 v8, 0x71, v47
	v_cmp_gt_u32_e32 vcc_lo, 0x72, v47
	v_cndmask_b32_e32 v8, 0, v8, vcc_lo
	v_cmp_eq_u32_e32 vcc_lo, 0, v47
	s_delay_alu instid0(VALU_DEP_2) | instskip(NEXT) | instid1(VALU_DEP_1)
	v_cndmask_b32_e64 v89, v8, 0x70, vcc_lo
	v_dual_cndmask_b32 v18, v18, v2, vcc_lo :: v_dual_add_nc_u32 v8, 21, v89
	v_add_nc_u32_e32 v44, 20, v89
	s_delay_alu instid0(VALU_DEP_2) | instskip(NEXT) | instid1(VALU_DEP_2)
	v_lshlrev_b64_e64 v[8:9], v8, -1
	v_lshlrev_b64_e64 v[44:45], v44, 1
	s_delay_alu instid0(VALU_DEP_2) | instskip(NEXT) | instid1(VALU_DEP_3)
	v_bfi_b32 v93, v9, 0, 0
	v_bfi_b32 v92, v8, 0, v18
	v_lshrrev_b64 v[8:9], v89, v[18:19]
	s_delay_alu instid0(VALU_DEP_2) | instskip(NEXT) | instid1(VALU_DEP_2)
	v_cmp_eq_u64_e64 s14, v[92:93], v[44:45]
	v_mov_b64_e32 v[44:45], v[8:9]
	s_and_saveexec_b32 s78, s14
; %bb.10029:                            ;   in Loop: Header=BB2_9143 Depth=3
	v_bfe_u32 v18, v8, 21, 1
	v_mov_b32_e32 v19, v3
	s_delay_alu instid0(VALU_DEP_1) | instskip(NEXT) | instid1(VALU_DEP_1)
	v_add_nc_u64_e32 v[18:19], v[8:9], v[18:19]
	v_add_nc_u64_e32 v[44:45], -1, v[18:19]
; %bb.10030:                            ;   in Loop: Header=BB2_9143 Depth=3
	s_or_b32 exec_lo, exec_lo, s78
	v_add_nc_u32_e32 v2, 0xffffff81, v47
	s_delay_alu instid0(VALU_DEP_2) | instskip(SKIP_2) | instid1(VALU_DEP_3)
	v_and_b32_e32 v18, 0x1fffff, v44
	v_lshrrev_b32_e32 v9, 23, v8
	s_mov_b32 s14, exec_lo
                                        ; implicit-def: $vgpr44
	v_cndmask_b32_e64 v2, v2, 0xffffff82, vcc_lo
	s_delay_alu instid0(VALU_DEP_1) | instskip(SKIP_1) | instid1(VALU_DEP_2)
	v_add3_u32 v45, v89, v2, v9
	v_add_nc_u32_e32 v2, v18, v8
                                        ; implicit-def: $vgpr8_vgpr9
	v_add_nc_u32_e32 v47, 14, v45
	s_delay_alu instid0(VALU_DEP_1)
	v_cmpx_ne_u32_e32 0, v47
	s_xor_b32 s14, exec_lo, s14
; %bb.10031:                            ;   in Loop: Header=BB2_9143 Depth=3
	s_delay_alu instid0(VALU_DEP_3) | instskip(SKIP_1) | instid1(VALU_DEP_1)
	v_cmp_lt_u64_e32 vcc_lo, 0xffffff, v[2:3]
	v_add_nc_u32_e32 v8, 15, v45
	v_cndmask_b32_e32 v44, v47, v8, vcc_lo
	v_cndmask_b32_e64 v8, 0, 1, vcc_lo
	s_delay_alu instid0(VALU_DEP_1)
	v_lshrrev_b64 v[8:9], v8, v[2:3]
; %bb.10032:                            ;   in Loop: Header=BB2_9143 Depth=3
	s_and_not1_saveexec_b32 s14, s14
; %bb.10033:                            ;   in Loop: Header=BB2_9143 Depth=3
	v_mov_b64_e32 v[8:9], v[2:3]
	v_bfe_u32 v44, v2, 23, 1
; %bb.10034:                            ;   in Loop: Header=BB2_9143 Depth=3
	s_or_b32 exec_lo, exec_lo, s14
	s_delay_alu instid0(VALU_DEP_2) | instskip(NEXT) | instid1(VALU_DEP_2)
	v_lshrrev_b64 v[8:9], 21, v[8:9]
	v_cmp_gt_i32_e32 vcc_lo, 32, v44
	v_min_i32_e32 v2, 31, v44
	v_cmp_eq_u32_e64 s14, 0, v44
	s_delay_alu instid0(VALU_DEP_2) | instskip(SKIP_1) | instid1(VALU_DEP_2)
	v_dual_cndmask_b32 v9, 0, v9 :: v_dual_lshlrev_b32 v2, 2, v2
	v_cndmask_b32_e32 v8, 3, v8, vcc_lo
	v_and_b32_e32 v2, 0xfc, v2
	s_delay_alu instid0(VALU_DEP_2) | instskip(NEXT) | instid1(VALU_DEP_2)
	v_cmp_eq_u64_e32 vcc_lo, 0, v[8:9]
	v_and_or_b32 v2, v8, 3, v2
	s_and_b32 s14, s14, vcc_lo
	s_delay_alu instid0(VALU_DEP_1) | instid1(SALU_CYCLE_1)
	v_cndmask_b32_e64 v2, v2, 0, s14
	s_delay_alu instid0(VALU_DEP_1)
	v_or_b32_e32 v89, v2, v46
.LBB2_10035:                            ;   in Loop: Header=BB2_9143 Depth=3
	s_or_b32 exec_lo, exec_lo, s77
                                        ; implicit-def: $vgpr46
.LBB2_10036:                            ;   in Loop: Header=BB2_9143 Depth=3
	s_and_not1_saveexec_b32 s14, s76
; %bb.10037:                            ;   in Loop: Header=BB2_9143 Depth=3
	v_or_b32_e32 v89, 0x7b, v46
; %bb.10038:                            ;   in Loop: Header=BB2_9143 Depth=3
	s_or_b32 exec_lo, exec_lo, s14
                                        ; implicit-def: $vgpr8
                                        ; implicit-def: $vgpr9
.LBB2_10039:                            ;   in Loop: Header=BB2_9143 Depth=3
	s_and_not1_saveexec_b32 s14, s75
	s_cbranch_execz .LBB2_10045
; %bb.10040:                            ;   in Loop: Header=BB2_9143 Depth=3
	s_mov_b32 s75, exec_lo
                                        ; implicit-def: $vgpr89
	v_cmpx_ne_u64_e32 0, v[2:3]
	s_xor_b32 s75, exec_lo, s75
; %bb.10041:                            ;   in Loop: Header=BB2_9143 Depth=3
	v_or_b32_e32 v89, 0x7f, v9
                                        ; implicit-def: $vgpr8
; %bb.10042:                            ;   in Loop: Header=BB2_9143 Depth=3
	s_and_not1_saveexec_b32 s75, s75
; %bb.10043:                            ;   in Loop: Header=BB2_9143 Depth=3
	v_cmp_lt_i32_e32 vcc_lo, -1, v8
	v_cndmask_b32_e32 v89, 0xfc, v120, vcc_lo
; %bb.10044:                            ;   in Loop: Header=BB2_9143 Depth=3
	s_or_b32 exec_lo, exec_lo, s75
.LBB2_10045:                            ;   in Loop: Header=BB2_9143 Depth=3
	s_delay_alu instid0(SALU_CYCLE_1) | instskip(SKIP_4) | instid1(VALU_DEP_2)
	s_or_b32 exec_lo, exec_lo, s14
	v_dual_lshlrev_b32 v2, 24, v79 :: v_dual_lshlrev_b32 v8, 16, v76
	v_lshl_or_b32 v74, v74, 8, v17
	v_mov_b32_e32 v44, 0
	s_mov_b32 s14, exec_lo
	v_or3_b32 v2, v8, v2, v74
	v_cmpx_ne_u32_e32 0, v17
	s_cbranch_execz .LBB2_10055
; %bb.10046:                            ;   in Loop: Header=BB2_9143 Depth=3
	v_bfrev_b32_e32 v44, 1
	s_mov_b32 s75, exec_lo
	v_cmpx_ne_u32_e32 0x80, v17
	s_cbranch_execz .LBB2_10054
; %bb.10047:                            ;   in Loop: Header=BB2_9143 Depth=3
	v_and_b32_e32 v9, 0x7c, v17
	v_and_b32_e32 v8, 3, v17
	s_mov_b32 s76, exec_lo
                                        ; implicit-def: $vgpr44
	s_delay_alu instid0(VALU_DEP_2)
	v_cmpx_ne_u32_e32 0x7c, v9
	s_xor_b32 s76, exec_lo, s76
	s_cbranch_execz .LBB2_10051
; %bb.10048:                            ;   in Loop: Header=BB2_9143 Depth=3
	v_bfe_u32 v9, v17, 2, 5
	s_mov_b32 s77, exec_lo
	s_delay_alu instid0(VALU_DEP_1)
	v_cmpx_eq_u32_e32 0, v9
; %bb.10049:                            ;   in Loop: Header=BB2_9143 Depth=3
	v_clz_i32_u32_e32 v8, v8
	s_delay_alu instid0(VALU_DEP_1) | instskip(NEXT) | instid1(VALU_DEP_1)
	v_min_u32_e32 v18, 32, v8
	v_subrev_nc_u32_e32 v8, 29, v18
	s_delay_alu instid0(VALU_DEP_1) | instskip(NEXT) | instid1(VALU_DEP_1)
	v_lshlrev_b64_e32 v[8:9], v8, v[2:3]
	v_dual_sub_nc_u32 v9, 30, v18 :: v_dual_bitop2_b32 v8, 3, v8 bitop3:0x40
; %bb.10050:                            ;   in Loop: Header=BB2_9143 Depth=3
	s_or_b32 exec_lo, exec_lo, s77
	v_lshlrev_b32_e32 v17, 24, v17
	s_delay_alu instid0(VALU_DEP_1) | instskip(NEXT) | instid1(VALU_DEP_1)
	v_and_b32_e32 v17, 0x80000000, v17
	v_lshl_add_u32 v9, v9, 23, v17
                                        ; implicit-def: $vgpr17
	s_delay_alu instid0(VALU_DEP_1) | instskip(NEXT) | instid1(VALU_DEP_1)
	v_lshl_or_b32 v8, v8, 21, v9
	v_add_nc_u32_e32 v44, 0x38000000, v8
                                        ; implicit-def: $vgpr8
.LBB2_10051:                            ;   in Loop: Header=BB2_9143 Depth=3
	s_and_not1_saveexec_b32 s76, s76
; %bb.10052:                            ;   in Loop: Header=BB2_9143 Depth=3
	v_and_b32_e32 v9, 0x80, v17
	s_delay_alu instid0(VALU_DEP_1) | instskip(SKIP_2) | instid1(VALU_DEP_2)
	v_cmp_eq_u32_e32 vcc_lo, 0, v9
	v_cndmask_b32_e32 v9, 0xff800000, v111, vcc_lo
	v_cmp_eq_u32_e32 vcc_lo, 0, v8
	v_cndmask_b32_e32 v44, 0x7f800001, v9, vcc_lo
; %bb.10053:                            ;   in Loop: Header=BB2_9143 Depth=3
	s_or_b32 exec_lo, exec_lo, s76
.LBB2_10054:                            ;   in Loop: Header=BB2_9143 Depth=3
	s_delay_alu instid0(SALU_CYCLE_1)
	s_or_b32 exec_lo, exec_lo, s75
.LBB2_10055:                            ;   in Loop: Header=BB2_9143 Depth=3
	s_delay_alu instid0(SALU_CYCLE_1) | instskip(SKIP_4) | instid1(VALU_DEP_2)
	s_or_b32 exec_lo, exec_lo, s14
	v_and_b32_e32 v9, 0xff, v11
	v_mov_b32_e32 v8, v11
	s_mov_b32 s75, 0
	s_mov_b32 s14, exec_lo
	v_cmpx_lt_i16_e32 0x7f, v9
	s_xor_b32 s14, exec_lo, s14
	s_cbranch_execz .LBB2_10200
; %bb.10056:                            ;   in Loop: Header=BB2_9143 Depth=3
	s_mov_b32 s75, -1
	s_mov_b32 s76, exec_lo
	v_cmpx_eq_u16_e32 0x80, v9
; %bb.10057:                            ;   in Loop: Header=BB2_9143 Depth=3
	s_xor_b32 s75, exec_lo, -1
; %bb.10058:                            ;   in Loop: Header=BB2_9143 Depth=3
	s_or_b32 exec_lo, exec_lo, s76
	s_delay_alu instid0(SALU_CYCLE_1)
	s_and_b32 s75, s75, exec_lo
                                        ; implicit-def: $vgpr9
	s_or_saveexec_b32 s14, s14
	v_bfrev_b32_e32 v17, 1
	s_xor_b32 exec_lo, exec_lo, s14
	s_cbranch_execnz .LBB2_10201
.LBB2_10059:                            ;   in Loop: Header=BB2_9143 Depth=3
	s_or_b32 exec_lo, exec_lo, s14
	v_mov_b32_e32 v9, v3
	s_and_saveexec_b32 s14, s75
	s_cbranch_execz .LBB2_10061
.LBB2_10060:                            ;   in Loop: Header=BB2_9143 Depth=3
	v_and_b32_e32 v17, 3, v11
	s_delay_alu instid0(VALU_DEP_1) | instskip(NEXT) | instid1(VALU_DEP_1)
	v_clz_i32_u32_e32 v18, v17
	v_min_u32_e32 v45, 32, v18
	s_delay_alu instid0(VALU_DEP_1) | instskip(NEXT) | instid1(VALU_DEP_1)
	v_subrev_nc_u32_e32 v18, 29, v45
	v_lshlrev_b64_e32 v[18:19], v18, v[8:9]
	v_bfe_u32 v19, v11, 2, 5
	v_dual_lshlrev_b32 v9, 24, v11 :: v_dual_sub_nc_u32 v45, 30, v45
	s_delay_alu instid0(VALU_DEP_2) | instskip(NEXT) | instid1(VALU_DEP_2)
	v_cmp_eq_u32_e32 vcc_lo, 0, v19
	v_and_b32_e32 v9, 0x80000000, v9
	s_delay_alu instid0(VALU_DEP_3) | instskip(SKIP_1) | instid1(VALU_DEP_2)
	v_dual_cndmask_b32 v19, v19, v45, vcc_lo :: v_dual_bitop2_b32 v18, 3, v18 bitop3:0x40
	v_bfe_i32 v45, v11, 0, 8
	v_cndmask_b32_e32 v18, v17, v18, vcc_lo
	s_delay_alu instid0(VALU_DEP_3) | instskip(NEXT) | instid1(VALU_DEP_3)
	v_lshl_add_u32 v9, v19, 23, v9
	v_cmp_lt_i16_e32 vcc_lo, -1, v45
	s_delay_alu instid0(VALU_DEP_2) | instskip(SKIP_3) | instid1(VALU_DEP_4)
	v_lshl_or_b32 v9, v18, 21, v9
	v_cndmask_b32_e32 v19, 0xff800000, v111, vcc_lo
	v_and_b32_e32 v18, 0x7c, v11
	v_cmp_eq_u32_e32 vcc_lo, 0, v17
	v_add_nc_u32_e32 v9, 0x38000000, v9
	s_delay_alu instid0(VALU_DEP_4) | instskip(NEXT) | instid1(VALU_DEP_4)
	v_cndmask_b32_e32 v17, 0x7f800001, v19, vcc_lo
	v_cmp_eq_u32_e32 vcc_lo, 0x7c, v18
	s_delay_alu instid0(VALU_DEP_2)
	v_cndmask_b32_e32 v17, v9, v17, vcc_lo
.LBB2_10061:                            ;   in Loop: Header=BB2_9143 Depth=3
	s_or_b32 exec_lo, exec_lo, s14
	s_delay_alu instid0(VALU_DEP_1) | instskip(SKIP_2) | instid1(VALU_DEP_2)
	v_dual_add_f32 v46, v44, v17 :: v_dual_mov_b32 v19, v3
	v_mov_b32_e32 v45, v3
                                        ; implicit-def: $vgpr17
	s_mov_b32 s14, exec_lo
	v_and_b32_e32 v18, 0x7f800000, v46
	v_and_b32_e32 v44, 0x7fffff, v46
	v_lshrrev_b32_e32 v9, 24, v46
	s_delay_alu instid0(VALU_DEP_3)
	v_cmpx_ne_u64_e32 0x7f800000, v[18:19]
	s_xor_b32 s75, exec_lo, s14
	s_cbranch_execz .LBB2_10075
; %bb.10062:                            ;   in Loop: Header=BB2_9143 Depth=3
	v_and_b32_e32 v18, 0x7fffffff, v46
	v_mov_b32_e32 v19, v3
	v_and_b32_e32 v9, 0x80, v9
                                        ; implicit-def: $vgpr17
	s_mov_b32 s14, exec_lo
	s_delay_alu instid0(VALU_DEP_2)
	v_cmpx_gt_u64_e32 0x47600001, v[18:19]
	s_xor_b32 s76, exec_lo, s14
	s_cbranch_execz .LBB2_10072
; %bb.10063:                            ;   in Loop: Header=BB2_9143 Depth=3
	v_mov_b32_e32 v17, 0
	s_mov_b32 s77, exec_lo
	v_cmpx_ne_u32_e32 0, v46
	s_cbranch_execz .LBB2_10071
; %bb.10064:                            ;   in Loop: Header=BB2_9143 Depth=3
	v_bfe_u32 v17, v46, 23, 8
	v_or_b32_e32 v46, 0x800000, v44
	s_delay_alu instid0(VALU_DEP_2) | instskip(SKIP_1) | instid1(VALU_DEP_2)
	v_sub_nc_u32_e32 v18, 0x71, v17
	v_cmp_gt_u32_e32 vcc_lo, 0x72, v17
	v_cndmask_b32_e32 v18, 0, v18, vcc_lo
	v_cmp_eq_u32_e32 vcc_lo, 0, v17
	s_delay_alu instid0(VALU_DEP_2) | instskip(SKIP_1) | instid1(VALU_DEP_2)
	v_cndmask_b32_e64 v76, v18, 0x70, vcc_lo
	v_cndmask_b32_e32 v44, v46, v44, vcc_lo
	v_dual_add_nc_u32 v18, 21, v76 :: v_dual_add_nc_u32 v47, 20, v76
	s_delay_alu instid0(VALU_DEP_1) | instskip(NEXT) | instid1(VALU_DEP_2)
	v_lshlrev_b64_e64 v[18:19], v18, -1
	v_lshlrev_b64_e64 v[46:47], v47, 1
	s_delay_alu instid0(VALU_DEP_2) | instskip(SKIP_1) | instid1(VALU_DEP_4)
	v_bfi_b32 v18, v18, 0, v44
	v_lshrrev_b64 v[44:45], v76, v[44:45]
	v_bfi_b32 v19, v19, 0, 0
	s_delay_alu instid0(VALU_DEP_1) | instskip(NEXT) | instid1(VALU_DEP_3)
	v_cmp_eq_u64_e64 s14, v[18:19], v[46:47]
	v_mov_b64_e32 v[46:47], v[44:45]
	s_and_saveexec_b32 s78, s14
; %bb.10065:                            ;   in Loop: Header=BB2_9143 Depth=3
	v_bfe_u32 v18, v44, 21, 1
	v_mov_b32_e32 v19, v3
	s_delay_alu instid0(VALU_DEP_1) | instskip(NEXT) | instid1(VALU_DEP_1)
	v_add_nc_u64_e32 v[18:19], v[44:45], v[18:19]
	v_add_nc_u64_e32 v[46:47], -1, v[18:19]
; %bb.10066:                            ;   in Loop: Header=BB2_9143 Depth=3
	s_or_b32 exec_lo, exec_lo, s78
	v_add_nc_u32_e32 v17, 0xffffff81, v17
	v_lshrrev_b32_e32 v18, 23, v44
	s_mov_b32 s14, exec_lo
	v_mov_b32_e32 v45, v3
	s_delay_alu instid0(VALU_DEP_3) | instskip(NEXT) | instid1(VALU_DEP_1)
	v_cndmask_b32_e64 v17, v17, 0xffffff82, vcc_lo
	v_add3_u32 v47, v76, v17, v18
	v_and_b32_e32 v17, 0x1fffff, v46
	s_delay_alu instid0(VALU_DEP_1) | instskip(NEXT) | instid1(VALU_DEP_1)
	v_dual_add_nc_u32 v46, 14, v47 :: v_dual_add_nc_u32 v44, v17, v44
                                        ; implicit-def: $vgpr17
	v_cmpx_ne_u32_e32 0, v46
	s_xor_b32 s14, exec_lo, s14
; %bb.10067:                            ;   in Loop: Header=BB2_9143 Depth=3
	s_delay_alu instid0(VALU_DEP_2) | instskip(SKIP_2) | instid1(VALU_DEP_2)
	v_cmp_lt_u64_e32 vcc_lo, 0xffffff, v[44:45]
	v_add_nc_u32_e32 v17, 15, v47
	v_cndmask_b32_e64 v18, 0, 1, vcc_lo
	v_cndmask_b32_e32 v17, v46, v17, vcc_lo
	s_delay_alu instid0(VALU_DEP_2)
	v_lshrrev_b64 v[44:45], v18, v[44:45]
; %bb.10068:                            ;   in Loop: Header=BB2_9143 Depth=3
	s_and_not1_saveexec_b32 s14, s14
; %bb.10069:                            ;   in Loop: Header=BB2_9143 Depth=3
	s_delay_alu instid0(VALU_DEP_1)
	v_bfe_u32 v17, v44, 23, 1
; %bb.10070:                            ;   in Loop: Header=BB2_9143 Depth=3
	s_or_b32 exec_lo, exec_lo, s14
	s_delay_alu instid0(VALU_DEP_2) | instskip(NEXT) | instid1(VALU_DEP_2)
	v_lshrrev_b64 v[18:19], 21, v[44:45]
	v_cmp_gt_i32_e32 vcc_lo, 32, v17
	v_min_i32_e32 v44, 31, v17
	v_cmp_eq_u32_e64 s14, 0, v17
	s_delay_alu instid0(VALU_DEP_2) | instskip(SKIP_1) | instid1(VALU_DEP_2)
	v_dual_cndmask_b32 v19, 0, v19 :: v_dual_lshlrev_b32 v44, 2, v44
	v_cndmask_b32_e32 v18, 3, v18, vcc_lo
	v_and_b32_e32 v44, 0xfc, v44
	s_delay_alu instid0(VALU_DEP_2) | instskip(NEXT) | instid1(VALU_DEP_2)
	v_cmp_eq_u64_e32 vcc_lo, 0, v[18:19]
	v_and_or_b32 v17, v18, 3, v44
	s_and_b32 s14, s14, vcc_lo
	s_delay_alu instid0(VALU_DEP_1) | instid1(SALU_CYCLE_1)
	v_cndmask_b32_e64 v17, v17, 0, s14
	s_delay_alu instid0(VALU_DEP_1)
	v_or_b32_e32 v17, v17, v9
.LBB2_10071:                            ;   in Loop: Header=BB2_9143 Depth=3
	s_or_b32 exec_lo, exec_lo, s77
                                        ; implicit-def: $vgpr9
.LBB2_10072:                            ;   in Loop: Header=BB2_9143 Depth=3
	s_and_not1_saveexec_b32 s14, s76
; %bb.10073:                            ;   in Loop: Header=BB2_9143 Depth=3
	v_or_b32_e32 v17, 0x7b, v9
; %bb.10074:                            ;   in Loop: Header=BB2_9143 Depth=3
	s_or_b32 exec_lo, exec_lo, s14
                                        ; implicit-def: $vgpr46
                                        ; implicit-def: $vgpr44_vgpr45
                                        ; implicit-def: $vgpr9
.LBB2_10075:                            ;   in Loop: Header=BB2_9143 Depth=3
	s_and_not1_saveexec_b32 s14, s75
	s_cbranch_execz .LBB2_10081
; %bb.10076:                            ;   in Loop: Header=BB2_9143 Depth=3
	s_mov_b32 s75, exec_lo
                                        ; implicit-def: $vgpr17
	v_cmpx_ne_u64_e32 0, v[44:45]
	s_xor_b32 s75, exec_lo, s75
; %bb.10077:                            ;   in Loop: Header=BB2_9143 Depth=3
	v_or_b32_e32 v17, 0x7f, v9
                                        ; implicit-def: $vgpr46
; %bb.10078:                            ;   in Loop: Header=BB2_9143 Depth=3
	s_and_not1_saveexec_b32 s75, s75
; %bb.10079:                            ;   in Loop: Header=BB2_9143 Depth=3
	v_cmp_lt_i32_e32 vcc_lo, -1, v46
	v_cndmask_b32_e32 v17, 0xfc, v120, vcc_lo
; %bb.10080:                            ;   in Loop: Header=BB2_9143 Depth=3
	s_or_b32 exec_lo, exec_lo, s75
.LBB2_10081:                            ;   in Loop: Header=BB2_9143 Depth=3
	s_delay_alu instid0(SALU_CYCLE_1) | instskip(SKIP_3) | instid1(VALU_DEP_2)
	s_or_b32 exec_lo, exec_lo, s14
	v_lshrrev_b16 v44, 8, v74
	v_mov_b32_e32 v9, 0
	s_mov_b32 s14, exec_lo
	v_cmpx_ne_u16_e32 0, v44
	s_cbranch_execz .LBB2_10091
; %bb.10082:                            ;   in Loop: Header=BB2_9143 Depth=3
	v_bfrev_b32_e32 v9, 1
	s_mov_b32 s75, exec_lo
	v_cmpx_ne_u16_e32 0x80, v44
	s_cbranch_execz .LBB2_10090
; %bb.10083:                            ;   in Loop: Header=BB2_9143 Depth=3
	v_and_b32_e32 v46, 0xffff, v44
	s_delay_alu instid0(VALU_DEP_1) | instskip(SKIP_1) | instid1(VALU_DEP_2)
	v_and_b32_e32 v9, 0x7c, v46
	v_and_b32_e32 v45, 3, v46
	v_cmp_ne_u32_e32 vcc_lo, 0x7c, v9
                                        ; implicit-def: $vgpr9
	s_and_saveexec_b32 s76, vcc_lo
	s_delay_alu instid0(SALU_CYCLE_1)
	s_xor_b32 s76, exec_lo, s76
	s_cbranch_execz .LBB2_10087
; %bb.10084:                            ;   in Loop: Header=BB2_9143 Depth=3
	v_bfe_u32 v9, v46, 2, 5
	s_mov_b32 s77, exec_lo
	s_delay_alu instid0(VALU_DEP_1)
	v_cmpx_eq_u32_e32 0, v9
	s_cbranch_execz .LBB2_10086
; %bb.10085:                            ;   in Loop: Header=BB2_9143 Depth=3
	v_clz_i32_u32_e32 v9, v45
	s_delay_alu instid0(VALU_DEP_1) | instskip(SKIP_1) | instid1(VALU_DEP_2)
	v_min_u32_e32 v9, 32, v9
	v_mov_b32_e32 v45, v3
	v_subrev_nc_u32_e32 v18, 29, v9
	v_sub_nc_u32_e32 v9, 30, v9
	s_delay_alu instid0(VALU_DEP_2) | instskip(NEXT) | instid1(VALU_DEP_1)
	v_lshlrev_b64_e32 v[18:19], v18, v[44:45]
	v_and_b32_e32 v45, 3, v18
.LBB2_10086:                            ;   in Loop: Header=BB2_9143 Depth=3
	s_or_b32 exec_lo, exec_lo, s77
	v_lshlrev_b32_e32 v18, 16, v74
                                        ; implicit-def: $vgpr74
	s_delay_alu instid0(VALU_DEP_1) | instskip(NEXT) | instid1(VALU_DEP_1)
	v_and_b32_e32 v18, 0x80000000, v18
	v_lshl_add_u32 v9, v9, 23, v18
	s_delay_alu instid0(VALU_DEP_1) | instskip(NEXT) | instid1(VALU_DEP_1)
	v_lshl_or_b32 v9, v45, 21, v9
                                        ; implicit-def: $vgpr45
	v_add_nc_u32_e32 v9, 0x38000000, v9
.LBB2_10087:                            ;   in Loop: Header=BB2_9143 Depth=3
	s_and_not1_saveexec_b32 s76, s76
; %bb.10088:                            ;   in Loop: Header=BB2_9143 Depth=3
	v_cmp_lt_i16_e32 vcc_lo, -1, v74
	v_cndmask_b32_e32 v9, 0xff800000, v111, vcc_lo
	v_cmp_eq_u32_e32 vcc_lo, 0, v45
	s_delay_alu instid0(VALU_DEP_2)
	v_cndmask_b32_e32 v9, 0x7f800001, v9, vcc_lo
; %bb.10089:                            ;   in Loop: Header=BB2_9143 Depth=3
	s_or_b32 exec_lo, exec_lo, s76
.LBB2_10090:                            ;   in Loop: Header=BB2_9143 Depth=3
	s_delay_alu instid0(SALU_CYCLE_1)
	s_or_b32 exec_lo, exec_lo, s75
.LBB2_10091:                            ;   in Loop: Header=BB2_9143 Depth=3
	s_delay_alu instid0(SALU_CYCLE_1) | instskip(SKIP_3) | instid1(VALU_DEP_1)
	s_or_b32 exec_lo, exec_lo, s14
	v_lshrrev_b16 v44, 8, v8
	s_mov_b32 s75, 0
	s_mov_b32 s14, exec_lo
	v_cmpx_lt_i16_e32 0x7f, v44
	s_xor_b32 s14, exec_lo, s14
	s_cbranch_execz .LBB2_10202
; %bb.10092:                            ;   in Loop: Header=BB2_9143 Depth=3
	s_mov_b32 s75, -1
	s_mov_b32 s76, exec_lo
	v_cmpx_eq_u16_e32 0x80, v44
; %bb.10093:                            ;   in Loop: Header=BB2_9143 Depth=3
	s_xor_b32 s75, exec_lo, -1
; %bb.10094:                            ;   in Loop: Header=BB2_9143 Depth=3
	s_or_b32 exec_lo, exec_lo, s76
	s_delay_alu instid0(SALU_CYCLE_1)
	s_and_b32 s75, s75, exec_lo
	s_or_saveexec_b32 s14, s14
	v_bfrev_b32_e32 v45, 1
	s_xor_b32 exec_lo, exec_lo, s14
	s_cbranch_execnz .LBB2_10203
.LBB2_10095:                            ;   in Loop: Header=BB2_9143 Depth=3
	s_or_b32 exec_lo, exec_lo, s14
	s_and_saveexec_b32 s14, s75
	s_cbranch_execz .LBB2_10097
.LBB2_10096:                            ;   in Loop: Header=BB2_9143 Depth=3
	v_and_b32_e32 v46, 0xffff, v44
	s_delay_alu instid0(VALU_DEP_1) | instskip(NEXT) | instid1(VALU_DEP_1)
	v_dual_mov_b32 v45, v3 :: v_dual_bitop2_b32 v47, 3, v46 bitop3:0x40
	v_clz_i32_u32_e32 v18, v47
	s_delay_alu instid0(VALU_DEP_1) | instskip(NEXT) | instid1(VALU_DEP_1)
	v_min_u32_e32 v74, 32, v18
	v_subrev_nc_u32_e32 v18, 29, v74
	s_delay_alu instid0(VALU_DEP_1) | instskip(SKIP_2) | instid1(VALU_DEP_2)
	v_lshlrev_b64_e32 v[18:19], v18, v[44:45]
	v_dual_lshlrev_b32 v19, 24, v44 :: v_dual_sub_nc_u32 v45, 30, v74
	v_bfe_u32 v44, v46, 2, 5
	v_and_b32_e32 v19, 0x80000000, v19
	s_delay_alu instid0(VALU_DEP_2) | instskip(NEXT) | instid1(VALU_DEP_4)
	v_cmp_eq_u32_e32 vcc_lo, 0, v44
	v_dual_cndmask_b32 v44, v44, v45, vcc_lo :: v_dual_bitop2_b32 v18, 3, v18 bitop3:0x40
	s_delay_alu instid0(VALU_DEP_1) | instskip(SKIP_1) | instid1(VALU_DEP_3)
	v_cndmask_b32_e32 v18, v47, v18, vcc_lo
	v_cmp_lt_i16_e32 vcc_lo, -1, v8
	v_lshl_add_u32 v19, v44, 23, v19
	v_cndmask_b32_e32 v8, 0xff800000, v111, vcc_lo
	v_cmp_eq_u32_e32 vcc_lo, 0, v47
	s_delay_alu instid0(VALU_DEP_3) | instskip(SKIP_1) | instid1(VALU_DEP_4)
	v_lshl_or_b32 v18, v18, 21, v19
	v_and_b32_e32 v19, 0x7c, v46
	v_cndmask_b32_e32 v8, 0x7f800001, v8, vcc_lo
	s_delay_alu instid0(VALU_DEP_3) | instskip(NEXT) | instid1(VALU_DEP_3)
	v_add_nc_u32_e32 v18, 0x38000000, v18
	v_cmp_eq_u32_e32 vcc_lo, 0x7c, v19
	s_delay_alu instid0(VALU_DEP_2)
	v_cndmask_b32_e32 v45, v18, v8, vcc_lo
.LBB2_10097:                            ;   in Loop: Header=BB2_9143 Depth=3
	s_or_b32 exec_lo, exec_lo, s14
	s_delay_alu instid0(VALU_DEP_1) | instskip(SKIP_2) | instid1(VALU_DEP_2)
	v_dual_add_f32 v44, v9, v45 :: v_dual_mov_b32 v19, v3
	v_mov_b32_e32 v9, v3
                                        ; implicit-def: $vgpr46
	s_mov_b32 s14, exec_lo
	v_and_b32_e32 v18, 0x7f800000, v44
	v_and_b32_e32 v8, 0x7fffff, v44
	v_lshrrev_b32_e32 v45, 24, v44
	s_delay_alu instid0(VALU_DEP_3)
	v_cmpx_ne_u64_e32 0x7f800000, v[18:19]
	s_xor_b32 s75, exec_lo, s14
	s_cbranch_execz .LBB2_10111
; %bb.10098:                            ;   in Loop: Header=BB2_9143 Depth=3
	v_and_b32_e32 v18, 0x7fffffff, v44
	v_mov_b32_e32 v19, v3
	v_and_b32_e32 v47, 0x80, v45
                                        ; implicit-def: $vgpr46
	s_mov_b32 s14, exec_lo
	s_delay_alu instid0(VALU_DEP_2)
	v_cmpx_gt_u64_e32 0x47600001, v[18:19]
	s_xor_b32 s76, exec_lo, s14
	s_cbranch_execz .LBB2_10108
; %bb.10099:                            ;   in Loop: Header=BB2_9143 Depth=3
	v_mov_b32_e32 v46, 0
	s_mov_b32 s77, exec_lo
	v_cmpx_ne_u32_e32 0, v44
	s_cbranch_execz .LBB2_10107
; %bb.10100:                            ;   in Loop: Header=BB2_9143 Depth=3
	v_bfe_u32 v46, v44, 23, 8
	v_or_b32_e32 v44, 0x800000, v8
	s_delay_alu instid0(VALU_DEP_2) | instskip(SKIP_1) | instid1(VALU_DEP_2)
	v_sub_nc_u32_e32 v18, 0x71, v46
	v_cmp_gt_u32_e32 vcc_lo, 0x72, v46
	v_cndmask_b32_e32 v18, 0, v18, vcc_lo
	v_cmp_eq_u32_e32 vcc_lo, 0, v46
	v_cndmask_b32_e32 v8, v44, v8, vcc_lo
	s_delay_alu instid0(VALU_DEP_3) | instskip(NEXT) | instid1(VALU_DEP_1)
	v_cndmask_b32_e64 v74, v18, 0x70, vcc_lo
	v_dual_add_nc_u32 v18, 21, v74 :: v_dual_add_nc_u32 v45, 20, v74
	s_delay_alu instid0(VALU_DEP_1) | instskip(NEXT) | instid1(VALU_DEP_2)
	v_lshlrev_b64_e64 v[18:19], v18, -1
	v_lshlrev_b64_e64 v[44:45], v45, 1
	s_delay_alu instid0(VALU_DEP_2) | instskip(SKIP_1) | instid1(VALU_DEP_4)
	v_bfi_b32 v18, v18, 0, v8
	v_lshrrev_b64 v[8:9], v74, v[8:9]
	v_bfi_b32 v19, v19, 0, 0
	s_delay_alu instid0(VALU_DEP_1) | instskip(NEXT) | instid1(VALU_DEP_3)
	v_cmp_eq_u64_e64 s14, v[18:19], v[44:45]
	v_mov_b64_e32 v[44:45], v[8:9]
	s_and_saveexec_b32 s78, s14
; %bb.10101:                            ;   in Loop: Header=BB2_9143 Depth=3
	v_bfe_u32 v18, v8, 21, 1
	v_mov_b32_e32 v19, v3
	s_delay_alu instid0(VALU_DEP_1) | instskip(NEXT) | instid1(VALU_DEP_1)
	v_add_nc_u64_e32 v[18:19], v[8:9], v[18:19]
	v_add_nc_u64_e32 v[44:45], -1, v[18:19]
; %bb.10102:                            ;   in Loop: Header=BB2_9143 Depth=3
	s_or_b32 exec_lo, exec_lo, s78
	v_add_nc_u32_e32 v9, 0xffffff81, v46
	v_lshrrev_b32_e32 v18, 23, v8
	s_mov_b32 s14, exec_lo
	s_delay_alu instid0(VALU_DEP_2) | instskip(NEXT) | instid1(VALU_DEP_1)
	v_cndmask_b32_e64 v9, v9, 0xffffff82, vcc_lo
	v_add3_u32 v45, v74, v9, v18
	v_and_b32_e32 v9, 0x1fffff, v44
                                        ; implicit-def: $vgpr44
	s_delay_alu instid0(VALU_DEP_1) | instskip(SKIP_1) | instid1(VALU_DEP_2)
	v_dual_add_nc_u32 v46, 14, v45 :: v_dual_add_nc_u32 v8, v9, v8
	v_mov_b32_e32 v9, v3
	v_cmpx_ne_u32_e32 0, v46
	s_xor_b32 s14, exec_lo, s14
; %bb.10103:                            ;   in Loop: Header=BB2_9143 Depth=3
	s_delay_alu instid0(VALU_DEP_2) | instskip(SKIP_1) | instid1(VALU_DEP_1)
	v_cmp_lt_u64_e32 vcc_lo, 0xffffff, v[8:9]
	v_add_nc_u32_e32 v18, 15, v45
	v_cndmask_b32_e32 v44, v46, v18, vcc_lo
	v_cndmask_b32_e64 v18, 0, 1, vcc_lo
	s_delay_alu instid0(VALU_DEP_1)
	v_lshrrev_b64 v[8:9], v18, v[8:9]
; %bb.10104:                            ;   in Loop: Header=BB2_9143 Depth=3
	s_and_not1_saveexec_b32 s14, s14
; %bb.10105:                            ;   in Loop: Header=BB2_9143 Depth=3
	s_delay_alu instid0(VALU_DEP_1)
	v_bfe_u32 v44, v8, 23, 1
; %bb.10106:                            ;   in Loop: Header=BB2_9143 Depth=3
	s_or_b32 exec_lo, exec_lo, s14
	s_delay_alu instid0(VALU_DEP_2) | instskip(NEXT) | instid1(VALU_DEP_2)
	v_lshrrev_b64 v[8:9], 21, v[8:9]
	v_cmp_gt_i32_e32 vcc_lo, 32, v44
	v_min_i32_e32 v18, 31, v44
	v_cmp_eq_u32_e64 s14, 0, v44
	s_delay_alu instid0(VALU_DEP_2) | instskip(SKIP_1) | instid1(VALU_DEP_2)
	v_dual_cndmask_b32 v9, 0, v9 :: v_dual_lshlrev_b32 v18, 2, v18
	v_cndmask_b32_e32 v8, 3, v8, vcc_lo
	v_and_b32_e32 v18, 0xfc, v18
	s_delay_alu instid0(VALU_DEP_2) | instskip(NEXT) | instid1(VALU_DEP_2)
	v_cmp_eq_u64_e32 vcc_lo, 0, v[8:9]
	v_and_or_b32 v8, v8, 3, v18
	s_and_b32 s14, s14, vcc_lo
	s_delay_alu instid0(VALU_DEP_1) | instid1(SALU_CYCLE_1)
	v_cndmask_b32_e64 v8, v8, 0, s14
	s_delay_alu instid0(VALU_DEP_1)
	v_or_b32_e32 v46, v8, v47
.LBB2_10107:                            ;   in Loop: Header=BB2_9143 Depth=3
	s_or_b32 exec_lo, exec_lo, s77
                                        ; implicit-def: $vgpr47
.LBB2_10108:                            ;   in Loop: Header=BB2_9143 Depth=3
	s_and_not1_saveexec_b32 s14, s76
; %bb.10109:                            ;   in Loop: Header=BB2_9143 Depth=3
	v_or_b32_e32 v46, 0x7b, v47
; %bb.10110:                            ;   in Loop: Header=BB2_9143 Depth=3
	s_or_b32 exec_lo, exec_lo, s14
                                        ; implicit-def: $vgpr44
                                        ; implicit-def: $vgpr8_vgpr9
                                        ; implicit-def: $vgpr45
.LBB2_10111:                            ;   in Loop: Header=BB2_9143 Depth=3
	s_and_not1_saveexec_b32 s14, s75
	s_cbranch_execz .LBB2_10117
; %bb.10112:                            ;   in Loop: Header=BB2_9143 Depth=3
	s_mov_b32 s75, exec_lo
                                        ; implicit-def: $vgpr46
	v_cmpx_ne_u64_e32 0, v[8:9]
	s_xor_b32 s75, exec_lo, s75
; %bb.10113:                            ;   in Loop: Header=BB2_9143 Depth=3
	v_or_b32_e32 v46, 0x7f, v45
                                        ; implicit-def: $vgpr44
; %bb.10114:                            ;   in Loop: Header=BB2_9143 Depth=3
	s_and_not1_saveexec_b32 s75, s75
; %bb.10115:                            ;   in Loop: Header=BB2_9143 Depth=3
	v_cmp_lt_i32_e32 vcc_lo, -1, v44
	v_cndmask_b32_e32 v46, 0xfc, v120, vcc_lo
; %bb.10116:                            ;   in Loop: Header=BB2_9143 Depth=3
	s_or_b32 exec_lo, exec_lo, s75
.LBB2_10117:                            ;   in Loop: Header=BB2_9143 Depth=3
	s_delay_alu instid0(SALU_CYCLE_1) | instskip(SKIP_2) | instid1(VALU_DEP_1)
	s_or_b32 exec_lo, exec_lo, s14
	v_dual_mov_b32 v9, 0 :: v_dual_lshrrev_b32 v8, 16, v2
	s_mov_b32 s14, exec_lo
	v_and_b32_e32 v44, 0xff, v8
	s_delay_alu instid0(VALU_DEP_1)
	v_cmpx_ne_u16_e32 0, v44
	s_cbranch_execz .LBB2_10127
; %bb.10118:                            ;   in Loop: Header=BB2_9143 Depth=3
	v_bfrev_b32_e32 v9, 1
	s_mov_b32 s75, exec_lo
	v_cmpx_ne_u16_e32 0x80, v44
	s_cbranch_execz .LBB2_10126
; %bb.10119:                            ;   in Loop: Header=BB2_9143 Depth=3
	v_and_b32_e32 v9, 0x7c0000, v2
	v_bfe_u32 v44, v2, 16, 2
	s_delay_alu instid0(VALU_DEP_2) | instskip(SKIP_1) | instid1(SALU_CYCLE_1)
	v_cmp_ne_u32_e32 vcc_lo, 0x7c0000, v9
                                        ; implicit-def: $vgpr9
	s_and_saveexec_b32 s76, vcc_lo
	s_xor_b32 s76, exec_lo, s76
	s_cbranch_execz .LBB2_10123
; %bb.10120:                            ;   in Loop: Header=BB2_9143 Depth=3
	v_bfe_u32 v9, v2, 18, 5
	s_mov_b32 s77, exec_lo
	s_delay_alu instid0(VALU_DEP_1)
	v_cmpx_eq_u32_e32 0, v9
; %bb.10121:                            ;   in Loop: Header=BB2_9143 Depth=3
	v_clz_i32_u32_e32 v9, v44
	s_delay_alu instid0(VALU_DEP_1) | instskip(NEXT) | instid1(VALU_DEP_1)
	v_min_u32_e32 v9, 32, v9
	v_subrev_nc_u32_e32 v18, 29, v9
	s_delay_alu instid0(VALU_DEP_1) | instskip(NEXT) | instid1(VALU_DEP_1)
	v_lshlrev_b64_e32 v[18:19], v18, v[8:9]
	v_dual_sub_nc_u32 v9, 30, v9 :: v_dual_bitop2_b32 v44, 3, v18 bitop3:0x40
; %bb.10122:                            ;   in Loop: Header=BB2_9143 Depth=3
	s_or_b32 exec_lo, exec_lo, s77
	v_lshlrev_b32_e32 v8, 24, v8
	s_delay_alu instid0(VALU_DEP_1) | instskip(NEXT) | instid1(VALU_DEP_1)
	v_and_b32_e32 v8, 0x80000000, v8
	v_lshl_add_u32 v8, v9, 23, v8
	s_delay_alu instid0(VALU_DEP_1) | instskip(NEXT) | instid1(VALU_DEP_1)
	v_lshl_or_b32 v8, v44, 21, v8
                                        ; implicit-def: $vgpr44
	v_add_nc_u32_e32 v9, 0x38000000, v8
                                        ; implicit-def: $vgpr8
.LBB2_10123:                            ;   in Loop: Header=BB2_9143 Depth=3
	s_and_not1_saveexec_b32 s76, s76
; %bb.10124:                            ;   in Loop: Header=BB2_9143 Depth=3
	v_bfe_i32 v8, v8, 0, 8
	s_delay_alu instid0(VALU_DEP_1) | instskip(SKIP_2) | instid1(VALU_DEP_2)
	v_cmp_lt_i16_e32 vcc_lo, -1, v8
	v_cndmask_b32_e32 v8, 0xff800000, v111, vcc_lo
	v_cmp_eq_u32_e32 vcc_lo, 0, v44
	v_cndmask_b32_e32 v9, 0x7f800001, v8, vcc_lo
; %bb.10125:                            ;   in Loop: Header=BB2_9143 Depth=3
	s_or_b32 exec_lo, exec_lo, s76
.LBB2_10126:                            ;   in Loop: Header=BB2_9143 Depth=3
	s_delay_alu instid0(SALU_CYCLE_1)
	s_or_b32 exec_lo, exec_lo, s75
.LBB2_10127:                            ;   in Loop: Header=BB2_9143 Depth=3
	s_delay_alu instid0(SALU_CYCLE_1) | instskip(SKIP_3) | instid1(VALU_DEP_1)
	s_or_b32 exec_lo, exec_lo, s14
	v_lshrrev_b32_e32 v8, 16, v11
	s_mov_b32 s75, 0
	s_mov_b32 s14, exec_lo
	v_and_b32_e32 v45, 0xff, v8
	s_delay_alu instid0(VALU_DEP_1)
	v_cmpx_lt_i16_e32 0x7f, v45
	s_xor_b32 s14, exec_lo, s14
	s_cbranch_execz .LBB2_10204
; %bb.10128:                            ;   in Loop: Header=BB2_9143 Depth=3
	s_mov_b32 s75, -1
	s_mov_b32 s76, exec_lo
	v_cmpx_eq_u16_e32 0x80, v45
; %bb.10129:                            ;   in Loop: Header=BB2_9143 Depth=3
	s_xor_b32 s75, exec_lo, -1
; %bb.10130:                            ;   in Loop: Header=BB2_9143 Depth=3
	s_or_b32 exec_lo, exec_lo, s76
	s_delay_alu instid0(SALU_CYCLE_1)
	s_and_b32 s75, s75, exec_lo
                                        ; implicit-def: $vgpr45
	s_or_saveexec_b32 s14, s14
	v_bfrev_b32_e32 v44, 1
	s_xor_b32 exec_lo, exec_lo, s14
	s_cbranch_execnz .LBB2_10205
.LBB2_10131:                            ;   in Loop: Header=BB2_9143 Depth=3
	s_or_b32 exec_lo, exec_lo, s14
	s_and_saveexec_b32 s14, s75
	s_cbranch_execz .LBB2_10133
.LBB2_10132:                            ;   in Loop: Header=BB2_9143 Depth=3
	v_and_b32_e32 v44, 3, v8
	v_bfe_u32 v47, v11, 18, 5
	s_delay_alu instid0(VALU_DEP_2) | instskip(NEXT) | instid1(VALU_DEP_2)
	v_clz_i32_u32_e32 v18, v44
	v_cmp_eq_u32_e32 vcc_lo, 0, v47
	s_delay_alu instid0(VALU_DEP_2) | instskip(NEXT) | instid1(VALU_DEP_1)
	v_min_u32_e32 v45, 32, v18
	v_subrev_nc_u32_e32 v18, 29, v45
	s_delay_alu instid0(VALU_DEP_1) | instskip(SKIP_2) | instid1(VALU_DEP_2)
	v_lshlrev_b64_e32 v[18:19], v18, v[8:9]
	v_dual_lshlrev_b32 v19, 24, v8 :: v_dual_sub_nc_u32 v45, 30, v45
	v_bfe_i32 v8, v8, 0, 8
	v_and_b32_e32 v19, 0x80000000, v19
	s_delay_alu instid0(VALU_DEP_3) | instskip(NEXT) | instid1(VALU_DEP_1)
	v_dual_cndmask_b32 v45, v47, v45, vcc_lo :: v_dual_bitop2_b32 v18, 3, v18 bitop3:0x40
	v_cndmask_b32_e32 v18, v44, v18, vcc_lo
	s_delay_alu instid0(VALU_DEP_2) | instskip(SKIP_1) | instid1(VALU_DEP_2)
	v_lshl_add_u32 v19, v45, 23, v19
	v_cmp_lt_i16_e32 vcc_lo, -1, v8
	v_lshl_or_b32 v18, v18, 21, v19
	v_cndmask_b32_e32 v8, 0xff800000, v111, vcc_lo
	v_and_b32_e32 v19, 0x7c0000, v11
	v_cmp_eq_u32_e32 vcc_lo, 0, v44
	s_delay_alu instid0(VALU_DEP_4) | instskip(NEXT) | instid1(VALU_DEP_4)
	v_add_nc_u32_e32 v18, 0x38000000, v18
	v_cndmask_b32_e32 v8, 0x7f800001, v8, vcc_lo
	s_delay_alu instid0(VALU_DEP_4) | instskip(NEXT) | instid1(VALU_DEP_2)
	v_cmp_eq_u32_e32 vcc_lo, 0x7c0000, v19
	v_cndmask_b32_e32 v44, v18, v8, vcc_lo
.LBB2_10133:                            ;   in Loop: Header=BB2_9143 Depth=3
	s_or_b32 exec_lo, exec_lo, s14
	s_delay_alu instid0(VALU_DEP_1) | instskip(SKIP_2) | instid1(VALU_DEP_2)
	v_dual_add_f32 v45, v9, v44 :: v_dual_mov_b32 v19, v3
	v_mov_b32_e32 v9, v3
                                        ; implicit-def: $vgpr44
	s_mov_b32 s14, exec_lo
	v_and_b32_e32 v18, 0x7f800000, v45
	v_and_b32_e32 v8, 0x7fffff, v45
	v_lshrrev_b32_e32 v47, 24, v45
	s_delay_alu instid0(VALU_DEP_3)
	v_cmpx_ne_u64_e32 0x7f800000, v[18:19]
	s_xor_b32 s75, exec_lo, s14
	s_cbranch_execz .LBB2_10147
; %bb.10134:                            ;   in Loop: Header=BB2_9143 Depth=3
	v_and_b32_e32 v18, 0x7fffffff, v45
	v_mov_b32_e32 v19, v3
	v_and_b32_e32 v47, 0x80, v47
                                        ; implicit-def: $vgpr44
	s_mov_b32 s14, exec_lo
	s_delay_alu instid0(VALU_DEP_2)
	v_cmpx_gt_u64_e32 0x47600001, v[18:19]
	s_xor_b32 s76, exec_lo, s14
	s_cbranch_execz .LBB2_10144
; %bb.10135:                            ;   in Loop: Header=BB2_9143 Depth=3
	v_mov_b32_e32 v44, 0
	s_mov_b32 s77, exec_lo
	v_cmpx_ne_u32_e32 0, v45
	s_cbranch_execz .LBB2_10143
; %bb.10136:                            ;   in Loop: Header=BB2_9143 Depth=3
	v_bfe_u32 v74, v45, 23, 8
	v_or_b32_e32 v44, 0x800000, v8
	s_delay_alu instid0(VALU_DEP_2) | instskip(SKIP_1) | instid1(VALU_DEP_2)
	v_sub_nc_u32_e32 v18, 0x71, v74
	v_cmp_gt_u32_e32 vcc_lo, 0x72, v74
	v_cndmask_b32_e32 v18, 0, v18, vcc_lo
	v_cmp_eq_u32_e32 vcc_lo, 0, v74
	s_delay_alu instid0(VALU_DEP_2) | instskip(SKIP_1) | instid1(VALU_DEP_2)
	v_cndmask_b32_e64 v76, v18, 0x70, vcc_lo
	v_cndmask_b32_e32 v8, v44, v8, vcc_lo
	v_dual_add_nc_u32 v18, 21, v76 :: v_dual_add_nc_u32 v45, 20, v76
	s_delay_alu instid0(VALU_DEP_1) | instskip(NEXT) | instid1(VALU_DEP_2)
	v_lshlrev_b64_e64 v[18:19], v18, -1
	v_lshlrev_b64_e64 v[44:45], v45, 1
	s_delay_alu instid0(VALU_DEP_2) | instskip(SKIP_1) | instid1(VALU_DEP_4)
	v_bfi_b32 v18, v18, 0, v8
	v_lshrrev_b64 v[8:9], v76, v[8:9]
	v_bfi_b32 v19, v19, 0, 0
	s_delay_alu instid0(VALU_DEP_1) | instskip(NEXT) | instid1(VALU_DEP_3)
	v_cmp_eq_u64_e64 s14, v[18:19], v[44:45]
	v_mov_b64_e32 v[44:45], v[8:9]
	s_and_saveexec_b32 s78, s14
; %bb.10137:                            ;   in Loop: Header=BB2_9143 Depth=3
	v_bfe_u32 v18, v8, 21, 1
	v_mov_b32_e32 v19, v3
	s_delay_alu instid0(VALU_DEP_1) | instskip(NEXT) | instid1(VALU_DEP_1)
	v_add_nc_u64_e32 v[18:19], v[8:9], v[18:19]
	v_add_nc_u64_e32 v[44:45], -1, v[18:19]
; %bb.10138:                            ;   in Loop: Header=BB2_9143 Depth=3
	s_or_b32 exec_lo, exec_lo, s78
	v_add_nc_u32_e32 v9, 0xffffff81, v74
	v_lshrrev_b32_e32 v18, 23, v8
	s_mov_b32 s14, exec_lo
	s_delay_alu instid0(VALU_DEP_2) | instskip(NEXT) | instid1(VALU_DEP_1)
	v_cndmask_b32_e64 v9, v9, 0xffffff82, vcc_lo
	v_add3_u32 v45, v76, v9, v18
	v_and_b32_e32 v9, 0x1fffff, v44
                                        ; implicit-def: $vgpr44
	s_delay_alu instid0(VALU_DEP_1) | instskip(SKIP_1) | instid1(VALU_DEP_2)
	v_dual_add_nc_u32 v74, 14, v45 :: v_dual_add_nc_u32 v8, v9, v8
	v_mov_b32_e32 v9, v3
	v_cmpx_ne_u32_e32 0, v74
	s_xor_b32 s14, exec_lo, s14
; %bb.10139:                            ;   in Loop: Header=BB2_9143 Depth=3
	s_delay_alu instid0(VALU_DEP_2) | instskip(SKIP_1) | instid1(VALU_DEP_1)
	v_cmp_lt_u64_e32 vcc_lo, 0xffffff, v[8:9]
	v_add_nc_u32_e32 v18, 15, v45
	v_cndmask_b32_e32 v44, v74, v18, vcc_lo
	v_cndmask_b32_e64 v18, 0, 1, vcc_lo
	s_delay_alu instid0(VALU_DEP_1)
	v_lshrrev_b64 v[8:9], v18, v[8:9]
; %bb.10140:                            ;   in Loop: Header=BB2_9143 Depth=3
	s_and_not1_saveexec_b32 s14, s14
; %bb.10141:                            ;   in Loop: Header=BB2_9143 Depth=3
	s_delay_alu instid0(VALU_DEP_1)
	v_bfe_u32 v44, v8, 23, 1
; %bb.10142:                            ;   in Loop: Header=BB2_9143 Depth=3
	s_or_b32 exec_lo, exec_lo, s14
	s_delay_alu instid0(VALU_DEP_2) | instskip(NEXT) | instid1(VALU_DEP_2)
	v_lshrrev_b64 v[8:9], 21, v[8:9]
	v_cmp_gt_i32_e32 vcc_lo, 32, v44
	v_min_i32_e32 v18, 31, v44
	v_cmp_eq_u32_e64 s14, 0, v44
	s_delay_alu instid0(VALU_DEP_2) | instskip(SKIP_1) | instid1(VALU_DEP_2)
	v_dual_cndmask_b32 v9, 0, v9 :: v_dual_lshlrev_b32 v18, 2, v18
	v_cndmask_b32_e32 v8, 3, v8, vcc_lo
	v_and_b32_e32 v18, 0xfc, v18
	s_delay_alu instid0(VALU_DEP_2) | instskip(NEXT) | instid1(VALU_DEP_2)
	v_cmp_eq_u64_e32 vcc_lo, 0, v[8:9]
	v_and_or_b32 v8, v8, 3, v18
	s_and_b32 s14, s14, vcc_lo
	s_delay_alu instid0(VALU_DEP_1) | instid1(SALU_CYCLE_1)
	v_cndmask_b32_e64 v8, v8, 0, s14
	s_delay_alu instid0(VALU_DEP_1)
	v_or_b32_e32 v44, v8, v47
.LBB2_10143:                            ;   in Loop: Header=BB2_9143 Depth=3
	s_or_b32 exec_lo, exec_lo, s77
                                        ; implicit-def: $vgpr47
.LBB2_10144:                            ;   in Loop: Header=BB2_9143 Depth=3
	s_and_not1_saveexec_b32 s14, s76
; %bb.10145:                            ;   in Loop: Header=BB2_9143 Depth=3
	v_or_b32_e32 v44, 0x7b, v47
; %bb.10146:                            ;   in Loop: Header=BB2_9143 Depth=3
	s_or_b32 exec_lo, exec_lo, s14
                                        ; implicit-def: $vgpr45
                                        ; implicit-def: $vgpr8_vgpr9
                                        ; implicit-def: $vgpr47
.LBB2_10147:                            ;   in Loop: Header=BB2_9143 Depth=3
	s_and_not1_saveexec_b32 s14, s75
	s_cbranch_execz .LBB2_10153
; %bb.10148:                            ;   in Loop: Header=BB2_9143 Depth=3
	s_mov_b32 s75, exec_lo
                                        ; implicit-def: $vgpr44
	v_cmpx_ne_u64_e32 0, v[8:9]
	s_xor_b32 s75, exec_lo, s75
; %bb.10149:                            ;   in Loop: Header=BB2_9143 Depth=3
	v_or_b32_e32 v44, 0x7f, v47
                                        ; implicit-def: $vgpr45
; %bb.10150:                            ;   in Loop: Header=BB2_9143 Depth=3
	s_and_not1_saveexec_b32 s75, s75
; %bb.10151:                            ;   in Loop: Header=BB2_9143 Depth=3
	v_cmp_lt_i32_e32 vcc_lo, -1, v45
	v_cndmask_b32_e32 v44, 0xfc, v120, vcc_lo
; %bb.10152:                            ;   in Loop: Header=BB2_9143 Depth=3
	s_or_b32 exec_lo, exec_lo, s75
.LBB2_10153:                            ;   in Loop: Header=BB2_9143 Depth=3
	s_delay_alu instid0(SALU_CYCLE_1)
	s_or_b32 exec_lo, exec_lo, s14
	v_mov_b32_e32 v9, 0
	s_mov_b32 s14, exec_lo
	v_cmpx_lt_u32_e32 0xffffff, v2
	s_cbranch_execz .LBB2_10163
; %bb.10154:                            ;   in Loop: Header=BB2_9143 Depth=3
	v_lshrrev_b32_e32 v8, 24, v2
	v_bfrev_b32_e32 v9, 1
	s_mov_b32 s75, exec_lo
	s_delay_alu instid0(VALU_DEP_2)
	v_cmpx_ne_u32_e32 0x80, v8
	s_cbranch_execz .LBB2_10162
; %bb.10155:                            ;   in Loop: Header=BB2_9143 Depth=3
	v_and_b32_e32 v9, 0x7c000000, v2
	v_bfe_u32 v45, v2, 24, 2
	s_delay_alu instid0(VALU_DEP_2) | instskip(SKIP_1) | instid1(SALU_CYCLE_1)
	v_cmp_ne_u32_e32 vcc_lo, 0x7c000000, v9
                                        ; implicit-def: $vgpr9
	s_and_saveexec_b32 s76, vcc_lo
	s_xor_b32 s76, exec_lo, s76
	s_cbranch_execz .LBB2_10159
; %bb.10156:                            ;   in Loop: Header=BB2_9143 Depth=3
	v_bfe_u32 v9, v2, 26, 5
	s_mov_b32 s77, exec_lo
	s_delay_alu instid0(VALU_DEP_1)
	v_cmpx_eq_u32_e32 0, v9
; %bb.10157:                            ;   in Loop: Header=BB2_9143 Depth=3
	v_clz_i32_u32_e32 v9, v45
	s_delay_alu instid0(VALU_DEP_1) | instskip(NEXT) | instid1(VALU_DEP_1)
	v_min_u32_e32 v18, 32, v9
	v_subrev_nc_u32_e32 v9, 29, v18
	s_delay_alu instid0(VALU_DEP_1) | instskip(NEXT) | instid1(VALU_DEP_1)
	v_lshlrev_b64_e32 v[8:9], v9, v[8:9]
	v_dual_sub_nc_u32 v9, 30, v18 :: v_dual_bitop2_b32 v45, 3, v8 bitop3:0x40
; %bb.10158:                            ;   in Loop: Header=BB2_9143 Depth=3
	s_or_b32 exec_lo, exec_lo, s77
	v_and_b32_e32 v2, 0x80000000, v2
	s_delay_alu instid0(VALU_DEP_1) | instskip(NEXT) | instid1(VALU_DEP_1)
	v_lshl_add_u32 v2, v9, 23, v2
	v_lshl_or_b32 v2, v45, 21, v2
                                        ; implicit-def: $vgpr45
	s_delay_alu instid0(VALU_DEP_1)
	v_add_nc_u32_e32 v9, 0x38000000, v2
.LBB2_10159:                            ;   in Loop: Header=BB2_9143 Depth=3
	s_and_not1_saveexec_b32 s76, s76
; %bb.10160:                            ;   in Loop: Header=BB2_9143 Depth=3
	v_cmp_lt_i32_e32 vcc_lo, -1, v2
	v_cndmask_b32_e32 v2, 0xff800000, v111, vcc_lo
	v_cmp_eq_u32_e32 vcc_lo, 0, v45
	s_delay_alu instid0(VALU_DEP_2)
	v_cndmask_b32_e32 v9, 0x7f800001, v2, vcc_lo
; %bb.10161:                            ;   in Loop: Header=BB2_9143 Depth=3
	s_or_b32 exec_lo, exec_lo, s76
.LBB2_10162:                            ;   in Loop: Header=BB2_9143 Depth=3
	s_delay_alu instid0(SALU_CYCLE_1)
	s_or_b32 exec_lo, exec_lo, s75
.LBB2_10163:                            ;   in Loop: Header=BB2_9143 Depth=3
	s_delay_alu instid0(SALU_CYCLE_1) | instskip(SKIP_2) | instid1(VALU_DEP_2)
	s_or_b32 exec_lo, exec_lo, s14
	v_bfe_u32 v8, v11, 24, 2
	v_bfe_u32 v47, v11, 26, 5
	v_clz_i32_u32_e32 v2, v8
	s_delay_alu instid0(VALU_DEP_2) | instskip(NEXT) | instid1(VALU_DEP_2)
	v_cmp_eq_u32_e32 vcc_lo, 0, v47
	v_min_u32_e32 v45, 32, v2
	v_lshrrev_b32_e32 v2, 24, v11
	s_delay_alu instid0(VALU_DEP_2) | instskip(NEXT) | instid1(VALU_DEP_1)
	v_subrev_nc_u32_e32 v18, 29, v45
	v_lshlrev_b64_e32 v[18:19], v18, v[2:3]
	v_sub_nc_u32_e32 v19, 30, v45
	v_and_b32_e32 v45, 0x80000000, v11
	s_delay_alu instid0(VALU_DEP_2) | instskip(NEXT) | instid1(VALU_DEP_1)
	v_dual_cndmask_b32 v19, v47, v19, vcc_lo :: v_dual_bitop2_b32 v18, 3, v18 bitop3:0x40
	v_lshl_add_u32 v19, v19, 23, v45
	s_delay_alu instid0(VALU_DEP_2) | instskip(SKIP_1) | instid1(VALU_DEP_2)
	v_cndmask_b32_e32 v18, v8, v18, vcc_lo
	v_cmp_lt_i64_e32 vcc_lo, -1, v[10:11]
	v_lshl_or_b32 v18, v18, 21, v19
	v_and_b32_e32 v19, 0x7c000000, v11
	v_cndmask_b32_e32 v45, 0xff800000, v111, vcc_lo
	v_cmp_eq_u32_e32 vcc_lo, 0, v8
	s_delay_alu instid0(VALU_DEP_4) | instskip(NEXT) | instid1(VALU_DEP_3)
	v_add_nc_u32_e32 v18, 0x38000000, v18
	v_cndmask_b32_e32 v8, 0x7f800001, v45, vcc_lo
	v_cmp_eq_u32_e32 vcc_lo, 0x7c000000, v19
	s_delay_alu instid0(VALU_DEP_2) | instskip(SKIP_1) | instid1(VALU_DEP_2)
	v_cndmask_b32_e32 v8, v18, v8, vcc_lo
	v_cmp_ne_u32_e32 vcc_lo, 0x80, v2
	v_cndmask_b32_e32 v2, 0x80000000, v8, vcc_lo
	v_cmp_lt_u64_e32 vcc_lo, s[22:23], v[10:11]
	v_mov_b32_e32 v11, v3
                                        ; implicit-def: $vgpr8
	s_delay_alu instid0(VALU_DEP_3) | instskip(NEXT) | instid1(VALU_DEP_1)
	v_cndmask_b32_e32 v2, 0, v2, vcc_lo
	v_add_f32_e32 v9, v2, v9
	s_delay_alu instid0(VALU_DEP_1) | instskip(SKIP_1) | instid1(VALU_DEP_2)
	v_and_b32_e32 v10, 0x7f800000, v9
	v_and_b32_e32 v2, 0x7fffff, v9
	v_cmp_ne_u64_e32 vcc_lo, 0x7f800000, v[10:11]
	v_lshrrev_b32_e32 v10, 24, v9
	s_and_saveexec_b32 s14, vcc_lo
	s_delay_alu instid0(SALU_CYCLE_1)
	s_xor_b32 s75, exec_lo, s14
	s_cbranch_execz .LBB2_10177
; %bb.10164:                            ;   in Loop: Header=BB2_9143 Depth=3
	v_and_b32_e32 v18, 0x7fffffff, v9
	v_mov_b32_e32 v19, v3
	v_and_b32_e32 v45, 0x80, v10
                                        ; implicit-def: $vgpr8
	s_mov_b32 s14, exec_lo
	s_delay_alu instid0(VALU_DEP_2)
	v_cmpx_gt_u64_e32 0x47600001, v[18:19]
	s_xor_b32 s76, exec_lo, s14
	s_cbranch_execz .LBB2_10174
; %bb.10165:                            ;   in Loop: Header=BB2_9143 Depth=3
	v_mov_b32_e32 v8, 0
	s_mov_b32 s77, exec_lo
	v_cmpx_ne_u32_e32 0, v9
	s_cbranch_execz .LBB2_10173
; %bb.10166:                            ;   in Loop: Header=BB2_9143 Depth=3
	v_bfe_u32 v47, v9, 23, 8
	v_or_b32_e32 v10, 0x800000, v2
	s_mov_b32 s78, exec_lo
	s_delay_alu instid0(VALU_DEP_2) | instskip(SKIP_1) | instid1(VALU_DEP_2)
	v_dual_mov_b32 v11, v3 :: v_dual_sub_nc_u32 v8, 0x71, v47
	v_cmp_gt_u32_e32 vcc_lo, 0x72, v47
	v_cndmask_b32_e32 v8, 0, v8, vcc_lo
	v_cmp_eq_u32_e32 vcc_lo, 0, v47
	s_delay_alu instid0(VALU_DEP_2) | instskip(SKIP_1) | instid1(VALU_DEP_2)
	v_cndmask_b32_e64 v74, v8, 0x70, vcc_lo
	v_cndmask_b32_e32 v10, v10, v2, vcc_lo
	v_dual_add_nc_u32 v8, 21, v74 :: v_dual_add_nc_u32 v18, 20, v74
	s_delay_alu instid0(VALU_DEP_1) | instskip(NEXT) | instid1(VALU_DEP_2)
	v_lshlrev_b64_e64 v[8:9], v8, -1
	v_lshlrev_b64_e64 v[18:19], v18, 1
	s_delay_alu instid0(VALU_DEP_2) | instskip(NEXT) | instid1(VALU_DEP_3)
	v_bfi_b32 v93, v9, 0, 0
	v_bfi_b32 v92, v8, 0, v10
	v_lshrrev_b64 v[8:9], v74, v[10:11]
	s_delay_alu instid0(VALU_DEP_1) | instskip(NEXT) | instid1(VALU_DEP_3)
	v_mov_b64_e32 v[10:11], v[8:9]
	v_cmpx_eq_u64_e64 v[92:93], v[18:19]
; %bb.10167:                            ;   in Loop: Header=BB2_9143 Depth=3
	v_bfe_u32 v10, v8, 21, 1
	v_mov_b32_e32 v11, v3
	s_delay_alu instid0(VALU_DEP_1) | instskip(NEXT) | instid1(VALU_DEP_1)
	v_add_nc_u64_e32 v[10:11], v[8:9], v[10:11]
	v_add_nc_u64_e32 v[10:11], -1, v[10:11]
; %bb.10168:                            ;   in Loop: Header=BB2_9143 Depth=3
	s_or_b32 exec_lo, exec_lo, s78
	v_add_nc_u32_e32 v2, 0xffffff81, v47
	s_delay_alu instid0(VALU_DEP_2) | instskip(SKIP_2) | instid1(VALU_DEP_3)
	v_and_b32_e32 v10, 0x1fffff, v10
	v_lshrrev_b32_e32 v9, 23, v8
	s_mov_b32 s14, exec_lo
	v_cndmask_b32_e64 v2, v2, 0xffffff82, vcc_lo
	s_delay_alu instid0(VALU_DEP_1) | instskip(SKIP_1) | instid1(VALU_DEP_2)
	v_add3_u32 v11, v74, v2, v9
	v_add_nc_u32_e32 v2, v10, v8
                                        ; implicit-def: $vgpr8_vgpr9
                                        ; implicit-def: $vgpr10
	v_add_nc_u32_e32 v47, 14, v11
	s_delay_alu instid0(VALU_DEP_1)
	v_cmpx_ne_u32_e32 0, v47
	s_xor_b32 s14, exec_lo, s14
; %bb.10169:                            ;   in Loop: Header=BB2_9143 Depth=3
	s_delay_alu instid0(VALU_DEP_3) | instskip(SKIP_1) | instid1(VALU_DEP_1)
	v_cmp_lt_u64_e32 vcc_lo, 0xffffff, v[2:3]
	v_add_nc_u32_e32 v8, 15, v11
	v_cndmask_b32_e32 v10, v47, v8, vcc_lo
	v_cndmask_b32_e64 v8, 0, 1, vcc_lo
	s_delay_alu instid0(VALU_DEP_1)
	v_lshrrev_b64 v[8:9], v8, v[2:3]
; %bb.10170:                            ;   in Loop: Header=BB2_9143 Depth=3
	s_and_not1_saveexec_b32 s14, s14
; %bb.10171:                            ;   in Loop: Header=BB2_9143 Depth=3
	v_mov_b64_e32 v[8:9], v[2:3]
	v_bfe_u32 v10, v2, 23, 1
; %bb.10172:                            ;   in Loop: Header=BB2_9143 Depth=3
	s_or_b32 exec_lo, exec_lo, s14
	s_delay_alu instid0(VALU_DEP_2) | instskip(NEXT) | instid1(VALU_DEP_2)
	v_lshrrev_b64 v[8:9], 21, v[8:9]
	v_cmp_gt_i32_e32 vcc_lo, 32, v10
	v_min_i32_e32 v2, 31, v10
	v_cmp_eq_u32_e64 s14, 0, v10
	s_delay_alu instid0(VALU_DEP_2) | instskip(SKIP_1) | instid1(VALU_DEP_2)
	v_dual_cndmask_b32 v9, 0, v9 :: v_dual_lshlrev_b32 v2, 2, v2
	v_cndmask_b32_e32 v8, 3, v8, vcc_lo
	v_and_b32_e32 v2, 0xfc, v2
	s_delay_alu instid0(VALU_DEP_2) | instskip(NEXT) | instid1(VALU_DEP_2)
	v_cmp_eq_u64_e32 vcc_lo, 0, v[8:9]
	v_and_or_b32 v2, v8, 3, v2
	s_and_b32 s14, s14, vcc_lo
	s_delay_alu instid0(VALU_DEP_1) | instid1(SALU_CYCLE_1)
	v_cndmask_b32_e64 v2, v2, 0, s14
	s_delay_alu instid0(VALU_DEP_1)
	v_or_b32_e32 v8, v2, v45
.LBB2_10173:                            ;   in Loop: Header=BB2_9143 Depth=3
	s_or_b32 exec_lo, exec_lo, s77
                                        ; implicit-def: $vgpr45
.LBB2_10174:                            ;   in Loop: Header=BB2_9143 Depth=3
	s_and_not1_saveexec_b32 s14, s76
; %bb.10175:                            ;   in Loop: Header=BB2_9143 Depth=3
	v_or_b32_e32 v8, 0x7b, v45
; %bb.10176:                            ;   in Loop: Header=BB2_9143 Depth=3
	s_or_b32 exec_lo, exec_lo, s14
                                        ; implicit-def: $vgpr9
                                        ; implicit-def: $vgpr10
.LBB2_10177:                            ;   in Loop: Header=BB2_9143 Depth=3
	s_and_not1_saveexec_b32 s14, s75
	s_cbranch_execz .LBB2_9142
; %bb.10178:                            ;   in Loop: Header=BB2_9143 Depth=3
	s_mov_b32 s75, exec_lo
                                        ; implicit-def: $vgpr8
	v_cmpx_ne_u64_e32 0, v[2:3]
	s_xor_b32 s75, exec_lo, s75
; %bb.10179:                            ;   in Loop: Header=BB2_9143 Depth=3
	v_or_b32_e32 v8, 0x7f, v10
                                        ; implicit-def: $vgpr9
; %bb.10180:                            ;   in Loop: Header=BB2_9143 Depth=3
	s_and_not1_saveexec_b32 s75, s75
	s_cbranch_execz .LBB2_9141
; %bb.10181:                            ;   in Loop: Header=BB2_9143 Depth=3
	v_cmp_lt_i32_e32 vcc_lo, -1, v9
	v_cndmask_b32_e32 v8, 0xfc, v120, vcc_lo
	s_branch .LBB2_9141
.LBB2_10182:                            ;   in Loop: Header=BB2_9143 Depth=3
	s_or_saveexec_b32 s14, s14
	v_bfrev_b32_e32 v16, 1
	s_xor_b32 exec_lo, exec_lo, s14
	s_cbranch_execz .LBB2_9645
.LBB2_10183:                            ;   in Loop: Header=BB2_9143 Depth=3
	v_cmp_ne_u16_e32 vcc_lo, 0, v45
	v_mov_b32_e32 v16, 0
	s_and_not1_b32 s75, s75, exec_lo
	s_and_b32 s76, vcc_lo, exec_lo
	s_delay_alu instid0(SALU_CYCLE_1)
	s_or_b32 s75, s75, s76
	s_or_b32 exec_lo, exec_lo, s14
	s_and_saveexec_b32 s14, s75
	s_cbranch_execnz .LBB2_9646
	s_branch .LBB2_9647
.LBB2_10184:                            ;   in Loop: Header=BB2_9143 Depth=3
	s_or_saveexec_b32 s14, s14
	v_bfrev_b32_e32 v30, 1
	s_xor_b32 exec_lo, exec_lo, s14
	s_cbranch_execz .LBB2_9681
.LBB2_10185:                            ;   in Loop: Header=BB2_9143 Depth=3
	v_cmp_ne_u16_e32 vcc_lo, 0, v44
	v_mov_b32_e32 v30, 0
	s_and_not1_b32 s75, s75, exec_lo
	s_and_b32 s76, vcc_lo, exec_lo
	s_delay_alu instid0(SALU_CYCLE_1)
	s_or_b32 s75, s75, s76
	s_or_b32 exec_lo, exec_lo, s14
	s_and_saveexec_b32 s14, s75
	s_cbranch_execnz .LBB2_9682
	s_branch .LBB2_9683
.LBB2_10186:                            ;   in Loop: Header=BB2_9143 Depth=3
	s_or_saveexec_b32 s14, s14
	v_bfrev_b32_e32 v45, 1
	s_xor_b32 exec_lo, exec_lo, s14
	s_cbranch_execz .LBB2_9717
.LBB2_10187:                            ;   in Loop: Header=BB2_9143 Depth=3
	v_cmp_ne_u16_e32 vcc_lo, 0, v46
	v_mov_b32_e32 v45, 0
	s_and_not1_b32 s75, s75, exec_lo
	s_and_b32 s76, vcc_lo, exec_lo
	s_delay_alu instid0(SALU_CYCLE_1)
	s_or_b32 s75, s75, s76
	s_or_b32 exec_lo, exec_lo, s14
	s_and_saveexec_b32 s14, s75
	s_cbranch_execnz .LBB2_9718
	s_branch .LBB2_9719
.LBB2_10188:                            ;   in Loop: Header=BB2_9143 Depth=3
	s_or_saveexec_b32 s14, s14
	v_bfrev_b32_e32 v47, 1
	s_xor_b32 exec_lo, exec_lo, s14
	s_cbranch_execz .LBB2_9783
.LBB2_10189:                            ;   in Loop: Header=BB2_9143 Depth=3
	v_cmp_ne_u16_e32 vcc_lo, 0, v45
	v_mov_b32_e32 v47, 0
	s_and_not1_b32 s75, s75, exec_lo
	s_and_b32 s76, vcc_lo, exec_lo
	s_delay_alu instid0(SALU_CYCLE_1)
	s_or_b32 s75, s75, s76
	s_or_b32 exec_lo, exec_lo, s14
	v_mov_b32_e32 v45, v3
	s_and_saveexec_b32 s14, s75
	s_cbranch_execnz .LBB2_9784
	s_branch .LBB2_9785
.LBB2_10190:                            ;   in Loop: Header=BB2_9143 Depth=3
	s_or_saveexec_b32 s14, s14
	v_bfrev_b32_e32 v30, 1
	s_xor_b32 exec_lo, exec_lo, s14
	s_cbranch_execz .LBB2_9819
.LBB2_10191:                            ;   in Loop: Header=BB2_9143 Depth=3
	v_cmp_ne_u16_e32 vcc_lo, 0, v46
	v_mov_b32_e32 v30, 0
	s_and_not1_b32 s75, s75, exec_lo
	s_and_b32 s76, vcc_lo, exec_lo
	s_delay_alu instid0(SALU_CYCLE_1)
	s_or_b32 s75, s75, s76
	s_or_b32 exec_lo, exec_lo, s14
	s_and_saveexec_b32 s14, s75
	s_cbranch_execnz .LBB2_9820
	s_branch .LBB2_9821
.LBB2_10192:                            ;   in Loop: Header=BB2_9143 Depth=3
	s_or_saveexec_b32 s14, s14
	v_bfrev_b32_e32 v45, 1
	s_xor_b32 exec_lo, exec_lo, s14
	s_cbranch_execz .LBB2_9855
.LBB2_10193:                            ;   in Loop: Header=BB2_9143 Depth=3
	v_cmp_ne_u16_e32 vcc_lo, 0, v46
	v_mov_b32_e32 v45, 0
	s_and_not1_b32 s75, s75, exec_lo
	s_and_b32 s76, vcc_lo, exec_lo
	s_delay_alu instid0(SALU_CYCLE_1)
	s_or_b32 s75, s75, s76
	s_or_b32 exec_lo, exec_lo, s14
	s_and_saveexec_b32 s14, s75
	s_cbranch_execnz .LBB2_9856
	s_branch .LBB2_9857
.LBB2_10194:                            ;   in Loop: Header=BB2_9143 Depth=3
	s_or_saveexec_b32 s14, s14
	v_bfrev_b32_e32 v9, 1
	s_xor_b32 exec_lo, exec_lo, s14
	s_cbranch_execz .LBB2_9921
.LBB2_10195:                            ;   in Loop: Header=BB2_9143 Depth=3
	v_cmp_ne_u16_e32 vcc_lo, 0, v44
	v_mov_b32_e32 v9, 0
	s_and_not1_b32 s75, s75, exec_lo
	s_and_b32 s76, vcc_lo, exec_lo
	s_delay_alu instid0(SALU_CYCLE_1)
	s_or_b32 s75, s75, s76
	s_or_b32 exec_lo, exec_lo, s14
	s_and_saveexec_b32 s14, s75
	s_cbranch_execnz .LBB2_9922
	s_branch .LBB2_9923
.LBB2_10196:                            ;   in Loop: Header=BB2_9143 Depth=3
	s_or_saveexec_b32 s14, s14
	v_bfrev_b32_e32 v9, 1
	s_xor_b32 exec_lo, exec_lo, s14
	s_cbranch_execz .LBB2_9957
.LBB2_10197:                            ;   in Loop: Header=BB2_9143 Depth=3
	v_cmp_ne_u16_e32 vcc_lo, 0, v8
	v_mov_b32_e32 v9, 0
	s_and_not1_b32 s75, s75, exec_lo
	s_and_b32 s76, vcc_lo, exec_lo
	s_delay_alu instid0(SALU_CYCLE_1)
	s_or_b32 s75, s75, s76
	s_or_b32 exec_lo, exec_lo, s14
	s_and_saveexec_b32 s14, s75
	s_cbranch_execnz .LBB2_9958
	s_branch .LBB2_9959
.LBB2_10198:                            ;   in Loop: Header=BB2_9143 Depth=3
	s_or_saveexec_b32 s14, s14
	v_bfrev_b32_e32 v44, 1
	s_xor_b32 exec_lo, exec_lo, s14
	s_cbranch_execz .LBB2_9993
.LBB2_10199:                            ;   in Loop: Header=BB2_9143 Depth=3
	v_cmp_ne_u16_e32 vcc_lo, 0, v45
	v_mov_b32_e32 v44, 0
	s_and_not1_b32 s75, s75, exec_lo
	s_and_b32 s76, vcc_lo, exec_lo
	s_delay_alu instid0(SALU_CYCLE_1)
	s_or_b32 s75, s75, s76
	s_or_b32 exec_lo, exec_lo, s14
	s_and_saveexec_b32 s14, s75
	s_cbranch_execnz .LBB2_9994
	s_branch .LBB2_9995
.LBB2_10200:                            ;   in Loop: Header=BB2_9143 Depth=3
	s_or_saveexec_b32 s14, s14
	v_bfrev_b32_e32 v17, 1
	s_xor_b32 exec_lo, exec_lo, s14
	s_cbranch_execz .LBB2_10059
.LBB2_10201:                            ;   in Loop: Header=BB2_9143 Depth=3
	v_cmp_ne_u16_e32 vcc_lo, 0, v9
	v_mov_b32_e32 v17, 0
	s_and_not1_b32 s75, s75, exec_lo
	s_and_b32 s76, vcc_lo, exec_lo
	s_delay_alu instid0(SALU_CYCLE_1)
	s_or_b32 s75, s75, s76
	s_or_b32 exec_lo, exec_lo, s14
	v_mov_b32_e32 v9, v3
	s_and_saveexec_b32 s14, s75
	s_cbranch_execnz .LBB2_10060
	s_branch .LBB2_10061
.LBB2_10202:                            ;   in Loop: Header=BB2_9143 Depth=3
	s_or_saveexec_b32 s14, s14
	v_bfrev_b32_e32 v45, 1
	s_xor_b32 exec_lo, exec_lo, s14
	s_cbranch_execz .LBB2_10095
.LBB2_10203:                            ;   in Loop: Header=BB2_9143 Depth=3
	v_cmp_ne_u16_e32 vcc_lo, 0, v44
	v_mov_b32_e32 v45, 0
	s_and_not1_b32 s75, s75, exec_lo
	s_and_b32 s76, vcc_lo, exec_lo
	s_delay_alu instid0(SALU_CYCLE_1)
	s_or_b32 s75, s75, s76
	s_or_b32 exec_lo, exec_lo, s14
	s_and_saveexec_b32 s14, s75
	s_cbranch_execnz .LBB2_10096
	s_branch .LBB2_10097
.LBB2_10204:                            ;   in Loop: Header=BB2_9143 Depth=3
	s_or_saveexec_b32 s14, s14
	v_bfrev_b32_e32 v44, 1
	s_xor_b32 exec_lo, exec_lo, s14
	s_cbranch_execz .LBB2_10131
.LBB2_10205:                            ;   in Loop: Header=BB2_9143 Depth=3
	v_cmp_ne_u16_e32 vcc_lo, 0, v45
	v_mov_b32_e32 v44, 0
	s_and_not1_b32 s75, s75, exec_lo
	s_and_b32 s76, vcc_lo, exec_lo
	s_delay_alu instid0(SALU_CYCLE_1)
	s_or_b32 s75, s75, s76
	s_or_b32 exec_lo, exec_lo, s14
	s_and_saveexec_b32 s14, s75
	s_cbranch_execnz .LBB2_10132
	s_branch .LBB2_10133
.LBB2_10206:                            ;   in Loop: Header=BB2_5115 Depth=2
	s_or_b32 exec_lo, exec_lo, s43
.LBB2_10207:                            ;   in Loop: Header=BB2_5115 Depth=2
	s_delay_alu instid0(SALU_CYCLE_1) | instskip(NEXT) | instid1(VALU_DEP_2)
	s_or_b32 exec_lo, exec_lo, s42
	v_cmp_lt_i32_e32 vcc_lo, 0, v62
	v_dual_cndmask_b32 v9, 0, v32, vcc_lo :: v_dual_bitop2_b32 v2, 15, v103 bitop3:0x40
	s_delay_alu instid0(VALU_DEP_1) | instskip(NEXT) | instid1(VALU_DEP_1)
	v_dual_sub_nc_u32 v8, v61, v2 :: v_dual_cndmask_b32 v92, v61, v2, s13
	v_dual_cndmask_b32 v2, 0, v8, s13 :: v_dual_sub_nc_u32 v8, v9, v62
	s_delay_alu instid0(VALU_DEP_2) | instskip(NEXT) | instid1(VALU_DEP_2)
	v_cmp_ne_u32_e32 vcc_lo, 0, v92
	v_add3_u32 v30, v60, v58, v2
	s_delay_alu instid0(VALU_DEP_3)
	v_lshl_add_u32 v93, v8, 5, v59
	s_and_b32 s14, vcc_lo, exec_lo
.LBB2_10208:                            ;   in Loop: Header=BB2_5115 Depth=2
	s_or_b32 exec_lo, exec_lo, s15
	s_and_saveexec_b32 s42, s14
	s_cbranch_execz .LBB2_10935
.LBB2_10209:                            ;   in Loop: Header=BB2_5115 Depth=2
	v_dual_ashrrev_i32 v2, 31, v93 :: v_dual_ashrrev_i32 v8, 31, v92
	s_mov_b32 s43, exec_lo
	s_delay_alu instid0(VALU_DEP_1) | instskip(NEXT) | instid1(VALU_DEP_1)
	v_dual_lshrrev_b32 v2, 27, v2 :: v_dual_lshrrev_b32 v8, 24, v8
	v_dual_add_nc_u32 v2, v93, v2 :: v_dual_add_nc_u32 v8, v92, v8
	s_delay_alu instid0(VALU_DEP_1) | instskip(NEXT) | instid1(VALU_DEP_1)
	v_dual_ashrrev_i32 v16, 5, v2 :: v_dual_ashrrev_i32 v103, 8, v8
	v_sub_nc_u32_e32 v17, v103, v16
	s_delay_alu instid0(VALU_DEP_1)
	v_cmpx_lt_i32_e32 0, v17
	s_cbranch_execz .LBB2_10845
; %bb.10210:                            ;   in Loop: Header=BB2_5115 Depth=2
	v_and_b32_e32 v2, 0xffffffe0, v2
	s_trap 2
	ds_load_b64 v[10:11], v0
	v_lshlrev_b32_e32 v8, 8, v16
	v_add_nc_u64_e32 v[116:117], 0xe0, v[116:117]
	v_sub_nc_u32_e32 v2, v93, v2
	s_mov_b32 s73, 0
	s_delay_alu instid0(VALU_DEP_1) | instskip(NEXT) | instid1(VALU_DEP_1)
	v_add3_u32 v18, v30, v2, v8
	v_ashrrev_i32_e32 v19, 31, v18
	s_delay_alu instid0(VALU_DEP_1)
	v_add_nc_u64_e32 v[8:9], v[18:19], v[114:115]
	v_add_nc_u64_e32 v[114:115], v[116:117], v[18:19]
	s_wait_dscnt 0x0
	v_add_nc_u64_e32 v[10:11], v[10:11], v[18:19]
	s_branch .LBB2_10213
.LBB2_10211:                            ;   in Loop: Header=BB2_10213 Depth=3
	s_or_b32 exec_lo, exec_lo, s14
.LBB2_10212:                            ;   in Loop: Header=BB2_10213 Depth=3
	s_delay_alu instid0(SALU_CYCLE_1)
	s_or_b32 exec_lo, exec_lo, s13
	v_sub_nc_u32_e32 v17, v17, v32
	s_clause 0x7
	flat_store_b8 v[114:115], v90 offset:-224 th:TH_STORE_NT
	flat_store_b8 v[114:115], v62 offset:-192 th:TH_STORE_NT
	flat_store_b8 v[114:115], v60 offset:-160 th:TH_STORE_NT
	flat_store_b8 v[114:115], v58 offset:-128 th:TH_STORE_NT
	flat_store_b8 v[114:115], v46 offset:-96 th:TH_STORE_NT
	flat_store_b8 v[114:115], v44 offset:-64 th:TH_STORE_NT
	flat_store_b8 v[114:115], v41 offset:-32 th:TH_STORE_NT
	flat_store_b8 v[114:115], v117 th:TH_STORE_NT
	v_add_nc_u64_e32 v[8:9], v[8:9], v[54:55]
	v_add_nc_u64_e32 v[10:11], v[10:11], v[54:55]
	s_wait_xcnt 0x0
	v_add_nc_u64_e32 v[114:115], v[114:115], v[54:55]
	v_cmp_gt_i32_e32 vcc_lo, 1, v17
	s_or_b32 s73, vcc_lo, s73
	s_delay_alu instid0(SALU_CYCLE_1)
	s_and_not1_b32 exec_lo, exec_lo, s73
	s_cbranch_execz .LBB2_10844
.LBB2_10213:                            ;   Parent Loop BB2_47 Depth=1
                                        ;     Parent Loop BB2_5115 Depth=2
                                        ; =>    This Inner Loop Header: Depth=3
	s_trap 2
	ds_load_b64 v[18:19], v0
	s_mov_b32 s74, 0
	s_wait_dscnt 0x0
	v_and_b32_e32 v2, 0xff, v18
	v_readfirstlane_b32 s14, v18
	v_readfirstlane_b32 s15, v19
	s_delay_alu instid0(VALU_DEP_3)
	v_cmp_eq_u32_e32 vcc_lo, 0, v2
	s_cbranch_vccnz .LBB2_10221
; %bb.10214:                            ;   in Loop: Header=BB2_10213 Depth=3
	s_bfe_i32 s75, s14, 0x80000
	s_brev_b32 s74, 1
	s_and_b32 s13, 0xffff, s75
	s_delay_alu instid0(SALU_CYCLE_1)
	s_cmp_eq_u32 s13, 0xff80
	s_cbranch_scc1 .LBB2_10221
; %bb.10215:                            ;   in Loop: Header=BB2_10213 Depth=3
	s_and_b32 s74, s14, 0x7c
	s_and_b32 s13, s14, 3
	s_mov_b32 s76, -1
	s_cmp_lg_u32 s74, 0x7c
	s_sext_i32_i16 s75, s75
                                        ; implicit-def: $sgpr74
	s_cbranch_scc0 .LBB2_10219
; %bb.10216:                            ;   in Loop: Header=BB2_10213 Depth=3
	s_bfe_u32 s74, s14, 0x50002
	s_mov_b32 s76, s13
	s_cmp_lg_u32 s74, 0
	s_cbranch_scc1 .LBB2_10218
; %bb.10217:                            ;   in Loop: Header=BB2_10213 Depth=3
	s_clz_i32_u32 s74, s13
	s_delay_alu instid0(SALU_CYCLE_1) | instskip(NEXT) | instid1(SALU_CYCLE_1)
	s_min_u32 s74, s74, 32
	s_sub_co_i32 s76, s74, 29
	s_sub_co_i32 s74, 30, s74
	s_lshl_b64 s[14:15], s[14:15], s76
	s_delay_alu instid0(SALU_CYCLE_1)
	s_and_b32 s76, s14, 3
.LBB2_10218:                            ;   in Loop: Header=BB2_10213 Depth=3
	s_and_b32 s14, s75, 0x80000000
	s_lshl_b32 s15, s74, 23
	s_lshl_b32 s74, s76, 21
	s_add_co_i32 s15, s15, s14
	s_mov_b32 s76, 0
	s_or_b32 s14, s15, s74
	s_delay_alu instid0(SALU_CYCLE_1)
	s_add_co_i32 s74, s14, 0x38000000
.LBB2_10219:                            ;   in Loop: Header=BB2_10213 Depth=3
	s_and_b32 vcc_lo, exec_lo, s76
	s_cbranch_vccz .LBB2_10221
; %bb.10220:                            ;   in Loop: Header=BB2_10213 Depth=3
	s_cmp_gt_i32 s75, -1
	s_cselect_b32 s14, s47, 0xff800000
	s_cmp_eq_u32 s13, 0
	s_cselect_b32 s74, s14, 0x7f800001
.LBB2_10221:                            ;   in Loop: Header=BB2_10213 Depth=3
	flat_load_i8 v116, v[8:9] th:TH_LOAD_NT
	v_mov_b32_e32 v117, 0
	s_mov_b32 s13, exec_lo
	s_wait_loadcnt_dscnt 0x0
	v_cmpx_ne_u16_e32 0, v116
	s_cbranch_execz .LBB2_10231
; %bb.10222:                            ;   in Loop: Header=BB2_10213 Depth=3
	v_bfrev_b32_e32 v117, 1
	s_mov_b32 s14, exec_lo
	v_cmpx_ne_u16_e32 0xff80, v116
	s_cbranch_execz .LBB2_10230
; %bb.10223:                            ;   in Loop: Header=BB2_10213 Depth=3
	v_and_b32_e32 v18, 0x7c, v116
	v_and_b32_e32 v2, 3, v116
	s_mov_b32 s15, exec_lo
                                        ; implicit-def: $vgpr117
	s_delay_alu instid0(VALU_DEP_2)
	v_cmpx_ne_u32_e32 0x7c, v18
	s_xor_b32 s15, exec_lo, s15
	s_cbranch_execz .LBB2_10227
; %bb.10224:                            ;   in Loop: Header=BB2_10213 Depth=3
	v_and_b32_e32 v18, 0xff, v116
	s_mov_b32 s75, exec_lo
	s_delay_alu instid0(VALU_DEP_1) | instskip(NEXT) | instid1(VALU_DEP_1)
	v_bfe_u32 v117, v18, 2, 5
	v_cmpx_eq_u32_e32 0, v117
	s_cbranch_execz .LBB2_10226
; %bb.10225:                            ;   in Loop: Header=BB2_10213 Depth=3
	v_clz_i32_u32_e32 v2, v2
	v_mov_b32_e32 v117, v3
	s_delay_alu instid0(VALU_DEP_2) | instskip(NEXT) | instid1(VALU_DEP_1)
	v_min_u32_e32 v2, 32, v2
	v_subrev_nc_u32_e32 v18, 29, v2
	s_delay_alu instid0(VALU_DEP_1) | instskip(SKIP_1) | instid1(VALU_DEP_2)
	v_lshlrev_b64_e32 v[18:19], v18, v[116:117]
	v_sub_nc_u32_e32 v117, 30, v2
	v_and_b32_e32 v2, 3, v18
.LBB2_10226:                            ;   in Loop: Header=BB2_10213 Depth=3
	s_or_b32 exec_lo, exec_lo, s75
	v_bfe_i32 v18, v116, 0, 16
                                        ; implicit-def: $vgpr116
	s_delay_alu instid0(VALU_DEP_1) | instskip(NEXT) | instid1(VALU_DEP_1)
	v_and_b32_e32 v18, 0x80000000, v18
	v_lshl_add_u32 v18, v117, 23, v18
	s_delay_alu instid0(VALU_DEP_1) | instskip(NEXT) | instid1(VALU_DEP_1)
	v_lshl_or_b32 v2, v2, 21, v18
	v_add_nc_u32_e32 v117, 0x38000000, v2
                                        ; implicit-def: $vgpr2
.LBB2_10227:                            ;   in Loop: Header=BB2_10213 Depth=3
	s_and_not1_saveexec_b32 s15, s15
; %bb.10228:                            ;   in Loop: Header=BB2_10213 Depth=3
	v_cmp_lt_i16_e32 vcc_lo, -1, v116
	v_cndmask_b32_e32 v18, 0xff800000, v111, vcc_lo
	v_cmp_eq_u32_e32 vcc_lo, 0, v2
	s_delay_alu instid0(VALU_DEP_2)
	v_cndmask_b32_e32 v117, 0x7f800001, v18, vcc_lo
; %bb.10229:                            ;   in Loop: Header=BB2_10213 Depth=3
	s_or_b32 exec_lo, exec_lo, s15
.LBB2_10230:                            ;   in Loop: Header=BB2_10213 Depth=3
	s_delay_alu instid0(SALU_CYCLE_1)
	s_or_b32 exec_lo, exec_lo, s14
.LBB2_10231:                            ;   in Loop: Header=BB2_10213 Depth=3
	s_delay_alu instid0(SALU_CYCLE_1) | instskip(NEXT) | instid1(VALU_DEP_1)
	s_or_b32 exec_lo, exec_lo, s13
	v_dual_mul_f32 v116, s74, v117 :: v_dual_mov_b32 v19, v3
                                        ; implicit-def: $vgpr62
	s_mov_b32 s13, exec_lo
	s_delay_alu instid0(VALU_DEP_1) | instskip(SKIP_1) | instid1(VALU_DEP_2)
	v_and_b32_e32 v18, 0x7f800000, v116
	v_and_b32_e32 v2, 0x7fffff, v116
	v_cmpx_ne_u64_e32 0x7f800000, v[18:19]
	s_xor_b32 s14, exec_lo, s13
	s_cbranch_execz .LBB2_10249
; %bb.10232:                            ;   in Loop: Header=BB2_10213 Depth=3
	v_dual_mov_b32 v19, v3 :: v_dual_lshrrev_b32 v117, 24, v116
	v_and_b32_e32 v18, 0x7fffffff, v116
                                        ; implicit-def: $vgpr62
	s_mov_b32 s13, exec_lo
	s_delay_alu instid0(VALU_DEP_2) | instskip(NEXT) | instid1(VALU_DEP_2)
	v_and_b32_e32 v40, 0x80, v117
	v_cmpx_gt_u64_e32 0x47600001, v[18:19]
	s_xor_b32 s15, exec_lo, s13
	s_cbranch_execz .LBB2_10246
; %bb.10233:                            ;   in Loop: Header=BB2_10213 Depth=3
	v_mov_b32_e32 v62, 0
	s_mov_b32 s75, exec_lo
	v_cmpx_ne_u32_e32 0, v116
	s_cbranch_execz .LBB2_10245
; %bb.10234:                            ;   in Loop: Header=BB2_10213 Depth=3
	v_bfe_u32 v41, v116, 23, 8
	v_or_b32_e32 v116, 0x800000, v2
	s_delay_alu instid0(VALU_DEP_2) | instskip(SKIP_1) | instid1(VALU_DEP_2)
	v_dual_mov_b32 v117, v3 :: v_dual_sub_nc_u32 v18, 0x71, v41
	v_cmp_gt_u32_e32 vcc_lo, 0x72, v41
	v_cndmask_b32_e32 v18, 0, v18, vcc_lo
	v_cmp_eq_u32_e32 vcc_lo, 0, v41
	s_delay_alu instid0(VALU_DEP_2) | instskip(SKIP_1) | instid1(VALU_DEP_2)
	v_cndmask_b32_e64 v42, v18, 0x70, vcc_lo
	v_cndmask_b32_e32 v116, v116, v2, vcc_lo
	v_dual_add_nc_u32 v18, 21, v42 :: v_dual_add_nc_u32 v118, 20, v42
	s_delay_alu instid0(VALU_DEP_1) | instskip(NEXT) | instid1(VALU_DEP_2)
	v_lshlrev_b64_e64 v[18:19], v18, -1
	v_lshlrev_b64_e64 v[118:119], v118, 1
	s_delay_alu instid0(VALU_DEP_2) | instskip(SKIP_1) | instid1(VALU_DEP_4)
	v_bfi_b32 v18, v18, 0, v116
	v_lshrrev_b64 v[116:117], v42, v[116:117]
	v_bfi_b32 v19, v19, 0, 0
	s_delay_alu instid0(VALU_DEP_1) | instskip(NEXT) | instid1(VALU_DEP_3)
	v_cmp_eq_u64_e64 s13, v[18:19], v[118:119]
	v_mov_b64_e32 v[118:119], v[116:117]
	s_and_saveexec_b32 s76, s13
; %bb.10235:                            ;   in Loop: Header=BB2_10213 Depth=3
	v_bfe_u32 v18, v116, 21, 1
	v_mov_b32_e32 v19, v3
	s_delay_alu instid0(VALU_DEP_1) | instskip(NEXT) | instid1(VALU_DEP_1)
	v_add_nc_u64_e32 v[18:19], v[116:117], v[18:19]
	v_add_nc_u64_e32 v[118:119], -1, v[18:19]
; %bb.10236:                            ;   in Loop: Header=BB2_10213 Depth=3
	s_or_b32 exec_lo, exec_lo, s76
	v_add_nc_u32_e32 v2, 0xffffff81, v41
	s_delay_alu instid0(VALU_DEP_2) | instskip(SKIP_2) | instid1(VALU_DEP_3)
	v_and_b32_e32 v19, 0x1fffff, v118
	v_lshrrev_b32_e32 v18, 23, v116
	s_mov_b32 s13, exec_lo
                                        ; implicit-def: $vgpr118
	v_cndmask_b32_e64 v2, v2, 0xffffff82, vcc_lo
	s_delay_alu instid0(VALU_DEP_1) | instskip(SKIP_1) | instid1(VALU_DEP_2)
	v_add3_u32 v119, v42, v2, v18
	v_add_nc_u32_e32 v2, v19, v116
                                        ; implicit-def: $vgpr116_vgpr117
	v_add_nc_u32_e32 v41, 14, v119
	s_delay_alu instid0(VALU_DEP_1)
	v_cmpx_ne_u32_e32 0, v41
	s_xor_b32 s13, exec_lo, s13
; %bb.10237:                            ;   in Loop: Header=BB2_10213 Depth=3
	s_delay_alu instid0(VALU_DEP_3) | instskip(SKIP_1) | instid1(VALU_DEP_1)
	v_cmp_lt_u64_e32 vcc_lo, 0xffffff, v[2:3]
	v_add_nc_u32_e32 v18, 15, v119
	v_cndmask_b32_e32 v118, v41, v18, vcc_lo
	v_cndmask_b32_e64 v18, 0, 1, vcc_lo
	s_delay_alu instid0(VALU_DEP_1)
	v_lshrrev_b64 v[116:117], v18, v[2:3]
; %bb.10238:                            ;   in Loop: Header=BB2_10213 Depth=3
	s_and_not1_saveexec_b32 s13, s13
; %bb.10239:                            ;   in Loop: Header=BB2_10213 Depth=3
	v_mov_b64_e32 v[116:117], v[2:3]
	v_bfe_u32 v118, v2, 23, 1
; %bb.10240:                            ;   in Loop: Header=BB2_10213 Depth=3
	s_or_b32 exec_lo, exec_lo, s13
	s_delay_alu instid0(VALU_DEP_2) | instskip(NEXT) | instid1(VALU_DEP_2)
	v_lshrrev_b64 v[18:19], 21, v[116:117]
	v_cmp_gt_i32_e32 vcc_lo, 32, v118
	v_cmp_ne_u32_e64 s13, 0, v118
                                        ; implicit-def: $vgpr62
	s_delay_alu instid0(VALU_DEP_3) | instskip(NEXT) | instid1(VALU_DEP_1)
	v_dual_cndmask_b32 v117, 0, v19 :: v_dual_cndmask_b32 v116, 3, v18
	v_cmp_ne_u64_e32 vcc_lo, 0, v[116:117]
	s_or_b32 s13, s13, vcc_lo
	s_delay_alu instid0(SALU_CYCLE_1) | instskip(NEXT) | instid1(SALU_CYCLE_1)
	s_and_saveexec_b32 s76, s13
	s_xor_b32 s13, exec_lo, s76
; %bb.10241:                            ;   in Loop: Header=BB2_10213 Depth=3
	v_min_i32_e32 v2, 31, v118
	s_delay_alu instid0(VALU_DEP_1) | instskip(NEXT) | instid1(VALU_DEP_1)
	v_lshl_or_b32 v2, v2, 2, v40
                                        ; implicit-def: $vgpr40
	v_and_or_b32 v62, v116, 3, v2
; %bb.10242:                            ;   in Loop: Header=BB2_10213 Depth=3
	s_and_not1_saveexec_b32 s13, s13
; %bb.10243:                            ;   in Loop: Header=BB2_10213 Depth=3
	v_mov_b32_e32 v62, v40
; %bb.10244:                            ;   in Loop: Header=BB2_10213 Depth=3
	s_or_b32 exec_lo, exec_lo, s13
.LBB2_10245:                            ;   in Loop: Header=BB2_10213 Depth=3
	s_delay_alu instid0(SALU_CYCLE_1)
	s_or_b32 exec_lo, exec_lo, s75
                                        ; implicit-def: $vgpr40
.LBB2_10246:                            ;   in Loop: Header=BB2_10213 Depth=3
	s_and_not1_saveexec_b32 s13, s15
; %bb.10247:                            ;   in Loop: Header=BB2_10213 Depth=3
	v_or_b32_e32 v62, 0x7b, v40
; %bb.10248:                            ;   in Loop: Header=BB2_10213 Depth=3
	s_or_b32 exec_lo, exec_lo, s13
                                        ; implicit-def: $vgpr116
.LBB2_10249:                            ;   in Loop: Header=BB2_10213 Depth=3
	s_and_not1_saveexec_b32 s13, s14
	s_cbranch_execz .LBB2_10255
; %bb.10250:                            ;   in Loop: Header=BB2_10213 Depth=3
	s_mov_b32 s14, exec_lo
                                        ; implicit-def: $vgpr62
	v_cmpx_ne_u64_e32 0, v[2:3]
	s_xor_b32 s14, exec_lo, s14
; %bb.10251:                            ;   in Loop: Header=BB2_10213 Depth=3
	v_lshrrev_b32_e32 v2, 24, v116
                                        ; implicit-def: $vgpr116
	s_delay_alu instid0(VALU_DEP_1)
	v_or_b32_e32 v62, 0x7f, v2
; %bb.10252:                            ;   in Loop: Header=BB2_10213 Depth=3
	s_and_not1_saveexec_b32 s14, s14
; %bb.10253:                            ;   in Loop: Header=BB2_10213 Depth=3
	v_cmp_lt_i32_e32 vcc_lo, -1, v116
	v_cndmask_b32_e64 v62, -4, 0x7c, vcc_lo
; %bb.10254:                            ;   in Loop: Header=BB2_10213 Depth=3
	s_or_b32 exec_lo, exec_lo, s14
.LBB2_10255:                            ;   in Loop: Header=BB2_10213 Depth=3
	s_delay_alu instid0(SALU_CYCLE_1)
	s_or_b32 exec_lo, exec_lo, s13
	flat_load_i8 v116, v[8:9] offset:32 th:TH_LOAD_NT
	v_mov_b32_e32 v117, 0
	s_mov_b32 s13, exec_lo
	s_wait_loadcnt_dscnt 0x0
	v_cmpx_ne_u16_e32 0, v116
	s_cbranch_execz .LBB2_10265
; %bb.10256:                            ;   in Loop: Header=BB2_10213 Depth=3
	v_bfrev_b32_e32 v117, 1
	s_mov_b32 s14, exec_lo
	v_cmpx_ne_u16_e32 0xff80, v116
	s_cbranch_execz .LBB2_10264
; %bb.10257:                            ;   in Loop: Header=BB2_10213 Depth=3
	v_and_b32_e32 v18, 0x7c, v116
	v_and_b32_e32 v2, 3, v116
	s_mov_b32 s15, exec_lo
                                        ; implicit-def: $vgpr117
	s_delay_alu instid0(VALU_DEP_2)
	v_cmpx_ne_u32_e32 0x7c, v18
	s_xor_b32 s15, exec_lo, s15
	s_cbranch_execz .LBB2_10261
; %bb.10258:                            ;   in Loop: Header=BB2_10213 Depth=3
	v_and_b32_e32 v18, 0xff, v116
	s_mov_b32 s75, exec_lo
	s_delay_alu instid0(VALU_DEP_1) | instskip(NEXT) | instid1(VALU_DEP_1)
	v_bfe_u32 v117, v18, 2, 5
	v_cmpx_eq_u32_e32 0, v117
	s_cbranch_execz .LBB2_10260
; %bb.10259:                            ;   in Loop: Header=BB2_10213 Depth=3
	v_clz_i32_u32_e32 v2, v2
	v_mov_b32_e32 v117, v3
	s_delay_alu instid0(VALU_DEP_2) | instskip(NEXT) | instid1(VALU_DEP_1)
	v_min_u32_e32 v2, 32, v2
	v_subrev_nc_u32_e32 v18, 29, v2
	s_delay_alu instid0(VALU_DEP_1) | instskip(SKIP_1) | instid1(VALU_DEP_2)
	v_lshlrev_b64_e32 v[18:19], v18, v[116:117]
	v_sub_nc_u32_e32 v117, 30, v2
	v_and_b32_e32 v2, 3, v18
.LBB2_10260:                            ;   in Loop: Header=BB2_10213 Depth=3
	s_or_b32 exec_lo, exec_lo, s75
	v_bfe_i32 v18, v116, 0, 16
                                        ; implicit-def: $vgpr116
	s_delay_alu instid0(VALU_DEP_1) | instskip(NEXT) | instid1(VALU_DEP_1)
	v_and_b32_e32 v18, 0x80000000, v18
	v_lshl_add_u32 v18, v117, 23, v18
	s_delay_alu instid0(VALU_DEP_1) | instskip(NEXT) | instid1(VALU_DEP_1)
	v_lshl_or_b32 v2, v2, 21, v18
	v_add_nc_u32_e32 v117, 0x38000000, v2
                                        ; implicit-def: $vgpr2
.LBB2_10261:                            ;   in Loop: Header=BB2_10213 Depth=3
	s_and_not1_saveexec_b32 s15, s15
; %bb.10262:                            ;   in Loop: Header=BB2_10213 Depth=3
	v_cmp_lt_i16_e32 vcc_lo, -1, v116
	v_cndmask_b32_e32 v18, 0xff800000, v111, vcc_lo
	v_cmp_eq_u32_e32 vcc_lo, 0, v2
	s_delay_alu instid0(VALU_DEP_2)
	v_cndmask_b32_e32 v117, 0x7f800001, v18, vcc_lo
; %bb.10263:                            ;   in Loop: Header=BB2_10213 Depth=3
	s_or_b32 exec_lo, exec_lo, s15
.LBB2_10264:                            ;   in Loop: Header=BB2_10213 Depth=3
	s_delay_alu instid0(SALU_CYCLE_1)
	s_or_b32 exec_lo, exec_lo, s14
.LBB2_10265:                            ;   in Loop: Header=BB2_10213 Depth=3
	s_delay_alu instid0(SALU_CYCLE_1) | instskip(NEXT) | instid1(VALU_DEP_1)
	s_or_b32 exec_lo, exec_lo, s13
	v_dual_mul_f32 v116, s74, v117 :: v_dual_mov_b32 v19, v3
                                        ; implicit-def: $vgpr60
	s_mov_b32 s13, exec_lo
	s_delay_alu instid0(VALU_DEP_1) | instskip(SKIP_1) | instid1(VALU_DEP_2)
	v_and_b32_e32 v18, 0x7f800000, v116
	v_and_b32_e32 v2, 0x7fffff, v116
	v_cmpx_ne_u64_e32 0x7f800000, v[18:19]
	s_xor_b32 s14, exec_lo, s13
	s_cbranch_execz .LBB2_10283
; %bb.10266:                            ;   in Loop: Header=BB2_10213 Depth=3
	v_dual_mov_b32 v19, v3 :: v_dual_lshrrev_b32 v117, 24, v116
	v_and_b32_e32 v18, 0x7fffffff, v116
                                        ; implicit-def: $vgpr60
	s_mov_b32 s13, exec_lo
	s_delay_alu instid0(VALU_DEP_2) | instskip(NEXT) | instid1(VALU_DEP_2)
	v_and_b32_e32 v40, 0x80, v117
	v_cmpx_gt_u64_e32 0x47600001, v[18:19]
	s_xor_b32 s15, exec_lo, s13
	s_cbranch_execz .LBB2_10280
; %bb.10267:                            ;   in Loop: Header=BB2_10213 Depth=3
	v_mov_b32_e32 v60, 0
	s_mov_b32 s75, exec_lo
	v_cmpx_ne_u32_e32 0, v116
	s_cbranch_execz .LBB2_10279
; %bb.10268:                            ;   in Loop: Header=BB2_10213 Depth=3
	v_bfe_u32 v41, v116, 23, 8
	v_or_b32_e32 v116, 0x800000, v2
	s_delay_alu instid0(VALU_DEP_2) | instskip(SKIP_1) | instid1(VALU_DEP_2)
	v_dual_mov_b32 v117, v3 :: v_dual_sub_nc_u32 v18, 0x71, v41
	v_cmp_gt_u32_e32 vcc_lo, 0x72, v41
	v_cndmask_b32_e32 v18, 0, v18, vcc_lo
	v_cmp_eq_u32_e32 vcc_lo, 0, v41
	s_delay_alu instid0(VALU_DEP_2) | instskip(SKIP_1) | instid1(VALU_DEP_2)
	v_cndmask_b32_e64 v42, v18, 0x70, vcc_lo
	v_cndmask_b32_e32 v116, v116, v2, vcc_lo
	v_dual_add_nc_u32 v18, 21, v42 :: v_dual_add_nc_u32 v118, 20, v42
	s_delay_alu instid0(VALU_DEP_1) | instskip(NEXT) | instid1(VALU_DEP_2)
	v_lshlrev_b64_e64 v[18:19], v18, -1
	v_lshlrev_b64_e64 v[118:119], v118, 1
	s_delay_alu instid0(VALU_DEP_2) | instskip(SKIP_1) | instid1(VALU_DEP_4)
	v_bfi_b32 v18, v18, 0, v116
	v_lshrrev_b64 v[116:117], v42, v[116:117]
	v_bfi_b32 v19, v19, 0, 0
	s_delay_alu instid0(VALU_DEP_1) | instskip(NEXT) | instid1(VALU_DEP_3)
	v_cmp_eq_u64_e64 s13, v[18:19], v[118:119]
	v_mov_b64_e32 v[118:119], v[116:117]
	s_and_saveexec_b32 s76, s13
; %bb.10269:                            ;   in Loop: Header=BB2_10213 Depth=3
	v_bfe_u32 v18, v116, 21, 1
	v_mov_b32_e32 v19, v3
	s_delay_alu instid0(VALU_DEP_1) | instskip(NEXT) | instid1(VALU_DEP_1)
	v_add_nc_u64_e32 v[18:19], v[116:117], v[18:19]
	v_add_nc_u64_e32 v[118:119], -1, v[18:19]
; %bb.10270:                            ;   in Loop: Header=BB2_10213 Depth=3
	s_or_b32 exec_lo, exec_lo, s76
	v_add_nc_u32_e32 v2, 0xffffff81, v41
	s_delay_alu instid0(VALU_DEP_2) | instskip(SKIP_2) | instid1(VALU_DEP_3)
	v_and_b32_e32 v19, 0x1fffff, v118
	v_lshrrev_b32_e32 v18, 23, v116
	s_mov_b32 s13, exec_lo
                                        ; implicit-def: $vgpr118
	v_cndmask_b32_e64 v2, v2, 0xffffff82, vcc_lo
	s_delay_alu instid0(VALU_DEP_1) | instskip(SKIP_1) | instid1(VALU_DEP_2)
	v_add3_u32 v119, v42, v2, v18
	v_add_nc_u32_e32 v2, v19, v116
                                        ; implicit-def: $vgpr116_vgpr117
	v_add_nc_u32_e32 v41, 14, v119
	s_delay_alu instid0(VALU_DEP_1)
	v_cmpx_ne_u32_e32 0, v41
	s_xor_b32 s13, exec_lo, s13
; %bb.10271:                            ;   in Loop: Header=BB2_10213 Depth=3
	s_delay_alu instid0(VALU_DEP_3) | instskip(SKIP_1) | instid1(VALU_DEP_1)
	v_cmp_lt_u64_e32 vcc_lo, 0xffffff, v[2:3]
	v_add_nc_u32_e32 v18, 15, v119
	v_cndmask_b32_e32 v118, v41, v18, vcc_lo
	v_cndmask_b32_e64 v18, 0, 1, vcc_lo
	s_delay_alu instid0(VALU_DEP_1)
	v_lshrrev_b64 v[116:117], v18, v[2:3]
; %bb.10272:                            ;   in Loop: Header=BB2_10213 Depth=3
	s_and_not1_saveexec_b32 s13, s13
; %bb.10273:                            ;   in Loop: Header=BB2_10213 Depth=3
	v_mov_b64_e32 v[116:117], v[2:3]
	v_bfe_u32 v118, v2, 23, 1
; %bb.10274:                            ;   in Loop: Header=BB2_10213 Depth=3
	s_or_b32 exec_lo, exec_lo, s13
	s_delay_alu instid0(VALU_DEP_2) | instskip(NEXT) | instid1(VALU_DEP_2)
	v_lshrrev_b64 v[18:19], 21, v[116:117]
	v_cmp_gt_i32_e32 vcc_lo, 32, v118
	v_cmp_ne_u32_e64 s13, 0, v118
                                        ; implicit-def: $vgpr60
	s_delay_alu instid0(VALU_DEP_3) | instskip(NEXT) | instid1(VALU_DEP_1)
	v_dual_cndmask_b32 v117, 0, v19 :: v_dual_cndmask_b32 v116, 3, v18
	v_cmp_ne_u64_e32 vcc_lo, 0, v[116:117]
	s_or_b32 s13, s13, vcc_lo
	s_delay_alu instid0(SALU_CYCLE_1) | instskip(NEXT) | instid1(SALU_CYCLE_1)
	s_and_saveexec_b32 s76, s13
	s_xor_b32 s13, exec_lo, s76
; %bb.10275:                            ;   in Loop: Header=BB2_10213 Depth=3
	v_min_i32_e32 v2, 31, v118
	s_delay_alu instid0(VALU_DEP_1) | instskip(NEXT) | instid1(VALU_DEP_1)
	v_lshl_or_b32 v2, v2, 2, v40
                                        ; implicit-def: $vgpr40
	v_and_or_b32 v60, v116, 3, v2
; %bb.10276:                            ;   in Loop: Header=BB2_10213 Depth=3
	s_and_not1_saveexec_b32 s13, s13
; %bb.10277:                            ;   in Loop: Header=BB2_10213 Depth=3
	v_mov_b32_e32 v60, v40
; %bb.10278:                            ;   in Loop: Header=BB2_10213 Depth=3
	s_or_b32 exec_lo, exec_lo, s13
.LBB2_10279:                            ;   in Loop: Header=BB2_10213 Depth=3
	s_delay_alu instid0(SALU_CYCLE_1)
	s_or_b32 exec_lo, exec_lo, s75
                                        ; implicit-def: $vgpr40
.LBB2_10280:                            ;   in Loop: Header=BB2_10213 Depth=3
	s_and_not1_saveexec_b32 s13, s15
; %bb.10281:                            ;   in Loop: Header=BB2_10213 Depth=3
	v_or_b32_e32 v60, 0x7b, v40
; %bb.10282:                            ;   in Loop: Header=BB2_10213 Depth=3
	s_or_b32 exec_lo, exec_lo, s13
                                        ; implicit-def: $vgpr116
.LBB2_10283:                            ;   in Loop: Header=BB2_10213 Depth=3
	s_and_not1_saveexec_b32 s13, s14
	s_cbranch_execz .LBB2_10289
; %bb.10284:                            ;   in Loop: Header=BB2_10213 Depth=3
	s_mov_b32 s14, exec_lo
                                        ; implicit-def: $vgpr60
	v_cmpx_ne_u64_e32 0, v[2:3]
	s_xor_b32 s14, exec_lo, s14
; %bb.10285:                            ;   in Loop: Header=BB2_10213 Depth=3
	v_lshrrev_b32_e32 v2, 24, v116
                                        ; implicit-def: $vgpr116
	s_delay_alu instid0(VALU_DEP_1)
	v_or_b32_e32 v60, 0x7f, v2
; %bb.10286:                            ;   in Loop: Header=BB2_10213 Depth=3
	s_and_not1_saveexec_b32 s14, s14
; %bb.10287:                            ;   in Loop: Header=BB2_10213 Depth=3
	v_cmp_lt_i32_e32 vcc_lo, -1, v116
	v_cndmask_b32_e64 v60, -4, 0x7c, vcc_lo
; %bb.10288:                            ;   in Loop: Header=BB2_10213 Depth=3
	s_or_b32 exec_lo, exec_lo, s14
.LBB2_10289:                            ;   in Loop: Header=BB2_10213 Depth=3
	s_delay_alu instid0(SALU_CYCLE_1)
	s_or_b32 exec_lo, exec_lo, s13
	flat_load_i8 v116, v[8:9] offset:64 th:TH_LOAD_NT
	v_mov_b32_e32 v117, 0
	s_mov_b32 s13, exec_lo
	s_wait_loadcnt_dscnt 0x0
	v_cmpx_ne_u16_e32 0, v116
	s_cbranch_execz .LBB2_10299
; %bb.10290:                            ;   in Loop: Header=BB2_10213 Depth=3
	v_bfrev_b32_e32 v117, 1
	s_mov_b32 s14, exec_lo
	v_cmpx_ne_u16_e32 0xff80, v116
	s_cbranch_execz .LBB2_10298
; %bb.10291:                            ;   in Loop: Header=BB2_10213 Depth=3
	v_and_b32_e32 v18, 0x7c, v116
	v_and_b32_e32 v2, 3, v116
	s_mov_b32 s15, exec_lo
                                        ; implicit-def: $vgpr117
	s_delay_alu instid0(VALU_DEP_2)
	v_cmpx_ne_u32_e32 0x7c, v18
	s_xor_b32 s15, exec_lo, s15
	s_cbranch_execz .LBB2_10295
; %bb.10292:                            ;   in Loop: Header=BB2_10213 Depth=3
	v_and_b32_e32 v18, 0xff, v116
	s_mov_b32 s75, exec_lo
	s_delay_alu instid0(VALU_DEP_1) | instskip(NEXT) | instid1(VALU_DEP_1)
	v_bfe_u32 v117, v18, 2, 5
	v_cmpx_eq_u32_e32 0, v117
	s_cbranch_execz .LBB2_10294
; %bb.10293:                            ;   in Loop: Header=BB2_10213 Depth=3
	v_clz_i32_u32_e32 v2, v2
	v_mov_b32_e32 v117, v3
	s_delay_alu instid0(VALU_DEP_2) | instskip(NEXT) | instid1(VALU_DEP_1)
	v_min_u32_e32 v2, 32, v2
	v_subrev_nc_u32_e32 v18, 29, v2
	s_delay_alu instid0(VALU_DEP_1) | instskip(SKIP_1) | instid1(VALU_DEP_2)
	v_lshlrev_b64_e32 v[18:19], v18, v[116:117]
	v_sub_nc_u32_e32 v117, 30, v2
	v_and_b32_e32 v2, 3, v18
.LBB2_10294:                            ;   in Loop: Header=BB2_10213 Depth=3
	s_or_b32 exec_lo, exec_lo, s75
	v_bfe_i32 v18, v116, 0, 16
                                        ; implicit-def: $vgpr116
	s_delay_alu instid0(VALU_DEP_1) | instskip(NEXT) | instid1(VALU_DEP_1)
	v_and_b32_e32 v18, 0x80000000, v18
	v_lshl_add_u32 v18, v117, 23, v18
	s_delay_alu instid0(VALU_DEP_1) | instskip(NEXT) | instid1(VALU_DEP_1)
	v_lshl_or_b32 v2, v2, 21, v18
	v_add_nc_u32_e32 v117, 0x38000000, v2
                                        ; implicit-def: $vgpr2
.LBB2_10295:                            ;   in Loop: Header=BB2_10213 Depth=3
	s_and_not1_saveexec_b32 s15, s15
; %bb.10296:                            ;   in Loop: Header=BB2_10213 Depth=3
	v_cmp_lt_i16_e32 vcc_lo, -1, v116
	v_cndmask_b32_e32 v18, 0xff800000, v111, vcc_lo
	v_cmp_eq_u32_e32 vcc_lo, 0, v2
	s_delay_alu instid0(VALU_DEP_2)
	v_cndmask_b32_e32 v117, 0x7f800001, v18, vcc_lo
; %bb.10297:                            ;   in Loop: Header=BB2_10213 Depth=3
	s_or_b32 exec_lo, exec_lo, s15
.LBB2_10298:                            ;   in Loop: Header=BB2_10213 Depth=3
	s_delay_alu instid0(SALU_CYCLE_1)
	s_or_b32 exec_lo, exec_lo, s14
.LBB2_10299:                            ;   in Loop: Header=BB2_10213 Depth=3
	s_delay_alu instid0(SALU_CYCLE_1) | instskip(NEXT) | instid1(VALU_DEP_1)
	s_or_b32 exec_lo, exec_lo, s13
	v_dual_mul_f32 v116, s74, v117 :: v_dual_mov_b32 v19, v3
                                        ; implicit-def: $vgpr58
	s_mov_b32 s13, exec_lo
	s_delay_alu instid0(VALU_DEP_1) | instskip(SKIP_1) | instid1(VALU_DEP_2)
	v_and_b32_e32 v18, 0x7f800000, v116
	v_and_b32_e32 v2, 0x7fffff, v116
	v_cmpx_ne_u64_e32 0x7f800000, v[18:19]
	s_xor_b32 s14, exec_lo, s13
	s_cbranch_execz .LBB2_10317
; %bb.10300:                            ;   in Loop: Header=BB2_10213 Depth=3
	v_dual_mov_b32 v19, v3 :: v_dual_lshrrev_b32 v117, 24, v116
	v_and_b32_e32 v18, 0x7fffffff, v116
                                        ; implicit-def: $vgpr58
	s_mov_b32 s13, exec_lo
	s_delay_alu instid0(VALU_DEP_2) | instskip(NEXT) | instid1(VALU_DEP_2)
	v_and_b32_e32 v40, 0x80, v117
	v_cmpx_gt_u64_e32 0x47600001, v[18:19]
	s_xor_b32 s15, exec_lo, s13
	s_cbranch_execz .LBB2_10314
; %bb.10301:                            ;   in Loop: Header=BB2_10213 Depth=3
	v_mov_b32_e32 v58, 0
	s_mov_b32 s75, exec_lo
	v_cmpx_ne_u32_e32 0, v116
	s_cbranch_execz .LBB2_10313
; %bb.10302:                            ;   in Loop: Header=BB2_10213 Depth=3
	v_bfe_u32 v41, v116, 23, 8
	v_or_b32_e32 v116, 0x800000, v2
	s_delay_alu instid0(VALU_DEP_2) | instskip(SKIP_1) | instid1(VALU_DEP_2)
	v_dual_mov_b32 v117, v3 :: v_dual_sub_nc_u32 v18, 0x71, v41
	v_cmp_gt_u32_e32 vcc_lo, 0x72, v41
	v_cndmask_b32_e32 v18, 0, v18, vcc_lo
	v_cmp_eq_u32_e32 vcc_lo, 0, v41
	s_delay_alu instid0(VALU_DEP_2) | instskip(SKIP_1) | instid1(VALU_DEP_2)
	v_cndmask_b32_e64 v42, v18, 0x70, vcc_lo
	v_cndmask_b32_e32 v116, v116, v2, vcc_lo
	v_dual_add_nc_u32 v18, 21, v42 :: v_dual_add_nc_u32 v118, 20, v42
	s_delay_alu instid0(VALU_DEP_1) | instskip(NEXT) | instid1(VALU_DEP_2)
	v_lshlrev_b64_e64 v[18:19], v18, -1
	v_lshlrev_b64_e64 v[118:119], v118, 1
	s_delay_alu instid0(VALU_DEP_2) | instskip(SKIP_1) | instid1(VALU_DEP_4)
	v_bfi_b32 v18, v18, 0, v116
	v_lshrrev_b64 v[116:117], v42, v[116:117]
	v_bfi_b32 v19, v19, 0, 0
	s_delay_alu instid0(VALU_DEP_1) | instskip(NEXT) | instid1(VALU_DEP_3)
	v_cmp_eq_u64_e64 s13, v[18:19], v[118:119]
	v_mov_b64_e32 v[118:119], v[116:117]
	s_and_saveexec_b32 s76, s13
; %bb.10303:                            ;   in Loop: Header=BB2_10213 Depth=3
	v_bfe_u32 v18, v116, 21, 1
	v_mov_b32_e32 v19, v3
	s_delay_alu instid0(VALU_DEP_1) | instskip(NEXT) | instid1(VALU_DEP_1)
	v_add_nc_u64_e32 v[18:19], v[116:117], v[18:19]
	v_add_nc_u64_e32 v[118:119], -1, v[18:19]
; %bb.10304:                            ;   in Loop: Header=BB2_10213 Depth=3
	s_or_b32 exec_lo, exec_lo, s76
	v_add_nc_u32_e32 v2, 0xffffff81, v41
	s_delay_alu instid0(VALU_DEP_2) | instskip(SKIP_2) | instid1(VALU_DEP_3)
	v_and_b32_e32 v19, 0x1fffff, v118
	v_lshrrev_b32_e32 v18, 23, v116
	s_mov_b32 s13, exec_lo
                                        ; implicit-def: $vgpr118
	v_cndmask_b32_e64 v2, v2, 0xffffff82, vcc_lo
	s_delay_alu instid0(VALU_DEP_1) | instskip(SKIP_1) | instid1(VALU_DEP_2)
	v_add3_u32 v119, v42, v2, v18
	v_add_nc_u32_e32 v2, v19, v116
                                        ; implicit-def: $vgpr116_vgpr117
	v_add_nc_u32_e32 v41, 14, v119
	s_delay_alu instid0(VALU_DEP_1)
	v_cmpx_ne_u32_e32 0, v41
	s_xor_b32 s13, exec_lo, s13
; %bb.10305:                            ;   in Loop: Header=BB2_10213 Depth=3
	s_delay_alu instid0(VALU_DEP_3) | instskip(SKIP_1) | instid1(VALU_DEP_1)
	v_cmp_lt_u64_e32 vcc_lo, 0xffffff, v[2:3]
	v_add_nc_u32_e32 v18, 15, v119
	v_cndmask_b32_e32 v118, v41, v18, vcc_lo
	v_cndmask_b32_e64 v18, 0, 1, vcc_lo
	s_delay_alu instid0(VALU_DEP_1)
	v_lshrrev_b64 v[116:117], v18, v[2:3]
; %bb.10306:                            ;   in Loop: Header=BB2_10213 Depth=3
	s_and_not1_saveexec_b32 s13, s13
; %bb.10307:                            ;   in Loop: Header=BB2_10213 Depth=3
	v_mov_b64_e32 v[116:117], v[2:3]
	v_bfe_u32 v118, v2, 23, 1
; %bb.10308:                            ;   in Loop: Header=BB2_10213 Depth=3
	s_or_b32 exec_lo, exec_lo, s13
	s_delay_alu instid0(VALU_DEP_2) | instskip(NEXT) | instid1(VALU_DEP_2)
	v_lshrrev_b64 v[18:19], 21, v[116:117]
	v_cmp_gt_i32_e32 vcc_lo, 32, v118
	v_cmp_ne_u32_e64 s13, 0, v118
                                        ; implicit-def: $vgpr58
	s_delay_alu instid0(VALU_DEP_3) | instskip(NEXT) | instid1(VALU_DEP_1)
	v_dual_cndmask_b32 v117, 0, v19 :: v_dual_cndmask_b32 v116, 3, v18
	v_cmp_ne_u64_e32 vcc_lo, 0, v[116:117]
	s_or_b32 s13, s13, vcc_lo
	s_delay_alu instid0(SALU_CYCLE_1) | instskip(NEXT) | instid1(SALU_CYCLE_1)
	s_and_saveexec_b32 s76, s13
	s_xor_b32 s13, exec_lo, s76
; %bb.10309:                            ;   in Loop: Header=BB2_10213 Depth=3
	v_min_i32_e32 v2, 31, v118
	s_delay_alu instid0(VALU_DEP_1) | instskip(NEXT) | instid1(VALU_DEP_1)
	v_lshl_or_b32 v2, v2, 2, v40
                                        ; implicit-def: $vgpr40
	v_and_or_b32 v58, v116, 3, v2
; %bb.10310:                            ;   in Loop: Header=BB2_10213 Depth=3
	s_and_not1_saveexec_b32 s13, s13
; %bb.10311:                            ;   in Loop: Header=BB2_10213 Depth=3
	v_mov_b32_e32 v58, v40
; %bb.10312:                            ;   in Loop: Header=BB2_10213 Depth=3
	s_or_b32 exec_lo, exec_lo, s13
.LBB2_10313:                            ;   in Loop: Header=BB2_10213 Depth=3
	s_delay_alu instid0(SALU_CYCLE_1)
	s_or_b32 exec_lo, exec_lo, s75
                                        ; implicit-def: $vgpr40
.LBB2_10314:                            ;   in Loop: Header=BB2_10213 Depth=3
	s_and_not1_saveexec_b32 s13, s15
; %bb.10315:                            ;   in Loop: Header=BB2_10213 Depth=3
	v_or_b32_e32 v58, 0x7b, v40
; %bb.10316:                            ;   in Loop: Header=BB2_10213 Depth=3
	s_or_b32 exec_lo, exec_lo, s13
                                        ; implicit-def: $vgpr116
.LBB2_10317:                            ;   in Loop: Header=BB2_10213 Depth=3
	s_and_not1_saveexec_b32 s13, s14
	s_cbranch_execz .LBB2_10323
; %bb.10318:                            ;   in Loop: Header=BB2_10213 Depth=3
	s_mov_b32 s14, exec_lo
                                        ; implicit-def: $vgpr58
	v_cmpx_ne_u64_e32 0, v[2:3]
	s_xor_b32 s14, exec_lo, s14
; %bb.10319:                            ;   in Loop: Header=BB2_10213 Depth=3
	v_lshrrev_b32_e32 v2, 24, v116
                                        ; implicit-def: $vgpr116
	s_delay_alu instid0(VALU_DEP_1)
	v_or_b32_e32 v58, 0x7f, v2
; %bb.10320:                            ;   in Loop: Header=BB2_10213 Depth=3
	s_and_not1_saveexec_b32 s14, s14
; %bb.10321:                            ;   in Loop: Header=BB2_10213 Depth=3
	v_cmp_lt_i32_e32 vcc_lo, -1, v116
	v_cndmask_b32_e64 v58, -4, 0x7c, vcc_lo
; %bb.10322:                            ;   in Loop: Header=BB2_10213 Depth=3
	s_or_b32 exec_lo, exec_lo, s14
.LBB2_10323:                            ;   in Loop: Header=BB2_10213 Depth=3
	s_delay_alu instid0(SALU_CYCLE_1)
	s_or_b32 exec_lo, exec_lo, s13
	flat_load_i8 v116, v[8:9] offset:96 th:TH_LOAD_NT
	v_mov_b32_e32 v117, 0
	s_mov_b32 s13, exec_lo
	s_wait_loadcnt_dscnt 0x0
	v_cmpx_ne_u16_e32 0, v116
	s_cbranch_execz .LBB2_10333
; %bb.10324:                            ;   in Loop: Header=BB2_10213 Depth=3
	v_bfrev_b32_e32 v117, 1
	s_mov_b32 s14, exec_lo
	v_cmpx_ne_u16_e32 0xff80, v116
	s_cbranch_execz .LBB2_10332
; %bb.10325:                            ;   in Loop: Header=BB2_10213 Depth=3
	v_and_b32_e32 v18, 0x7c, v116
	v_and_b32_e32 v2, 3, v116
	s_mov_b32 s15, exec_lo
                                        ; implicit-def: $vgpr117
	s_delay_alu instid0(VALU_DEP_2)
	v_cmpx_ne_u32_e32 0x7c, v18
	s_xor_b32 s15, exec_lo, s15
	s_cbranch_execz .LBB2_10329
; %bb.10326:                            ;   in Loop: Header=BB2_10213 Depth=3
	v_and_b32_e32 v18, 0xff, v116
	s_mov_b32 s75, exec_lo
	s_delay_alu instid0(VALU_DEP_1) | instskip(NEXT) | instid1(VALU_DEP_1)
	v_bfe_u32 v117, v18, 2, 5
	v_cmpx_eq_u32_e32 0, v117
	s_cbranch_execz .LBB2_10328
; %bb.10327:                            ;   in Loop: Header=BB2_10213 Depth=3
	v_clz_i32_u32_e32 v2, v2
	v_mov_b32_e32 v117, v3
	s_delay_alu instid0(VALU_DEP_2) | instskip(NEXT) | instid1(VALU_DEP_1)
	v_min_u32_e32 v2, 32, v2
	v_subrev_nc_u32_e32 v18, 29, v2
	s_delay_alu instid0(VALU_DEP_1) | instskip(SKIP_1) | instid1(VALU_DEP_2)
	v_lshlrev_b64_e32 v[18:19], v18, v[116:117]
	v_sub_nc_u32_e32 v117, 30, v2
	v_and_b32_e32 v2, 3, v18
.LBB2_10328:                            ;   in Loop: Header=BB2_10213 Depth=3
	s_or_b32 exec_lo, exec_lo, s75
	v_bfe_i32 v18, v116, 0, 16
                                        ; implicit-def: $vgpr116
	s_delay_alu instid0(VALU_DEP_1) | instskip(NEXT) | instid1(VALU_DEP_1)
	v_and_b32_e32 v18, 0x80000000, v18
	v_lshl_add_u32 v18, v117, 23, v18
	s_delay_alu instid0(VALU_DEP_1) | instskip(NEXT) | instid1(VALU_DEP_1)
	v_lshl_or_b32 v2, v2, 21, v18
	v_add_nc_u32_e32 v117, 0x38000000, v2
                                        ; implicit-def: $vgpr2
.LBB2_10329:                            ;   in Loop: Header=BB2_10213 Depth=3
	s_and_not1_saveexec_b32 s15, s15
; %bb.10330:                            ;   in Loop: Header=BB2_10213 Depth=3
	v_cmp_lt_i16_e32 vcc_lo, -1, v116
	v_cndmask_b32_e32 v18, 0xff800000, v111, vcc_lo
	v_cmp_eq_u32_e32 vcc_lo, 0, v2
	s_delay_alu instid0(VALU_DEP_2)
	v_cndmask_b32_e32 v117, 0x7f800001, v18, vcc_lo
; %bb.10331:                            ;   in Loop: Header=BB2_10213 Depth=3
	s_or_b32 exec_lo, exec_lo, s15
.LBB2_10332:                            ;   in Loop: Header=BB2_10213 Depth=3
	s_delay_alu instid0(SALU_CYCLE_1)
	s_or_b32 exec_lo, exec_lo, s14
.LBB2_10333:                            ;   in Loop: Header=BB2_10213 Depth=3
	s_delay_alu instid0(SALU_CYCLE_1) | instskip(NEXT) | instid1(VALU_DEP_1)
	s_or_b32 exec_lo, exec_lo, s13
	v_dual_mul_f32 v116, s74, v117 :: v_dual_mov_b32 v19, v3
                                        ; implicit-def: $vgpr46
	s_mov_b32 s13, exec_lo
	s_delay_alu instid0(VALU_DEP_1) | instskip(SKIP_1) | instid1(VALU_DEP_2)
	v_and_b32_e32 v18, 0x7f800000, v116
	v_and_b32_e32 v2, 0x7fffff, v116
	v_cmpx_ne_u64_e32 0x7f800000, v[18:19]
	s_xor_b32 s14, exec_lo, s13
	s_cbranch_execz .LBB2_10351
; %bb.10334:                            ;   in Loop: Header=BB2_10213 Depth=3
	v_dual_mov_b32 v19, v3 :: v_dual_lshrrev_b32 v117, 24, v116
	v_and_b32_e32 v18, 0x7fffffff, v116
                                        ; implicit-def: $vgpr46
	s_mov_b32 s13, exec_lo
	s_delay_alu instid0(VALU_DEP_2) | instskip(NEXT) | instid1(VALU_DEP_2)
	v_and_b32_e32 v40, 0x80, v117
	v_cmpx_gt_u64_e32 0x47600001, v[18:19]
	s_xor_b32 s15, exec_lo, s13
	s_cbranch_execz .LBB2_10348
; %bb.10335:                            ;   in Loop: Header=BB2_10213 Depth=3
	v_mov_b32_e32 v46, 0
	s_mov_b32 s75, exec_lo
	v_cmpx_ne_u32_e32 0, v116
	s_cbranch_execz .LBB2_10347
; %bb.10336:                            ;   in Loop: Header=BB2_10213 Depth=3
	v_bfe_u32 v41, v116, 23, 8
	v_or_b32_e32 v116, 0x800000, v2
	s_delay_alu instid0(VALU_DEP_2) | instskip(SKIP_1) | instid1(VALU_DEP_2)
	v_dual_mov_b32 v117, v3 :: v_dual_sub_nc_u32 v18, 0x71, v41
	v_cmp_gt_u32_e32 vcc_lo, 0x72, v41
	v_cndmask_b32_e32 v18, 0, v18, vcc_lo
	v_cmp_eq_u32_e32 vcc_lo, 0, v41
	s_delay_alu instid0(VALU_DEP_2) | instskip(SKIP_1) | instid1(VALU_DEP_2)
	v_cndmask_b32_e64 v42, v18, 0x70, vcc_lo
	v_cndmask_b32_e32 v116, v116, v2, vcc_lo
	v_dual_add_nc_u32 v18, 21, v42 :: v_dual_add_nc_u32 v118, 20, v42
	s_delay_alu instid0(VALU_DEP_1) | instskip(NEXT) | instid1(VALU_DEP_2)
	v_lshlrev_b64_e64 v[18:19], v18, -1
	v_lshlrev_b64_e64 v[118:119], v118, 1
	s_delay_alu instid0(VALU_DEP_2) | instskip(SKIP_1) | instid1(VALU_DEP_4)
	v_bfi_b32 v18, v18, 0, v116
	v_lshrrev_b64 v[116:117], v42, v[116:117]
	v_bfi_b32 v19, v19, 0, 0
	s_delay_alu instid0(VALU_DEP_1) | instskip(NEXT) | instid1(VALU_DEP_3)
	v_cmp_eq_u64_e64 s13, v[18:19], v[118:119]
	v_mov_b64_e32 v[118:119], v[116:117]
	s_and_saveexec_b32 s76, s13
; %bb.10337:                            ;   in Loop: Header=BB2_10213 Depth=3
	v_bfe_u32 v18, v116, 21, 1
	v_mov_b32_e32 v19, v3
	s_delay_alu instid0(VALU_DEP_1) | instskip(NEXT) | instid1(VALU_DEP_1)
	v_add_nc_u64_e32 v[18:19], v[116:117], v[18:19]
	v_add_nc_u64_e32 v[118:119], -1, v[18:19]
; %bb.10338:                            ;   in Loop: Header=BB2_10213 Depth=3
	s_or_b32 exec_lo, exec_lo, s76
	v_add_nc_u32_e32 v2, 0xffffff81, v41
	s_delay_alu instid0(VALU_DEP_2) | instskip(SKIP_2) | instid1(VALU_DEP_3)
	v_and_b32_e32 v19, 0x1fffff, v118
	v_lshrrev_b32_e32 v18, 23, v116
	s_mov_b32 s13, exec_lo
                                        ; implicit-def: $vgpr118
	v_cndmask_b32_e64 v2, v2, 0xffffff82, vcc_lo
	s_delay_alu instid0(VALU_DEP_1) | instskip(SKIP_1) | instid1(VALU_DEP_2)
	v_add3_u32 v119, v42, v2, v18
	v_add_nc_u32_e32 v2, v19, v116
                                        ; implicit-def: $vgpr116_vgpr117
	v_add_nc_u32_e32 v41, 14, v119
	s_delay_alu instid0(VALU_DEP_1)
	v_cmpx_ne_u32_e32 0, v41
	s_xor_b32 s13, exec_lo, s13
; %bb.10339:                            ;   in Loop: Header=BB2_10213 Depth=3
	s_delay_alu instid0(VALU_DEP_3) | instskip(SKIP_1) | instid1(VALU_DEP_1)
	v_cmp_lt_u64_e32 vcc_lo, 0xffffff, v[2:3]
	v_add_nc_u32_e32 v18, 15, v119
	v_cndmask_b32_e32 v118, v41, v18, vcc_lo
	v_cndmask_b32_e64 v18, 0, 1, vcc_lo
	s_delay_alu instid0(VALU_DEP_1)
	v_lshrrev_b64 v[116:117], v18, v[2:3]
; %bb.10340:                            ;   in Loop: Header=BB2_10213 Depth=3
	s_and_not1_saveexec_b32 s13, s13
; %bb.10341:                            ;   in Loop: Header=BB2_10213 Depth=3
	v_mov_b64_e32 v[116:117], v[2:3]
	v_bfe_u32 v118, v2, 23, 1
; %bb.10342:                            ;   in Loop: Header=BB2_10213 Depth=3
	s_or_b32 exec_lo, exec_lo, s13
	s_delay_alu instid0(VALU_DEP_2) | instskip(NEXT) | instid1(VALU_DEP_2)
	v_lshrrev_b64 v[18:19], 21, v[116:117]
	v_cmp_gt_i32_e32 vcc_lo, 32, v118
	v_cmp_ne_u32_e64 s13, 0, v118
                                        ; implicit-def: $vgpr46
	s_delay_alu instid0(VALU_DEP_3) | instskip(NEXT) | instid1(VALU_DEP_1)
	v_dual_cndmask_b32 v117, 0, v19 :: v_dual_cndmask_b32 v116, 3, v18
	v_cmp_ne_u64_e32 vcc_lo, 0, v[116:117]
	s_or_b32 s13, s13, vcc_lo
	s_delay_alu instid0(SALU_CYCLE_1) | instskip(NEXT) | instid1(SALU_CYCLE_1)
	s_and_saveexec_b32 s76, s13
	s_xor_b32 s13, exec_lo, s76
; %bb.10343:                            ;   in Loop: Header=BB2_10213 Depth=3
	v_min_i32_e32 v2, 31, v118
	s_delay_alu instid0(VALU_DEP_1) | instskip(NEXT) | instid1(VALU_DEP_1)
	v_lshl_or_b32 v2, v2, 2, v40
                                        ; implicit-def: $vgpr40
	v_and_or_b32 v46, v116, 3, v2
; %bb.10344:                            ;   in Loop: Header=BB2_10213 Depth=3
	s_and_not1_saveexec_b32 s13, s13
; %bb.10345:                            ;   in Loop: Header=BB2_10213 Depth=3
	v_mov_b32_e32 v46, v40
; %bb.10346:                            ;   in Loop: Header=BB2_10213 Depth=3
	s_or_b32 exec_lo, exec_lo, s13
.LBB2_10347:                            ;   in Loop: Header=BB2_10213 Depth=3
	s_delay_alu instid0(SALU_CYCLE_1)
	s_or_b32 exec_lo, exec_lo, s75
                                        ; implicit-def: $vgpr40
.LBB2_10348:                            ;   in Loop: Header=BB2_10213 Depth=3
	s_and_not1_saveexec_b32 s13, s15
; %bb.10349:                            ;   in Loop: Header=BB2_10213 Depth=3
	v_or_b32_e32 v46, 0x7b, v40
; %bb.10350:                            ;   in Loop: Header=BB2_10213 Depth=3
	s_or_b32 exec_lo, exec_lo, s13
                                        ; implicit-def: $vgpr116
.LBB2_10351:                            ;   in Loop: Header=BB2_10213 Depth=3
	s_and_not1_saveexec_b32 s13, s14
	s_cbranch_execz .LBB2_10357
; %bb.10352:                            ;   in Loop: Header=BB2_10213 Depth=3
	s_mov_b32 s14, exec_lo
                                        ; implicit-def: $vgpr46
	v_cmpx_ne_u64_e32 0, v[2:3]
	s_xor_b32 s14, exec_lo, s14
; %bb.10353:                            ;   in Loop: Header=BB2_10213 Depth=3
	v_lshrrev_b32_e32 v2, 24, v116
                                        ; implicit-def: $vgpr116
	s_delay_alu instid0(VALU_DEP_1)
	v_or_b32_e32 v46, 0x7f, v2
; %bb.10354:                            ;   in Loop: Header=BB2_10213 Depth=3
	s_and_not1_saveexec_b32 s14, s14
; %bb.10355:                            ;   in Loop: Header=BB2_10213 Depth=3
	v_cmp_lt_i32_e32 vcc_lo, -1, v116
	v_cndmask_b32_e64 v46, -4, 0x7c, vcc_lo
; %bb.10356:                            ;   in Loop: Header=BB2_10213 Depth=3
	s_or_b32 exec_lo, exec_lo, s14
.LBB2_10357:                            ;   in Loop: Header=BB2_10213 Depth=3
	s_delay_alu instid0(SALU_CYCLE_1)
	s_or_b32 exec_lo, exec_lo, s13
	flat_load_i8 v116, v[8:9] offset:128 th:TH_LOAD_NT
	v_mov_b32_e32 v117, 0
	s_mov_b32 s13, exec_lo
	s_wait_loadcnt_dscnt 0x0
	v_cmpx_ne_u16_e32 0, v116
	s_cbranch_execz .LBB2_10367
; %bb.10358:                            ;   in Loop: Header=BB2_10213 Depth=3
	v_bfrev_b32_e32 v117, 1
	s_mov_b32 s14, exec_lo
	v_cmpx_ne_u16_e32 0xff80, v116
	s_cbranch_execz .LBB2_10366
; %bb.10359:                            ;   in Loop: Header=BB2_10213 Depth=3
	v_and_b32_e32 v18, 0x7c, v116
	v_and_b32_e32 v2, 3, v116
	s_mov_b32 s15, exec_lo
                                        ; implicit-def: $vgpr117
	s_delay_alu instid0(VALU_DEP_2)
	v_cmpx_ne_u32_e32 0x7c, v18
	s_xor_b32 s15, exec_lo, s15
	s_cbranch_execz .LBB2_10363
; %bb.10360:                            ;   in Loop: Header=BB2_10213 Depth=3
	v_and_b32_e32 v18, 0xff, v116
	s_mov_b32 s75, exec_lo
	s_delay_alu instid0(VALU_DEP_1) | instskip(NEXT) | instid1(VALU_DEP_1)
	v_bfe_u32 v117, v18, 2, 5
	v_cmpx_eq_u32_e32 0, v117
	s_cbranch_execz .LBB2_10362
; %bb.10361:                            ;   in Loop: Header=BB2_10213 Depth=3
	v_clz_i32_u32_e32 v2, v2
	v_mov_b32_e32 v117, v3
	s_delay_alu instid0(VALU_DEP_2) | instskip(NEXT) | instid1(VALU_DEP_1)
	v_min_u32_e32 v2, 32, v2
	v_subrev_nc_u32_e32 v18, 29, v2
	s_delay_alu instid0(VALU_DEP_1) | instskip(SKIP_1) | instid1(VALU_DEP_2)
	v_lshlrev_b64_e32 v[18:19], v18, v[116:117]
	v_sub_nc_u32_e32 v117, 30, v2
	v_and_b32_e32 v2, 3, v18
.LBB2_10362:                            ;   in Loop: Header=BB2_10213 Depth=3
	s_or_b32 exec_lo, exec_lo, s75
	v_bfe_i32 v18, v116, 0, 16
                                        ; implicit-def: $vgpr116
	s_delay_alu instid0(VALU_DEP_1) | instskip(NEXT) | instid1(VALU_DEP_1)
	v_and_b32_e32 v18, 0x80000000, v18
	v_lshl_add_u32 v18, v117, 23, v18
	s_delay_alu instid0(VALU_DEP_1) | instskip(NEXT) | instid1(VALU_DEP_1)
	v_lshl_or_b32 v2, v2, 21, v18
	v_add_nc_u32_e32 v117, 0x38000000, v2
                                        ; implicit-def: $vgpr2
.LBB2_10363:                            ;   in Loop: Header=BB2_10213 Depth=3
	s_and_not1_saveexec_b32 s15, s15
; %bb.10364:                            ;   in Loop: Header=BB2_10213 Depth=3
	v_cmp_lt_i16_e32 vcc_lo, -1, v116
	v_cndmask_b32_e32 v18, 0xff800000, v111, vcc_lo
	v_cmp_eq_u32_e32 vcc_lo, 0, v2
	s_delay_alu instid0(VALU_DEP_2)
	v_cndmask_b32_e32 v117, 0x7f800001, v18, vcc_lo
; %bb.10365:                            ;   in Loop: Header=BB2_10213 Depth=3
	s_or_b32 exec_lo, exec_lo, s15
.LBB2_10366:                            ;   in Loop: Header=BB2_10213 Depth=3
	s_delay_alu instid0(SALU_CYCLE_1)
	s_or_b32 exec_lo, exec_lo, s14
.LBB2_10367:                            ;   in Loop: Header=BB2_10213 Depth=3
	s_delay_alu instid0(SALU_CYCLE_1) | instskip(NEXT) | instid1(VALU_DEP_1)
	s_or_b32 exec_lo, exec_lo, s13
	v_dual_mul_f32 v116, s74, v117 :: v_dual_mov_b32 v19, v3
                                        ; implicit-def: $vgpr44
	s_mov_b32 s13, exec_lo
	s_delay_alu instid0(VALU_DEP_1) | instskip(SKIP_1) | instid1(VALU_DEP_2)
	v_and_b32_e32 v18, 0x7f800000, v116
	v_and_b32_e32 v2, 0x7fffff, v116
	v_cmpx_ne_u64_e32 0x7f800000, v[18:19]
	s_xor_b32 s14, exec_lo, s13
	s_cbranch_execz .LBB2_10385
; %bb.10368:                            ;   in Loop: Header=BB2_10213 Depth=3
	v_dual_mov_b32 v19, v3 :: v_dual_lshrrev_b32 v117, 24, v116
	v_and_b32_e32 v18, 0x7fffffff, v116
                                        ; implicit-def: $vgpr44
	s_mov_b32 s13, exec_lo
	s_delay_alu instid0(VALU_DEP_2) | instskip(NEXT) | instid1(VALU_DEP_2)
	v_and_b32_e32 v40, 0x80, v117
	v_cmpx_gt_u64_e32 0x47600001, v[18:19]
	s_xor_b32 s15, exec_lo, s13
	s_cbranch_execz .LBB2_10382
; %bb.10369:                            ;   in Loop: Header=BB2_10213 Depth=3
	v_mov_b32_e32 v44, 0
	s_mov_b32 s75, exec_lo
	v_cmpx_ne_u32_e32 0, v116
	s_cbranch_execz .LBB2_10381
; %bb.10370:                            ;   in Loop: Header=BB2_10213 Depth=3
	v_bfe_u32 v41, v116, 23, 8
	v_or_b32_e32 v116, 0x800000, v2
	s_delay_alu instid0(VALU_DEP_2) | instskip(SKIP_1) | instid1(VALU_DEP_2)
	v_dual_mov_b32 v117, v3 :: v_dual_sub_nc_u32 v18, 0x71, v41
	v_cmp_gt_u32_e32 vcc_lo, 0x72, v41
	v_cndmask_b32_e32 v18, 0, v18, vcc_lo
	v_cmp_eq_u32_e32 vcc_lo, 0, v41
	s_delay_alu instid0(VALU_DEP_2) | instskip(SKIP_1) | instid1(VALU_DEP_2)
	v_cndmask_b32_e64 v42, v18, 0x70, vcc_lo
	v_cndmask_b32_e32 v116, v116, v2, vcc_lo
	v_dual_add_nc_u32 v18, 21, v42 :: v_dual_add_nc_u32 v118, 20, v42
	s_delay_alu instid0(VALU_DEP_1) | instskip(NEXT) | instid1(VALU_DEP_2)
	v_lshlrev_b64_e64 v[18:19], v18, -1
	v_lshlrev_b64_e64 v[118:119], v118, 1
	s_delay_alu instid0(VALU_DEP_2) | instskip(SKIP_1) | instid1(VALU_DEP_4)
	v_bfi_b32 v18, v18, 0, v116
	v_lshrrev_b64 v[116:117], v42, v[116:117]
	v_bfi_b32 v19, v19, 0, 0
	s_delay_alu instid0(VALU_DEP_1) | instskip(NEXT) | instid1(VALU_DEP_3)
	v_cmp_eq_u64_e64 s13, v[18:19], v[118:119]
	v_mov_b64_e32 v[118:119], v[116:117]
	s_and_saveexec_b32 s76, s13
; %bb.10371:                            ;   in Loop: Header=BB2_10213 Depth=3
	v_bfe_u32 v18, v116, 21, 1
	v_mov_b32_e32 v19, v3
	s_delay_alu instid0(VALU_DEP_1) | instskip(NEXT) | instid1(VALU_DEP_1)
	v_add_nc_u64_e32 v[18:19], v[116:117], v[18:19]
	v_add_nc_u64_e32 v[118:119], -1, v[18:19]
; %bb.10372:                            ;   in Loop: Header=BB2_10213 Depth=3
	s_or_b32 exec_lo, exec_lo, s76
	v_add_nc_u32_e32 v2, 0xffffff81, v41
	s_delay_alu instid0(VALU_DEP_2) | instskip(SKIP_2) | instid1(VALU_DEP_3)
	v_and_b32_e32 v19, 0x1fffff, v118
	v_lshrrev_b32_e32 v18, 23, v116
	s_mov_b32 s13, exec_lo
                                        ; implicit-def: $vgpr118
	v_cndmask_b32_e64 v2, v2, 0xffffff82, vcc_lo
	s_delay_alu instid0(VALU_DEP_1) | instskip(SKIP_1) | instid1(VALU_DEP_2)
	v_add3_u32 v119, v42, v2, v18
	v_add_nc_u32_e32 v2, v19, v116
                                        ; implicit-def: $vgpr116_vgpr117
	v_add_nc_u32_e32 v41, 14, v119
	s_delay_alu instid0(VALU_DEP_1)
	v_cmpx_ne_u32_e32 0, v41
	s_xor_b32 s13, exec_lo, s13
; %bb.10373:                            ;   in Loop: Header=BB2_10213 Depth=3
	s_delay_alu instid0(VALU_DEP_3) | instskip(SKIP_1) | instid1(VALU_DEP_1)
	v_cmp_lt_u64_e32 vcc_lo, 0xffffff, v[2:3]
	v_add_nc_u32_e32 v18, 15, v119
	v_cndmask_b32_e32 v118, v41, v18, vcc_lo
	v_cndmask_b32_e64 v18, 0, 1, vcc_lo
	s_delay_alu instid0(VALU_DEP_1)
	v_lshrrev_b64 v[116:117], v18, v[2:3]
; %bb.10374:                            ;   in Loop: Header=BB2_10213 Depth=3
	s_and_not1_saveexec_b32 s13, s13
; %bb.10375:                            ;   in Loop: Header=BB2_10213 Depth=3
	v_mov_b64_e32 v[116:117], v[2:3]
	v_bfe_u32 v118, v2, 23, 1
; %bb.10376:                            ;   in Loop: Header=BB2_10213 Depth=3
	s_or_b32 exec_lo, exec_lo, s13
	s_delay_alu instid0(VALU_DEP_2) | instskip(NEXT) | instid1(VALU_DEP_2)
	v_lshrrev_b64 v[18:19], 21, v[116:117]
	v_cmp_gt_i32_e32 vcc_lo, 32, v118
	v_cmp_ne_u32_e64 s13, 0, v118
                                        ; implicit-def: $vgpr44
	s_delay_alu instid0(VALU_DEP_3) | instskip(NEXT) | instid1(VALU_DEP_1)
	v_dual_cndmask_b32 v117, 0, v19 :: v_dual_cndmask_b32 v116, 3, v18
	v_cmp_ne_u64_e32 vcc_lo, 0, v[116:117]
	s_or_b32 s13, s13, vcc_lo
	s_delay_alu instid0(SALU_CYCLE_1) | instskip(NEXT) | instid1(SALU_CYCLE_1)
	s_and_saveexec_b32 s76, s13
	s_xor_b32 s13, exec_lo, s76
; %bb.10377:                            ;   in Loop: Header=BB2_10213 Depth=3
	v_min_i32_e32 v2, 31, v118
	s_delay_alu instid0(VALU_DEP_1) | instskip(NEXT) | instid1(VALU_DEP_1)
	v_lshl_or_b32 v2, v2, 2, v40
                                        ; implicit-def: $vgpr40
	v_and_or_b32 v44, v116, 3, v2
; %bb.10378:                            ;   in Loop: Header=BB2_10213 Depth=3
	s_and_not1_saveexec_b32 s13, s13
; %bb.10379:                            ;   in Loop: Header=BB2_10213 Depth=3
	v_mov_b32_e32 v44, v40
; %bb.10380:                            ;   in Loop: Header=BB2_10213 Depth=3
	s_or_b32 exec_lo, exec_lo, s13
.LBB2_10381:                            ;   in Loop: Header=BB2_10213 Depth=3
	s_delay_alu instid0(SALU_CYCLE_1)
	s_or_b32 exec_lo, exec_lo, s75
                                        ; implicit-def: $vgpr40
.LBB2_10382:                            ;   in Loop: Header=BB2_10213 Depth=3
	s_and_not1_saveexec_b32 s13, s15
; %bb.10383:                            ;   in Loop: Header=BB2_10213 Depth=3
	v_or_b32_e32 v44, 0x7b, v40
; %bb.10384:                            ;   in Loop: Header=BB2_10213 Depth=3
	s_or_b32 exec_lo, exec_lo, s13
                                        ; implicit-def: $vgpr116
.LBB2_10385:                            ;   in Loop: Header=BB2_10213 Depth=3
	s_and_not1_saveexec_b32 s13, s14
	s_cbranch_execz .LBB2_10391
; %bb.10386:                            ;   in Loop: Header=BB2_10213 Depth=3
	s_mov_b32 s14, exec_lo
                                        ; implicit-def: $vgpr44
	v_cmpx_ne_u64_e32 0, v[2:3]
	s_xor_b32 s14, exec_lo, s14
; %bb.10387:                            ;   in Loop: Header=BB2_10213 Depth=3
	v_lshrrev_b32_e32 v2, 24, v116
                                        ; implicit-def: $vgpr116
	s_delay_alu instid0(VALU_DEP_1)
	v_or_b32_e32 v44, 0x7f, v2
; %bb.10388:                            ;   in Loop: Header=BB2_10213 Depth=3
	s_and_not1_saveexec_b32 s14, s14
; %bb.10389:                            ;   in Loop: Header=BB2_10213 Depth=3
	v_cmp_lt_i32_e32 vcc_lo, -1, v116
	v_cndmask_b32_e64 v44, -4, 0x7c, vcc_lo
; %bb.10390:                            ;   in Loop: Header=BB2_10213 Depth=3
	s_or_b32 exec_lo, exec_lo, s14
.LBB2_10391:                            ;   in Loop: Header=BB2_10213 Depth=3
	s_delay_alu instid0(SALU_CYCLE_1)
	s_or_b32 exec_lo, exec_lo, s13
	flat_load_i8 v116, v[8:9] offset:160 th:TH_LOAD_NT
	v_mov_b32_e32 v117, 0
	s_mov_b32 s13, exec_lo
	s_wait_loadcnt_dscnt 0x0
	v_cmpx_ne_u16_e32 0, v116
	s_cbranch_execz .LBB2_10401
; %bb.10392:                            ;   in Loop: Header=BB2_10213 Depth=3
	v_bfrev_b32_e32 v117, 1
	s_mov_b32 s14, exec_lo
	v_cmpx_ne_u16_e32 0xff80, v116
	s_cbranch_execz .LBB2_10400
; %bb.10393:                            ;   in Loop: Header=BB2_10213 Depth=3
	v_and_b32_e32 v18, 0x7c, v116
	v_and_b32_e32 v2, 3, v116
	s_mov_b32 s15, exec_lo
                                        ; implicit-def: $vgpr117
	s_delay_alu instid0(VALU_DEP_2)
	v_cmpx_ne_u32_e32 0x7c, v18
	s_xor_b32 s15, exec_lo, s15
	s_cbranch_execz .LBB2_10397
; %bb.10394:                            ;   in Loop: Header=BB2_10213 Depth=3
	v_and_b32_e32 v18, 0xff, v116
	s_mov_b32 s75, exec_lo
	s_delay_alu instid0(VALU_DEP_1) | instskip(NEXT) | instid1(VALU_DEP_1)
	v_bfe_u32 v117, v18, 2, 5
	v_cmpx_eq_u32_e32 0, v117
	s_cbranch_execz .LBB2_10396
; %bb.10395:                            ;   in Loop: Header=BB2_10213 Depth=3
	v_clz_i32_u32_e32 v2, v2
	v_mov_b32_e32 v117, v3
	s_delay_alu instid0(VALU_DEP_2) | instskip(NEXT) | instid1(VALU_DEP_1)
	v_min_u32_e32 v2, 32, v2
	v_subrev_nc_u32_e32 v18, 29, v2
	s_delay_alu instid0(VALU_DEP_1) | instskip(SKIP_1) | instid1(VALU_DEP_2)
	v_lshlrev_b64_e32 v[18:19], v18, v[116:117]
	v_sub_nc_u32_e32 v117, 30, v2
	v_and_b32_e32 v2, 3, v18
.LBB2_10396:                            ;   in Loop: Header=BB2_10213 Depth=3
	s_or_b32 exec_lo, exec_lo, s75
	v_bfe_i32 v18, v116, 0, 16
                                        ; implicit-def: $vgpr116
	s_delay_alu instid0(VALU_DEP_1) | instskip(NEXT) | instid1(VALU_DEP_1)
	v_and_b32_e32 v18, 0x80000000, v18
	v_lshl_add_u32 v18, v117, 23, v18
	s_delay_alu instid0(VALU_DEP_1) | instskip(NEXT) | instid1(VALU_DEP_1)
	v_lshl_or_b32 v2, v2, 21, v18
	v_add_nc_u32_e32 v117, 0x38000000, v2
                                        ; implicit-def: $vgpr2
.LBB2_10397:                            ;   in Loop: Header=BB2_10213 Depth=3
	s_and_not1_saveexec_b32 s15, s15
; %bb.10398:                            ;   in Loop: Header=BB2_10213 Depth=3
	v_cmp_lt_i16_e32 vcc_lo, -1, v116
	v_cndmask_b32_e32 v18, 0xff800000, v111, vcc_lo
	v_cmp_eq_u32_e32 vcc_lo, 0, v2
	s_delay_alu instid0(VALU_DEP_2)
	v_cndmask_b32_e32 v117, 0x7f800001, v18, vcc_lo
; %bb.10399:                            ;   in Loop: Header=BB2_10213 Depth=3
	s_or_b32 exec_lo, exec_lo, s15
.LBB2_10400:                            ;   in Loop: Header=BB2_10213 Depth=3
	s_delay_alu instid0(SALU_CYCLE_1)
	s_or_b32 exec_lo, exec_lo, s14
.LBB2_10401:                            ;   in Loop: Header=BB2_10213 Depth=3
	s_delay_alu instid0(SALU_CYCLE_1) | instskip(NEXT) | instid1(VALU_DEP_1)
	s_or_b32 exec_lo, exec_lo, s13
	v_dual_mul_f32 v116, s74, v117 :: v_dual_mov_b32 v19, v3
                                        ; implicit-def: $vgpr42
	s_mov_b32 s13, exec_lo
	s_delay_alu instid0(VALU_DEP_1) | instskip(SKIP_1) | instid1(VALU_DEP_2)
	v_and_b32_e32 v18, 0x7f800000, v116
	v_and_b32_e32 v2, 0x7fffff, v116
	v_cmpx_ne_u64_e32 0x7f800000, v[18:19]
	s_xor_b32 s14, exec_lo, s13
	s_cbranch_execz .LBB2_10419
; %bb.10402:                            ;   in Loop: Header=BB2_10213 Depth=3
	v_dual_mov_b32 v19, v3 :: v_dual_lshrrev_b32 v117, 24, v116
	v_and_b32_e32 v18, 0x7fffffff, v116
                                        ; implicit-def: $vgpr42
	s_mov_b32 s13, exec_lo
	s_delay_alu instid0(VALU_DEP_2) | instskip(NEXT) | instid1(VALU_DEP_2)
	v_and_b32_e32 v40, 0x80, v117
	v_cmpx_gt_u64_e32 0x47600001, v[18:19]
	s_xor_b32 s15, exec_lo, s13
	s_cbranch_execz .LBB2_10416
; %bb.10403:                            ;   in Loop: Header=BB2_10213 Depth=3
	v_mov_b32_e32 v42, 0
	s_mov_b32 s75, exec_lo
	v_cmpx_ne_u32_e32 0, v116
	s_cbranch_execz .LBB2_10415
; %bb.10404:                            ;   in Loop: Header=BB2_10213 Depth=3
	v_bfe_u32 v41, v116, 23, 8
	v_or_b32_e32 v116, 0x800000, v2
	s_delay_alu instid0(VALU_DEP_2) | instskip(SKIP_1) | instid1(VALU_DEP_2)
	v_dual_mov_b32 v117, v3 :: v_dual_sub_nc_u32 v18, 0x71, v41
	v_cmp_gt_u32_e32 vcc_lo, 0x72, v41
	v_cndmask_b32_e32 v18, 0, v18, vcc_lo
	v_cmp_eq_u32_e32 vcc_lo, 0, v41
	s_delay_alu instid0(VALU_DEP_2) | instskip(SKIP_1) | instid1(VALU_DEP_2)
	v_cndmask_b32_e64 v42, v18, 0x70, vcc_lo
	v_cndmask_b32_e32 v116, v116, v2, vcc_lo
	v_dual_add_nc_u32 v18, 21, v42 :: v_dual_add_nc_u32 v118, 20, v42
	s_delay_alu instid0(VALU_DEP_1) | instskip(NEXT) | instid1(VALU_DEP_2)
	v_lshlrev_b64_e64 v[18:19], v18, -1
	v_lshlrev_b64_e64 v[118:119], v118, 1
	s_delay_alu instid0(VALU_DEP_2) | instskip(SKIP_1) | instid1(VALU_DEP_4)
	v_bfi_b32 v18, v18, 0, v116
	v_lshrrev_b64 v[116:117], v42, v[116:117]
	v_bfi_b32 v19, v19, 0, 0
	s_delay_alu instid0(VALU_DEP_1) | instskip(NEXT) | instid1(VALU_DEP_3)
	v_cmp_eq_u64_e64 s13, v[18:19], v[118:119]
	v_mov_b64_e32 v[118:119], v[116:117]
	s_and_saveexec_b32 s76, s13
; %bb.10405:                            ;   in Loop: Header=BB2_10213 Depth=3
	v_bfe_u32 v18, v116, 21, 1
	v_mov_b32_e32 v19, v3
	s_delay_alu instid0(VALU_DEP_1) | instskip(NEXT) | instid1(VALU_DEP_1)
	v_add_nc_u64_e32 v[18:19], v[116:117], v[18:19]
	v_add_nc_u64_e32 v[118:119], -1, v[18:19]
; %bb.10406:                            ;   in Loop: Header=BB2_10213 Depth=3
	s_or_b32 exec_lo, exec_lo, s76
	v_add_nc_u32_e32 v2, 0xffffff81, v41
	s_delay_alu instid0(VALU_DEP_2) | instskip(SKIP_2) | instid1(VALU_DEP_3)
	v_and_b32_e32 v19, 0x1fffff, v118
	v_lshrrev_b32_e32 v18, 23, v116
	s_mov_b32 s13, exec_lo
                                        ; implicit-def: $vgpr118
	v_cndmask_b32_e64 v2, v2, 0xffffff82, vcc_lo
	s_delay_alu instid0(VALU_DEP_1) | instskip(SKIP_1) | instid1(VALU_DEP_2)
	v_add3_u32 v119, v42, v2, v18
	v_add_nc_u32_e32 v2, v19, v116
                                        ; implicit-def: $vgpr116_vgpr117
	v_add_nc_u32_e32 v41, 14, v119
	s_delay_alu instid0(VALU_DEP_1)
	v_cmpx_ne_u32_e32 0, v41
	s_xor_b32 s13, exec_lo, s13
; %bb.10407:                            ;   in Loop: Header=BB2_10213 Depth=3
	s_delay_alu instid0(VALU_DEP_3) | instskip(SKIP_1) | instid1(VALU_DEP_1)
	v_cmp_lt_u64_e32 vcc_lo, 0xffffff, v[2:3]
	v_add_nc_u32_e32 v18, 15, v119
	v_cndmask_b32_e32 v118, v41, v18, vcc_lo
	v_cndmask_b32_e64 v18, 0, 1, vcc_lo
	s_delay_alu instid0(VALU_DEP_1)
	v_lshrrev_b64 v[116:117], v18, v[2:3]
; %bb.10408:                            ;   in Loop: Header=BB2_10213 Depth=3
	s_and_not1_saveexec_b32 s13, s13
; %bb.10409:                            ;   in Loop: Header=BB2_10213 Depth=3
	v_mov_b64_e32 v[116:117], v[2:3]
	v_bfe_u32 v118, v2, 23, 1
; %bb.10410:                            ;   in Loop: Header=BB2_10213 Depth=3
	s_or_b32 exec_lo, exec_lo, s13
	s_delay_alu instid0(VALU_DEP_2) | instskip(NEXT) | instid1(VALU_DEP_2)
	v_lshrrev_b64 v[18:19], 21, v[116:117]
	v_cmp_gt_i32_e32 vcc_lo, 32, v118
	v_cmp_ne_u32_e64 s13, 0, v118
                                        ; implicit-def: $vgpr42
	s_delay_alu instid0(VALU_DEP_3) | instskip(NEXT) | instid1(VALU_DEP_1)
	v_dual_cndmask_b32 v117, 0, v19 :: v_dual_cndmask_b32 v116, 3, v18
	v_cmp_ne_u64_e32 vcc_lo, 0, v[116:117]
	s_or_b32 s13, s13, vcc_lo
	s_delay_alu instid0(SALU_CYCLE_1) | instskip(NEXT) | instid1(SALU_CYCLE_1)
	s_and_saveexec_b32 s76, s13
	s_xor_b32 s13, exec_lo, s76
; %bb.10411:                            ;   in Loop: Header=BB2_10213 Depth=3
	v_min_i32_e32 v2, 31, v118
	s_delay_alu instid0(VALU_DEP_1) | instskip(NEXT) | instid1(VALU_DEP_1)
	v_lshl_or_b32 v2, v2, 2, v40
                                        ; implicit-def: $vgpr40
	v_and_or_b32 v42, v116, 3, v2
; %bb.10412:                            ;   in Loop: Header=BB2_10213 Depth=3
	s_and_not1_saveexec_b32 s13, s13
; %bb.10413:                            ;   in Loop: Header=BB2_10213 Depth=3
	v_mov_b32_e32 v42, v40
; %bb.10414:                            ;   in Loop: Header=BB2_10213 Depth=3
	s_or_b32 exec_lo, exec_lo, s13
.LBB2_10415:                            ;   in Loop: Header=BB2_10213 Depth=3
	s_delay_alu instid0(SALU_CYCLE_1)
	s_or_b32 exec_lo, exec_lo, s75
                                        ; implicit-def: $vgpr40
.LBB2_10416:                            ;   in Loop: Header=BB2_10213 Depth=3
	s_and_not1_saveexec_b32 s13, s15
; %bb.10417:                            ;   in Loop: Header=BB2_10213 Depth=3
	v_or_b32_e32 v42, 0x7b, v40
; %bb.10418:                            ;   in Loop: Header=BB2_10213 Depth=3
	s_or_b32 exec_lo, exec_lo, s13
                                        ; implicit-def: $vgpr116
.LBB2_10419:                            ;   in Loop: Header=BB2_10213 Depth=3
	s_and_not1_saveexec_b32 s13, s14
	s_cbranch_execz .LBB2_10425
; %bb.10420:                            ;   in Loop: Header=BB2_10213 Depth=3
	s_mov_b32 s14, exec_lo
                                        ; implicit-def: $vgpr42
	v_cmpx_ne_u64_e32 0, v[2:3]
	s_xor_b32 s14, exec_lo, s14
; %bb.10421:                            ;   in Loop: Header=BB2_10213 Depth=3
	v_lshrrev_b32_e32 v2, 24, v116
                                        ; implicit-def: $vgpr116
	s_delay_alu instid0(VALU_DEP_1)
	v_or_b32_e32 v42, 0x7f, v2
; %bb.10422:                            ;   in Loop: Header=BB2_10213 Depth=3
	s_and_not1_saveexec_b32 s14, s14
; %bb.10423:                            ;   in Loop: Header=BB2_10213 Depth=3
	v_cmp_lt_i32_e32 vcc_lo, -1, v116
	v_cndmask_b32_e64 v42, -4, 0x7c, vcc_lo
; %bb.10424:                            ;   in Loop: Header=BB2_10213 Depth=3
	s_or_b32 exec_lo, exec_lo, s14
.LBB2_10425:                            ;   in Loop: Header=BB2_10213 Depth=3
	s_delay_alu instid0(SALU_CYCLE_1)
	s_or_b32 exec_lo, exec_lo, s13
	flat_load_i8 v116, v[8:9] offset:192 th:TH_LOAD_NT
	v_mov_b32_e32 v117, 0
	s_mov_b32 s13, exec_lo
	s_wait_loadcnt_dscnt 0x0
	v_cmpx_ne_u16_e32 0, v116
	s_cbranch_execz .LBB2_10435
; %bb.10426:                            ;   in Loop: Header=BB2_10213 Depth=3
	v_bfrev_b32_e32 v117, 1
	s_mov_b32 s14, exec_lo
	v_cmpx_ne_u16_e32 0xff80, v116
	s_cbranch_execz .LBB2_10434
; %bb.10427:                            ;   in Loop: Header=BB2_10213 Depth=3
	v_and_b32_e32 v18, 0x7c, v116
	v_and_b32_e32 v2, 3, v116
	s_mov_b32 s15, exec_lo
                                        ; implicit-def: $vgpr117
	s_delay_alu instid0(VALU_DEP_2)
	v_cmpx_ne_u32_e32 0x7c, v18
	s_xor_b32 s15, exec_lo, s15
	s_cbranch_execz .LBB2_10431
; %bb.10428:                            ;   in Loop: Header=BB2_10213 Depth=3
	v_and_b32_e32 v18, 0xff, v116
	s_mov_b32 s75, exec_lo
	s_delay_alu instid0(VALU_DEP_1) | instskip(NEXT) | instid1(VALU_DEP_1)
	v_bfe_u32 v117, v18, 2, 5
	v_cmpx_eq_u32_e32 0, v117
	s_cbranch_execz .LBB2_10430
; %bb.10429:                            ;   in Loop: Header=BB2_10213 Depth=3
	v_clz_i32_u32_e32 v2, v2
	v_mov_b32_e32 v117, v3
	s_delay_alu instid0(VALU_DEP_2) | instskip(NEXT) | instid1(VALU_DEP_1)
	v_min_u32_e32 v2, 32, v2
	v_subrev_nc_u32_e32 v18, 29, v2
	s_delay_alu instid0(VALU_DEP_1) | instskip(SKIP_1) | instid1(VALU_DEP_2)
	v_lshlrev_b64_e32 v[18:19], v18, v[116:117]
	v_sub_nc_u32_e32 v117, 30, v2
	v_and_b32_e32 v2, 3, v18
.LBB2_10430:                            ;   in Loop: Header=BB2_10213 Depth=3
	s_or_b32 exec_lo, exec_lo, s75
	v_bfe_i32 v18, v116, 0, 16
                                        ; implicit-def: $vgpr116
	s_delay_alu instid0(VALU_DEP_1) | instskip(NEXT) | instid1(VALU_DEP_1)
	v_and_b32_e32 v18, 0x80000000, v18
	v_lshl_add_u32 v18, v117, 23, v18
	s_delay_alu instid0(VALU_DEP_1) | instskip(NEXT) | instid1(VALU_DEP_1)
	v_lshl_or_b32 v2, v2, 21, v18
	v_add_nc_u32_e32 v117, 0x38000000, v2
                                        ; implicit-def: $vgpr2
.LBB2_10431:                            ;   in Loop: Header=BB2_10213 Depth=3
	s_and_not1_saveexec_b32 s15, s15
; %bb.10432:                            ;   in Loop: Header=BB2_10213 Depth=3
	v_cmp_lt_i16_e32 vcc_lo, -1, v116
	v_cndmask_b32_e32 v18, 0xff800000, v111, vcc_lo
	v_cmp_eq_u32_e32 vcc_lo, 0, v2
	s_delay_alu instid0(VALU_DEP_2)
	v_cndmask_b32_e32 v117, 0x7f800001, v18, vcc_lo
; %bb.10433:                            ;   in Loop: Header=BB2_10213 Depth=3
	s_or_b32 exec_lo, exec_lo, s15
.LBB2_10434:                            ;   in Loop: Header=BB2_10213 Depth=3
	s_delay_alu instid0(SALU_CYCLE_1)
	s_or_b32 exec_lo, exec_lo, s14
.LBB2_10435:                            ;   in Loop: Header=BB2_10213 Depth=3
	s_delay_alu instid0(SALU_CYCLE_1) | instskip(NEXT) | instid1(VALU_DEP_1)
	s_or_b32 exec_lo, exec_lo, s13
	v_dual_mul_f32 v116, s74, v117 :: v_dual_mov_b32 v19, v3
                                        ; implicit-def: $vgpr40
	s_mov_b32 s13, exec_lo
	s_delay_alu instid0(VALU_DEP_1) | instskip(SKIP_1) | instid1(VALU_DEP_2)
	v_and_b32_e32 v18, 0x7f800000, v116
	v_and_b32_e32 v2, 0x7fffff, v116
	v_cmpx_ne_u64_e32 0x7f800000, v[18:19]
	s_xor_b32 s14, exec_lo, s13
	s_cbranch_execz .LBB2_10453
; %bb.10436:                            ;   in Loop: Header=BB2_10213 Depth=3
	v_dual_mov_b32 v19, v3 :: v_dual_lshrrev_b32 v117, 24, v116
	v_and_b32_e32 v18, 0x7fffffff, v116
                                        ; implicit-def: $vgpr40
	s_mov_b32 s13, exec_lo
	s_delay_alu instid0(VALU_DEP_2) | instskip(NEXT) | instid1(VALU_DEP_2)
	v_and_b32_e32 v41, 0x80, v117
	v_cmpx_gt_u64_e32 0x47600001, v[18:19]
	s_xor_b32 s15, exec_lo, s13
	s_cbranch_execz .LBB2_10450
; %bb.10437:                            ;   in Loop: Header=BB2_10213 Depth=3
	v_mov_b32_e32 v40, 0
	s_mov_b32 s75, exec_lo
	v_cmpx_ne_u32_e32 0, v116
	s_cbranch_execz .LBB2_10449
; %bb.10438:                            ;   in Loop: Header=BB2_10213 Depth=3
	v_bfe_u32 v40, v116, 23, 8
	v_or_b32_e32 v116, 0x800000, v2
	s_delay_alu instid0(VALU_DEP_2) | instskip(SKIP_1) | instid1(VALU_DEP_2)
	v_dual_mov_b32 v117, v3 :: v_dual_sub_nc_u32 v18, 0x71, v40
	v_cmp_gt_u32_e32 vcc_lo, 0x72, v40
	v_cndmask_b32_e32 v18, 0, v18, vcc_lo
	v_cmp_eq_u32_e32 vcc_lo, 0, v40
	s_delay_alu instid0(VALU_DEP_2) | instskip(NEXT) | instid1(VALU_DEP_1)
	v_cndmask_b32_e64 v43, v18, 0x70, vcc_lo
	v_dual_cndmask_b32 v116, v116, v2, vcc_lo :: v_dual_add_nc_u32 v18, 21, v43
	v_add_nc_u32_e32 v118, 20, v43
	s_delay_alu instid0(VALU_DEP_2) | instskip(NEXT) | instid1(VALU_DEP_2)
	v_lshlrev_b64_e64 v[18:19], v18, -1
	v_lshlrev_b64_e64 v[118:119], v118, 1
	s_delay_alu instid0(VALU_DEP_2) | instskip(SKIP_1) | instid1(VALU_DEP_4)
	v_bfi_b32 v18, v18, 0, v116
	v_lshrrev_b64 v[116:117], v43, v[116:117]
	v_bfi_b32 v19, v19, 0, 0
	s_delay_alu instid0(VALU_DEP_1) | instskip(NEXT) | instid1(VALU_DEP_3)
	v_cmp_eq_u64_e64 s13, v[18:19], v[118:119]
	v_mov_b64_e32 v[118:119], v[116:117]
	s_and_saveexec_b32 s76, s13
; %bb.10439:                            ;   in Loop: Header=BB2_10213 Depth=3
	v_bfe_u32 v18, v116, 21, 1
	v_mov_b32_e32 v19, v3
	s_delay_alu instid0(VALU_DEP_1) | instskip(NEXT) | instid1(VALU_DEP_1)
	v_add_nc_u64_e32 v[18:19], v[116:117], v[18:19]
	v_add_nc_u64_e32 v[118:119], -1, v[18:19]
; %bb.10440:                            ;   in Loop: Header=BB2_10213 Depth=3
	s_or_b32 exec_lo, exec_lo, s76
	v_add_nc_u32_e32 v2, 0xffffff81, v40
	s_delay_alu instid0(VALU_DEP_2) | instskip(SKIP_2) | instid1(VALU_DEP_3)
	v_and_b32_e32 v19, 0x1fffff, v118
	v_lshrrev_b32_e32 v18, 23, v116
	s_mov_b32 s13, exec_lo
                                        ; implicit-def: $vgpr118
	v_cndmask_b32_e64 v2, v2, 0xffffff82, vcc_lo
	s_delay_alu instid0(VALU_DEP_1) | instskip(SKIP_1) | instid1(VALU_DEP_2)
	v_add3_u32 v119, v43, v2, v18
	v_add_nc_u32_e32 v2, v19, v116
                                        ; implicit-def: $vgpr116_vgpr117
	v_add_nc_u32_e32 v40, 14, v119
	s_delay_alu instid0(VALU_DEP_1)
	v_cmpx_ne_u32_e32 0, v40
	s_xor_b32 s13, exec_lo, s13
; %bb.10441:                            ;   in Loop: Header=BB2_10213 Depth=3
	s_delay_alu instid0(VALU_DEP_3) | instskip(SKIP_1) | instid1(VALU_DEP_1)
	v_cmp_lt_u64_e32 vcc_lo, 0xffffff, v[2:3]
	v_add_nc_u32_e32 v18, 15, v119
	v_cndmask_b32_e32 v118, v40, v18, vcc_lo
	v_cndmask_b32_e64 v18, 0, 1, vcc_lo
	s_delay_alu instid0(VALU_DEP_1)
	v_lshrrev_b64 v[116:117], v18, v[2:3]
; %bb.10442:                            ;   in Loop: Header=BB2_10213 Depth=3
	s_and_not1_saveexec_b32 s13, s13
; %bb.10443:                            ;   in Loop: Header=BB2_10213 Depth=3
	v_mov_b64_e32 v[116:117], v[2:3]
	v_bfe_u32 v118, v2, 23, 1
; %bb.10444:                            ;   in Loop: Header=BB2_10213 Depth=3
	s_or_b32 exec_lo, exec_lo, s13
	s_delay_alu instid0(VALU_DEP_2) | instskip(NEXT) | instid1(VALU_DEP_2)
	v_lshrrev_b64 v[18:19], 21, v[116:117]
	v_cmp_gt_i32_e32 vcc_lo, 32, v118
	v_cmp_ne_u32_e64 s13, 0, v118
                                        ; implicit-def: $vgpr40
	s_delay_alu instid0(VALU_DEP_3) | instskip(NEXT) | instid1(VALU_DEP_1)
	v_dual_cndmask_b32 v117, 0, v19 :: v_dual_cndmask_b32 v116, 3, v18
	v_cmp_ne_u64_e32 vcc_lo, 0, v[116:117]
	s_or_b32 s13, s13, vcc_lo
	s_delay_alu instid0(SALU_CYCLE_1) | instskip(NEXT) | instid1(SALU_CYCLE_1)
	s_and_saveexec_b32 s76, s13
	s_xor_b32 s13, exec_lo, s76
; %bb.10445:                            ;   in Loop: Header=BB2_10213 Depth=3
	v_min_i32_e32 v2, 31, v118
	s_delay_alu instid0(VALU_DEP_1) | instskip(NEXT) | instid1(VALU_DEP_1)
	v_lshl_or_b32 v2, v2, 2, v41
                                        ; implicit-def: $vgpr41
	v_and_or_b32 v40, v116, 3, v2
; %bb.10446:                            ;   in Loop: Header=BB2_10213 Depth=3
	s_and_not1_saveexec_b32 s13, s13
; %bb.10447:                            ;   in Loop: Header=BB2_10213 Depth=3
	v_mov_b32_e32 v40, v41
; %bb.10448:                            ;   in Loop: Header=BB2_10213 Depth=3
	s_or_b32 exec_lo, exec_lo, s13
.LBB2_10449:                            ;   in Loop: Header=BB2_10213 Depth=3
	s_delay_alu instid0(SALU_CYCLE_1)
	s_or_b32 exec_lo, exec_lo, s75
                                        ; implicit-def: $vgpr41
.LBB2_10450:                            ;   in Loop: Header=BB2_10213 Depth=3
	s_and_not1_saveexec_b32 s13, s15
; %bb.10451:                            ;   in Loop: Header=BB2_10213 Depth=3
	v_or_b32_e32 v40, 0x7b, v41
; %bb.10452:                            ;   in Loop: Header=BB2_10213 Depth=3
	s_or_b32 exec_lo, exec_lo, s13
                                        ; implicit-def: $vgpr116
.LBB2_10453:                            ;   in Loop: Header=BB2_10213 Depth=3
	s_and_not1_saveexec_b32 s13, s14
	s_cbranch_execz .LBB2_10459
; %bb.10454:                            ;   in Loop: Header=BB2_10213 Depth=3
	s_mov_b32 s14, exec_lo
                                        ; implicit-def: $vgpr40
	v_cmpx_ne_u64_e32 0, v[2:3]
	s_xor_b32 s14, exec_lo, s14
; %bb.10455:                            ;   in Loop: Header=BB2_10213 Depth=3
	v_lshrrev_b32_e32 v2, 24, v116
                                        ; implicit-def: $vgpr116
	s_delay_alu instid0(VALU_DEP_1)
	v_or_b32_e32 v40, 0x7f, v2
; %bb.10456:                            ;   in Loop: Header=BB2_10213 Depth=3
	s_and_not1_saveexec_b32 s14, s14
; %bb.10457:                            ;   in Loop: Header=BB2_10213 Depth=3
	v_cmp_lt_i32_e32 vcc_lo, -1, v116
	v_cndmask_b32_e64 v40, -4, 0x7c, vcc_lo
; %bb.10458:                            ;   in Loop: Header=BB2_10213 Depth=3
	s_or_b32 exec_lo, exec_lo, s14
.LBB2_10459:                            ;   in Loop: Header=BB2_10213 Depth=3
	s_delay_alu instid0(SALU_CYCLE_1)
	s_or_b32 exec_lo, exec_lo, s13
	flat_load_i8 v116, v[8:9] offset:224 th:TH_LOAD_NT
	v_mov_b32_e32 v117, 0
	s_mov_b32 s13, exec_lo
	s_wait_loadcnt_dscnt 0x0
	v_cmpx_ne_u16_e32 0, v116
	s_cbranch_execz .LBB2_10469
; %bb.10460:                            ;   in Loop: Header=BB2_10213 Depth=3
	v_bfrev_b32_e32 v117, 1
	s_mov_b32 s14, exec_lo
	v_cmpx_ne_u16_e32 0xff80, v116
	s_cbranch_execz .LBB2_10468
; %bb.10461:                            ;   in Loop: Header=BB2_10213 Depth=3
	v_and_b32_e32 v18, 0x7c, v116
	v_and_b32_e32 v2, 3, v116
	s_mov_b32 s15, exec_lo
                                        ; implicit-def: $vgpr117
	s_delay_alu instid0(VALU_DEP_2)
	v_cmpx_ne_u32_e32 0x7c, v18
	s_xor_b32 s15, exec_lo, s15
	s_cbranch_execz .LBB2_10465
; %bb.10462:                            ;   in Loop: Header=BB2_10213 Depth=3
	v_and_b32_e32 v18, 0xff, v116
	s_mov_b32 s75, exec_lo
	s_delay_alu instid0(VALU_DEP_1) | instskip(NEXT) | instid1(VALU_DEP_1)
	v_bfe_u32 v117, v18, 2, 5
	v_cmpx_eq_u32_e32 0, v117
	s_cbranch_execz .LBB2_10464
; %bb.10463:                            ;   in Loop: Header=BB2_10213 Depth=3
	v_clz_i32_u32_e32 v2, v2
	v_mov_b32_e32 v117, v3
	s_delay_alu instid0(VALU_DEP_2) | instskip(NEXT) | instid1(VALU_DEP_1)
	v_min_u32_e32 v2, 32, v2
	v_subrev_nc_u32_e32 v18, 29, v2
	s_delay_alu instid0(VALU_DEP_1) | instskip(SKIP_1) | instid1(VALU_DEP_2)
	v_lshlrev_b64_e32 v[18:19], v18, v[116:117]
	v_sub_nc_u32_e32 v117, 30, v2
	v_and_b32_e32 v2, 3, v18
.LBB2_10464:                            ;   in Loop: Header=BB2_10213 Depth=3
	s_or_b32 exec_lo, exec_lo, s75
	v_bfe_i32 v18, v116, 0, 16
                                        ; implicit-def: $vgpr116
	s_delay_alu instid0(VALU_DEP_1) | instskip(NEXT) | instid1(VALU_DEP_1)
	v_and_b32_e32 v18, 0x80000000, v18
	v_lshl_add_u32 v18, v117, 23, v18
	s_delay_alu instid0(VALU_DEP_1) | instskip(NEXT) | instid1(VALU_DEP_1)
	v_lshl_or_b32 v2, v2, 21, v18
	v_add_nc_u32_e32 v117, 0x38000000, v2
                                        ; implicit-def: $vgpr2
.LBB2_10465:                            ;   in Loop: Header=BB2_10213 Depth=3
	s_and_not1_saveexec_b32 s15, s15
; %bb.10466:                            ;   in Loop: Header=BB2_10213 Depth=3
	v_cmp_lt_i16_e32 vcc_lo, -1, v116
	v_cndmask_b32_e32 v18, 0xff800000, v111, vcc_lo
	v_cmp_eq_u32_e32 vcc_lo, 0, v2
	s_delay_alu instid0(VALU_DEP_2)
	v_cndmask_b32_e32 v117, 0x7f800001, v18, vcc_lo
; %bb.10467:                            ;   in Loop: Header=BB2_10213 Depth=3
	s_or_b32 exec_lo, exec_lo, s15
.LBB2_10468:                            ;   in Loop: Header=BB2_10213 Depth=3
	s_delay_alu instid0(SALU_CYCLE_1)
	s_or_b32 exec_lo, exec_lo, s14
.LBB2_10469:                            ;   in Loop: Header=BB2_10213 Depth=3
	s_delay_alu instid0(SALU_CYCLE_1) | instskip(NEXT) | instid1(VALU_DEP_1)
	s_or_b32 exec_lo, exec_lo, s13
	v_dual_mul_f32 v117, s74, v117 :: v_dual_mov_b32 v19, v3
                                        ; implicit-def: $vgpr116
	s_mov_b32 s13, exec_lo
	s_delay_alu instid0(VALU_DEP_1) | instskip(SKIP_1) | instid1(VALU_DEP_2)
	v_and_b32_e32 v18, 0x7f800000, v117
	v_and_b32_e32 v2, 0x7fffff, v117
	v_cmpx_ne_u64_e32 0x7f800000, v[18:19]
	s_xor_b32 s14, exec_lo, s13
	s_cbranch_execz .LBB2_10487
; %bb.10470:                            ;   in Loop: Header=BB2_10213 Depth=3
	v_dual_mov_b32 v19, v3 :: v_dual_lshrrev_b32 v116, 24, v117
	v_and_b32_e32 v18, 0x7fffffff, v117
	s_mov_b32 s13, exec_lo
	s_delay_alu instid0(VALU_DEP_2) | instskip(NEXT) | instid1(VALU_DEP_2)
	v_and_b32_e32 v41, 0x80, v116
                                        ; implicit-def: $vgpr116
	v_cmpx_gt_u64_e32 0x47600001, v[18:19]
	s_xor_b32 s15, exec_lo, s13
	s_cbranch_execz .LBB2_10484
; %bb.10471:                            ;   in Loop: Header=BB2_10213 Depth=3
	v_mov_b32_e32 v116, 0
	s_mov_b32 s74, exec_lo
	v_cmpx_ne_u32_e32 0, v117
	s_cbranch_execz .LBB2_10483
; %bb.10472:                            ;   in Loop: Header=BB2_10213 Depth=3
	v_bfe_u32 v43, v117, 23, 8
	v_or_b32_e32 v116, 0x800000, v2
	s_delay_alu instid0(VALU_DEP_2) | instskip(SKIP_1) | instid1(VALU_DEP_2)
	v_dual_mov_b32 v117, v3 :: v_dual_sub_nc_u32 v18, 0x71, v43
	v_cmp_gt_u32_e32 vcc_lo, 0x72, v43
	v_cndmask_b32_e32 v18, 0, v18, vcc_lo
	v_cmp_eq_u32_e32 vcc_lo, 0, v43
	s_delay_alu instid0(VALU_DEP_2) | instskip(NEXT) | instid1(VALU_DEP_1)
	v_cndmask_b32_e64 v45, v18, 0x70, vcc_lo
	v_dual_cndmask_b32 v116, v116, v2, vcc_lo :: v_dual_add_nc_u32 v18, 21, v45
	v_add_nc_u32_e32 v118, 20, v45
	s_delay_alu instid0(VALU_DEP_2) | instskip(NEXT) | instid1(VALU_DEP_2)
	v_lshlrev_b64_e64 v[18:19], v18, -1
	v_lshlrev_b64_e64 v[118:119], v118, 1
	s_delay_alu instid0(VALU_DEP_2) | instskip(SKIP_1) | instid1(VALU_DEP_4)
	v_bfi_b32 v18, v18, 0, v116
	v_lshrrev_b64 v[116:117], v45, v[116:117]
	v_bfi_b32 v19, v19, 0, 0
	s_delay_alu instid0(VALU_DEP_1) | instskip(NEXT) | instid1(VALU_DEP_3)
	v_cmp_eq_u64_e64 s13, v[18:19], v[118:119]
	v_mov_b64_e32 v[118:119], v[116:117]
	s_and_saveexec_b32 s75, s13
; %bb.10473:                            ;   in Loop: Header=BB2_10213 Depth=3
	v_bfe_u32 v18, v116, 21, 1
	v_mov_b32_e32 v19, v3
	s_delay_alu instid0(VALU_DEP_1) | instskip(NEXT) | instid1(VALU_DEP_1)
	v_add_nc_u64_e32 v[18:19], v[116:117], v[18:19]
	v_add_nc_u64_e32 v[118:119], -1, v[18:19]
; %bb.10474:                            ;   in Loop: Header=BB2_10213 Depth=3
	s_or_b32 exec_lo, exec_lo, s75
	v_add_nc_u32_e32 v2, 0xffffff81, v43
	s_delay_alu instid0(VALU_DEP_2) | instskip(SKIP_2) | instid1(VALU_DEP_3)
	v_and_b32_e32 v19, 0x1fffff, v118
	v_lshrrev_b32_e32 v18, 23, v116
	s_mov_b32 s13, exec_lo
                                        ; implicit-def: $vgpr43
	v_cndmask_b32_e64 v2, v2, 0xffffff82, vcc_lo
	s_delay_alu instid0(VALU_DEP_1) | instskip(SKIP_1) | instid1(VALU_DEP_2)
	v_add3_u32 v118, v45, v2, v18
	v_add_nc_u32_e32 v2, v19, v116
                                        ; implicit-def: $vgpr116_vgpr117
	v_add_nc_u32_e32 v119, 14, v118
	s_delay_alu instid0(VALU_DEP_1)
	v_cmpx_ne_u32_e32 0, v119
	s_xor_b32 s13, exec_lo, s13
; %bb.10475:                            ;   in Loop: Header=BB2_10213 Depth=3
	s_delay_alu instid0(VALU_DEP_3) | instskip(SKIP_1) | instid1(VALU_DEP_1)
	v_cmp_lt_u64_e32 vcc_lo, 0xffffff, v[2:3]
	v_add_nc_u32_e32 v18, 15, v118
	v_cndmask_b32_e32 v43, v119, v18, vcc_lo
	v_cndmask_b32_e64 v18, 0, 1, vcc_lo
	s_delay_alu instid0(VALU_DEP_1)
	v_lshrrev_b64 v[116:117], v18, v[2:3]
; %bb.10476:                            ;   in Loop: Header=BB2_10213 Depth=3
	s_and_not1_saveexec_b32 s13, s13
; %bb.10477:                            ;   in Loop: Header=BB2_10213 Depth=3
	v_mov_b64_e32 v[116:117], v[2:3]
	v_bfe_u32 v43, v2, 23, 1
; %bb.10478:                            ;   in Loop: Header=BB2_10213 Depth=3
	s_or_b32 exec_lo, exec_lo, s13
	s_delay_alu instid0(VALU_DEP_2) | instskip(NEXT) | instid1(VALU_DEP_2)
	v_lshrrev_b64 v[18:19], 21, v[116:117]
	v_cmp_gt_i32_e32 vcc_lo, 32, v43
	v_cmp_ne_u32_e64 s13, 0, v43
                                        ; implicit-def: $vgpr116
	s_delay_alu instid0(VALU_DEP_3) | instskip(NEXT) | instid1(VALU_DEP_1)
	v_dual_cndmask_b32 v119, 0, v19 :: v_dual_cndmask_b32 v118, 3, v18
	v_cmp_ne_u64_e32 vcc_lo, 0, v[118:119]
	s_or_b32 s13, s13, vcc_lo
	s_delay_alu instid0(SALU_CYCLE_1) | instskip(NEXT) | instid1(SALU_CYCLE_1)
	s_and_saveexec_b32 s75, s13
	s_xor_b32 s13, exec_lo, s75
; %bb.10479:                            ;   in Loop: Header=BB2_10213 Depth=3
	v_min_i32_e32 v2, 31, v43
	s_delay_alu instid0(VALU_DEP_1) | instskip(NEXT) | instid1(VALU_DEP_1)
	v_lshl_or_b32 v2, v2, 2, v41
                                        ; implicit-def: $vgpr41
	v_and_or_b32 v116, v118, 3, v2
; %bb.10480:                            ;   in Loop: Header=BB2_10213 Depth=3
	s_and_not1_saveexec_b32 s13, s13
; %bb.10481:                            ;   in Loop: Header=BB2_10213 Depth=3
	v_mov_b32_e32 v116, v41
; %bb.10482:                            ;   in Loop: Header=BB2_10213 Depth=3
	s_or_b32 exec_lo, exec_lo, s13
.LBB2_10483:                            ;   in Loop: Header=BB2_10213 Depth=3
	s_delay_alu instid0(SALU_CYCLE_1)
	s_or_b32 exec_lo, exec_lo, s74
                                        ; implicit-def: $vgpr41
.LBB2_10484:                            ;   in Loop: Header=BB2_10213 Depth=3
	s_and_not1_saveexec_b32 s13, s15
; %bb.10485:                            ;   in Loop: Header=BB2_10213 Depth=3
	v_or_b32_e32 v116, 0x7b, v41
; %bb.10486:                            ;   in Loop: Header=BB2_10213 Depth=3
	s_or_b32 exec_lo, exec_lo, s13
                                        ; implicit-def: $vgpr117
.LBB2_10487:                            ;   in Loop: Header=BB2_10213 Depth=3
	s_and_not1_saveexec_b32 s13, s14
	s_cbranch_execz .LBB2_10493
; %bb.10488:                            ;   in Loop: Header=BB2_10213 Depth=3
	s_mov_b32 s14, exec_lo
                                        ; implicit-def: $vgpr116
	v_cmpx_ne_u64_e32 0, v[2:3]
	s_xor_b32 s14, exec_lo, s14
; %bb.10489:                            ;   in Loop: Header=BB2_10213 Depth=3
	v_lshrrev_b32_e32 v2, 24, v117
                                        ; implicit-def: $vgpr117
	s_delay_alu instid0(VALU_DEP_1)
	v_or_b32_e32 v116, 0x7f, v2
; %bb.10490:                            ;   in Loop: Header=BB2_10213 Depth=3
	s_and_not1_saveexec_b32 s14, s14
; %bb.10491:                            ;   in Loop: Header=BB2_10213 Depth=3
	v_cmp_lt_i32_e32 vcc_lo, -1, v117
	v_cndmask_b32_e64 v116, -4, 0x7c, vcc_lo
; %bb.10492:                            ;   in Loop: Header=BB2_10213 Depth=3
	s_or_b32 exec_lo, exec_lo, s14
.LBB2_10493:                            ;   in Loop: Header=BB2_10213 Depth=3
	s_delay_alu instid0(SALU_CYCLE_1)
	s_or_b32 exec_lo, exec_lo, s13
	s_clause 0x7
	flat_load_i8 v90, v[10:11] th:TH_LOAD_NT
	flat_load_i8 v88, v[10:11] offset:32 th:TH_LOAD_NT
	flat_load_i8 v78, v[10:11] offset:64 th:TH_LOAD_NT
	;; [unrolled: 1-line block ×7, first 2 shown]
	v_and_b32_e32 v41, 0xff, v62
	v_dual_mov_b32 v2, 0 :: v_dual_mov_b32 v117, 0
	s_mov_b32 s13, exec_lo
	s_wait_xcnt 0x0
	s_delay_alu instid0(VALU_DEP_2)
	v_cmpx_ne_u16_e32 0, v41
	s_cbranch_execz .LBB2_10503
; %bb.10494:                            ;   in Loop: Header=BB2_10213 Depth=3
	v_bfrev_b32_e32 v117, 1
	s_mov_b32 s14, exec_lo
	v_cmpx_ne_u16_e32 0x80, v41
	s_cbranch_execz .LBB2_10502
; %bb.10495:                            ;   in Loop: Header=BB2_10213 Depth=3
	v_and_b32_e32 v18, 0x7c, v62
	v_and_b32_e32 v119, 3, v62
	s_mov_b32 s15, exec_lo
                                        ; implicit-def: $vgpr117
	s_delay_alu instid0(VALU_DEP_2)
	v_cmpx_ne_u32_e32 0x7c, v18
	s_xor_b32 s15, exec_lo, s15
	s_cbranch_execz .LBB2_10499
; %bb.10496:                            ;   in Loop: Header=BB2_10213 Depth=3
	v_bfe_u32 v117, v41, 2, 5
	s_mov_b32 s74, exec_lo
	s_delay_alu instid0(VALU_DEP_1)
	v_cmpx_eq_u32_e32 0, v117
	s_cbranch_execz .LBB2_10498
; %bb.10497:                            ;   in Loop: Header=BB2_10213 Depth=3
	v_clz_i32_u32_e32 v18, v119
	s_delay_alu instid0(VALU_DEP_1) | instskip(SKIP_1) | instid1(VALU_DEP_2)
	v_min_u32_e32 v117, 32, v18
	v_mov_b32_e32 v63, v3
	v_subrev_nc_u32_e32 v18, 29, v117
	v_sub_nc_u32_e32 v117, 30, v117
	s_delay_alu instid0(VALU_DEP_2) | instskip(NEXT) | instid1(VALU_DEP_1)
	v_lshlrev_b64_e32 v[18:19], v18, v[62:63]
	v_and_b32_e32 v119, 3, v18
.LBB2_10498:                            ;   in Loop: Header=BB2_10213 Depth=3
	s_or_b32 exec_lo, exec_lo, s74
	v_lshlrev_b32_e32 v18, 24, v62
                                        ; implicit-def: $vgpr62
	s_delay_alu instid0(VALU_DEP_1) | instskip(NEXT) | instid1(VALU_DEP_1)
	v_and_b32_e32 v18, 0x80000000, v18
	v_lshl_add_u32 v18, v117, 23, v18
	s_delay_alu instid0(VALU_DEP_1) | instskip(NEXT) | instid1(VALU_DEP_1)
	v_lshl_or_b32 v18, v119, 21, v18
                                        ; implicit-def: $vgpr119
	v_add_nc_u32_e32 v117, 0x38000000, v18
.LBB2_10499:                            ;   in Loop: Header=BB2_10213 Depth=3
	s_and_not1_saveexec_b32 s15, s15
; %bb.10500:                            ;   in Loop: Header=BB2_10213 Depth=3
	v_bfe_i32 v18, v62, 0, 8
	s_delay_alu instid0(VALU_DEP_1) | instskip(SKIP_2) | instid1(VALU_DEP_2)
	v_cmp_lt_i16_e32 vcc_lo, -1, v18
	v_cndmask_b32_e32 v18, 0xff800000, v111, vcc_lo
	v_cmp_eq_u32_e32 vcc_lo, 0, v119
	v_cndmask_b32_e32 v117, 0x7f800001, v18, vcc_lo
; %bb.10501:                            ;   in Loop: Header=BB2_10213 Depth=3
	s_or_b32 exec_lo, exec_lo, s15
.LBB2_10502:                            ;   in Loop: Header=BB2_10213 Depth=3
	s_delay_alu instid0(SALU_CYCLE_1)
	s_or_b32 exec_lo, exec_lo, s14
.LBB2_10503:                            ;   in Loop: Header=BB2_10213 Depth=3
	s_delay_alu instid0(SALU_CYCLE_1) | instskip(NEXT) | instid1(SALU_CYCLE_1)
	s_or_b32 exec_lo, exec_lo, s13
	s_mov_b32 s13, exec_lo
	s_wait_loadcnt_dscnt 0x707
	v_cmpx_ne_u16_e32 0, v90
	s_cbranch_execz .LBB2_10513
; %bb.10504:                            ;   in Loop: Header=BB2_10213 Depth=3
	v_bfrev_b32_e32 v2, 1
	s_mov_b32 s14, exec_lo
	v_cmpx_ne_u16_e32 0xff80, v90
	s_cbranch_execz .LBB2_10512
; %bb.10505:                            ;   in Loop: Header=BB2_10213 Depth=3
	v_and_b32_e32 v2, 0x7c, v90
	v_and_b32_e32 v119, 3, v90
	s_delay_alu instid0(VALU_DEP_2) | instskip(SKIP_1) | instid1(SALU_CYCLE_1)
	v_cmp_ne_u32_e32 vcc_lo, 0x7c, v2
                                        ; implicit-def: $vgpr2
	s_and_saveexec_b32 s15, vcc_lo
	s_xor_b32 s15, exec_lo, s15
	s_cbranch_execz .LBB2_10509
; %bb.10506:                            ;   in Loop: Header=BB2_10213 Depth=3
	v_and_b32_e32 v2, 0xff, v90
	s_mov_b32 s74, exec_lo
	s_delay_alu instid0(VALU_DEP_1) | instskip(NEXT) | instid1(VALU_DEP_1)
	v_bfe_u32 v2, v2, 2, 5
	v_cmpx_eq_u32_e32 0, v2
	s_cbranch_execz .LBB2_10508
; %bb.10507:                            ;   in Loop: Header=BB2_10213 Depth=3
	v_clz_i32_u32_e32 v2, v119
	s_delay_alu instid0(VALU_DEP_1) | instskip(SKIP_1) | instid1(VALU_DEP_2)
	v_min_u32_e32 v2, 32, v2
	v_mov_b32_e32 v91, v3
	v_subrev_nc_u32_e32 v18, 29, v2
	v_sub_nc_u32_e32 v2, 30, v2
	s_delay_alu instid0(VALU_DEP_2) | instskip(NEXT) | instid1(VALU_DEP_1)
	v_lshlrev_b64_e32 v[18:19], v18, v[90:91]
	v_and_b32_e32 v119, 3, v18
.LBB2_10508:                            ;   in Loop: Header=BB2_10213 Depth=3
	s_or_b32 exec_lo, exec_lo, s74
	v_bfe_i32 v18, v90, 0, 16
                                        ; implicit-def: $vgpr90
	s_delay_alu instid0(VALU_DEP_1) | instskip(NEXT) | instid1(VALU_DEP_1)
	v_and_b32_e32 v18, 0x80000000, v18
	v_lshl_add_u32 v2, v2, 23, v18
	s_delay_alu instid0(VALU_DEP_1) | instskip(NEXT) | instid1(VALU_DEP_1)
	v_lshl_or_b32 v2, v119, 21, v2
                                        ; implicit-def: $vgpr119
	v_add_nc_u32_e32 v2, 0x38000000, v2
.LBB2_10509:                            ;   in Loop: Header=BB2_10213 Depth=3
	s_and_not1_saveexec_b32 s15, s15
; %bb.10510:                            ;   in Loop: Header=BB2_10213 Depth=3
	v_cmp_lt_i16_e32 vcc_lo, -1, v90
	v_cndmask_b32_e32 v2, 0xff800000, v111, vcc_lo
	v_cmp_eq_u32_e32 vcc_lo, 0, v119
	s_delay_alu instid0(VALU_DEP_2)
	v_cndmask_b32_e32 v2, 0x7f800001, v2, vcc_lo
; %bb.10511:                            ;   in Loop: Header=BB2_10213 Depth=3
	s_or_b32 exec_lo, exec_lo, s15
.LBB2_10512:                            ;   in Loop: Header=BB2_10213 Depth=3
	s_delay_alu instid0(SALU_CYCLE_1)
	s_or_b32 exec_lo, exec_lo, s14
.LBB2_10513:                            ;   in Loop: Header=BB2_10213 Depth=3
	s_delay_alu instid0(SALU_CYCLE_1) | instskip(NEXT) | instid1(VALU_DEP_1)
	s_or_b32 exec_lo, exec_lo, s13
	v_dual_add_f32 v119, v117, v2 :: v_dual_mov_b32 v19, v3
                                        ; implicit-def: $vgpr90
	s_mov_b32 s13, exec_lo
	s_delay_alu instid0(VALU_DEP_1) | instskip(SKIP_1) | instid1(VALU_DEP_2)
	v_and_b32_e32 v18, 0x7f800000, v119
	v_and_b32_e32 v2, 0x7fffff, v119
	v_cmpx_ne_u64_e32 0x7f800000, v[18:19]
	s_xor_b32 s14, exec_lo, s13
	s_cbranch_execz .LBB2_10531
; %bb.10514:                            ;   in Loop: Header=BB2_10213 Depth=3
	v_dual_mov_b32 v19, v3 :: v_dual_lshrrev_b32 v117, 24, v119
	v_and_b32_e32 v18, 0x7fffffff, v119
                                        ; implicit-def: $vgpr90
	s_mov_b32 s13, exec_lo
	s_delay_alu instid0(VALU_DEP_2) | instskip(NEXT) | instid1(VALU_DEP_2)
	v_and_b32_e32 v117, 0x80, v117
	v_cmpx_gt_u64_e32 0x47600001, v[18:19]
	s_xor_b32 s15, exec_lo, s13
	s_cbranch_execz .LBB2_10528
; %bb.10515:                            ;   in Loop: Header=BB2_10213 Depth=3
	v_mov_b32_e32 v90, 0
	s_mov_b32 s74, exec_lo
	v_cmpx_ne_u32_e32 0, v119
	s_cbranch_execz .LBB2_10527
; %bb.10516:                            ;   in Loop: Header=BB2_10213 Depth=3
	v_bfe_u32 v119, v119, 23, 8
	v_or_b32_e32 v43, 0x800000, v2
	s_delay_alu instid0(VALU_DEP_2) | instskip(SKIP_1) | instid1(VALU_DEP_2)
	v_dual_mov_b32 v63, v3 :: v_dual_sub_nc_u32 v18, 0x71, v119
	v_cmp_gt_u32_e32 vcc_lo, 0x72, v119
	v_cndmask_b32_e32 v18, 0, v18, vcc_lo
	v_cmp_eq_u32_e32 vcc_lo, 0, v119
	s_delay_alu instid0(VALU_DEP_2) | instskip(NEXT) | instid1(VALU_DEP_1)
	v_cndmask_b32_e64 v41, v18, 0x70, vcc_lo
	v_dual_cndmask_b32 v62, v43, v2, vcc_lo :: v_dual_add_nc_u32 v18, 21, v41
	v_add_nc_u32_e32 v45, 20, v41
	s_delay_alu instid0(VALU_DEP_2) | instskip(NEXT) | instid1(VALU_DEP_2)
	v_lshlrev_b64_e64 v[18:19], v18, -1
	v_lshlrev_b64_e64 v[90:91], v45, 1
	s_delay_alu instid0(VALU_DEP_2) | instskip(SKIP_1) | instid1(VALU_DEP_4)
	v_bfi_b32 v18, v18, 0, v62
	v_lshrrev_b64 v[62:63], v41, v[62:63]
	v_bfi_b32 v19, v19, 0, 0
	s_delay_alu instid0(VALU_DEP_1) | instskip(NEXT) | instid1(VALU_DEP_3)
	v_cmp_eq_u64_e64 s13, v[18:19], v[90:91]
	v_mov_b64_e32 v[90:91], v[62:63]
	s_and_saveexec_b32 s75, s13
; %bb.10517:                            ;   in Loop: Header=BB2_10213 Depth=3
	v_bfe_u32 v18, v62, 21, 1
	v_mov_b32_e32 v19, v3
	s_delay_alu instid0(VALU_DEP_1) | instskip(NEXT) | instid1(VALU_DEP_1)
	v_add_nc_u64_e32 v[18:19], v[62:63], v[18:19]
	v_add_nc_u64_e32 v[90:91], -1, v[18:19]
; %bb.10518:                            ;   in Loop: Header=BB2_10213 Depth=3
	s_or_b32 exec_lo, exec_lo, s75
	v_add_nc_u32_e32 v2, 0xffffff81, v119
	s_delay_alu instid0(VALU_DEP_2) | instskip(SKIP_2) | instid1(VALU_DEP_3)
	v_and_b32_e32 v19, 0x1fffff, v90
	v_lshrrev_b32_e32 v18, 23, v62
	s_mov_b32 s13, exec_lo
                                        ; implicit-def: $vgpr119
	v_cndmask_b32_e64 v2, v2, 0xffffff82, vcc_lo
	s_delay_alu instid0(VALU_DEP_1) | instskip(SKIP_1) | instid1(VALU_DEP_2)
	v_add3_u32 v41, v41, v2, v18
	v_add_nc_u32_e32 v2, v19, v62
                                        ; implicit-def: $vgpr62_vgpr63
	v_add_nc_u32_e32 v43, 14, v41
	s_delay_alu instid0(VALU_DEP_1)
	v_cmpx_ne_u32_e32 0, v43
	s_xor_b32 s13, exec_lo, s13
; %bb.10519:                            ;   in Loop: Header=BB2_10213 Depth=3
	s_delay_alu instid0(VALU_DEP_3) | instskip(SKIP_1) | instid1(VALU_DEP_1)
	v_cmp_lt_u64_e32 vcc_lo, 0xffffff, v[2:3]
	v_add_nc_u32_e32 v18, 15, v41
	v_cndmask_b32_e32 v119, v43, v18, vcc_lo
	v_cndmask_b32_e64 v18, 0, 1, vcc_lo
	s_delay_alu instid0(VALU_DEP_1)
	v_lshrrev_b64 v[62:63], v18, v[2:3]
; %bb.10520:                            ;   in Loop: Header=BB2_10213 Depth=3
	s_and_not1_saveexec_b32 s13, s13
; %bb.10521:                            ;   in Loop: Header=BB2_10213 Depth=3
	v_mov_b64_e32 v[62:63], v[2:3]
	v_bfe_u32 v119, v2, 23, 1
; %bb.10522:                            ;   in Loop: Header=BB2_10213 Depth=3
	s_or_b32 exec_lo, exec_lo, s13
	s_delay_alu instid0(VALU_DEP_2) | instskip(NEXT) | instid1(VALU_DEP_2)
	v_lshrrev_b64 v[18:19], 21, v[62:63]
	v_cmp_gt_i32_e32 vcc_lo, 32, v119
	v_cmp_ne_u32_e64 s13, 0, v119
                                        ; implicit-def: $vgpr90
	s_delay_alu instid0(VALU_DEP_3) | instskip(NEXT) | instid1(VALU_DEP_1)
	v_dual_cndmask_b32 v63, 0, v19 :: v_dual_cndmask_b32 v62, 3, v18
	v_cmp_ne_u64_e32 vcc_lo, 0, v[62:63]
	s_or_b32 s13, s13, vcc_lo
	s_delay_alu instid0(SALU_CYCLE_1) | instskip(NEXT) | instid1(SALU_CYCLE_1)
	s_and_saveexec_b32 s75, s13
	s_xor_b32 s13, exec_lo, s75
; %bb.10523:                            ;   in Loop: Header=BB2_10213 Depth=3
	v_min_i32_e32 v2, 31, v119
	s_delay_alu instid0(VALU_DEP_1) | instskip(NEXT) | instid1(VALU_DEP_1)
	v_lshl_or_b32 v2, v2, 2, v117
                                        ; implicit-def: $vgpr117
	v_and_or_b32 v90, v62, 3, v2
; %bb.10524:                            ;   in Loop: Header=BB2_10213 Depth=3
	s_and_not1_saveexec_b32 s13, s13
; %bb.10525:                            ;   in Loop: Header=BB2_10213 Depth=3
	v_mov_b32_e32 v90, v117
; %bb.10526:                            ;   in Loop: Header=BB2_10213 Depth=3
	s_or_b32 exec_lo, exec_lo, s13
.LBB2_10527:                            ;   in Loop: Header=BB2_10213 Depth=3
	s_delay_alu instid0(SALU_CYCLE_1)
	s_or_b32 exec_lo, exec_lo, s74
                                        ; implicit-def: $vgpr117
.LBB2_10528:                            ;   in Loop: Header=BB2_10213 Depth=3
	s_and_not1_saveexec_b32 s13, s15
; %bb.10529:                            ;   in Loop: Header=BB2_10213 Depth=3
	v_or_b32_e32 v90, 0x7b, v117
; %bb.10530:                            ;   in Loop: Header=BB2_10213 Depth=3
	s_or_b32 exec_lo, exec_lo, s13
                                        ; implicit-def: $vgpr119
.LBB2_10531:                            ;   in Loop: Header=BB2_10213 Depth=3
	s_and_not1_saveexec_b32 s13, s14
	s_cbranch_execz .LBB2_10537
; %bb.10532:                            ;   in Loop: Header=BB2_10213 Depth=3
	s_mov_b32 s14, exec_lo
                                        ; implicit-def: $vgpr90
	v_cmpx_ne_u64_e32 0, v[2:3]
	s_xor_b32 s14, exec_lo, s14
; %bb.10533:                            ;   in Loop: Header=BB2_10213 Depth=3
	v_lshrrev_b32_e32 v2, 24, v119
                                        ; implicit-def: $vgpr119
	s_delay_alu instid0(VALU_DEP_1)
	v_or_b32_e32 v90, 0x7f, v2
; %bb.10534:                            ;   in Loop: Header=BB2_10213 Depth=3
	s_and_not1_saveexec_b32 s14, s14
; %bb.10535:                            ;   in Loop: Header=BB2_10213 Depth=3
	v_cmp_lt_i32_e32 vcc_lo, -1, v119
	v_cndmask_b32_e64 v90, -4, 0x7c, vcc_lo
; %bb.10536:                            ;   in Loop: Header=BB2_10213 Depth=3
	s_or_b32 exec_lo, exec_lo, s14
.LBB2_10537:                            ;   in Loop: Header=BB2_10213 Depth=3
	s_delay_alu instid0(SALU_CYCLE_1) | instskip(SKIP_3) | instid1(VALU_DEP_2)
	s_or_b32 exec_lo, exec_lo, s13
	v_and_b32_e32 v41, 0xff, v60
	v_dual_mov_b32 v2, 0 :: v_dual_mov_b32 v117, 0
	s_mov_b32 s13, exec_lo
	v_cmpx_ne_u16_e32 0, v41
	s_cbranch_execz .LBB2_10547
; %bb.10538:                            ;   in Loop: Header=BB2_10213 Depth=3
	v_bfrev_b32_e32 v117, 1
	s_mov_b32 s14, exec_lo
	v_cmpx_ne_u16_e32 0x80, v41
	s_cbranch_execz .LBB2_10546
; %bb.10539:                            ;   in Loop: Header=BB2_10213 Depth=3
	v_and_b32_e32 v18, 0x7c, v60
	v_and_b32_e32 v119, 3, v60
	s_mov_b32 s15, exec_lo
                                        ; implicit-def: $vgpr117
	s_delay_alu instid0(VALU_DEP_2)
	v_cmpx_ne_u32_e32 0x7c, v18
	s_xor_b32 s15, exec_lo, s15
	s_cbranch_execz .LBB2_10543
; %bb.10540:                            ;   in Loop: Header=BB2_10213 Depth=3
	v_bfe_u32 v117, v41, 2, 5
	s_mov_b32 s74, exec_lo
	s_delay_alu instid0(VALU_DEP_1)
	v_cmpx_eq_u32_e32 0, v117
	s_cbranch_execz .LBB2_10542
; %bb.10541:                            ;   in Loop: Header=BB2_10213 Depth=3
	v_clz_i32_u32_e32 v18, v119
	s_delay_alu instid0(VALU_DEP_1) | instskip(SKIP_1) | instid1(VALU_DEP_2)
	v_min_u32_e32 v117, 32, v18
	v_mov_b32_e32 v61, v3
	v_subrev_nc_u32_e32 v18, 29, v117
	v_sub_nc_u32_e32 v117, 30, v117
	s_delay_alu instid0(VALU_DEP_2) | instskip(NEXT) | instid1(VALU_DEP_1)
	v_lshlrev_b64_e32 v[18:19], v18, v[60:61]
	v_and_b32_e32 v119, 3, v18
.LBB2_10542:                            ;   in Loop: Header=BB2_10213 Depth=3
	s_or_b32 exec_lo, exec_lo, s74
	v_lshlrev_b32_e32 v18, 24, v60
                                        ; implicit-def: $vgpr60
	s_delay_alu instid0(VALU_DEP_1) | instskip(NEXT) | instid1(VALU_DEP_1)
	v_and_b32_e32 v18, 0x80000000, v18
	v_lshl_add_u32 v18, v117, 23, v18
	s_delay_alu instid0(VALU_DEP_1) | instskip(NEXT) | instid1(VALU_DEP_1)
	v_lshl_or_b32 v18, v119, 21, v18
                                        ; implicit-def: $vgpr119
	v_add_nc_u32_e32 v117, 0x38000000, v18
.LBB2_10543:                            ;   in Loop: Header=BB2_10213 Depth=3
	s_and_not1_saveexec_b32 s15, s15
; %bb.10544:                            ;   in Loop: Header=BB2_10213 Depth=3
	v_bfe_i32 v18, v60, 0, 8
	s_delay_alu instid0(VALU_DEP_1) | instskip(SKIP_2) | instid1(VALU_DEP_2)
	v_cmp_lt_i16_e32 vcc_lo, -1, v18
	v_cndmask_b32_e32 v18, 0xff800000, v111, vcc_lo
	v_cmp_eq_u32_e32 vcc_lo, 0, v119
	v_cndmask_b32_e32 v117, 0x7f800001, v18, vcc_lo
; %bb.10545:                            ;   in Loop: Header=BB2_10213 Depth=3
	s_or_b32 exec_lo, exec_lo, s15
.LBB2_10546:                            ;   in Loop: Header=BB2_10213 Depth=3
	s_delay_alu instid0(SALU_CYCLE_1)
	s_or_b32 exec_lo, exec_lo, s14
.LBB2_10547:                            ;   in Loop: Header=BB2_10213 Depth=3
	s_delay_alu instid0(SALU_CYCLE_1) | instskip(NEXT) | instid1(SALU_CYCLE_1)
	s_or_b32 exec_lo, exec_lo, s13
	s_mov_b32 s13, exec_lo
	s_wait_loadcnt_dscnt 0x606
	v_cmpx_ne_u16_e32 0, v88
	s_cbranch_execz .LBB2_10557
; %bb.10548:                            ;   in Loop: Header=BB2_10213 Depth=3
	v_bfrev_b32_e32 v2, 1
	s_mov_b32 s14, exec_lo
	v_cmpx_ne_u16_e32 0xff80, v88
	s_cbranch_execz .LBB2_10556
; %bb.10549:                            ;   in Loop: Header=BB2_10213 Depth=3
	v_and_b32_e32 v2, 0x7c, v88
	v_and_b32_e32 v119, 3, v88
	s_delay_alu instid0(VALU_DEP_2) | instskip(SKIP_1) | instid1(SALU_CYCLE_1)
	v_cmp_ne_u32_e32 vcc_lo, 0x7c, v2
                                        ; implicit-def: $vgpr2
	s_and_saveexec_b32 s15, vcc_lo
	s_xor_b32 s15, exec_lo, s15
	s_cbranch_execz .LBB2_10553
; %bb.10550:                            ;   in Loop: Header=BB2_10213 Depth=3
	v_and_b32_e32 v2, 0xff, v88
	s_mov_b32 s74, exec_lo
	s_delay_alu instid0(VALU_DEP_1) | instskip(NEXT) | instid1(VALU_DEP_1)
	v_bfe_u32 v2, v2, 2, 5
	v_cmpx_eq_u32_e32 0, v2
	s_cbranch_execz .LBB2_10552
; %bb.10551:                            ;   in Loop: Header=BB2_10213 Depth=3
	v_clz_i32_u32_e32 v2, v119
	s_delay_alu instid0(VALU_DEP_1) | instskip(SKIP_1) | instid1(VALU_DEP_2)
	v_min_u32_e32 v2, 32, v2
	v_mov_b32_e32 v89, v3
	v_subrev_nc_u32_e32 v18, 29, v2
	v_sub_nc_u32_e32 v2, 30, v2
	s_delay_alu instid0(VALU_DEP_2) | instskip(NEXT) | instid1(VALU_DEP_1)
	v_lshlrev_b64_e32 v[18:19], v18, v[88:89]
	v_and_b32_e32 v119, 3, v18
.LBB2_10552:                            ;   in Loop: Header=BB2_10213 Depth=3
	s_or_b32 exec_lo, exec_lo, s74
	v_bfe_i32 v18, v88, 0, 16
                                        ; implicit-def: $vgpr88
	s_delay_alu instid0(VALU_DEP_1) | instskip(NEXT) | instid1(VALU_DEP_1)
	v_and_b32_e32 v18, 0x80000000, v18
	v_lshl_add_u32 v2, v2, 23, v18
	s_delay_alu instid0(VALU_DEP_1) | instskip(NEXT) | instid1(VALU_DEP_1)
	v_lshl_or_b32 v2, v119, 21, v2
                                        ; implicit-def: $vgpr119
	v_add_nc_u32_e32 v2, 0x38000000, v2
.LBB2_10553:                            ;   in Loop: Header=BB2_10213 Depth=3
	s_and_not1_saveexec_b32 s15, s15
; %bb.10554:                            ;   in Loop: Header=BB2_10213 Depth=3
	v_cmp_lt_i16_e32 vcc_lo, -1, v88
	v_cndmask_b32_e32 v2, 0xff800000, v111, vcc_lo
	v_cmp_eq_u32_e32 vcc_lo, 0, v119
	s_delay_alu instid0(VALU_DEP_2)
	v_cndmask_b32_e32 v2, 0x7f800001, v2, vcc_lo
; %bb.10555:                            ;   in Loop: Header=BB2_10213 Depth=3
	s_or_b32 exec_lo, exec_lo, s15
.LBB2_10556:                            ;   in Loop: Header=BB2_10213 Depth=3
	s_delay_alu instid0(SALU_CYCLE_1)
	s_or_b32 exec_lo, exec_lo, s14
.LBB2_10557:                            ;   in Loop: Header=BB2_10213 Depth=3
	s_delay_alu instid0(SALU_CYCLE_1) | instskip(NEXT) | instid1(VALU_DEP_1)
	s_or_b32 exec_lo, exec_lo, s13
	v_dual_add_f32 v119, v117, v2 :: v_dual_mov_b32 v19, v3
                                        ; implicit-def: $vgpr62
	s_mov_b32 s13, exec_lo
	s_delay_alu instid0(VALU_DEP_1) | instskip(SKIP_1) | instid1(VALU_DEP_2)
	v_and_b32_e32 v18, 0x7f800000, v119
	v_and_b32_e32 v2, 0x7fffff, v119
	v_cmpx_ne_u64_e32 0x7f800000, v[18:19]
	s_xor_b32 s14, exec_lo, s13
	s_cbranch_execz .LBB2_10575
; %bb.10558:                            ;   in Loop: Header=BB2_10213 Depth=3
	v_dual_mov_b32 v19, v3 :: v_dual_lshrrev_b32 v117, 24, v119
	v_and_b32_e32 v18, 0x7fffffff, v119
                                        ; implicit-def: $vgpr62
	s_mov_b32 s13, exec_lo
	s_delay_alu instid0(VALU_DEP_2) | instskip(NEXT) | instid1(VALU_DEP_2)
	v_and_b32_e32 v117, 0x80, v117
	v_cmpx_gt_u64_e32 0x47600001, v[18:19]
	s_xor_b32 s15, exec_lo, s13
	s_cbranch_execz .LBB2_10572
; %bb.10559:                            ;   in Loop: Header=BB2_10213 Depth=3
	v_mov_b32_e32 v62, 0
	s_mov_b32 s74, exec_lo
	v_cmpx_ne_u32_e32 0, v119
	s_cbranch_execz .LBB2_10571
; %bb.10560:                            ;   in Loop: Header=BB2_10213 Depth=3
	v_bfe_u32 v119, v119, 23, 8
	v_or_b32_e32 v43, 0x800000, v2
	s_delay_alu instid0(VALU_DEP_2) | instskip(SKIP_1) | instid1(VALU_DEP_2)
	v_dual_mov_b32 v61, v3 :: v_dual_sub_nc_u32 v18, 0x71, v119
	v_cmp_gt_u32_e32 vcc_lo, 0x72, v119
	v_cndmask_b32_e32 v18, 0, v18, vcc_lo
	v_cmp_eq_u32_e32 vcc_lo, 0, v119
	s_delay_alu instid0(VALU_DEP_2) | instskip(NEXT) | instid1(VALU_DEP_1)
	v_cndmask_b32_e64 v41, v18, 0x70, vcc_lo
	v_dual_cndmask_b32 v60, v43, v2, vcc_lo :: v_dual_add_nc_u32 v18, 21, v41
	v_add_nc_u32_e32 v45, 20, v41
	s_delay_alu instid0(VALU_DEP_2) | instskip(NEXT) | instid1(VALU_DEP_2)
	v_lshlrev_b64_e64 v[18:19], v18, -1
	v_lshlrev_b64_e64 v[62:63], v45, 1
	s_delay_alu instid0(VALU_DEP_2) | instskip(SKIP_1) | instid1(VALU_DEP_4)
	v_bfi_b32 v18, v18, 0, v60
	v_lshrrev_b64 v[60:61], v41, v[60:61]
	v_bfi_b32 v19, v19, 0, 0
	s_delay_alu instid0(VALU_DEP_1) | instskip(NEXT) | instid1(VALU_DEP_3)
	v_cmp_eq_u64_e64 s13, v[18:19], v[62:63]
	v_mov_b64_e32 v[62:63], v[60:61]
	s_and_saveexec_b32 s75, s13
; %bb.10561:                            ;   in Loop: Header=BB2_10213 Depth=3
	v_bfe_u32 v18, v60, 21, 1
	v_mov_b32_e32 v19, v3
	s_delay_alu instid0(VALU_DEP_1) | instskip(NEXT) | instid1(VALU_DEP_1)
	v_add_nc_u64_e32 v[18:19], v[60:61], v[18:19]
	v_add_nc_u64_e32 v[62:63], -1, v[18:19]
; %bb.10562:                            ;   in Loop: Header=BB2_10213 Depth=3
	s_or_b32 exec_lo, exec_lo, s75
	v_add_nc_u32_e32 v2, 0xffffff81, v119
	s_delay_alu instid0(VALU_DEP_2) | instskip(SKIP_2) | instid1(VALU_DEP_3)
	v_and_b32_e32 v19, 0x1fffff, v62
	v_lshrrev_b32_e32 v18, 23, v60
	s_mov_b32 s13, exec_lo
                                        ; implicit-def: $vgpr119
	v_cndmask_b32_e64 v2, v2, 0xffffff82, vcc_lo
	s_delay_alu instid0(VALU_DEP_1) | instskip(SKIP_1) | instid1(VALU_DEP_2)
	v_add3_u32 v41, v41, v2, v18
	v_add_nc_u32_e32 v2, v19, v60
                                        ; implicit-def: $vgpr60_vgpr61
	v_add_nc_u32_e32 v43, 14, v41
	s_delay_alu instid0(VALU_DEP_1)
	v_cmpx_ne_u32_e32 0, v43
	s_xor_b32 s13, exec_lo, s13
; %bb.10563:                            ;   in Loop: Header=BB2_10213 Depth=3
	s_delay_alu instid0(VALU_DEP_3) | instskip(SKIP_1) | instid1(VALU_DEP_1)
	v_cmp_lt_u64_e32 vcc_lo, 0xffffff, v[2:3]
	v_add_nc_u32_e32 v18, 15, v41
	v_cndmask_b32_e32 v119, v43, v18, vcc_lo
	v_cndmask_b32_e64 v18, 0, 1, vcc_lo
	s_delay_alu instid0(VALU_DEP_1)
	v_lshrrev_b64 v[60:61], v18, v[2:3]
; %bb.10564:                            ;   in Loop: Header=BB2_10213 Depth=3
	s_and_not1_saveexec_b32 s13, s13
; %bb.10565:                            ;   in Loop: Header=BB2_10213 Depth=3
	v_mov_b64_e32 v[60:61], v[2:3]
	v_bfe_u32 v119, v2, 23, 1
; %bb.10566:                            ;   in Loop: Header=BB2_10213 Depth=3
	s_or_b32 exec_lo, exec_lo, s13
	s_delay_alu instid0(VALU_DEP_2) | instskip(NEXT) | instid1(VALU_DEP_2)
	v_lshrrev_b64 v[18:19], 21, v[60:61]
	v_cmp_gt_i32_e32 vcc_lo, 32, v119
	v_cmp_ne_u32_e64 s13, 0, v119
                                        ; implicit-def: $vgpr62
	s_delay_alu instid0(VALU_DEP_3) | instskip(NEXT) | instid1(VALU_DEP_1)
	v_dual_cndmask_b32 v61, 0, v19 :: v_dual_cndmask_b32 v60, 3, v18
	v_cmp_ne_u64_e32 vcc_lo, 0, v[60:61]
	s_or_b32 s13, s13, vcc_lo
	s_delay_alu instid0(SALU_CYCLE_1) | instskip(NEXT) | instid1(SALU_CYCLE_1)
	s_and_saveexec_b32 s75, s13
	s_xor_b32 s13, exec_lo, s75
; %bb.10567:                            ;   in Loop: Header=BB2_10213 Depth=3
	v_min_i32_e32 v2, 31, v119
	s_delay_alu instid0(VALU_DEP_1) | instskip(NEXT) | instid1(VALU_DEP_1)
	v_lshl_or_b32 v2, v2, 2, v117
                                        ; implicit-def: $vgpr117
	v_and_or_b32 v62, v60, 3, v2
; %bb.10568:                            ;   in Loop: Header=BB2_10213 Depth=3
	s_and_not1_saveexec_b32 s13, s13
; %bb.10569:                            ;   in Loop: Header=BB2_10213 Depth=3
	v_mov_b32_e32 v62, v117
; %bb.10570:                            ;   in Loop: Header=BB2_10213 Depth=3
	s_or_b32 exec_lo, exec_lo, s13
.LBB2_10571:                            ;   in Loop: Header=BB2_10213 Depth=3
	s_delay_alu instid0(SALU_CYCLE_1)
	s_or_b32 exec_lo, exec_lo, s74
                                        ; implicit-def: $vgpr117
.LBB2_10572:                            ;   in Loop: Header=BB2_10213 Depth=3
	s_and_not1_saveexec_b32 s13, s15
; %bb.10573:                            ;   in Loop: Header=BB2_10213 Depth=3
	v_or_b32_e32 v62, 0x7b, v117
; %bb.10574:                            ;   in Loop: Header=BB2_10213 Depth=3
	s_or_b32 exec_lo, exec_lo, s13
                                        ; implicit-def: $vgpr119
.LBB2_10575:                            ;   in Loop: Header=BB2_10213 Depth=3
	s_and_not1_saveexec_b32 s13, s14
	s_cbranch_execz .LBB2_10581
; %bb.10576:                            ;   in Loop: Header=BB2_10213 Depth=3
	s_mov_b32 s14, exec_lo
                                        ; implicit-def: $vgpr62
	v_cmpx_ne_u64_e32 0, v[2:3]
	s_xor_b32 s14, exec_lo, s14
; %bb.10577:                            ;   in Loop: Header=BB2_10213 Depth=3
	v_lshrrev_b32_e32 v2, 24, v119
                                        ; implicit-def: $vgpr119
	s_delay_alu instid0(VALU_DEP_1)
	v_or_b32_e32 v62, 0x7f, v2
; %bb.10578:                            ;   in Loop: Header=BB2_10213 Depth=3
	s_and_not1_saveexec_b32 s14, s14
; %bb.10579:                            ;   in Loop: Header=BB2_10213 Depth=3
	v_cmp_lt_i32_e32 vcc_lo, -1, v119
	v_cndmask_b32_e64 v62, -4, 0x7c, vcc_lo
; %bb.10580:                            ;   in Loop: Header=BB2_10213 Depth=3
	s_or_b32 exec_lo, exec_lo, s14
.LBB2_10581:                            ;   in Loop: Header=BB2_10213 Depth=3
	s_delay_alu instid0(SALU_CYCLE_1) | instskip(SKIP_3) | instid1(VALU_DEP_2)
	s_or_b32 exec_lo, exec_lo, s13
	v_and_b32_e32 v41, 0xff, v58
	v_dual_mov_b32 v2, 0 :: v_dual_mov_b32 v117, 0
	s_mov_b32 s13, exec_lo
	v_cmpx_ne_u16_e32 0, v41
	s_cbranch_execz .LBB2_10591
; %bb.10582:                            ;   in Loop: Header=BB2_10213 Depth=3
	v_bfrev_b32_e32 v117, 1
	s_mov_b32 s14, exec_lo
	v_cmpx_ne_u16_e32 0x80, v41
	s_cbranch_execz .LBB2_10590
; %bb.10583:                            ;   in Loop: Header=BB2_10213 Depth=3
	v_and_b32_e32 v18, 0x7c, v58
	v_and_b32_e32 v119, 3, v58
	s_mov_b32 s15, exec_lo
                                        ; implicit-def: $vgpr117
	s_delay_alu instid0(VALU_DEP_2)
	v_cmpx_ne_u32_e32 0x7c, v18
	s_xor_b32 s15, exec_lo, s15
	s_cbranch_execz .LBB2_10587
; %bb.10584:                            ;   in Loop: Header=BB2_10213 Depth=3
	v_bfe_u32 v117, v41, 2, 5
	s_mov_b32 s74, exec_lo
	s_delay_alu instid0(VALU_DEP_1)
	v_cmpx_eq_u32_e32 0, v117
	s_cbranch_execz .LBB2_10586
; %bb.10585:                            ;   in Loop: Header=BB2_10213 Depth=3
	v_clz_i32_u32_e32 v18, v119
	s_delay_alu instid0(VALU_DEP_1) | instskip(SKIP_1) | instid1(VALU_DEP_2)
	v_min_u32_e32 v117, 32, v18
	v_mov_b32_e32 v59, v3
	v_subrev_nc_u32_e32 v18, 29, v117
	v_sub_nc_u32_e32 v117, 30, v117
	s_delay_alu instid0(VALU_DEP_2) | instskip(NEXT) | instid1(VALU_DEP_1)
	v_lshlrev_b64_e32 v[18:19], v18, v[58:59]
	v_and_b32_e32 v119, 3, v18
.LBB2_10586:                            ;   in Loop: Header=BB2_10213 Depth=3
	s_or_b32 exec_lo, exec_lo, s74
	v_lshlrev_b32_e32 v18, 24, v58
                                        ; implicit-def: $vgpr58
	s_delay_alu instid0(VALU_DEP_1) | instskip(NEXT) | instid1(VALU_DEP_1)
	v_and_b32_e32 v18, 0x80000000, v18
	v_lshl_add_u32 v18, v117, 23, v18
	s_delay_alu instid0(VALU_DEP_1) | instskip(NEXT) | instid1(VALU_DEP_1)
	v_lshl_or_b32 v18, v119, 21, v18
                                        ; implicit-def: $vgpr119
	v_add_nc_u32_e32 v117, 0x38000000, v18
.LBB2_10587:                            ;   in Loop: Header=BB2_10213 Depth=3
	s_and_not1_saveexec_b32 s15, s15
; %bb.10588:                            ;   in Loop: Header=BB2_10213 Depth=3
	v_bfe_i32 v18, v58, 0, 8
	s_delay_alu instid0(VALU_DEP_1) | instskip(SKIP_2) | instid1(VALU_DEP_2)
	v_cmp_lt_i16_e32 vcc_lo, -1, v18
	v_cndmask_b32_e32 v18, 0xff800000, v111, vcc_lo
	v_cmp_eq_u32_e32 vcc_lo, 0, v119
	v_cndmask_b32_e32 v117, 0x7f800001, v18, vcc_lo
; %bb.10589:                            ;   in Loop: Header=BB2_10213 Depth=3
	s_or_b32 exec_lo, exec_lo, s15
.LBB2_10590:                            ;   in Loop: Header=BB2_10213 Depth=3
	s_delay_alu instid0(SALU_CYCLE_1)
	s_or_b32 exec_lo, exec_lo, s14
.LBB2_10591:                            ;   in Loop: Header=BB2_10213 Depth=3
	s_delay_alu instid0(SALU_CYCLE_1) | instskip(NEXT) | instid1(SALU_CYCLE_1)
	s_or_b32 exec_lo, exec_lo, s13
	s_mov_b32 s13, exec_lo
	s_wait_loadcnt_dscnt 0x505
	v_cmpx_ne_u16_e32 0, v78
	s_cbranch_execz .LBB2_10601
; %bb.10592:                            ;   in Loop: Header=BB2_10213 Depth=3
	v_bfrev_b32_e32 v2, 1
	s_mov_b32 s14, exec_lo
	v_cmpx_ne_u16_e32 0xff80, v78
	s_cbranch_execz .LBB2_10600
; %bb.10593:                            ;   in Loop: Header=BB2_10213 Depth=3
	v_and_b32_e32 v2, 0x7c, v78
	v_and_b32_e32 v119, 3, v78
	s_delay_alu instid0(VALU_DEP_2) | instskip(SKIP_1) | instid1(SALU_CYCLE_1)
	v_cmp_ne_u32_e32 vcc_lo, 0x7c, v2
                                        ; implicit-def: $vgpr2
	s_and_saveexec_b32 s15, vcc_lo
	s_xor_b32 s15, exec_lo, s15
	s_cbranch_execz .LBB2_10597
; %bb.10594:                            ;   in Loop: Header=BB2_10213 Depth=3
	v_and_b32_e32 v2, 0xff, v78
	s_mov_b32 s74, exec_lo
	s_delay_alu instid0(VALU_DEP_1) | instskip(NEXT) | instid1(VALU_DEP_1)
	v_bfe_u32 v2, v2, 2, 5
	v_cmpx_eq_u32_e32 0, v2
	s_cbranch_execz .LBB2_10596
; %bb.10595:                            ;   in Loop: Header=BB2_10213 Depth=3
	v_clz_i32_u32_e32 v2, v119
	s_delay_alu instid0(VALU_DEP_1) | instskip(SKIP_1) | instid1(VALU_DEP_2)
	v_min_u32_e32 v2, 32, v2
	v_mov_b32_e32 v79, v3
	v_subrev_nc_u32_e32 v18, 29, v2
	v_sub_nc_u32_e32 v2, 30, v2
	s_delay_alu instid0(VALU_DEP_2) | instskip(NEXT) | instid1(VALU_DEP_1)
	v_lshlrev_b64_e32 v[18:19], v18, v[78:79]
	v_and_b32_e32 v119, 3, v18
.LBB2_10596:                            ;   in Loop: Header=BB2_10213 Depth=3
	s_or_b32 exec_lo, exec_lo, s74
	v_bfe_i32 v18, v78, 0, 16
                                        ; implicit-def: $vgpr78
	s_delay_alu instid0(VALU_DEP_1) | instskip(NEXT) | instid1(VALU_DEP_1)
	v_and_b32_e32 v18, 0x80000000, v18
	v_lshl_add_u32 v2, v2, 23, v18
	s_delay_alu instid0(VALU_DEP_1) | instskip(NEXT) | instid1(VALU_DEP_1)
	v_lshl_or_b32 v2, v119, 21, v2
                                        ; implicit-def: $vgpr119
	v_add_nc_u32_e32 v2, 0x38000000, v2
.LBB2_10597:                            ;   in Loop: Header=BB2_10213 Depth=3
	s_and_not1_saveexec_b32 s15, s15
; %bb.10598:                            ;   in Loop: Header=BB2_10213 Depth=3
	v_cmp_lt_i16_e32 vcc_lo, -1, v78
	v_cndmask_b32_e32 v2, 0xff800000, v111, vcc_lo
	v_cmp_eq_u32_e32 vcc_lo, 0, v119
	s_delay_alu instid0(VALU_DEP_2)
	v_cndmask_b32_e32 v2, 0x7f800001, v2, vcc_lo
; %bb.10599:                            ;   in Loop: Header=BB2_10213 Depth=3
	s_or_b32 exec_lo, exec_lo, s15
.LBB2_10600:                            ;   in Loop: Header=BB2_10213 Depth=3
	s_delay_alu instid0(SALU_CYCLE_1)
	s_or_b32 exec_lo, exec_lo, s14
.LBB2_10601:                            ;   in Loop: Header=BB2_10213 Depth=3
	s_delay_alu instid0(SALU_CYCLE_1) | instskip(NEXT) | instid1(VALU_DEP_1)
	s_or_b32 exec_lo, exec_lo, s13
	v_dual_add_f32 v119, v117, v2 :: v_dual_mov_b32 v19, v3
                                        ; implicit-def: $vgpr60
	s_mov_b32 s13, exec_lo
	s_delay_alu instid0(VALU_DEP_1) | instskip(SKIP_1) | instid1(VALU_DEP_2)
	v_and_b32_e32 v18, 0x7f800000, v119
	v_and_b32_e32 v2, 0x7fffff, v119
	v_cmpx_ne_u64_e32 0x7f800000, v[18:19]
	s_xor_b32 s14, exec_lo, s13
	s_cbranch_execz .LBB2_10619
; %bb.10602:                            ;   in Loop: Header=BB2_10213 Depth=3
	v_dual_mov_b32 v19, v3 :: v_dual_lshrrev_b32 v117, 24, v119
	v_and_b32_e32 v18, 0x7fffffff, v119
                                        ; implicit-def: $vgpr60
	s_mov_b32 s13, exec_lo
	s_delay_alu instid0(VALU_DEP_2) | instskip(NEXT) | instid1(VALU_DEP_2)
	v_and_b32_e32 v117, 0x80, v117
	v_cmpx_gt_u64_e32 0x47600001, v[18:19]
	s_xor_b32 s15, exec_lo, s13
	s_cbranch_execz .LBB2_10616
; %bb.10603:                            ;   in Loop: Header=BB2_10213 Depth=3
	v_mov_b32_e32 v60, 0
	s_mov_b32 s74, exec_lo
	v_cmpx_ne_u32_e32 0, v119
	s_cbranch_execz .LBB2_10615
; %bb.10604:                            ;   in Loop: Header=BB2_10213 Depth=3
	v_bfe_u32 v119, v119, 23, 8
	v_or_b32_e32 v43, 0x800000, v2
	s_delay_alu instid0(VALU_DEP_2) | instskip(SKIP_1) | instid1(VALU_DEP_2)
	v_dual_mov_b32 v59, v3 :: v_dual_sub_nc_u32 v18, 0x71, v119
	v_cmp_gt_u32_e32 vcc_lo, 0x72, v119
	v_cndmask_b32_e32 v18, 0, v18, vcc_lo
	v_cmp_eq_u32_e32 vcc_lo, 0, v119
	s_delay_alu instid0(VALU_DEP_2) | instskip(NEXT) | instid1(VALU_DEP_1)
	v_cndmask_b32_e64 v41, v18, 0x70, vcc_lo
	v_dual_cndmask_b32 v58, v43, v2, vcc_lo :: v_dual_add_nc_u32 v18, 21, v41
	v_add_nc_u32_e32 v45, 20, v41
	s_delay_alu instid0(VALU_DEP_2) | instskip(NEXT) | instid1(VALU_DEP_2)
	v_lshlrev_b64_e64 v[18:19], v18, -1
	v_lshlrev_b64_e64 v[60:61], v45, 1
	s_delay_alu instid0(VALU_DEP_2) | instskip(SKIP_1) | instid1(VALU_DEP_4)
	v_bfi_b32 v18, v18, 0, v58
	v_lshrrev_b64 v[58:59], v41, v[58:59]
	v_bfi_b32 v19, v19, 0, 0
	s_delay_alu instid0(VALU_DEP_1) | instskip(NEXT) | instid1(VALU_DEP_3)
	v_cmp_eq_u64_e64 s13, v[18:19], v[60:61]
	v_mov_b64_e32 v[60:61], v[58:59]
	s_and_saveexec_b32 s75, s13
; %bb.10605:                            ;   in Loop: Header=BB2_10213 Depth=3
	v_bfe_u32 v18, v58, 21, 1
	v_mov_b32_e32 v19, v3
	s_delay_alu instid0(VALU_DEP_1) | instskip(NEXT) | instid1(VALU_DEP_1)
	v_add_nc_u64_e32 v[18:19], v[58:59], v[18:19]
	v_add_nc_u64_e32 v[60:61], -1, v[18:19]
; %bb.10606:                            ;   in Loop: Header=BB2_10213 Depth=3
	s_or_b32 exec_lo, exec_lo, s75
	v_add_nc_u32_e32 v2, 0xffffff81, v119
	s_delay_alu instid0(VALU_DEP_2) | instskip(SKIP_2) | instid1(VALU_DEP_3)
	v_and_b32_e32 v19, 0x1fffff, v60
	v_lshrrev_b32_e32 v18, 23, v58
	s_mov_b32 s13, exec_lo
                                        ; implicit-def: $vgpr119
	v_cndmask_b32_e64 v2, v2, 0xffffff82, vcc_lo
	s_delay_alu instid0(VALU_DEP_1) | instskip(SKIP_1) | instid1(VALU_DEP_2)
	v_add3_u32 v41, v41, v2, v18
	v_add_nc_u32_e32 v2, v19, v58
                                        ; implicit-def: $vgpr58_vgpr59
	v_add_nc_u32_e32 v43, 14, v41
	s_delay_alu instid0(VALU_DEP_1)
	v_cmpx_ne_u32_e32 0, v43
	s_xor_b32 s13, exec_lo, s13
; %bb.10607:                            ;   in Loop: Header=BB2_10213 Depth=3
	s_delay_alu instid0(VALU_DEP_3) | instskip(SKIP_1) | instid1(VALU_DEP_1)
	v_cmp_lt_u64_e32 vcc_lo, 0xffffff, v[2:3]
	v_add_nc_u32_e32 v18, 15, v41
	v_cndmask_b32_e32 v119, v43, v18, vcc_lo
	v_cndmask_b32_e64 v18, 0, 1, vcc_lo
	s_delay_alu instid0(VALU_DEP_1)
	v_lshrrev_b64 v[58:59], v18, v[2:3]
; %bb.10608:                            ;   in Loop: Header=BB2_10213 Depth=3
	s_and_not1_saveexec_b32 s13, s13
; %bb.10609:                            ;   in Loop: Header=BB2_10213 Depth=3
	v_mov_b64_e32 v[58:59], v[2:3]
	v_bfe_u32 v119, v2, 23, 1
; %bb.10610:                            ;   in Loop: Header=BB2_10213 Depth=3
	s_or_b32 exec_lo, exec_lo, s13
	s_delay_alu instid0(VALU_DEP_2) | instskip(NEXT) | instid1(VALU_DEP_2)
	v_lshrrev_b64 v[18:19], 21, v[58:59]
	v_cmp_gt_i32_e32 vcc_lo, 32, v119
	v_cmp_ne_u32_e64 s13, 0, v119
                                        ; implicit-def: $vgpr60
	s_delay_alu instid0(VALU_DEP_3) | instskip(NEXT) | instid1(VALU_DEP_1)
	v_dual_cndmask_b32 v59, 0, v19 :: v_dual_cndmask_b32 v58, 3, v18
	v_cmp_ne_u64_e32 vcc_lo, 0, v[58:59]
	s_or_b32 s13, s13, vcc_lo
	s_delay_alu instid0(SALU_CYCLE_1) | instskip(NEXT) | instid1(SALU_CYCLE_1)
	s_and_saveexec_b32 s75, s13
	s_xor_b32 s13, exec_lo, s75
; %bb.10611:                            ;   in Loop: Header=BB2_10213 Depth=3
	v_min_i32_e32 v2, 31, v119
	s_delay_alu instid0(VALU_DEP_1) | instskip(NEXT) | instid1(VALU_DEP_1)
	v_lshl_or_b32 v2, v2, 2, v117
                                        ; implicit-def: $vgpr117
	v_and_or_b32 v60, v58, 3, v2
; %bb.10612:                            ;   in Loop: Header=BB2_10213 Depth=3
	s_and_not1_saveexec_b32 s13, s13
; %bb.10613:                            ;   in Loop: Header=BB2_10213 Depth=3
	v_mov_b32_e32 v60, v117
; %bb.10614:                            ;   in Loop: Header=BB2_10213 Depth=3
	s_or_b32 exec_lo, exec_lo, s13
.LBB2_10615:                            ;   in Loop: Header=BB2_10213 Depth=3
	s_delay_alu instid0(SALU_CYCLE_1)
	s_or_b32 exec_lo, exec_lo, s74
                                        ; implicit-def: $vgpr117
.LBB2_10616:                            ;   in Loop: Header=BB2_10213 Depth=3
	s_and_not1_saveexec_b32 s13, s15
; %bb.10617:                            ;   in Loop: Header=BB2_10213 Depth=3
	v_or_b32_e32 v60, 0x7b, v117
; %bb.10618:                            ;   in Loop: Header=BB2_10213 Depth=3
	s_or_b32 exec_lo, exec_lo, s13
                                        ; implicit-def: $vgpr119
.LBB2_10619:                            ;   in Loop: Header=BB2_10213 Depth=3
	s_and_not1_saveexec_b32 s13, s14
	s_cbranch_execz .LBB2_10625
; %bb.10620:                            ;   in Loop: Header=BB2_10213 Depth=3
	s_mov_b32 s14, exec_lo
                                        ; implicit-def: $vgpr60
	v_cmpx_ne_u64_e32 0, v[2:3]
	s_xor_b32 s14, exec_lo, s14
; %bb.10621:                            ;   in Loop: Header=BB2_10213 Depth=3
	v_lshrrev_b32_e32 v2, 24, v119
                                        ; implicit-def: $vgpr119
	s_delay_alu instid0(VALU_DEP_1)
	v_or_b32_e32 v60, 0x7f, v2
; %bb.10622:                            ;   in Loop: Header=BB2_10213 Depth=3
	s_and_not1_saveexec_b32 s14, s14
; %bb.10623:                            ;   in Loop: Header=BB2_10213 Depth=3
	v_cmp_lt_i32_e32 vcc_lo, -1, v119
	v_cndmask_b32_e64 v60, -4, 0x7c, vcc_lo
; %bb.10624:                            ;   in Loop: Header=BB2_10213 Depth=3
	s_or_b32 exec_lo, exec_lo, s14
.LBB2_10625:                            ;   in Loop: Header=BB2_10213 Depth=3
	s_delay_alu instid0(SALU_CYCLE_1) | instskip(SKIP_3) | instid1(VALU_DEP_2)
	s_or_b32 exec_lo, exec_lo, s13
	v_and_b32_e32 v41, 0xff, v46
	v_dual_mov_b32 v2, 0 :: v_dual_mov_b32 v117, 0
	s_mov_b32 s13, exec_lo
	v_cmpx_ne_u16_e32 0, v41
	s_cbranch_execz .LBB2_10635
; %bb.10626:                            ;   in Loop: Header=BB2_10213 Depth=3
	v_bfrev_b32_e32 v117, 1
	s_mov_b32 s14, exec_lo
	v_cmpx_ne_u16_e32 0x80, v41
	s_cbranch_execz .LBB2_10634
; %bb.10627:                            ;   in Loop: Header=BB2_10213 Depth=3
	v_and_b32_e32 v18, 0x7c, v46
	v_and_b32_e32 v119, 3, v46
	s_mov_b32 s15, exec_lo
                                        ; implicit-def: $vgpr117
	s_delay_alu instid0(VALU_DEP_2)
	v_cmpx_ne_u32_e32 0x7c, v18
	s_xor_b32 s15, exec_lo, s15
	s_cbranch_execz .LBB2_10631
; %bb.10628:                            ;   in Loop: Header=BB2_10213 Depth=3
	v_bfe_u32 v117, v41, 2, 5
	s_mov_b32 s74, exec_lo
	s_delay_alu instid0(VALU_DEP_1)
	v_cmpx_eq_u32_e32 0, v117
	s_cbranch_execz .LBB2_10630
; %bb.10629:                            ;   in Loop: Header=BB2_10213 Depth=3
	v_clz_i32_u32_e32 v18, v119
	s_delay_alu instid0(VALU_DEP_1) | instskip(SKIP_1) | instid1(VALU_DEP_2)
	v_min_u32_e32 v117, 32, v18
	v_mov_b32_e32 v47, v3
	v_subrev_nc_u32_e32 v18, 29, v117
	v_sub_nc_u32_e32 v117, 30, v117
	s_delay_alu instid0(VALU_DEP_2) | instskip(NEXT) | instid1(VALU_DEP_1)
	v_lshlrev_b64_e32 v[18:19], v18, v[46:47]
	v_and_b32_e32 v119, 3, v18
.LBB2_10630:                            ;   in Loop: Header=BB2_10213 Depth=3
	s_or_b32 exec_lo, exec_lo, s74
	v_lshlrev_b32_e32 v18, 24, v46
                                        ; implicit-def: $vgpr46
	s_delay_alu instid0(VALU_DEP_1) | instskip(NEXT) | instid1(VALU_DEP_1)
	v_and_b32_e32 v18, 0x80000000, v18
	v_lshl_add_u32 v18, v117, 23, v18
	s_delay_alu instid0(VALU_DEP_1) | instskip(NEXT) | instid1(VALU_DEP_1)
	v_lshl_or_b32 v18, v119, 21, v18
                                        ; implicit-def: $vgpr119
	v_add_nc_u32_e32 v117, 0x38000000, v18
.LBB2_10631:                            ;   in Loop: Header=BB2_10213 Depth=3
	s_and_not1_saveexec_b32 s15, s15
; %bb.10632:                            ;   in Loop: Header=BB2_10213 Depth=3
	v_bfe_i32 v18, v46, 0, 8
	s_delay_alu instid0(VALU_DEP_1) | instskip(SKIP_2) | instid1(VALU_DEP_2)
	v_cmp_lt_i16_e32 vcc_lo, -1, v18
	v_cndmask_b32_e32 v18, 0xff800000, v111, vcc_lo
	v_cmp_eq_u32_e32 vcc_lo, 0, v119
	v_cndmask_b32_e32 v117, 0x7f800001, v18, vcc_lo
; %bb.10633:                            ;   in Loop: Header=BB2_10213 Depth=3
	s_or_b32 exec_lo, exec_lo, s15
.LBB2_10634:                            ;   in Loop: Header=BB2_10213 Depth=3
	s_delay_alu instid0(SALU_CYCLE_1)
	s_or_b32 exec_lo, exec_lo, s14
.LBB2_10635:                            ;   in Loop: Header=BB2_10213 Depth=3
	s_delay_alu instid0(SALU_CYCLE_1) | instskip(NEXT) | instid1(SALU_CYCLE_1)
	s_or_b32 exec_lo, exec_lo, s13
	s_mov_b32 s13, exec_lo
	s_wait_loadcnt_dscnt 0x404
	v_cmpx_ne_u16_e32 0, v76
	s_cbranch_execz .LBB2_10645
; %bb.10636:                            ;   in Loop: Header=BB2_10213 Depth=3
	v_bfrev_b32_e32 v2, 1
	s_mov_b32 s14, exec_lo
	v_cmpx_ne_u16_e32 0xff80, v76
	s_cbranch_execz .LBB2_10644
; %bb.10637:                            ;   in Loop: Header=BB2_10213 Depth=3
	v_and_b32_e32 v2, 0x7c, v76
	v_and_b32_e32 v119, 3, v76
	s_delay_alu instid0(VALU_DEP_2) | instskip(SKIP_1) | instid1(SALU_CYCLE_1)
	v_cmp_ne_u32_e32 vcc_lo, 0x7c, v2
                                        ; implicit-def: $vgpr2
	s_and_saveexec_b32 s15, vcc_lo
	s_xor_b32 s15, exec_lo, s15
	s_cbranch_execz .LBB2_10641
; %bb.10638:                            ;   in Loop: Header=BB2_10213 Depth=3
	v_and_b32_e32 v2, 0xff, v76
	s_mov_b32 s74, exec_lo
	s_delay_alu instid0(VALU_DEP_1) | instskip(NEXT) | instid1(VALU_DEP_1)
	v_bfe_u32 v2, v2, 2, 5
	v_cmpx_eq_u32_e32 0, v2
	s_cbranch_execz .LBB2_10640
; %bb.10639:                            ;   in Loop: Header=BB2_10213 Depth=3
	v_clz_i32_u32_e32 v2, v119
	s_delay_alu instid0(VALU_DEP_1) | instskip(SKIP_1) | instid1(VALU_DEP_2)
	v_min_u32_e32 v2, 32, v2
	v_mov_b32_e32 v77, v3
	v_subrev_nc_u32_e32 v18, 29, v2
	v_sub_nc_u32_e32 v2, 30, v2
	s_delay_alu instid0(VALU_DEP_2) | instskip(NEXT) | instid1(VALU_DEP_1)
	v_lshlrev_b64_e32 v[18:19], v18, v[76:77]
	v_and_b32_e32 v119, 3, v18
.LBB2_10640:                            ;   in Loop: Header=BB2_10213 Depth=3
	s_or_b32 exec_lo, exec_lo, s74
	v_bfe_i32 v18, v76, 0, 16
                                        ; implicit-def: $vgpr76
	s_delay_alu instid0(VALU_DEP_1) | instskip(NEXT) | instid1(VALU_DEP_1)
	v_and_b32_e32 v18, 0x80000000, v18
	v_lshl_add_u32 v2, v2, 23, v18
	s_delay_alu instid0(VALU_DEP_1) | instskip(NEXT) | instid1(VALU_DEP_1)
	v_lshl_or_b32 v2, v119, 21, v2
                                        ; implicit-def: $vgpr119
	v_add_nc_u32_e32 v2, 0x38000000, v2
.LBB2_10641:                            ;   in Loop: Header=BB2_10213 Depth=3
	s_and_not1_saveexec_b32 s15, s15
; %bb.10642:                            ;   in Loop: Header=BB2_10213 Depth=3
	v_cmp_lt_i16_e32 vcc_lo, -1, v76
	v_cndmask_b32_e32 v2, 0xff800000, v111, vcc_lo
	v_cmp_eq_u32_e32 vcc_lo, 0, v119
	s_delay_alu instid0(VALU_DEP_2)
	v_cndmask_b32_e32 v2, 0x7f800001, v2, vcc_lo
; %bb.10643:                            ;   in Loop: Header=BB2_10213 Depth=3
	s_or_b32 exec_lo, exec_lo, s15
.LBB2_10644:                            ;   in Loop: Header=BB2_10213 Depth=3
	s_delay_alu instid0(SALU_CYCLE_1)
	s_or_b32 exec_lo, exec_lo, s14
.LBB2_10645:                            ;   in Loop: Header=BB2_10213 Depth=3
	s_delay_alu instid0(SALU_CYCLE_1) | instskip(NEXT) | instid1(VALU_DEP_1)
	s_or_b32 exec_lo, exec_lo, s13
	v_dual_add_f32 v119, v117, v2 :: v_dual_mov_b32 v19, v3
                                        ; implicit-def: $vgpr58
	s_mov_b32 s13, exec_lo
	s_delay_alu instid0(VALU_DEP_1) | instskip(SKIP_1) | instid1(VALU_DEP_2)
	v_and_b32_e32 v18, 0x7f800000, v119
	v_and_b32_e32 v2, 0x7fffff, v119
	v_cmpx_ne_u64_e32 0x7f800000, v[18:19]
	s_xor_b32 s14, exec_lo, s13
	s_cbranch_execz .LBB2_10663
; %bb.10646:                            ;   in Loop: Header=BB2_10213 Depth=3
	v_dual_mov_b32 v19, v3 :: v_dual_lshrrev_b32 v117, 24, v119
	v_and_b32_e32 v18, 0x7fffffff, v119
                                        ; implicit-def: $vgpr58
	s_mov_b32 s13, exec_lo
	s_delay_alu instid0(VALU_DEP_2) | instskip(NEXT) | instid1(VALU_DEP_2)
	v_and_b32_e32 v117, 0x80, v117
	v_cmpx_gt_u64_e32 0x47600001, v[18:19]
	s_xor_b32 s15, exec_lo, s13
	s_cbranch_execz .LBB2_10660
; %bb.10647:                            ;   in Loop: Header=BB2_10213 Depth=3
	v_mov_b32_e32 v58, 0
	s_mov_b32 s74, exec_lo
	v_cmpx_ne_u32_e32 0, v119
	s_cbranch_execz .LBB2_10659
; %bb.10648:                            ;   in Loop: Header=BB2_10213 Depth=3
	v_bfe_u32 v119, v119, 23, 8
	v_or_b32_e32 v43, 0x800000, v2
	s_delay_alu instid0(VALU_DEP_2) | instskip(SKIP_1) | instid1(VALU_DEP_2)
	v_dual_mov_b32 v47, v3 :: v_dual_sub_nc_u32 v18, 0x71, v119
	v_cmp_gt_u32_e32 vcc_lo, 0x72, v119
	v_cndmask_b32_e32 v18, 0, v18, vcc_lo
	v_cmp_eq_u32_e32 vcc_lo, 0, v119
	s_delay_alu instid0(VALU_DEP_2) | instskip(NEXT) | instid1(VALU_DEP_1)
	v_cndmask_b32_e64 v41, v18, 0x70, vcc_lo
	v_dual_cndmask_b32 v46, v43, v2, vcc_lo :: v_dual_add_nc_u32 v18, 21, v41
	v_add_nc_u32_e32 v45, 20, v41
	s_delay_alu instid0(VALU_DEP_2) | instskip(NEXT) | instid1(VALU_DEP_2)
	v_lshlrev_b64_e64 v[18:19], v18, -1
	v_lshlrev_b64_e64 v[58:59], v45, 1
	s_delay_alu instid0(VALU_DEP_2) | instskip(SKIP_1) | instid1(VALU_DEP_4)
	v_bfi_b32 v18, v18, 0, v46
	v_lshrrev_b64 v[46:47], v41, v[46:47]
	v_bfi_b32 v19, v19, 0, 0
	s_delay_alu instid0(VALU_DEP_1) | instskip(NEXT) | instid1(VALU_DEP_3)
	v_cmp_eq_u64_e64 s13, v[18:19], v[58:59]
	v_mov_b64_e32 v[58:59], v[46:47]
	s_and_saveexec_b32 s75, s13
; %bb.10649:                            ;   in Loop: Header=BB2_10213 Depth=3
	v_bfe_u32 v18, v46, 21, 1
	v_mov_b32_e32 v19, v3
	s_delay_alu instid0(VALU_DEP_1) | instskip(NEXT) | instid1(VALU_DEP_1)
	v_add_nc_u64_e32 v[18:19], v[46:47], v[18:19]
	v_add_nc_u64_e32 v[58:59], -1, v[18:19]
; %bb.10650:                            ;   in Loop: Header=BB2_10213 Depth=3
	s_or_b32 exec_lo, exec_lo, s75
	v_add_nc_u32_e32 v2, 0xffffff81, v119
	s_delay_alu instid0(VALU_DEP_2) | instskip(SKIP_2) | instid1(VALU_DEP_3)
	v_and_b32_e32 v19, 0x1fffff, v58
	v_lshrrev_b32_e32 v18, 23, v46
	s_mov_b32 s13, exec_lo
                                        ; implicit-def: $vgpr119
	v_cndmask_b32_e64 v2, v2, 0xffffff82, vcc_lo
	s_delay_alu instid0(VALU_DEP_1) | instskip(SKIP_1) | instid1(VALU_DEP_2)
	v_add3_u32 v41, v41, v2, v18
	v_add_nc_u32_e32 v2, v19, v46
                                        ; implicit-def: $vgpr46_vgpr47
	v_add_nc_u32_e32 v43, 14, v41
	s_delay_alu instid0(VALU_DEP_1)
	v_cmpx_ne_u32_e32 0, v43
	s_xor_b32 s13, exec_lo, s13
; %bb.10651:                            ;   in Loop: Header=BB2_10213 Depth=3
	s_delay_alu instid0(VALU_DEP_3) | instskip(SKIP_1) | instid1(VALU_DEP_1)
	v_cmp_lt_u64_e32 vcc_lo, 0xffffff, v[2:3]
	v_add_nc_u32_e32 v18, 15, v41
	v_cndmask_b32_e32 v119, v43, v18, vcc_lo
	v_cndmask_b32_e64 v18, 0, 1, vcc_lo
	s_delay_alu instid0(VALU_DEP_1)
	v_lshrrev_b64 v[46:47], v18, v[2:3]
; %bb.10652:                            ;   in Loop: Header=BB2_10213 Depth=3
	s_and_not1_saveexec_b32 s13, s13
; %bb.10653:                            ;   in Loop: Header=BB2_10213 Depth=3
	v_mov_b64_e32 v[46:47], v[2:3]
	v_bfe_u32 v119, v2, 23, 1
; %bb.10654:                            ;   in Loop: Header=BB2_10213 Depth=3
	s_or_b32 exec_lo, exec_lo, s13
	s_delay_alu instid0(VALU_DEP_2) | instskip(NEXT) | instid1(VALU_DEP_2)
	v_lshrrev_b64 v[18:19], 21, v[46:47]
	v_cmp_gt_i32_e32 vcc_lo, 32, v119
	v_cmp_ne_u32_e64 s13, 0, v119
                                        ; implicit-def: $vgpr58
	s_delay_alu instid0(VALU_DEP_3) | instskip(NEXT) | instid1(VALU_DEP_1)
	v_dual_cndmask_b32 v47, 0, v19 :: v_dual_cndmask_b32 v46, 3, v18
	v_cmp_ne_u64_e32 vcc_lo, 0, v[46:47]
	s_or_b32 s13, s13, vcc_lo
	s_delay_alu instid0(SALU_CYCLE_1) | instskip(NEXT) | instid1(SALU_CYCLE_1)
	s_and_saveexec_b32 s75, s13
	s_xor_b32 s13, exec_lo, s75
; %bb.10655:                            ;   in Loop: Header=BB2_10213 Depth=3
	v_min_i32_e32 v2, 31, v119
	s_delay_alu instid0(VALU_DEP_1) | instskip(NEXT) | instid1(VALU_DEP_1)
	v_lshl_or_b32 v2, v2, 2, v117
                                        ; implicit-def: $vgpr117
	v_and_or_b32 v58, v46, 3, v2
; %bb.10656:                            ;   in Loop: Header=BB2_10213 Depth=3
	s_and_not1_saveexec_b32 s13, s13
; %bb.10657:                            ;   in Loop: Header=BB2_10213 Depth=3
	v_mov_b32_e32 v58, v117
; %bb.10658:                            ;   in Loop: Header=BB2_10213 Depth=3
	s_or_b32 exec_lo, exec_lo, s13
.LBB2_10659:                            ;   in Loop: Header=BB2_10213 Depth=3
	s_delay_alu instid0(SALU_CYCLE_1)
	s_or_b32 exec_lo, exec_lo, s74
                                        ; implicit-def: $vgpr117
.LBB2_10660:                            ;   in Loop: Header=BB2_10213 Depth=3
	s_and_not1_saveexec_b32 s13, s15
; %bb.10661:                            ;   in Loop: Header=BB2_10213 Depth=3
	v_or_b32_e32 v58, 0x7b, v117
; %bb.10662:                            ;   in Loop: Header=BB2_10213 Depth=3
	s_or_b32 exec_lo, exec_lo, s13
                                        ; implicit-def: $vgpr119
.LBB2_10663:                            ;   in Loop: Header=BB2_10213 Depth=3
	s_and_not1_saveexec_b32 s13, s14
	s_cbranch_execz .LBB2_10669
; %bb.10664:                            ;   in Loop: Header=BB2_10213 Depth=3
	s_mov_b32 s14, exec_lo
                                        ; implicit-def: $vgpr58
	v_cmpx_ne_u64_e32 0, v[2:3]
	s_xor_b32 s14, exec_lo, s14
; %bb.10665:                            ;   in Loop: Header=BB2_10213 Depth=3
	v_lshrrev_b32_e32 v2, 24, v119
                                        ; implicit-def: $vgpr119
	s_delay_alu instid0(VALU_DEP_1)
	v_or_b32_e32 v58, 0x7f, v2
; %bb.10666:                            ;   in Loop: Header=BB2_10213 Depth=3
	s_and_not1_saveexec_b32 s14, s14
; %bb.10667:                            ;   in Loop: Header=BB2_10213 Depth=3
	v_cmp_lt_i32_e32 vcc_lo, -1, v119
	v_cndmask_b32_e64 v58, -4, 0x7c, vcc_lo
; %bb.10668:                            ;   in Loop: Header=BB2_10213 Depth=3
	s_or_b32 exec_lo, exec_lo, s14
.LBB2_10669:                            ;   in Loop: Header=BB2_10213 Depth=3
	s_delay_alu instid0(SALU_CYCLE_1) | instskip(SKIP_3) | instid1(VALU_DEP_2)
	s_or_b32 exec_lo, exec_lo, s13
	v_and_b32_e32 v41, 0xff, v44
	v_dual_mov_b32 v2, 0 :: v_dual_mov_b32 v117, 0
	s_mov_b32 s13, exec_lo
	v_cmpx_ne_u16_e32 0, v41
	s_cbranch_execz .LBB2_10679
; %bb.10670:                            ;   in Loop: Header=BB2_10213 Depth=3
	v_bfrev_b32_e32 v117, 1
	s_mov_b32 s14, exec_lo
	v_cmpx_ne_u16_e32 0x80, v41
	s_cbranch_execz .LBB2_10678
; %bb.10671:                            ;   in Loop: Header=BB2_10213 Depth=3
	v_and_b32_e32 v18, 0x7c, v44
	v_and_b32_e32 v119, 3, v44
	s_mov_b32 s15, exec_lo
                                        ; implicit-def: $vgpr117
	s_delay_alu instid0(VALU_DEP_2)
	v_cmpx_ne_u32_e32 0x7c, v18
	s_xor_b32 s15, exec_lo, s15
	s_cbranch_execz .LBB2_10675
; %bb.10672:                            ;   in Loop: Header=BB2_10213 Depth=3
	v_bfe_u32 v117, v41, 2, 5
	s_mov_b32 s74, exec_lo
	s_delay_alu instid0(VALU_DEP_1)
	v_cmpx_eq_u32_e32 0, v117
	s_cbranch_execz .LBB2_10674
; %bb.10673:                            ;   in Loop: Header=BB2_10213 Depth=3
	v_clz_i32_u32_e32 v18, v119
	s_delay_alu instid0(VALU_DEP_1) | instskip(SKIP_1) | instid1(VALU_DEP_2)
	v_min_u32_e32 v117, 32, v18
	v_mov_b32_e32 v45, v3
	v_subrev_nc_u32_e32 v18, 29, v117
	v_sub_nc_u32_e32 v117, 30, v117
	s_delay_alu instid0(VALU_DEP_2) | instskip(NEXT) | instid1(VALU_DEP_1)
	v_lshlrev_b64_e32 v[18:19], v18, v[44:45]
	v_and_b32_e32 v119, 3, v18
.LBB2_10674:                            ;   in Loop: Header=BB2_10213 Depth=3
	s_or_b32 exec_lo, exec_lo, s74
	v_lshlrev_b32_e32 v18, 24, v44
                                        ; implicit-def: $vgpr44
	s_delay_alu instid0(VALU_DEP_1) | instskip(NEXT) | instid1(VALU_DEP_1)
	v_and_b32_e32 v18, 0x80000000, v18
	v_lshl_add_u32 v18, v117, 23, v18
	s_delay_alu instid0(VALU_DEP_1) | instskip(NEXT) | instid1(VALU_DEP_1)
	v_lshl_or_b32 v18, v119, 21, v18
                                        ; implicit-def: $vgpr119
	v_add_nc_u32_e32 v117, 0x38000000, v18
.LBB2_10675:                            ;   in Loop: Header=BB2_10213 Depth=3
	s_and_not1_saveexec_b32 s15, s15
; %bb.10676:                            ;   in Loop: Header=BB2_10213 Depth=3
	v_bfe_i32 v18, v44, 0, 8
	s_delay_alu instid0(VALU_DEP_1) | instskip(SKIP_2) | instid1(VALU_DEP_2)
	v_cmp_lt_i16_e32 vcc_lo, -1, v18
	v_cndmask_b32_e32 v18, 0xff800000, v111, vcc_lo
	v_cmp_eq_u32_e32 vcc_lo, 0, v119
	v_cndmask_b32_e32 v117, 0x7f800001, v18, vcc_lo
; %bb.10677:                            ;   in Loop: Header=BB2_10213 Depth=3
	s_or_b32 exec_lo, exec_lo, s15
.LBB2_10678:                            ;   in Loop: Header=BB2_10213 Depth=3
	s_delay_alu instid0(SALU_CYCLE_1)
	s_or_b32 exec_lo, exec_lo, s14
.LBB2_10679:                            ;   in Loop: Header=BB2_10213 Depth=3
	s_delay_alu instid0(SALU_CYCLE_1) | instskip(NEXT) | instid1(SALU_CYCLE_1)
	s_or_b32 exec_lo, exec_lo, s13
	s_mov_b32 s13, exec_lo
	s_wait_loadcnt_dscnt 0x303
	v_cmpx_ne_u16_e32 0, v74
	s_cbranch_execz .LBB2_10689
; %bb.10680:                            ;   in Loop: Header=BB2_10213 Depth=3
	v_bfrev_b32_e32 v2, 1
	s_mov_b32 s14, exec_lo
	v_cmpx_ne_u16_e32 0xff80, v74
	s_cbranch_execz .LBB2_10688
; %bb.10681:                            ;   in Loop: Header=BB2_10213 Depth=3
	v_and_b32_e32 v2, 0x7c, v74
	v_and_b32_e32 v119, 3, v74
	s_delay_alu instid0(VALU_DEP_2) | instskip(SKIP_1) | instid1(SALU_CYCLE_1)
	v_cmp_ne_u32_e32 vcc_lo, 0x7c, v2
                                        ; implicit-def: $vgpr2
	s_and_saveexec_b32 s15, vcc_lo
	s_xor_b32 s15, exec_lo, s15
	s_cbranch_execz .LBB2_10685
; %bb.10682:                            ;   in Loop: Header=BB2_10213 Depth=3
	v_and_b32_e32 v2, 0xff, v74
	s_mov_b32 s74, exec_lo
	s_delay_alu instid0(VALU_DEP_1) | instskip(NEXT) | instid1(VALU_DEP_1)
	v_bfe_u32 v2, v2, 2, 5
	v_cmpx_eq_u32_e32 0, v2
	s_cbranch_execz .LBB2_10684
; %bb.10683:                            ;   in Loop: Header=BB2_10213 Depth=3
	v_clz_i32_u32_e32 v2, v119
	s_delay_alu instid0(VALU_DEP_1) | instskip(SKIP_1) | instid1(VALU_DEP_2)
	v_min_u32_e32 v2, 32, v2
	v_mov_b32_e32 v75, v3
	v_subrev_nc_u32_e32 v18, 29, v2
	v_sub_nc_u32_e32 v2, 30, v2
	s_delay_alu instid0(VALU_DEP_2) | instskip(NEXT) | instid1(VALU_DEP_1)
	v_lshlrev_b64_e32 v[18:19], v18, v[74:75]
	v_and_b32_e32 v119, 3, v18
.LBB2_10684:                            ;   in Loop: Header=BB2_10213 Depth=3
	s_or_b32 exec_lo, exec_lo, s74
	v_bfe_i32 v18, v74, 0, 16
                                        ; implicit-def: $vgpr74
	s_delay_alu instid0(VALU_DEP_1) | instskip(NEXT) | instid1(VALU_DEP_1)
	v_and_b32_e32 v18, 0x80000000, v18
	v_lshl_add_u32 v2, v2, 23, v18
	s_delay_alu instid0(VALU_DEP_1) | instskip(NEXT) | instid1(VALU_DEP_1)
	v_lshl_or_b32 v2, v119, 21, v2
                                        ; implicit-def: $vgpr119
	v_add_nc_u32_e32 v2, 0x38000000, v2
.LBB2_10685:                            ;   in Loop: Header=BB2_10213 Depth=3
	s_and_not1_saveexec_b32 s15, s15
; %bb.10686:                            ;   in Loop: Header=BB2_10213 Depth=3
	v_cmp_lt_i16_e32 vcc_lo, -1, v74
	v_cndmask_b32_e32 v2, 0xff800000, v111, vcc_lo
	v_cmp_eq_u32_e32 vcc_lo, 0, v119
	s_delay_alu instid0(VALU_DEP_2)
	v_cndmask_b32_e32 v2, 0x7f800001, v2, vcc_lo
; %bb.10687:                            ;   in Loop: Header=BB2_10213 Depth=3
	s_or_b32 exec_lo, exec_lo, s15
.LBB2_10688:                            ;   in Loop: Header=BB2_10213 Depth=3
	s_delay_alu instid0(SALU_CYCLE_1)
	s_or_b32 exec_lo, exec_lo, s14
.LBB2_10689:                            ;   in Loop: Header=BB2_10213 Depth=3
	s_delay_alu instid0(SALU_CYCLE_1) | instskip(NEXT) | instid1(VALU_DEP_1)
	s_or_b32 exec_lo, exec_lo, s13
	v_dual_add_f32 v119, v117, v2 :: v_dual_mov_b32 v19, v3
                                        ; implicit-def: $vgpr46
	s_mov_b32 s13, exec_lo
	s_delay_alu instid0(VALU_DEP_1) | instskip(SKIP_1) | instid1(VALU_DEP_2)
	v_and_b32_e32 v18, 0x7f800000, v119
	v_and_b32_e32 v2, 0x7fffff, v119
	v_cmpx_ne_u64_e32 0x7f800000, v[18:19]
	s_xor_b32 s14, exec_lo, s13
	s_cbranch_execz .LBB2_10707
; %bb.10690:                            ;   in Loop: Header=BB2_10213 Depth=3
	v_dual_mov_b32 v19, v3 :: v_dual_lshrrev_b32 v117, 24, v119
	v_and_b32_e32 v18, 0x7fffffff, v119
                                        ; implicit-def: $vgpr46
	s_mov_b32 s13, exec_lo
	s_delay_alu instid0(VALU_DEP_2) | instskip(NEXT) | instid1(VALU_DEP_2)
	v_and_b32_e32 v117, 0x80, v117
	v_cmpx_gt_u64_e32 0x47600001, v[18:19]
	s_xor_b32 s15, exec_lo, s13
	s_cbranch_execz .LBB2_10704
; %bb.10691:                            ;   in Loop: Header=BB2_10213 Depth=3
	v_mov_b32_e32 v46, 0
	s_mov_b32 s74, exec_lo
	v_cmpx_ne_u32_e32 0, v119
	s_cbranch_execz .LBB2_10703
; %bb.10692:                            ;   in Loop: Header=BB2_10213 Depth=3
	v_bfe_u32 v119, v119, 23, 8
	v_or_b32_e32 v43, 0x800000, v2
	s_delay_alu instid0(VALU_DEP_2) | instskip(SKIP_1) | instid1(VALU_DEP_2)
	v_dual_mov_b32 v45, v3 :: v_dual_sub_nc_u32 v18, 0x71, v119
	v_cmp_gt_u32_e32 vcc_lo, 0x72, v119
	v_cndmask_b32_e32 v18, 0, v18, vcc_lo
	v_cmp_eq_u32_e32 vcc_lo, 0, v119
	s_delay_alu instid0(VALU_DEP_2) | instskip(NEXT) | instid1(VALU_DEP_1)
	v_cndmask_b32_e64 v41, v18, 0x70, vcc_lo
	v_dual_cndmask_b32 v44, v43, v2, vcc_lo :: v_dual_add_nc_u32 v18, 21, v41
	v_add_nc_u32_e32 v46, 20, v41
	s_delay_alu instid0(VALU_DEP_2) | instskip(NEXT) | instid1(VALU_DEP_2)
	v_lshlrev_b64_e64 v[18:19], v18, -1
	v_lshlrev_b64_e64 v[46:47], v46, 1
	s_delay_alu instid0(VALU_DEP_2) | instskip(SKIP_1) | instid1(VALU_DEP_4)
	v_bfi_b32 v18, v18, 0, v44
	v_lshrrev_b64 v[44:45], v41, v[44:45]
	v_bfi_b32 v19, v19, 0, 0
	s_delay_alu instid0(VALU_DEP_1) | instskip(NEXT) | instid1(VALU_DEP_3)
	v_cmp_eq_u64_e64 s13, v[18:19], v[46:47]
	v_mov_b64_e32 v[46:47], v[44:45]
	s_and_saveexec_b32 s75, s13
; %bb.10693:                            ;   in Loop: Header=BB2_10213 Depth=3
	v_bfe_u32 v18, v44, 21, 1
	v_mov_b32_e32 v19, v3
	s_delay_alu instid0(VALU_DEP_1) | instskip(NEXT) | instid1(VALU_DEP_1)
	v_add_nc_u64_e32 v[18:19], v[44:45], v[18:19]
	v_add_nc_u64_e32 v[46:47], -1, v[18:19]
; %bb.10694:                            ;   in Loop: Header=BB2_10213 Depth=3
	s_or_b32 exec_lo, exec_lo, s75
	v_add_nc_u32_e32 v2, 0xffffff81, v119
	s_delay_alu instid0(VALU_DEP_2) | instskip(SKIP_2) | instid1(VALU_DEP_3)
	v_and_b32_e32 v19, 0x1fffff, v46
	v_lshrrev_b32_e32 v18, 23, v44
	s_mov_b32 s13, exec_lo
                                        ; implicit-def: $vgpr119
	v_cndmask_b32_e64 v2, v2, 0xffffff82, vcc_lo
	s_delay_alu instid0(VALU_DEP_1) | instskip(SKIP_1) | instid1(VALU_DEP_2)
	v_add3_u32 v41, v41, v2, v18
	v_add_nc_u32_e32 v2, v19, v44
                                        ; implicit-def: $vgpr44_vgpr45
	v_add_nc_u32_e32 v43, 14, v41
	s_delay_alu instid0(VALU_DEP_1)
	v_cmpx_ne_u32_e32 0, v43
	s_xor_b32 s13, exec_lo, s13
; %bb.10695:                            ;   in Loop: Header=BB2_10213 Depth=3
	s_delay_alu instid0(VALU_DEP_3) | instskip(SKIP_1) | instid1(VALU_DEP_1)
	v_cmp_lt_u64_e32 vcc_lo, 0xffffff, v[2:3]
	v_add_nc_u32_e32 v18, 15, v41
	v_cndmask_b32_e32 v119, v43, v18, vcc_lo
	v_cndmask_b32_e64 v18, 0, 1, vcc_lo
	s_delay_alu instid0(VALU_DEP_1)
	v_lshrrev_b64 v[44:45], v18, v[2:3]
; %bb.10696:                            ;   in Loop: Header=BB2_10213 Depth=3
	s_and_not1_saveexec_b32 s13, s13
; %bb.10697:                            ;   in Loop: Header=BB2_10213 Depth=3
	v_mov_b64_e32 v[44:45], v[2:3]
	v_bfe_u32 v119, v2, 23, 1
; %bb.10698:                            ;   in Loop: Header=BB2_10213 Depth=3
	s_or_b32 exec_lo, exec_lo, s13
	s_delay_alu instid0(VALU_DEP_2) | instskip(NEXT) | instid1(VALU_DEP_2)
	v_lshrrev_b64 v[18:19], 21, v[44:45]
	v_cmp_gt_i32_e32 vcc_lo, 32, v119
	v_cmp_ne_u32_e64 s13, 0, v119
                                        ; implicit-def: $vgpr46
	s_delay_alu instid0(VALU_DEP_3) | instskip(NEXT) | instid1(VALU_DEP_1)
	v_dual_cndmask_b32 v45, 0, v19 :: v_dual_cndmask_b32 v44, 3, v18
	v_cmp_ne_u64_e32 vcc_lo, 0, v[44:45]
	s_or_b32 s13, s13, vcc_lo
	s_delay_alu instid0(SALU_CYCLE_1) | instskip(NEXT) | instid1(SALU_CYCLE_1)
	s_and_saveexec_b32 s75, s13
	s_xor_b32 s13, exec_lo, s75
; %bb.10699:                            ;   in Loop: Header=BB2_10213 Depth=3
	v_min_i32_e32 v2, 31, v119
	s_delay_alu instid0(VALU_DEP_1) | instskip(NEXT) | instid1(VALU_DEP_1)
	v_lshl_or_b32 v2, v2, 2, v117
                                        ; implicit-def: $vgpr117
	v_and_or_b32 v46, v44, 3, v2
; %bb.10700:                            ;   in Loop: Header=BB2_10213 Depth=3
	s_and_not1_saveexec_b32 s13, s13
; %bb.10701:                            ;   in Loop: Header=BB2_10213 Depth=3
	v_mov_b32_e32 v46, v117
; %bb.10702:                            ;   in Loop: Header=BB2_10213 Depth=3
	s_or_b32 exec_lo, exec_lo, s13
.LBB2_10703:                            ;   in Loop: Header=BB2_10213 Depth=3
	s_delay_alu instid0(SALU_CYCLE_1)
	s_or_b32 exec_lo, exec_lo, s74
                                        ; implicit-def: $vgpr117
.LBB2_10704:                            ;   in Loop: Header=BB2_10213 Depth=3
	s_and_not1_saveexec_b32 s13, s15
; %bb.10705:                            ;   in Loop: Header=BB2_10213 Depth=3
	v_or_b32_e32 v46, 0x7b, v117
; %bb.10706:                            ;   in Loop: Header=BB2_10213 Depth=3
	s_or_b32 exec_lo, exec_lo, s13
                                        ; implicit-def: $vgpr119
.LBB2_10707:                            ;   in Loop: Header=BB2_10213 Depth=3
	s_and_not1_saveexec_b32 s13, s14
	s_cbranch_execz .LBB2_10713
; %bb.10708:                            ;   in Loop: Header=BB2_10213 Depth=3
	s_mov_b32 s14, exec_lo
                                        ; implicit-def: $vgpr46
	v_cmpx_ne_u64_e32 0, v[2:3]
	s_xor_b32 s14, exec_lo, s14
; %bb.10709:                            ;   in Loop: Header=BB2_10213 Depth=3
	v_lshrrev_b32_e32 v2, 24, v119
                                        ; implicit-def: $vgpr119
	s_delay_alu instid0(VALU_DEP_1)
	v_or_b32_e32 v46, 0x7f, v2
; %bb.10710:                            ;   in Loop: Header=BB2_10213 Depth=3
	s_and_not1_saveexec_b32 s14, s14
; %bb.10711:                            ;   in Loop: Header=BB2_10213 Depth=3
	v_cmp_lt_i32_e32 vcc_lo, -1, v119
	v_cndmask_b32_e64 v46, -4, 0x7c, vcc_lo
; %bb.10712:                            ;   in Loop: Header=BB2_10213 Depth=3
	s_or_b32 exec_lo, exec_lo, s14
.LBB2_10713:                            ;   in Loop: Header=BB2_10213 Depth=3
	s_delay_alu instid0(SALU_CYCLE_1) | instskip(SKIP_3) | instid1(VALU_DEP_2)
	s_or_b32 exec_lo, exec_lo, s13
	v_and_b32_e32 v41, 0xff, v42
	v_dual_mov_b32 v2, 0 :: v_dual_mov_b32 v117, 0
	s_mov_b32 s13, exec_lo
	v_cmpx_ne_u16_e32 0, v41
	s_cbranch_execz .LBB2_10723
; %bb.10714:                            ;   in Loop: Header=BB2_10213 Depth=3
	v_bfrev_b32_e32 v117, 1
	s_mov_b32 s14, exec_lo
	v_cmpx_ne_u16_e32 0x80, v41
	s_cbranch_execz .LBB2_10722
; %bb.10715:                            ;   in Loop: Header=BB2_10213 Depth=3
	v_and_b32_e32 v18, 0x7c, v42
	v_and_b32_e32 v119, 3, v42
	s_mov_b32 s15, exec_lo
                                        ; implicit-def: $vgpr117
	s_delay_alu instid0(VALU_DEP_2)
	v_cmpx_ne_u32_e32 0x7c, v18
	s_xor_b32 s15, exec_lo, s15
	s_cbranch_execz .LBB2_10719
; %bb.10716:                            ;   in Loop: Header=BB2_10213 Depth=3
	v_bfe_u32 v117, v41, 2, 5
	s_mov_b32 s74, exec_lo
	s_delay_alu instid0(VALU_DEP_1)
	v_cmpx_eq_u32_e32 0, v117
	s_cbranch_execz .LBB2_10718
; %bb.10717:                            ;   in Loop: Header=BB2_10213 Depth=3
	v_clz_i32_u32_e32 v18, v119
	s_delay_alu instid0(VALU_DEP_1) | instskip(SKIP_1) | instid1(VALU_DEP_2)
	v_min_u32_e32 v117, 32, v18
	v_mov_b32_e32 v43, v3
	v_subrev_nc_u32_e32 v18, 29, v117
	v_sub_nc_u32_e32 v117, 30, v117
	s_delay_alu instid0(VALU_DEP_2) | instskip(NEXT) | instid1(VALU_DEP_1)
	v_lshlrev_b64_e32 v[18:19], v18, v[42:43]
	v_and_b32_e32 v119, 3, v18
.LBB2_10718:                            ;   in Loop: Header=BB2_10213 Depth=3
	s_or_b32 exec_lo, exec_lo, s74
	v_lshlrev_b32_e32 v18, 24, v42
                                        ; implicit-def: $vgpr42
	s_delay_alu instid0(VALU_DEP_1) | instskip(NEXT) | instid1(VALU_DEP_1)
	v_and_b32_e32 v18, 0x80000000, v18
	v_lshl_add_u32 v18, v117, 23, v18
	s_delay_alu instid0(VALU_DEP_1) | instskip(NEXT) | instid1(VALU_DEP_1)
	v_lshl_or_b32 v18, v119, 21, v18
                                        ; implicit-def: $vgpr119
	v_add_nc_u32_e32 v117, 0x38000000, v18
.LBB2_10719:                            ;   in Loop: Header=BB2_10213 Depth=3
	s_and_not1_saveexec_b32 s15, s15
; %bb.10720:                            ;   in Loop: Header=BB2_10213 Depth=3
	v_bfe_i32 v18, v42, 0, 8
	s_delay_alu instid0(VALU_DEP_1) | instskip(SKIP_2) | instid1(VALU_DEP_2)
	v_cmp_lt_i16_e32 vcc_lo, -1, v18
	v_cndmask_b32_e32 v18, 0xff800000, v111, vcc_lo
	v_cmp_eq_u32_e32 vcc_lo, 0, v119
	v_cndmask_b32_e32 v117, 0x7f800001, v18, vcc_lo
; %bb.10721:                            ;   in Loop: Header=BB2_10213 Depth=3
	s_or_b32 exec_lo, exec_lo, s15
.LBB2_10722:                            ;   in Loop: Header=BB2_10213 Depth=3
	s_delay_alu instid0(SALU_CYCLE_1)
	s_or_b32 exec_lo, exec_lo, s14
.LBB2_10723:                            ;   in Loop: Header=BB2_10213 Depth=3
	s_delay_alu instid0(SALU_CYCLE_1) | instskip(NEXT) | instid1(SALU_CYCLE_1)
	s_or_b32 exec_lo, exec_lo, s13
	s_mov_b32 s13, exec_lo
	s_wait_loadcnt_dscnt 0x202
	v_cmpx_ne_u16_e32 0, v72
	s_cbranch_execz .LBB2_10733
; %bb.10724:                            ;   in Loop: Header=BB2_10213 Depth=3
	v_bfrev_b32_e32 v2, 1
	s_mov_b32 s14, exec_lo
	v_cmpx_ne_u16_e32 0xff80, v72
	s_cbranch_execz .LBB2_10732
; %bb.10725:                            ;   in Loop: Header=BB2_10213 Depth=3
	v_and_b32_e32 v2, 0x7c, v72
	v_and_b32_e32 v119, 3, v72
	s_delay_alu instid0(VALU_DEP_2) | instskip(SKIP_1) | instid1(SALU_CYCLE_1)
	v_cmp_ne_u32_e32 vcc_lo, 0x7c, v2
                                        ; implicit-def: $vgpr2
	s_and_saveexec_b32 s15, vcc_lo
	s_xor_b32 s15, exec_lo, s15
	s_cbranch_execz .LBB2_10729
; %bb.10726:                            ;   in Loop: Header=BB2_10213 Depth=3
	v_and_b32_e32 v2, 0xff, v72
	s_mov_b32 s74, exec_lo
	s_delay_alu instid0(VALU_DEP_1) | instskip(NEXT) | instid1(VALU_DEP_1)
	v_bfe_u32 v2, v2, 2, 5
	v_cmpx_eq_u32_e32 0, v2
	s_cbranch_execz .LBB2_10728
; %bb.10727:                            ;   in Loop: Header=BB2_10213 Depth=3
	v_clz_i32_u32_e32 v2, v119
	s_delay_alu instid0(VALU_DEP_1) | instskip(SKIP_1) | instid1(VALU_DEP_2)
	v_min_u32_e32 v2, 32, v2
	v_mov_b32_e32 v73, v3
	v_subrev_nc_u32_e32 v18, 29, v2
	v_sub_nc_u32_e32 v2, 30, v2
	s_delay_alu instid0(VALU_DEP_2) | instskip(NEXT) | instid1(VALU_DEP_1)
	v_lshlrev_b64_e32 v[18:19], v18, v[72:73]
	v_and_b32_e32 v119, 3, v18
.LBB2_10728:                            ;   in Loop: Header=BB2_10213 Depth=3
	s_or_b32 exec_lo, exec_lo, s74
	v_bfe_i32 v18, v72, 0, 16
                                        ; implicit-def: $vgpr72
	s_delay_alu instid0(VALU_DEP_1) | instskip(NEXT) | instid1(VALU_DEP_1)
	v_and_b32_e32 v18, 0x80000000, v18
	v_lshl_add_u32 v2, v2, 23, v18
	s_delay_alu instid0(VALU_DEP_1) | instskip(NEXT) | instid1(VALU_DEP_1)
	v_lshl_or_b32 v2, v119, 21, v2
                                        ; implicit-def: $vgpr119
	v_add_nc_u32_e32 v2, 0x38000000, v2
.LBB2_10729:                            ;   in Loop: Header=BB2_10213 Depth=3
	s_and_not1_saveexec_b32 s15, s15
; %bb.10730:                            ;   in Loop: Header=BB2_10213 Depth=3
	v_cmp_lt_i16_e32 vcc_lo, -1, v72
	v_cndmask_b32_e32 v2, 0xff800000, v111, vcc_lo
	v_cmp_eq_u32_e32 vcc_lo, 0, v119
	s_delay_alu instid0(VALU_DEP_2)
	v_cndmask_b32_e32 v2, 0x7f800001, v2, vcc_lo
; %bb.10731:                            ;   in Loop: Header=BB2_10213 Depth=3
	s_or_b32 exec_lo, exec_lo, s15
.LBB2_10732:                            ;   in Loop: Header=BB2_10213 Depth=3
	s_delay_alu instid0(SALU_CYCLE_1)
	s_or_b32 exec_lo, exec_lo, s14
.LBB2_10733:                            ;   in Loop: Header=BB2_10213 Depth=3
	s_delay_alu instid0(SALU_CYCLE_1) | instskip(NEXT) | instid1(VALU_DEP_1)
	s_or_b32 exec_lo, exec_lo, s13
	v_dual_add_f32 v119, v117, v2 :: v_dual_mov_b32 v19, v3
                                        ; implicit-def: $vgpr44
	s_mov_b32 s13, exec_lo
	s_delay_alu instid0(VALU_DEP_1) | instskip(SKIP_1) | instid1(VALU_DEP_2)
	v_and_b32_e32 v18, 0x7f800000, v119
	v_and_b32_e32 v2, 0x7fffff, v119
	v_cmpx_ne_u64_e32 0x7f800000, v[18:19]
	s_xor_b32 s14, exec_lo, s13
	s_cbranch_execz .LBB2_10751
; %bb.10734:                            ;   in Loop: Header=BB2_10213 Depth=3
	v_dual_mov_b32 v19, v3 :: v_dual_lshrrev_b32 v117, 24, v119
	v_and_b32_e32 v18, 0x7fffffff, v119
                                        ; implicit-def: $vgpr44
	s_mov_b32 s13, exec_lo
	s_delay_alu instid0(VALU_DEP_2) | instskip(NEXT) | instid1(VALU_DEP_2)
	v_and_b32_e32 v117, 0x80, v117
	v_cmpx_gt_u64_e32 0x47600001, v[18:19]
	s_xor_b32 s15, exec_lo, s13
	s_cbranch_execz .LBB2_10748
; %bb.10735:                            ;   in Loop: Header=BB2_10213 Depth=3
	v_mov_b32_e32 v44, 0
	s_mov_b32 s74, exec_lo
	v_cmpx_ne_u32_e32 0, v119
	s_cbranch_execz .LBB2_10747
; %bb.10736:                            ;   in Loop: Header=BB2_10213 Depth=3
	v_bfe_u32 v119, v119, 23, 8
	v_or_b32_e32 v42, 0x800000, v2
	s_delay_alu instid0(VALU_DEP_2) | instskip(SKIP_1) | instid1(VALU_DEP_2)
	v_dual_mov_b32 v43, v3 :: v_dual_sub_nc_u32 v18, 0x71, v119
	v_cmp_gt_u32_e32 vcc_lo, 0x72, v119
	v_cndmask_b32_e32 v18, 0, v18, vcc_lo
	v_cmp_eq_u32_e32 vcc_lo, 0, v119
	s_delay_alu instid0(VALU_DEP_2) | instskip(NEXT) | instid1(VALU_DEP_1)
	v_cndmask_b32_e64 v41, v18, 0x70, vcc_lo
	v_dual_cndmask_b32 v42, v42, v2, vcc_lo :: v_dual_add_nc_u32 v18, 21, v41
	v_add_nc_u32_e32 v44, 20, v41
	s_delay_alu instid0(VALU_DEP_2) | instskip(NEXT) | instid1(VALU_DEP_2)
	v_lshlrev_b64_e64 v[18:19], v18, -1
	v_lshlrev_b64_e64 v[44:45], v44, 1
	s_delay_alu instid0(VALU_DEP_2) | instskip(SKIP_1) | instid1(VALU_DEP_4)
	v_bfi_b32 v18, v18, 0, v42
	v_lshrrev_b64 v[42:43], v41, v[42:43]
	v_bfi_b32 v19, v19, 0, 0
	s_delay_alu instid0(VALU_DEP_1) | instskip(NEXT) | instid1(VALU_DEP_3)
	v_cmp_eq_u64_e64 s13, v[18:19], v[44:45]
	v_mov_b64_e32 v[44:45], v[42:43]
	s_and_saveexec_b32 s75, s13
; %bb.10737:                            ;   in Loop: Header=BB2_10213 Depth=3
	v_bfe_u32 v18, v42, 21, 1
	v_mov_b32_e32 v19, v3
	s_delay_alu instid0(VALU_DEP_1) | instskip(NEXT) | instid1(VALU_DEP_1)
	v_add_nc_u64_e32 v[18:19], v[42:43], v[18:19]
	v_add_nc_u64_e32 v[44:45], -1, v[18:19]
; %bb.10738:                            ;   in Loop: Header=BB2_10213 Depth=3
	s_or_b32 exec_lo, exec_lo, s75
	v_add_nc_u32_e32 v2, 0xffffff81, v119
	s_delay_alu instid0(VALU_DEP_2) | instskip(SKIP_2) | instid1(VALU_DEP_3)
	v_and_b32_e32 v19, 0x1fffff, v44
	v_lshrrev_b32_e32 v18, 23, v42
	s_mov_b32 s13, exec_lo
                                        ; implicit-def: $vgpr119
	v_cndmask_b32_e64 v2, v2, 0xffffff82, vcc_lo
	s_delay_alu instid0(VALU_DEP_1) | instskip(SKIP_1) | instid1(VALU_DEP_2)
	v_add3_u32 v41, v41, v2, v18
	v_add_nc_u32_e32 v2, v19, v42
                                        ; implicit-def: $vgpr42_vgpr43
	v_add_nc_u32_e32 v44, 14, v41
	s_delay_alu instid0(VALU_DEP_1)
	v_cmpx_ne_u32_e32 0, v44
	s_xor_b32 s13, exec_lo, s13
; %bb.10739:                            ;   in Loop: Header=BB2_10213 Depth=3
	s_delay_alu instid0(VALU_DEP_3) | instskip(SKIP_1) | instid1(VALU_DEP_1)
	v_cmp_lt_u64_e32 vcc_lo, 0xffffff, v[2:3]
	v_add_nc_u32_e32 v18, 15, v41
	v_cndmask_b32_e32 v119, v44, v18, vcc_lo
	v_cndmask_b32_e64 v18, 0, 1, vcc_lo
	s_delay_alu instid0(VALU_DEP_1)
	v_lshrrev_b64 v[42:43], v18, v[2:3]
; %bb.10740:                            ;   in Loop: Header=BB2_10213 Depth=3
	s_and_not1_saveexec_b32 s13, s13
; %bb.10741:                            ;   in Loop: Header=BB2_10213 Depth=3
	v_mov_b64_e32 v[42:43], v[2:3]
	v_bfe_u32 v119, v2, 23, 1
; %bb.10742:                            ;   in Loop: Header=BB2_10213 Depth=3
	s_or_b32 exec_lo, exec_lo, s13
	s_delay_alu instid0(VALU_DEP_2) | instskip(NEXT) | instid1(VALU_DEP_2)
	v_lshrrev_b64 v[18:19], 21, v[42:43]
	v_cmp_gt_i32_e32 vcc_lo, 32, v119
	v_cmp_ne_u32_e64 s13, 0, v119
                                        ; implicit-def: $vgpr44
	s_delay_alu instid0(VALU_DEP_3) | instskip(NEXT) | instid1(VALU_DEP_1)
	v_dual_cndmask_b32 v43, 0, v19 :: v_dual_cndmask_b32 v42, 3, v18
	v_cmp_ne_u64_e32 vcc_lo, 0, v[42:43]
	s_or_b32 s13, s13, vcc_lo
	s_delay_alu instid0(SALU_CYCLE_1) | instskip(NEXT) | instid1(SALU_CYCLE_1)
	s_and_saveexec_b32 s75, s13
	s_xor_b32 s13, exec_lo, s75
; %bb.10743:                            ;   in Loop: Header=BB2_10213 Depth=3
	v_min_i32_e32 v2, 31, v119
	s_delay_alu instid0(VALU_DEP_1) | instskip(NEXT) | instid1(VALU_DEP_1)
	v_lshl_or_b32 v2, v2, 2, v117
                                        ; implicit-def: $vgpr117
	v_and_or_b32 v44, v42, 3, v2
; %bb.10744:                            ;   in Loop: Header=BB2_10213 Depth=3
	s_and_not1_saveexec_b32 s13, s13
; %bb.10745:                            ;   in Loop: Header=BB2_10213 Depth=3
	v_mov_b32_e32 v44, v117
; %bb.10746:                            ;   in Loop: Header=BB2_10213 Depth=3
	s_or_b32 exec_lo, exec_lo, s13
.LBB2_10747:                            ;   in Loop: Header=BB2_10213 Depth=3
	s_delay_alu instid0(SALU_CYCLE_1)
	s_or_b32 exec_lo, exec_lo, s74
                                        ; implicit-def: $vgpr117
.LBB2_10748:                            ;   in Loop: Header=BB2_10213 Depth=3
	s_and_not1_saveexec_b32 s13, s15
; %bb.10749:                            ;   in Loop: Header=BB2_10213 Depth=3
	v_or_b32_e32 v44, 0x7b, v117
; %bb.10750:                            ;   in Loop: Header=BB2_10213 Depth=3
	s_or_b32 exec_lo, exec_lo, s13
                                        ; implicit-def: $vgpr119
.LBB2_10751:                            ;   in Loop: Header=BB2_10213 Depth=3
	s_and_not1_saveexec_b32 s13, s14
	s_cbranch_execz .LBB2_10757
; %bb.10752:                            ;   in Loop: Header=BB2_10213 Depth=3
	s_mov_b32 s14, exec_lo
                                        ; implicit-def: $vgpr44
	v_cmpx_ne_u64_e32 0, v[2:3]
	s_xor_b32 s14, exec_lo, s14
; %bb.10753:                            ;   in Loop: Header=BB2_10213 Depth=3
	v_lshrrev_b32_e32 v2, 24, v119
                                        ; implicit-def: $vgpr119
	s_delay_alu instid0(VALU_DEP_1)
	v_or_b32_e32 v44, 0x7f, v2
; %bb.10754:                            ;   in Loop: Header=BB2_10213 Depth=3
	s_and_not1_saveexec_b32 s14, s14
; %bb.10755:                            ;   in Loop: Header=BB2_10213 Depth=3
	v_cmp_lt_i32_e32 vcc_lo, -1, v119
	v_cndmask_b32_e64 v44, -4, 0x7c, vcc_lo
; %bb.10756:                            ;   in Loop: Header=BB2_10213 Depth=3
	s_or_b32 exec_lo, exec_lo, s14
.LBB2_10757:                            ;   in Loop: Header=BB2_10213 Depth=3
	s_delay_alu instid0(SALU_CYCLE_1) | instskip(SKIP_3) | instid1(VALU_DEP_2)
	s_or_b32 exec_lo, exec_lo, s13
	v_and_b32_e32 v41, 0xff, v40
	v_dual_mov_b32 v2, 0 :: v_dual_mov_b32 v117, 0
	s_mov_b32 s13, exec_lo
	v_cmpx_ne_u16_e32 0, v41
	s_cbranch_execz .LBB2_10767
; %bb.10758:                            ;   in Loop: Header=BB2_10213 Depth=3
	v_bfrev_b32_e32 v117, 1
	s_mov_b32 s14, exec_lo
	v_cmpx_ne_u16_e32 0x80, v41
	s_cbranch_execz .LBB2_10766
; %bb.10759:                            ;   in Loop: Header=BB2_10213 Depth=3
	v_and_b32_e32 v18, 0x7c, v40
	v_and_b32_e32 v119, 3, v40
	s_mov_b32 s15, exec_lo
                                        ; implicit-def: $vgpr117
	s_delay_alu instid0(VALU_DEP_2)
	v_cmpx_ne_u32_e32 0x7c, v18
	s_xor_b32 s15, exec_lo, s15
	s_cbranch_execz .LBB2_10763
; %bb.10760:                            ;   in Loop: Header=BB2_10213 Depth=3
	v_bfe_u32 v117, v41, 2, 5
	s_mov_b32 s74, exec_lo
	s_delay_alu instid0(VALU_DEP_1)
	v_cmpx_eq_u32_e32 0, v117
	s_cbranch_execz .LBB2_10762
; %bb.10761:                            ;   in Loop: Header=BB2_10213 Depth=3
	v_clz_i32_u32_e32 v18, v119
	s_delay_alu instid0(VALU_DEP_1) | instskip(SKIP_1) | instid1(VALU_DEP_2)
	v_min_u32_e32 v117, 32, v18
	v_mov_b32_e32 v41, v3
	v_subrev_nc_u32_e32 v18, 29, v117
	v_sub_nc_u32_e32 v117, 30, v117
	s_delay_alu instid0(VALU_DEP_2) | instskip(NEXT) | instid1(VALU_DEP_1)
	v_lshlrev_b64_e32 v[18:19], v18, v[40:41]
	v_and_b32_e32 v119, 3, v18
.LBB2_10762:                            ;   in Loop: Header=BB2_10213 Depth=3
	s_or_b32 exec_lo, exec_lo, s74
	v_lshlrev_b32_e32 v18, 24, v40
                                        ; implicit-def: $vgpr40
	s_delay_alu instid0(VALU_DEP_1) | instskip(NEXT) | instid1(VALU_DEP_1)
	v_and_b32_e32 v18, 0x80000000, v18
	v_lshl_add_u32 v18, v117, 23, v18
	s_delay_alu instid0(VALU_DEP_1) | instskip(NEXT) | instid1(VALU_DEP_1)
	v_lshl_or_b32 v18, v119, 21, v18
                                        ; implicit-def: $vgpr119
	v_add_nc_u32_e32 v117, 0x38000000, v18
.LBB2_10763:                            ;   in Loop: Header=BB2_10213 Depth=3
	s_and_not1_saveexec_b32 s15, s15
; %bb.10764:                            ;   in Loop: Header=BB2_10213 Depth=3
	v_bfe_i32 v18, v40, 0, 8
	s_delay_alu instid0(VALU_DEP_1) | instskip(SKIP_2) | instid1(VALU_DEP_2)
	v_cmp_lt_i16_e32 vcc_lo, -1, v18
	v_cndmask_b32_e32 v18, 0xff800000, v111, vcc_lo
	v_cmp_eq_u32_e32 vcc_lo, 0, v119
	v_cndmask_b32_e32 v117, 0x7f800001, v18, vcc_lo
; %bb.10765:                            ;   in Loop: Header=BB2_10213 Depth=3
	s_or_b32 exec_lo, exec_lo, s15
.LBB2_10766:                            ;   in Loop: Header=BB2_10213 Depth=3
	s_delay_alu instid0(SALU_CYCLE_1)
	s_or_b32 exec_lo, exec_lo, s14
.LBB2_10767:                            ;   in Loop: Header=BB2_10213 Depth=3
	s_delay_alu instid0(SALU_CYCLE_1) | instskip(NEXT) | instid1(SALU_CYCLE_1)
	s_or_b32 exec_lo, exec_lo, s13
	s_mov_b32 s13, exec_lo
	s_wait_loadcnt_dscnt 0x101
	v_cmpx_ne_u16_e32 0, v56
	s_cbranch_execz .LBB2_10777
; %bb.10768:                            ;   in Loop: Header=BB2_10213 Depth=3
	v_bfrev_b32_e32 v2, 1
	s_mov_b32 s14, exec_lo
	v_cmpx_ne_u16_e32 0xff80, v56
	s_cbranch_execz .LBB2_10776
; %bb.10769:                            ;   in Loop: Header=BB2_10213 Depth=3
	v_and_b32_e32 v2, 0x7c, v56
	v_and_b32_e32 v119, 3, v56
	s_delay_alu instid0(VALU_DEP_2) | instskip(SKIP_1) | instid1(SALU_CYCLE_1)
	v_cmp_ne_u32_e32 vcc_lo, 0x7c, v2
                                        ; implicit-def: $vgpr2
	s_and_saveexec_b32 s15, vcc_lo
	s_xor_b32 s15, exec_lo, s15
	s_cbranch_execz .LBB2_10773
; %bb.10770:                            ;   in Loop: Header=BB2_10213 Depth=3
	v_and_b32_e32 v2, 0xff, v56
	s_mov_b32 s74, exec_lo
	s_delay_alu instid0(VALU_DEP_1) | instskip(NEXT) | instid1(VALU_DEP_1)
	v_bfe_u32 v2, v2, 2, 5
	v_cmpx_eq_u32_e32 0, v2
	s_cbranch_execz .LBB2_10772
; %bb.10771:                            ;   in Loop: Header=BB2_10213 Depth=3
	v_clz_i32_u32_e32 v2, v119
	s_delay_alu instid0(VALU_DEP_1) | instskip(SKIP_1) | instid1(VALU_DEP_2)
	v_min_u32_e32 v2, 32, v2
	v_mov_b32_e32 v57, v3
	v_subrev_nc_u32_e32 v18, 29, v2
	v_sub_nc_u32_e32 v2, 30, v2
	s_delay_alu instid0(VALU_DEP_2) | instskip(NEXT) | instid1(VALU_DEP_1)
	v_lshlrev_b64_e32 v[18:19], v18, v[56:57]
	v_and_b32_e32 v119, 3, v18
.LBB2_10772:                            ;   in Loop: Header=BB2_10213 Depth=3
	s_or_b32 exec_lo, exec_lo, s74
	v_bfe_i32 v18, v56, 0, 16
                                        ; implicit-def: $vgpr56
	s_delay_alu instid0(VALU_DEP_1) | instskip(NEXT) | instid1(VALU_DEP_1)
	v_and_b32_e32 v18, 0x80000000, v18
	v_lshl_add_u32 v2, v2, 23, v18
	s_delay_alu instid0(VALU_DEP_1) | instskip(NEXT) | instid1(VALU_DEP_1)
	v_lshl_or_b32 v2, v119, 21, v2
                                        ; implicit-def: $vgpr119
	v_add_nc_u32_e32 v2, 0x38000000, v2
.LBB2_10773:                            ;   in Loop: Header=BB2_10213 Depth=3
	s_and_not1_saveexec_b32 s15, s15
; %bb.10774:                            ;   in Loop: Header=BB2_10213 Depth=3
	v_cmp_lt_i16_e32 vcc_lo, -1, v56
	v_cndmask_b32_e32 v2, 0xff800000, v111, vcc_lo
	v_cmp_eq_u32_e32 vcc_lo, 0, v119
	s_delay_alu instid0(VALU_DEP_2)
	v_cndmask_b32_e32 v2, 0x7f800001, v2, vcc_lo
; %bb.10775:                            ;   in Loop: Header=BB2_10213 Depth=3
	s_or_b32 exec_lo, exec_lo, s15
.LBB2_10776:                            ;   in Loop: Header=BB2_10213 Depth=3
	s_delay_alu instid0(SALU_CYCLE_1)
	s_or_b32 exec_lo, exec_lo, s14
.LBB2_10777:                            ;   in Loop: Header=BB2_10213 Depth=3
	s_delay_alu instid0(SALU_CYCLE_1) | instskip(NEXT) | instid1(VALU_DEP_1)
	s_or_b32 exec_lo, exec_lo, s13
	v_dual_add_f32 v119, v117, v2 :: v_dual_mov_b32 v19, v3
                                        ; implicit-def: $vgpr41
	s_mov_b32 s13, exec_lo
	s_delay_alu instid0(VALU_DEP_1) | instskip(SKIP_1) | instid1(VALU_DEP_2)
	v_and_b32_e32 v18, 0x7f800000, v119
	v_and_b32_e32 v2, 0x7fffff, v119
	v_cmpx_ne_u64_e32 0x7f800000, v[18:19]
	s_xor_b32 s14, exec_lo, s13
	s_cbranch_execz .LBB2_10795
; %bb.10778:                            ;   in Loop: Header=BB2_10213 Depth=3
	v_dual_mov_b32 v19, v3 :: v_dual_lshrrev_b32 v117, 24, v119
	v_and_b32_e32 v18, 0x7fffffff, v119
                                        ; implicit-def: $vgpr41
	s_mov_b32 s13, exec_lo
	s_delay_alu instid0(VALU_DEP_2) | instskip(NEXT) | instid1(VALU_DEP_2)
	v_and_b32_e32 v117, 0x80, v117
	v_cmpx_gt_u64_e32 0x47600001, v[18:19]
	s_xor_b32 s15, exec_lo, s13
	s_cbranch_execz .LBB2_10792
; %bb.10779:                            ;   in Loop: Header=BB2_10213 Depth=3
	v_mov_b32_e32 v41, 0
	s_mov_b32 s74, exec_lo
	v_cmpx_ne_u32_e32 0, v119
	s_cbranch_execz .LBB2_10791
; %bb.10780:                            ;   in Loop: Header=BB2_10213 Depth=3
	v_bfe_u32 v119, v119, 23, 8
	v_or_b32_e32 v40, 0x800000, v2
	s_delay_alu instid0(VALU_DEP_2) | instskip(SKIP_1) | instid1(VALU_DEP_2)
	v_dual_mov_b32 v41, v3 :: v_dual_sub_nc_u32 v18, 0x71, v119
	v_cmp_gt_u32_e32 vcc_lo, 0x72, v119
	v_cndmask_b32_e32 v18, 0, v18, vcc_lo
	v_cmp_eq_u32_e32 vcc_lo, 0, v119
	s_delay_alu instid0(VALU_DEP_2) | instskip(NEXT) | instid1(VALU_DEP_1)
	v_cndmask_b32_e64 v45, v18, 0x70, vcc_lo
	v_dual_cndmask_b32 v40, v40, v2, vcc_lo :: v_dual_add_nc_u32 v18, 21, v45
	v_add_nc_u32_e32 v42, 20, v45
	s_delay_alu instid0(VALU_DEP_2) | instskip(NEXT) | instid1(VALU_DEP_2)
	v_lshlrev_b64_e64 v[18:19], v18, -1
	v_lshlrev_b64_e64 v[42:43], v42, 1
	s_delay_alu instid0(VALU_DEP_2) | instskip(SKIP_1) | instid1(VALU_DEP_4)
	v_bfi_b32 v18, v18, 0, v40
	v_lshrrev_b64 v[40:41], v45, v[40:41]
	v_bfi_b32 v19, v19, 0, 0
	s_delay_alu instid0(VALU_DEP_1) | instskip(NEXT) | instid1(VALU_DEP_3)
	v_cmp_eq_u64_e64 s13, v[18:19], v[42:43]
	v_mov_b64_e32 v[42:43], v[40:41]
	s_and_saveexec_b32 s75, s13
; %bb.10781:                            ;   in Loop: Header=BB2_10213 Depth=3
	v_bfe_u32 v18, v40, 21, 1
	v_mov_b32_e32 v19, v3
	s_delay_alu instid0(VALU_DEP_1) | instskip(NEXT) | instid1(VALU_DEP_1)
	v_add_nc_u64_e32 v[18:19], v[40:41], v[18:19]
	v_add_nc_u64_e32 v[42:43], -1, v[18:19]
; %bb.10782:                            ;   in Loop: Header=BB2_10213 Depth=3
	s_or_b32 exec_lo, exec_lo, s75
	v_add_nc_u32_e32 v2, 0xffffff81, v119
	s_delay_alu instid0(VALU_DEP_2) | instskip(SKIP_2) | instid1(VALU_DEP_3)
	v_and_b32_e32 v19, 0x1fffff, v42
	v_lshrrev_b32_e32 v18, 23, v40
	s_mov_b32 s13, exec_lo
                                        ; implicit-def: $vgpr119
	v_cndmask_b32_e64 v2, v2, 0xffffff82, vcc_lo
	s_delay_alu instid0(VALU_DEP_1) | instskip(SKIP_1) | instid1(VALU_DEP_2)
	v_add3_u32 v42, v45, v2, v18
	v_add_nc_u32_e32 v2, v19, v40
                                        ; implicit-def: $vgpr40_vgpr41
	v_add_nc_u32_e32 v43, 14, v42
	s_delay_alu instid0(VALU_DEP_1)
	v_cmpx_ne_u32_e32 0, v43
	s_xor_b32 s13, exec_lo, s13
; %bb.10783:                            ;   in Loop: Header=BB2_10213 Depth=3
	s_delay_alu instid0(VALU_DEP_3) | instskip(SKIP_1) | instid1(VALU_DEP_1)
	v_cmp_lt_u64_e32 vcc_lo, 0xffffff, v[2:3]
	v_add_nc_u32_e32 v18, 15, v42
	v_cndmask_b32_e32 v119, v43, v18, vcc_lo
	v_cndmask_b32_e64 v18, 0, 1, vcc_lo
	s_delay_alu instid0(VALU_DEP_1)
	v_lshrrev_b64 v[40:41], v18, v[2:3]
; %bb.10784:                            ;   in Loop: Header=BB2_10213 Depth=3
	s_and_not1_saveexec_b32 s13, s13
; %bb.10785:                            ;   in Loop: Header=BB2_10213 Depth=3
	v_mov_b64_e32 v[40:41], v[2:3]
	v_bfe_u32 v119, v2, 23, 1
; %bb.10786:                            ;   in Loop: Header=BB2_10213 Depth=3
	s_or_b32 exec_lo, exec_lo, s13
	s_delay_alu instid0(VALU_DEP_2) | instskip(NEXT) | instid1(VALU_DEP_2)
	v_lshrrev_b64 v[18:19], 21, v[40:41]
	v_cmp_gt_i32_e32 vcc_lo, 32, v119
	v_cmp_ne_u32_e64 s13, 0, v119
	s_delay_alu instid0(VALU_DEP_3) | instskip(NEXT) | instid1(VALU_DEP_1)
	v_dual_cndmask_b32 v41, 0, v19 :: v_dual_cndmask_b32 v40, 3, v18
	v_cmp_ne_u64_e32 vcc_lo, 0, v[40:41]
                                        ; implicit-def: $vgpr41
	s_or_b32 s13, s13, vcc_lo
	s_delay_alu instid0(SALU_CYCLE_1) | instskip(NEXT) | instid1(SALU_CYCLE_1)
	s_and_saveexec_b32 s75, s13
	s_xor_b32 s13, exec_lo, s75
; %bb.10787:                            ;   in Loop: Header=BB2_10213 Depth=3
	v_min_i32_e32 v2, 31, v119
	s_delay_alu instid0(VALU_DEP_1) | instskip(NEXT) | instid1(VALU_DEP_1)
	v_lshl_or_b32 v2, v2, 2, v117
                                        ; implicit-def: $vgpr117
	v_and_or_b32 v41, v40, 3, v2
; %bb.10788:                            ;   in Loop: Header=BB2_10213 Depth=3
	s_and_not1_saveexec_b32 s13, s13
; %bb.10789:                            ;   in Loop: Header=BB2_10213 Depth=3
	v_mov_b32_e32 v41, v117
; %bb.10790:                            ;   in Loop: Header=BB2_10213 Depth=3
	s_or_b32 exec_lo, exec_lo, s13
.LBB2_10791:                            ;   in Loop: Header=BB2_10213 Depth=3
	s_delay_alu instid0(SALU_CYCLE_1)
	s_or_b32 exec_lo, exec_lo, s74
                                        ; implicit-def: $vgpr117
.LBB2_10792:                            ;   in Loop: Header=BB2_10213 Depth=3
	s_and_not1_saveexec_b32 s13, s15
; %bb.10793:                            ;   in Loop: Header=BB2_10213 Depth=3
	v_or_b32_e32 v41, 0x7b, v117
; %bb.10794:                            ;   in Loop: Header=BB2_10213 Depth=3
	s_or_b32 exec_lo, exec_lo, s13
                                        ; implicit-def: $vgpr119
.LBB2_10795:                            ;   in Loop: Header=BB2_10213 Depth=3
	s_and_not1_saveexec_b32 s13, s14
	s_cbranch_execz .LBB2_10801
; %bb.10796:                            ;   in Loop: Header=BB2_10213 Depth=3
	s_mov_b32 s14, exec_lo
                                        ; implicit-def: $vgpr41
	v_cmpx_ne_u64_e32 0, v[2:3]
	s_xor_b32 s14, exec_lo, s14
; %bb.10797:                            ;   in Loop: Header=BB2_10213 Depth=3
	v_lshrrev_b32_e32 v2, 24, v119
                                        ; implicit-def: $vgpr119
	s_delay_alu instid0(VALU_DEP_1)
	v_or_b32_e32 v41, 0x7f, v2
; %bb.10798:                            ;   in Loop: Header=BB2_10213 Depth=3
	s_and_not1_saveexec_b32 s14, s14
; %bb.10799:                            ;   in Loop: Header=BB2_10213 Depth=3
	v_cmp_lt_i32_e32 vcc_lo, -1, v119
	v_cndmask_b32_e64 v41, -4, 0x7c, vcc_lo
; %bb.10800:                            ;   in Loop: Header=BB2_10213 Depth=3
	s_or_b32 exec_lo, exec_lo, s14
.LBB2_10801:                            ;   in Loop: Header=BB2_10213 Depth=3
	s_delay_alu instid0(SALU_CYCLE_1) | instskip(SKIP_3) | instid1(VALU_DEP_2)
	s_or_b32 exec_lo, exec_lo, s13
	v_and_b32_e32 v40, 0xff, v116
	v_dual_mov_b32 v2, 0 :: v_dual_mov_b32 v117, 0
	s_mov_b32 s13, exec_lo
	v_cmpx_ne_u16_e32 0, v40
	s_cbranch_execz .LBB2_10811
; %bb.10802:                            ;   in Loop: Header=BB2_10213 Depth=3
	v_bfrev_b32_e32 v117, 1
	s_mov_b32 s14, exec_lo
	v_cmpx_ne_u16_e32 0x80, v40
	s_cbranch_execz .LBB2_10810
; %bb.10803:                            ;   in Loop: Header=BB2_10213 Depth=3
	v_and_b32_e32 v18, 0x7c, v116
	v_and_b32_e32 v119, 3, v116
	s_mov_b32 s15, exec_lo
                                        ; implicit-def: $vgpr117
	s_delay_alu instid0(VALU_DEP_2)
	v_cmpx_ne_u32_e32 0x7c, v18
	s_xor_b32 s15, exec_lo, s15
	s_cbranch_execz .LBB2_10807
; %bb.10804:                            ;   in Loop: Header=BB2_10213 Depth=3
	v_bfe_u32 v117, v40, 2, 5
	s_mov_b32 s74, exec_lo
	s_delay_alu instid0(VALU_DEP_1)
	v_cmpx_eq_u32_e32 0, v117
; %bb.10805:                            ;   in Loop: Header=BB2_10213 Depth=3
	v_clz_i32_u32_e32 v18, v119
	v_mov_b32_e32 v117, v3
	s_delay_alu instid0(VALU_DEP_2) | instskip(NEXT) | instid1(VALU_DEP_1)
	v_min_u32_e32 v119, 32, v18
	v_subrev_nc_u32_e32 v18, 29, v119
	s_delay_alu instid0(VALU_DEP_1) | instskip(NEXT) | instid1(VALU_DEP_1)
	v_lshlrev_b64_e32 v[18:19], v18, v[116:117]
	v_dual_sub_nc_u32 v117, 30, v119 :: v_dual_bitop2_b32 v119, 3, v18 bitop3:0x40
; %bb.10806:                            ;   in Loop: Header=BB2_10213 Depth=3
	s_or_b32 exec_lo, exec_lo, s74
	v_lshlrev_b32_e32 v18, 24, v116
                                        ; implicit-def: $vgpr116
	s_delay_alu instid0(VALU_DEP_1) | instskip(NEXT) | instid1(VALU_DEP_1)
	v_and_b32_e32 v18, 0x80000000, v18
	v_lshl_add_u32 v18, v117, 23, v18
	s_delay_alu instid0(VALU_DEP_1) | instskip(NEXT) | instid1(VALU_DEP_1)
	v_lshl_or_b32 v18, v119, 21, v18
                                        ; implicit-def: $vgpr119
	v_add_nc_u32_e32 v117, 0x38000000, v18
.LBB2_10807:                            ;   in Loop: Header=BB2_10213 Depth=3
	s_and_not1_saveexec_b32 s15, s15
; %bb.10808:                            ;   in Loop: Header=BB2_10213 Depth=3
	v_bfe_i32 v18, v116, 0, 8
	s_delay_alu instid0(VALU_DEP_1) | instskip(SKIP_2) | instid1(VALU_DEP_2)
	v_cmp_lt_i16_e32 vcc_lo, -1, v18
	v_cndmask_b32_e32 v18, 0xff800000, v111, vcc_lo
	v_cmp_eq_u32_e32 vcc_lo, 0, v119
	v_cndmask_b32_e32 v117, 0x7f800001, v18, vcc_lo
; %bb.10809:                            ;   in Loop: Header=BB2_10213 Depth=3
	s_or_b32 exec_lo, exec_lo, s15
.LBB2_10810:                            ;   in Loop: Header=BB2_10213 Depth=3
	s_delay_alu instid0(SALU_CYCLE_1)
	s_or_b32 exec_lo, exec_lo, s14
.LBB2_10811:                            ;   in Loop: Header=BB2_10213 Depth=3
	s_delay_alu instid0(SALU_CYCLE_1) | instskip(NEXT) | instid1(SALU_CYCLE_1)
	s_or_b32 exec_lo, exec_lo, s13
	s_mov_b32 s13, exec_lo
	s_wait_loadcnt_dscnt 0x0
	v_cmpx_ne_u16_e32 0, v118
	s_cbranch_execz .LBB2_10821
; %bb.10812:                            ;   in Loop: Header=BB2_10213 Depth=3
	v_bfrev_b32_e32 v2, 1
	s_mov_b32 s14, exec_lo
	v_cmpx_ne_u16_e32 0xff80, v118
	s_cbranch_execz .LBB2_10820
; %bb.10813:                            ;   in Loop: Header=BB2_10213 Depth=3
	v_and_b32_e32 v2, 0x7c, v118
	v_and_b32_e32 v116, 3, v118
	s_delay_alu instid0(VALU_DEP_2) | instskip(SKIP_1) | instid1(SALU_CYCLE_1)
	v_cmp_ne_u32_e32 vcc_lo, 0x7c, v2
                                        ; implicit-def: $vgpr2
	s_and_saveexec_b32 s15, vcc_lo
	s_xor_b32 s15, exec_lo, s15
	s_cbranch_execz .LBB2_10817
; %bb.10814:                            ;   in Loop: Header=BB2_10213 Depth=3
	v_and_b32_e32 v2, 0xff, v118
	s_mov_b32 s74, exec_lo
	s_delay_alu instid0(VALU_DEP_1) | instskip(NEXT) | instid1(VALU_DEP_1)
	v_bfe_u32 v2, v2, 2, 5
	v_cmpx_eq_u32_e32 0, v2
	s_cbranch_execz .LBB2_10816
; %bb.10815:                            ;   in Loop: Header=BB2_10213 Depth=3
	v_clz_i32_u32_e32 v2, v116
	s_delay_alu instid0(VALU_DEP_1) | instskip(SKIP_1) | instid1(VALU_DEP_2)
	v_min_u32_e32 v2, 32, v2
	v_mov_b32_e32 v119, v3
	v_subrev_nc_u32_e32 v18, 29, v2
	v_sub_nc_u32_e32 v2, 30, v2
	s_delay_alu instid0(VALU_DEP_2) | instskip(NEXT) | instid1(VALU_DEP_1)
	v_lshlrev_b64_e32 v[18:19], v18, v[118:119]
	v_and_b32_e32 v116, 3, v18
.LBB2_10816:                            ;   in Loop: Header=BB2_10213 Depth=3
	s_or_b32 exec_lo, exec_lo, s74
	v_bfe_i32 v18, v118, 0, 16
                                        ; implicit-def: $vgpr118
	s_delay_alu instid0(VALU_DEP_1) | instskip(NEXT) | instid1(VALU_DEP_1)
	v_and_b32_e32 v18, 0x80000000, v18
	v_lshl_add_u32 v2, v2, 23, v18
	s_delay_alu instid0(VALU_DEP_1) | instskip(NEXT) | instid1(VALU_DEP_1)
	v_lshl_or_b32 v2, v116, 21, v2
                                        ; implicit-def: $vgpr116
	v_add_nc_u32_e32 v2, 0x38000000, v2
.LBB2_10817:                            ;   in Loop: Header=BB2_10213 Depth=3
	s_and_not1_saveexec_b32 s15, s15
; %bb.10818:                            ;   in Loop: Header=BB2_10213 Depth=3
	v_cmp_lt_i16_e32 vcc_lo, -1, v118
	v_cndmask_b32_e32 v2, 0xff800000, v111, vcc_lo
	v_cmp_eq_u32_e32 vcc_lo, 0, v116
	s_delay_alu instid0(VALU_DEP_2)
	v_cndmask_b32_e32 v2, 0x7f800001, v2, vcc_lo
; %bb.10819:                            ;   in Loop: Header=BB2_10213 Depth=3
	s_or_b32 exec_lo, exec_lo, s15
.LBB2_10820:                            ;   in Loop: Header=BB2_10213 Depth=3
	s_delay_alu instid0(SALU_CYCLE_1)
	s_or_b32 exec_lo, exec_lo, s14
.LBB2_10821:                            ;   in Loop: Header=BB2_10213 Depth=3
	s_delay_alu instid0(SALU_CYCLE_1) | instskip(NEXT) | instid1(VALU_DEP_1)
	s_or_b32 exec_lo, exec_lo, s13
	v_dual_add_f32 v116, v117, v2 :: v_dual_mov_b32 v19, v3
                                        ; implicit-def: $vgpr117
	s_mov_b32 s13, exec_lo
	s_delay_alu instid0(VALU_DEP_1) | instskip(SKIP_1) | instid1(VALU_DEP_2)
	v_and_b32_e32 v18, 0x7f800000, v116
	v_and_b32_e32 v2, 0x7fffff, v116
	v_cmpx_ne_u64_e32 0x7f800000, v[18:19]
	s_xor_b32 s14, exec_lo, s13
	s_cbranch_execz .LBB2_10839
; %bb.10822:                            ;   in Loop: Header=BB2_10213 Depth=3
	v_dual_mov_b32 v19, v3 :: v_dual_lshrrev_b32 v117, 24, v116
	v_and_b32_e32 v18, 0x7fffffff, v116
	s_mov_b32 s13, exec_lo
	s_delay_alu instid0(VALU_DEP_2) | instskip(NEXT) | instid1(VALU_DEP_2)
	v_and_b32_e32 v40, 0x80, v117
                                        ; implicit-def: $vgpr117
	v_cmpx_gt_u64_e32 0x47600001, v[18:19]
	s_xor_b32 s15, exec_lo, s13
	s_cbranch_execz .LBB2_10836
; %bb.10823:                            ;   in Loop: Header=BB2_10213 Depth=3
	v_mov_b32_e32 v117, 0
	s_mov_b32 s74, exec_lo
	v_cmpx_ne_u32_e32 0, v116
	s_cbranch_execz .LBB2_10835
; %bb.10824:                            ;   in Loop: Header=BB2_10213 Depth=3
	v_bfe_u32 v42, v116, 23, 8
	v_or_b32_e32 v116, 0x800000, v2
	s_delay_alu instid0(VALU_DEP_2) | instskip(SKIP_1) | instid1(VALU_DEP_2)
	v_dual_mov_b32 v117, v3 :: v_dual_sub_nc_u32 v18, 0x71, v42
	v_cmp_gt_u32_e32 vcc_lo, 0x72, v42
	v_cndmask_b32_e32 v18, 0, v18, vcc_lo
	v_cmp_eq_u32_e32 vcc_lo, 0, v42
	s_delay_alu instid0(VALU_DEP_2) | instskip(NEXT) | instid1(VALU_DEP_1)
	v_cndmask_b32_e64 v43, v18, 0x70, vcc_lo
	v_dual_cndmask_b32 v116, v116, v2, vcc_lo :: v_dual_add_nc_u32 v18, 21, v43
	v_add_nc_u32_e32 v118, 20, v43
	s_delay_alu instid0(VALU_DEP_2) | instskip(NEXT) | instid1(VALU_DEP_2)
	v_lshlrev_b64_e64 v[18:19], v18, -1
	v_lshlrev_b64_e64 v[118:119], v118, 1
	s_delay_alu instid0(VALU_DEP_2) | instskip(SKIP_1) | instid1(VALU_DEP_4)
	v_bfi_b32 v18, v18, 0, v116
	v_lshrrev_b64 v[116:117], v43, v[116:117]
	v_bfi_b32 v19, v19, 0, 0
	s_delay_alu instid0(VALU_DEP_1) | instskip(NEXT) | instid1(VALU_DEP_3)
	v_cmp_eq_u64_e64 s13, v[18:19], v[118:119]
	v_mov_b64_e32 v[118:119], v[116:117]
	s_and_saveexec_b32 s75, s13
; %bb.10825:                            ;   in Loop: Header=BB2_10213 Depth=3
	v_bfe_u32 v18, v116, 21, 1
	v_mov_b32_e32 v19, v3
	s_delay_alu instid0(VALU_DEP_1) | instskip(NEXT) | instid1(VALU_DEP_1)
	v_add_nc_u64_e32 v[18:19], v[116:117], v[18:19]
	v_add_nc_u64_e32 v[118:119], -1, v[18:19]
; %bb.10826:                            ;   in Loop: Header=BB2_10213 Depth=3
	s_or_b32 exec_lo, exec_lo, s75
	v_add_nc_u32_e32 v2, 0xffffff81, v42
	s_delay_alu instid0(VALU_DEP_2) | instskip(SKIP_2) | instid1(VALU_DEP_3)
	v_and_b32_e32 v19, 0x1fffff, v118
	v_lshrrev_b32_e32 v18, 23, v116
	s_mov_b32 s13, exec_lo
                                        ; implicit-def: $vgpr118
	v_cndmask_b32_e64 v2, v2, 0xffffff82, vcc_lo
	s_delay_alu instid0(VALU_DEP_1) | instskip(SKIP_1) | instid1(VALU_DEP_2)
	v_add3_u32 v119, v43, v2, v18
	v_add_nc_u32_e32 v2, v19, v116
                                        ; implicit-def: $vgpr116_vgpr117
	v_add_nc_u32_e32 v42, 14, v119
	s_delay_alu instid0(VALU_DEP_1)
	v_cmpx_ne_u32_e32 0, v42
	s_xor_b32 s13, exec_lo, s13
; %bb.10827:                            ;   in Loop: Header=BB2_10213 Depth=3
	s_delay_alu instid0(VALU_DEP_3) | instskip(SKIP_1) | instid1(VALU_DEP_1)
	v_cmp_lt_u64_e32 vcc_lo, 0xffffff, v[2:3]
	v_add_nc_u32_e32 v18, 15, v119
	v_cndmask_b32_e32 v118, v42, v18, vcc_lo
	v_cndmask_b32_e64 v18, 0, 1, vcc_lo
	s_delay_alu instid0(VALU_DEP_1)
	v_lshrrev_b64 v[116:117], v18, v[2:3]
; %bb.10828:                            ;   in Loop: Header=BB2_10213 Depth=3
	s_and_not1_saveexec_b32 s13, s13
; %bb.10829:                            ;   in Loop: Header=BB2_10213 Depth=3
	v_mov_b64_e32 v[116:117], v[2:3]
	v_bfe_u32 v118, v2, 23, 1
; %bb.10830:                            ;   in Loop: Header=BB2_10213 Depth=3
	s_or_b32 exec_lo, exec_lo, s13
	s_delay_alu instid0(VALU_DEP_2) | instskip(NEXT) | instid1(VALU_DEP_2)
	v_lshrrev_b64 v[18:19], 21, v[116:117]
	v_cmp_gt_i32_e32 vcc_lo, 32, v118
	v_cmp_ne_u32_e64 s13, 0, v118
	s_delay_alu instid0(VALU_DEP_3) | instskip(NEXT) | instid1(VALU_DEP_1)
	v_dual_cndmask_b32 v117, 0, v19 :: v_dual_cndmask_b32 v116, 3, v18
	v_cmp_ne_u64_e32 vcc_lo, 0, v[116:117]
                                        ; implicit-def: $vgpr117
	s_or_b32 s13, s13, vcc_lo
	s_delay_alu instid0(SALU_CYCLE_1) | instskip(NEXT) | instid1(SALU_CYCLE_1)
	s_and_saveexec_b32 s75, s13
	s_xor_b32 s13, exec_lo, s75
; %bb.10831:                            ;   in Loop: Header=BB2_10213 Depth=3
	v_min_i32_e32 v2, 31, v118
	s_delay_alu instid0(VALU_DEP_1) | instskip(NEXT) | instid1(VALU_DEP_1)
	v_lshl_or_b32 v2, v2, 2, v40
                                        ; implicit-def: $vgpr40
	v_and_or_b32 v117, v116, 3, v2
; %bb.10832:                            ;   in Loop: Header=BB2_10213 Depth=3
	s_and_not1_saveexec_b32 s13, s13
; %bb.10833:                            ;   in Loop: Header=BB2_10213 Depth=3
	v_mov_b32_e32 v117, v40
; %bb.10834:                            ;   in Loop: Header=BB2_10213 Depth=3
	s_or_b32 exec_lo, exec_lo, s13
.LBB2_10835:                            ;   in Loop: Header=BB2_10213 Depth=3
	s_delay_alu instid0(SALU_CYCLE_1)
	s_or_b32 exec_lo, exec_lo, s74
                                        ; implicit-def: $vgpr40
.LBB2_10836:                            ;   in Loop: Header=BB2_10213 Depth=3
	s_and_not1_saveexec_b32 s13, s15
; %bb.10837:                            ;   in Loop: Header=BB2_10213 Depth=3
	v_or_b32_e32 v117, 0x7b, v40
; %bb.10838:                            ;   in Loop: Header=BB2_10213 Depth=3
	s_or_b32 exec_lo, exec_lo, s13
                                        ; implicit-def: $vgpr116
.LBB2_10839:                            ;   in Loop: Header=BB2_10213 Depth=3
	s_and_not1_saveexec_b32 s13, s14
	s_cbranch_execz .LBB2_10212
; %bb.10840:                            ;   in Loop: Header=BB2_10213 Depth=3
	s_mov_b32 s14, exec_lo
                                        ; implicit-def: $vgpr117
	v_cmpx_ne_u64_e32 0, v[2:3]
	s_xor_b32 s14, exec_lo, s14
; %bb.10841:                            ;   in Loop: Header=BB2_10213 Depth=3
	v_lshrrev_b32_e32 v2, 24, v116
                                        ; implicit-def: $vgpr116
	s_delay_alu instid0(VALU_DEP_1)
	v_or_b32_e32 v117, 0x7f, v2
; %bb.10842:                            ;   in Loop: Header=BB2_10213 Depth=3
	s_and_not1_saveexec_b32 s14, s14
	s_cbranch_execz .LBB2_10211
; %bb.10843:                            ;   in Loop: Header=BB2_10213 Depth=3
	v_cmp_lt_i32_e32 vcc_lo, -1, v116
	v_cndmask_b32_e64 v117, -4, 0x7c, vcc_lo
	s_branch .LBB2_10211
.LBB2_10844:                            ;   in Loop: Header=BB2_5115 Depth=2
	s_or_b32 exec_lo, exec_lo, s73
.LBB2_10845:                            ;   in Loop: Header=BB2_5115 Depth=2
	s_delay_alu instid0(SALU_CYCLE_1) | instskip(SKIP_1) | instid1(VALU_DEP_1)
	s_or_b32 exec_lo, exec_lo, s43
	v_lshlrev_b32_e32 v2, 8, v103
	v_cmp_ne_u32_e32 vcc_lo, v92, v2
	s_and_b32 exec_lo, exec_lo, vcc_lo
	s_cbranch_execz .LBB2_10935
; %bb.10846:                            ;   in Loop: Header=BB2_5115 Depth=2
	v_dual_lshlrev_b32 v8, 5, v16 :: v_dual_lshlrev_b32 v9, 5, v17
	s_delay_alu instid0(VALU_DEP_1) | instskip(NEXT) | instid1(VALU_DEP_1)
	v_sub_nc_u32_e32 v8, v93, v8
	v_sub_nc_u32_e32 v8, v8, v9
	s_delay_alu instid0(VALU_DEP_1) | instskip(NEXT) | instid1(VALU_DEP_1)
	v_add_nc_u32_e32 v2, v2, v8
	v_sub_nc_u32_e32 v16, v92, v2
	s_delay_alu instid0(VALU_DEP_1)
	v_cmp_lt_i32_e32 vcc_lo, 0, v16
	s_and_b32 exec_lo, exec_lo, vcc_lo
	s_cbranch_execz .LBB2_10935
; %bb.10847:                            ;   in Loop: Header=BB2_5115 Depth=2
	s_trap 2
	ds_load_b128 v[8:11], v0
	ds_load_b64 v[18:19], v0
	v_add_nc_u32_e32 v114, v2, v30
	s_mov_b32 s43, 0
	s_delay_alu instid0(VALU_DEP_1) | instskip(SKIP_1) | instid1(VALU_DEP_1)
	v_ashrrev_i32_e32 v115, 31, v114
	s_wait_dscnt 0x1
	v_add_nc_u64_e32 v[8:9], v[8:9], v[114:115]
	v_add_nc_u64_e32 v[10:11], v[10:11], v[114:115]
	s_wait_dscnt 0x0
	v_add_nc_u64_e32 v[114:115], v[18:19], v[114:115]
	s_branch .LBB2_10850
.LBB2_10848:                            ;   in Loop: Header=BB2_10850 Depth=3
	s_or_b32 exec_lo, exec_lo, s14
.LBB2_10849:                            ;   in Loop: Header=BB2_10850 Depth=3
	s_delay_alu instid0(SALU_CYCLE_1)
	s_or_b32 exec_lo, exec_lo, s13
	v_sub_nc_u32_e32 v16, v16, v34
	flat_store_b8 v[114:115], v30 th:TH_STORE_NT
	v_add_nc_u64_e32 v[8:9], v[8:9], v[34:35]
	v_add_nc_u64_e32 v[10:11], v[10:11], v[34:35]
	s_wait_xcnt 0x0
	v_add_nc_u64_e32 v[114:115], v[114:115], v[34:35]
	v_cmp_gt_i32_e32 vcc_lo, 1, v16
	s_or_b32 s43, vcc_lo, s43
	s_delay_alu instid0(SALU_CYCLE_1)
	s_and_not1_b32 exec_lo, exec_lo, s43
	s_cbranch_execz .LBB2_10935
.LBB2_10850:                            ;   Parent Loop BB2_47 Depth=1
                                        ;     Parent Loop BB2_5115 Depth=2
                                        ; =>    This Inner Loop Header: Depth=3
	s_trap 2
	ds_load_b64 v[18:19], v0
	s_mov_b32 s13, 0
	s_wait_dscnt 0x0
	v_and_b32_e32 v2, 0xff, v18
	v_readfirstlane_b32 s14, v18
	v_readfirstlane_b32 s15, v19
	s_delay_alu instid0(VALU_DEP_3)
	v_cmp_eq_u32_e32 vcc_lo, 0, v2
	s_cbranch_vccnz .LBB2_10858
; %bb.10851:                            ;   in Loop: Header=BB2_10850 Depth=3
	s_bfe_i32 s73, s14, 0x80000
	s_delay_alu instid0(SALU_CYCLE_1) | instskip(NEXT) | instid1(SALU_CYCLE_1)
	s_and_b32 s13, 0xffff, s73
	s_cmp_eq_u32 s13, 0xff80
	s_brev_b32 s13, 1
	s_cbranch_scc1 .LBB2_10858
; %bb.10852:                            ;   in Loop: Header=BB2_10850 Depth=3
	s_and_b32 s13, s14, 0x7c
	s_and_b32 s74, s14, 3
	s_cmp_lg_u32 s13, 0x7c
	s_mov_b32 s75, -1
                                        ; implicit-def: $sgpr13
	s_cbranch_scc0 .LBB2_10856
; %bb.10853:                            ;   in Loop: Header=BB2_10850 Depth=3
	s_bfe_u32 s13, s14, 0x50002
	s_mov_b32 s75, s74
	s_cmp_lg_u32 s13, 0
	s_cbranch_scc1 .LBB2_10855
; %bb.10854:                            ;   in Loop: Header=BB2_10850 Depth=3
	s_clz_i32_u32 s13, s74
	s_delay_alu instid0(SALU_CYCLE_1) | instskip(NEXT) | instid1(SALU_CYCLE_1)
	s_min_u32 s13, s13, 32
	s_sub_co_i32 s75, s13, 29
	s_sub_co_i32 s13, 30, s13
	s_lshl_b64 s[14:15], s[14:15], s75
	s_delay_alu instid0(SALU_CYCLE_1)
	s_and_b32 s75, s14, 3
.LBB2_10855:                            ;   in Loop: Header=BB2_10850 Depth=3
	s_sext_i32_i16 s14, s73
	s_lshl_b32 s13, s13, 23
	s_and_b32 s14, s14, 0x80000000
	s_lshl_b32 s15, s75, 21
	s_add_co_i32 s13, s13, s14
	s_mov_b32 s75, 0
	s_or_b32 s13, s13, s15
	s_delay_alu instid0(SALU_CYCLE_1)
	s_add_co_i32 s13, s13, 0x38000000
.LBB2_10856:                            ;   in Loop: Header=BB2_10850 Depth=3
	s_and_b32 vcc_lo, exec_lo, s75
	s_cbranch_vccz .LBB2_10858
; %bb.10857:                            ;   in Loop: Header=BB2_10850 Depth=3
	s_sext_i32_i16 s13, s73
	s_delay_alu instid0(SALU_CYCLE_1)
	s_cmp_gt_i32 s13, -1
	s_cselect_b32 s13, s47, 0xff800000
	s_cmp_eq_u32 s74, 0
	s_cselect_b32 s13, s13, 0x7f800001
.LBB2_10858:                            ;   in Loop: Header=BB2_10850 Depth=3
	flat_load_i8 v116, v[8:9] th:TH_LOAD_NT
	v_mov_b32_e32 v17, 0
	s_mov_b32 s14, exec_lo
	s_wait_loadcnt_dscnt 0x0
	v_cmpx_ne_u16_e32 0, v116
	s_cbranch_execz .LBB2_10868
; %bb.10859:                            ;   in Loop: Header=BB2_10850 Depth=3
	v_bfrev_b32_e32 v17, 1
	s_mov_b32 s15, exec_lo
	v_cmpx_ne_u16_e32 0xff80, v116
	s_cbranch_execz .LBB2_10867
; %bb.10860:                            ;   in Loop: Header=BB2_10850 Depth=3
	v_and_b32_e32 v17, 0x7c, v116
	v_and_b32_e32 v2, 3, v116
	s_delay_alu instid0(VALU_DEP_2) | instskip(SKIP_1) | instid1(SALU_CYCLE_1)
	v_cmp_ne_u32_e32 vcc_lo, 0x7c, v17
                                        ; implicit-def: $vgpr17
	s_and_saveexec_b32 s73, vcc_lo
	s_xor_b32 s73, exec_lo, s73
	s_cbranch_execz .LBB2_10864
; %bb.10861:                            ;   in Loop: Header=BB2_10850 Depth=3
	v_and_b32_e32 v17, 0xff, v116
	s_mov_b32 s74, exec_lo
	s_delay_alu instid0(VALU_DEP_1) | instskip(NEXT) | instid1(VALU_DEP_1)
	v_bfe_u32 v17, v17, 2, 5
	v_cmpx_eq_u32_e32 0, v17
	s_cbranch_execz .LBB2_10863
; %bb.10862:                            ;   in Loop: Header=BB2_10850 Depth=3
	v_clz_i32_u32_e32 v2, v2
	s_delay_alu instid0(VALU_DEP_1) | instskip(SKIP_1) | instid1(VALU_DEP_2)
	v_min_u32_e32 v2, 32, v2
	v_mov_b32_e32 v117, v3
	v_subrev_nc_u32_e32 v17, 29, v2
	s_delay_alu instid0(VALU_DEP_1) | instskip(SKIP_1) | instid1(VALU_DEP_2)
	v_lshlrev_b64_e32 v[18:19], v17, v[116:117]
	v_sub_nc_u32_e32 v17, 30, v2
	v_and_b32_e32 v2, 3, v18
.LBB2_10863:                            ;   in Loop: Header=BB2_10850 Depth=3
	s_or_b32 exec_lo, exec_lo, s74
	v_bfe_i32 v18, v116, 0, 16
                                        ; implicit-def: $vgpr116
	s_delay_alu instid0(VALU_DEP_1) | instskip(NEXT) | instid1(VALU_DEP_1)
	v_and_b32_e32 v18, 0x80000000, v18
	v_lshl_add_u32 v17, v17, 23, v18
	s_delay_alu instid0(VALU_DEP_1) | instskip(NEXT) | instid1(VALU_DEP_1)
	v_lshl_or_b32 v2, v2, 21, v17
	v_add_nc_u32_e32 v17, 0x38000000, v2
                                        ; implicit-def: $vgpr2
.LBB2_10864:                            ;   in Loop: Header=BB2_10850 Depth=3
	s_and_not1_saveexec_b32 s73, s73
; %bb.10865:                            ;   in Loop: Header=BB2_10850 Depth=3
	v_cmp_lt_i16_e32 vcc_lo, -1, v116
	v_cndmask_b32_e32 v17, 0xff800000, v111, vcc_lo
	v_cmp_eq_u32_e32 vcc_lo, 0, v2
	s_delay_alu instid0(VALU_DEP_2)
	v_cndmask_b32_e32 v17, 0x7f800001, v17, vcc_lo
; %bb.10866:                            ;   in Loop: Header=BB2_10850 Depth=3
	s_or_b32 exec_lo, exec_lo, s73
.LBB2_10867:                            ;   in Loop: Header=BB2_10850 Depth=3
	s_delay_alu instid0(SALU_CYCLE_1)
	s_or_b32 exec_lo, exec_lo, s15
.LBB2_10868:                            ;   in Loop: Header=BB2_10850 Depth=3
	s_delay_alu instid0(SALU_CYCLE_1) | instskip(NEXT) | instid1(VALU_DEP_1)
	s_or_b32 exec_lo, exec_lo, s14
	v_dual_mul_f32 v30, s13, v17 :: v_dual_mov_b32 v19, v3
                                        ; implicit-def: $vgpr116
	s_mov_b32 s13, exec_lo
	s_delay_alu instid0(VALU_DEP_1) | instskip(SKIP_1) | instid1(VALU_DEP_2)
	v_and_b32_e32 v18, 0x7f800000, v30
	v_and_b32_e32 v2, 0x7fffff, v30
	v_cmpx_ne_u64_e32 0x7f800000, v[18:19]
	s_xor_b32 s14, exec_lo, s13
	s_cbranch_execz .LBB2_10886
; %bb.10869:                            ;   in Loop: Header=BB2_10850 Depth=3
	v_dual_mov_b32 v19, v3 :: v_dual_lshrrev_b32 v17, 24, v30
	v_and_b32_e32 v18, 0x7fffffff, v30
                                        ; implicit-def: $vgpr116
	s_mov_b32 s13, exec_lo
	s_delay_alu instid0(VALU_DEP_2) | instskip(NEXT) | instid1(VALU_DEP_2)
	v_and_b32_e32 v17, 0x80, v17
	v_cmpx_gt_u64_e32 0x47600001, v[18:19]
	s_xor_b32 s15, exec_lo, s13
	s_cbranch_execz .LBB2_10883
; %bb.10870:                            ;   in Loop: Header=BB2_10850 Depth=3
	v_mov_b32_e32 v116, 0
	s_mov_b32 s73, exec_lo
	v_cmpx_ne_u32_e32 0, v30
	s_cbranch_execz .LBB2_10882
; %bb.10871:                            ;   in Loop: Header=BB2_10850 Depth=3
	v_bfe_u32 v30, v30, 23, 8
	v_or_b32_e32 v116, 0x800000, v2
	s_delay_alu instid0(VALU_DEP_2) | instskip(SKIP_1) | instid1(VALU_DEP_2)
	v_dual_mov_b32 v117, v3 :: v_dual_sub_nc_u32 v18, 0x71, v30
	v_cmp_gt_u32_e32 vcc_lo, 0x72, v30
	v_cndmask_b32_e32 v18, 0, v18, vcc_lo
	v_cmp_eq_u32_e32 vcc_lo, 0, v30
	s_delay_alu instid0(VALU_DEP_2) | instskip(NEXT) | instid1(VALU_DEP_1)
	v_cndmask_b32_e64 v103, v18, 0x70, vcc_lo
	v_dual_cndmask_b32 v116, v116, v2, vcc_lo :: v_dual_add_nc_u32 v18, 21, v103
	v_add_nc_u32_e32 v118, 20, v103
	s_delay_alu instid0(VALU_DEP_2) | instskip(NEXT) | instid1(VALU_DEP_2)
	v_lshlrev_b64_e64 v[18:19], v18, -1
	v_lshlrev_b64_e64 v[118:119], v118, 1
	s_delay_alu instid0(VALU_DEP_2) | instskip(SKIP_1) | instid1(VALU_DEP_4)
	v_bfi_b32 v18, v18, 0, v116
	v_lshrrev_b64 v[116:117], v103, v[116:117]
	v_bfi_b32 v19, v19, 0, 0
	s_delay_alu instid0(VALU_DEP_1) | instskip(NEXT) | instid1(VALU_DEP_3)
	v_cmp_eq_u64_e64 s13, v[18:19], v[118:119]
	v_mov_b64_e32 v[118:119], v[116:117]
	s_and_saveexec_b32 s74, s13
; %bb.10872:                            ;   in Loop: Header=BB2_10850 Depth=3
	v_bfe_u32 v18, v116, 21, 1
	v_mov_b32_e32 v19, v3
	s_delay_alu instid0(VALU_DEP_1) | instskip(NEXT) | instid1(VALU_DEP_1)
	v_add_nc_u64_e32 v[18:19], v[116:117], v[18:19]
	v_add_nc_u64_e32 v[118:119], -1, v[18:19]
; %bb.10873:                            ;   in Loop: Header=BB2_10850 Depth=3
	s_or_b32 exec_lo, exec_lo, s74
	v_add_nc_u32_e32 v2, 0xffffff81, v30
	s_delay_alu instid0(VALU_DEP_2) | instskip(SKIP_2) | instid1(VALU_DEP_3)
	v_and_b32_e32 v19, 0x1fffff, v118
	v_lshrrev_b32_e32 v18, 23, v116
	s_mov_b32 s13, exec_lo
                                        ; implicit-def: $vgpr30
	v_cndmask_b32_e64 v2, v2, 0xffffff82, vcc_lo
	s_delay_alu instid0(VALU_DEP_1) | instskip(SKIP_1) | instid1(VALU_DEP_2)
	v_add3_u32 v103, v103, v2, v18
	v_add_nc_u32_e32 v2, v19, v116
                                        ; implicit-def: $vgpr116_vgpr117
	v_add_nc_u32_e32 v118, 14, v103
	s_delay_alu instid0(VALU_DEP_1)
	v_cmpx_ne_u32_e32 0, v118
	s_xor_b32 s13, exec_lo, s13
; %bb.10874:                            ;   in Loop: Header=BB2_10850 Depth=3
	s_delay_alu instid0(VALU_DEP_3) | instskip(SKIP_1) | instid1(VALU_DEP_1)
	v_cmp_lt_u64_e32 vcc_lo, 0xffffff, v[2:3]
	v_add_nc_u32_e32 v18, 15, v103
	v_cndmask_b32_e32 v30, v118, v18, vcc_lo
	v_cndmask_b32_e64 v18, 0, 1, vcc_lo
	s_delay_alu instid0(VALU_DEP_1)
	v_lshrrev_b64 v[116:117], v18, v[2:3]
; %bb.10875:                            ;   in Loop: Header=BB2_10850 Depth=3
	s_and_not1_saveexec_b32 s13, s13
; %bb.10876:                            ;   in Loop: Header=BB2_10850 Depth=3
	v_mov_b64_e32 v[116:117], v[2:3]
	v_bfe_u32 v30, v2, 23, 1
; %bb.10877:                            ;   in Loop: Header=BB2_10850 Depth=3
	s_or_b32 exec_lo, exec_lo, s13
	s_delay_alu instid0(VALU_DEP_2) | instskip(NEXT) | instid1(VALU_DEP_2)
	v_lshrrev_b64 v[18:19], 21, v[116:117]
	v_cmp_gt_i32_e32 vcc_lo, 32, v30
	v_cmp_ne_u32_e64 s13, 0, v30
                                        ; implicit-def: $vgpr116
	s_delay_alu instid0(VALU_DEP_3) | instskip(NEXT) | instid1(VALU_DEP_1)
	v_dual_cndmask_b32 v119, 0, v19 :: v_dual_cndmask_b32 v118, 3, v18
	v_cmp_ne_u64_e32 vcc_lo, 0, v[118:119]
	s_or_b32 s13, s13, vcc_lo
	s_delay_alu instid0(SALU_CYCLE_1) | instskip(NEXT) | instid1(SALU_CYCLE_1)
	s_and_saveexec_b32 s74, s13
	s_xor_b32 s13, exec_lo, s74
; %bb.10878:                            ;   in Loop: Header=BB2_10850 Depth=3
	v_min_i32_e32 v2, 31, v30
	s_delay_alu instid0(VALU_DEP_1) | instskip(NEXT) | instid1(VALU_DEP_1)
	v_lshl_or_b32 v2, v2, 2, v17
                                        ; implicit-def: $vgpr17
	v_and_or_b32 v116, v118, 3, v2
; %bb.10879:                            ;   in Loop: Header=BB2_10850 Depth=3
	s_and_not1_saveexec_b32 s13, s13
; %bb.10880:                            ;   in Loop: Header=BB2_10850 Depth=3
	v_mov_b32_e32 v116, v17
; %bb.10881:                            ;   in Loop: Header=BB2_10850 Depth=3
	s_or_b32 exec_lo, exec_lo, s13
.LBB2_10882:                            ;   in Loop: Header=BB2_10850 Depth=3
	s_delay_alu instid0(SALU_CYCLE_1)
	s_or_b32 exec_lo, exec_lo, s73
                                        ; implicit-def: $vgpr17
.LBB2_10883:                            ;   in Loop: Header=BB2_10850 Depth=3
	s_and_not1_saveexec_b32 s13, s15
; %bb.10884:                            ;   in Loop: Header=BB2_10850 Depth=3
	v_or_b32_e32 v116, 0x7b, v17
; %bb.10885:                            ;   in Loop: Header=BB2_10850 Depth=3
	s_or_b32 exec_lo, exec_lo, s13
                                        ; implicit-def: $vgpr30
.LBB2_10886:                            ;   in Loop: Header=BB2_10850 Depth=3
	s_and_not1_saveexec_b32 s13, s14
	s_cbranch_execz .LBB2_10892
; %bb.10887:                            ;   in Loop: Header=BB2_10850 Depth=3
	s_mov_b32 s14, exec_lo
                                        ; implicit-def: $vgpr116
	v_cmpx_ne_u64_e32 0, v[2:3]
	s_xor_b32 s14, exec_lo, s14
; %bb.10888:                            ;   in Loop: Header=BB2_10850 Depth=3
	v_lshrrev_b32_e32 v2, 24, v30
                                        ; implicit-def: $vgpr30
	s_delay_alu instid0(VALU_DEP_1)
	v_or_b32_e32 v116, 0x7f, v2
; %bb.10889:                            ;   in Loop: Header=BB2_10850 Depth=3
	s_and_not1_saveexec_b32 s14, s14
; %bb.10890:                            ;   in Loop: Header=BB2_10850 Depth=3
	v_cmp_lt_i32_e32 vcc_lo, -1, v30
	v_cndmask_b32_e64 v116, -4, 0x7c, vcc_lo
; %bb.10891:                            ;   in Loop: Header=BB2_10850 Depth=3
	s_or_b32 exec_lo, exec_lo, s14
.LBB2_10892:                            ;   in Loop: Header=BB2_10850 Depth=3
	s_delay_alu instid0(SALU_CYCLE_1)
	s_or_b32 exec_lo, exec_lo, s13
	flat_load_i8 v118, v[10:11] th:TH_LOAD_NT
	v_and_b32_e32 v103, 0xff, v116
	v_dual_mov_b32 v2, 0 :: v_dual_mov_b32 v17, 0
	s_mov_b32 s13, exec_lo
	s_wait_xcnt 0x0
	s_delay_alu instid0(VALU_DEP_2)
	v_cmpx_ne_u16_e32 0, v103
	s_cbranch_execz .LBB2_10902
; %bb.10893:                            ;   in Loop: Header=BB2_10850 Depth=3
	v_bfrev_b32_e32 v17, 1
	s_mov_b32 s14, exec_lo
	v_cmpx_ne_u16_e32 0x80, v103
	s_cbranch_execz .LBB2_10901
; %bb.10894:                            ;   in Loop: Header=BB2_10850 Depth=3
	v_and_b32_e32 v17, 0x7c, v116
	v_and_b32_e32 v30, 3, v116
	s_delay_alu instid0(VALU_DEP_2) | instskip(SKIP_1) | instid1(SALU_CYCLE_1)
	v_cmp_ne_u32_e32 vcc_lo, 0x7c, v17
                                        ; implicit-def: $vgpr17
	s_and_saveexec_b32 s15, vcc_lo
	s_xor_b32 s15, exec_lo, s15
	s_cbranch_execz .LBB2_10898
; %bb.10895:                            ;   in Loop: Header=BB2_10850 Depth=3
	v_bfe_u32 v17, v103, 2, 5
	s_mov_b32 s73, exec_lo
	s_delay_alu instid0(VALU_DEP_1)
	v_cmpx_eq_u32_e32 0, v17
	s_cbranch_execz .LBB2_10897
; %bb.10896:                            ;   in Loop: Header=BB2_10850 Depth=3
	v_clz_i32_u32_e32 v17, v30
	s_delay_alu instid0(VALU_DEP_1) | instskip(SKIP_1) | instid1(VALU_DEP_2)
	v_min_u32_e32 v17, 32, v17
	v_mov_b32_e32 v117, v3
	v_subrev_nc_u32_e32 v18, 29, v17
	v_sub_nc_u32_e32 v17, 30, v17
	s_delay_alu instid0(VALU_DEP_2) | instskip(NEXT) | instid1(VALU_DEP_1)
	v_lshlrev_b64_e32 v[18:19], v18, v[116:117]
	v_and_b32_e32 v30, 3, v18
.LBB2_10897:                            ;   in Loop: Header=BB2_10850 Depth=3
	s_or_b32 exec_lo, exec_lo, s73
	v_lshlrev_b32_e32 v18, 24, v116
                                        ; implicit-def: $vgpr116
	s_delay_alu instid0(VALU_DEP_1) | instskip(NEXT) | instid1(VALU_DEP_1)
	v_and_b32_e32 v18, 0x80000000, v18
	v_lshl_add_u32 v17, v17, 23, v18
	s_delay_alu instid0(VALU_DEP_1) | instskip(NEXT) | instid1(VALU_DEP_1)
	v_lshl_or_b32 v17, v30, 21, v17
                                        ; implicit-def: $vgpr30
	v_add_nc_u32_e32 v17, 0x38000000, v17
.LBB2_10898:                            ;   in Loop: Header=BB2_10850 Depth=3
	s_and_not1_saveexec_b32 s15, s15
; %bb.10899:                            ;   in Loop: Header=BB2_10850 Depth=3
	v_bfe_i32 v17, v116, 0, 8
	s_delay_alu instid0(VALU_DEP_1) | instskip(SKIP_2) | instid1(VALU_DEP_2)
	v_cmp_lt_i16_e32 vcc_lo, -1, v17
	v_cndmask_b32_e32 v17, 0xff800000, v111, vcc_lo
	v_cmp_eq_u32_e32 vcc_lo, 0, v30
	v_cndmask_b32_e32 v17, 0x7f800001, v17, vcc_lo
; %bb.10900:                            ;   in Loop: Header=BB2_10850 Depth=3
	s_or_b32 exec_lo, exec_lo, s15
.LBB2_10901:                            ;   in Loop: Header=BB2_10850 Depth=3
	s_delay_alu instid0(SALU_CYCLE_1)
	s_or_b32 exec_lo, exec_lo, s14
.LBB2_10902:                            ;   in Loop: Header=BB2_10850 Depth=3
	s_delay_alu instid0(SALU_CYCLE_1) | instskip(NEXT) | instid1(SALU_CYCLE_1)
	s_or_b32 exec_lo, exec_lo, s13
	s_mov_b32 s13, exec_lo
	s_wait_loadcnt_dscnt 0x0
	v_cmpx_ne_u16_e32 0, v118
	s_cbranch_execz .LBB2_10912
; %bb.10903:                            ;   in Loop: Header=BB2_10850 Depth=3
	v_bfrev_b32_e32 v2, 1
	s_mov_b32 s14, exec_lo
	v_cmpx_ne_u16_e32 0xff80, v118
	s_cbranch_execz .LBB2_10911
; %bb.10904:                            ;   in Loop: Header=BB2_10850 Depth=3
	v_and_b32_e32 v2, 0x7c, v118
	v_and_b32_e32 v30, 3, v118
	s_delay_alu instid0(VALU_DEP_2) | instskip(SKIP_1) | instid1(SALU_CYCLE_1)
	v_cmp_ne_u32_e32 vcc_lo, 0x7c, v2
                                        ; implicit-def: $vgpr2
	s_and_saveexec_b32 s15, vcc_lo
	s_xor_b32 s15, exec_lo, s15
	s_cbranch_execz .LBB2_10908
; %bb.10905:                            ;   in Loop: Header=BB2_10850 Depth=3
	v_and_b32_e32 v2, 0xff, v118
	s_mov_b32 s73, exec_lo
	s_delay_alu instid0(VALU_DEP_1) | instskip(NEXT) | instid1(VALU_DEP_1)
	v_bfe_u32 v2, v2, 2, 5
	v_cmpx_eq_u32_e32 0, v2
	s_cbranch_execz .LBB2_10907
; %bb.10906:                            ;   in Loop: Header=BB2_10850 Depth=3
	v_clz_i32_u32_e32 v2, v30
	s_delay_alu instid0(VALU_DEP_1) | instskip(SKIP_1) | instid1(VALU_DEP_2)
	v_min_u32_e32 v2, 32, v2
	v_mov_b32_e32 v119, v3
	v_subrev_nc_u32_e32 v18, 29, v2
	v_sub_nc_u32_e32 v2, 30, v2
	s_delay_alu instid0(VALU_DEP_2) | instskip(NEXT) | instid1(VALU_DEP_1)
	v_lshlrev_b64_e32 v[18:19], v18, v[118:119]
	v_and_b32_e32 v30, 3, v18
.LBB2_10907:                            ;   in Loop: Header=BB2_10850 Depth=3
	s_or_b32 exec_lo, exec_lo, s73
	v_bfe_i32 v18, v118, 0, 16
                                        ; implicit-def: $vgpr118
	s_delay_alu instid0(VALU_DEP_1) | instskip(NEXT) | instid1(VALU_DEP_1)
	v_and_b32_e32 v18, 0x80000000, v18
	v_lshl_add_u32 v2, v2, 23, v18
	s_delay_alu instid0(VALU_DEP_1) | instskip(NEXT) | instid1(VALU_DEP_1)
	v_lshl_or_b32 v2, v30, 21, v2
                                        ; implicit-def: $vgpr30
	v_add_nc_u32_e32 v2, 0x38000000, v2
.LBB2_10908:                            ;   in Loop: Header=BB2_10850 Depth=3
	s_and_not1_saveexec_b32 s15, s15
; %bb.10909:                            ;   in Loop: Header=BB2_10850 Depth=3
	v_cmp_lt_i16_e32 vcc_lo, -1, v118
	v_cndmask_b32_e32 v2, 0xff800000, v111, vcc_lo
	v_cmp_eq_u32_e32 vcc_lo, 0, v30
	s_delay_alu instid0(VALU_DEP_2)
	v_cndmask_b32_e32 v2, 0x7f800001, v2, vcc_lo
; %bb.10910:                            ;   in Loop: Header=BB2_10850 Depth=3
	s_or_b32 exec_lo, exec_lo, s15
.LBB2_10911:                            ;   in Loop: Header=BB2_10850 Depth=3
	s_delay_alu instid0(SALU_CYCLE_1)
	s_or_b32 exec_lo, exec_lo, s14
.LBB2_10912:                            ;   in Loop: Header=BB2_10850 Depth=3
	s_delay_alu instid0(SALU_CYCLE_1) | instskip(NEXT) | instid1(VALU_DEP_1)
	s_or_b32 exec_lo, exec_lo, s13
	v_dual_add_f32 v103, v17, v2 :: v_dual_mov_b32 v19, v3
                                        ; implicit-def: $vgpr30
	s_mov_b32 s13, exec_lo
	s_delay_alu instid0(VALU_DEP_1) | instskip(SKIP_1) | instid1(VALU_DEP_2)
	v_and_b32_e32 v18, 0x7f800000, v103
	v_and_b32_e32 v2, 0x7fffff, v103
	v_cmpx_ne_u64_e32 0x7f800000, v[18:19]
	s_xor_b32 s14, exec_lo, s13
	s_cbranch_execz .LBB2_10930
; %bb.10913:                            ;   in Loop: Header=BB2_10850 Depth=3
	v_dual_mov_b32 v19, v3 :: v_dual_lshrrev_b32 v17, 24, v103
	v_and_b32_e32 v18, 0x7fffffff, v103
                                        ; implicit-def: $vgpr30
	s_mov_b32 s13, exec_lo
	s_delay_alu instid0(VALU_DEP_2) | instskip(NEXT) | instid1(VALU_DEP_2)
	v_and_b32_e32 v17, 0x80, v17
	v_cmpx_gt_u64_e32 0x47600001, v[18:19]
	s_xor_b32 s15, exec_lo, s13
	s_cbranch_execz .LBB2_10927
; %bb.10914:                            ;   in Loop: Header=BB2_10850 Depth=3
	v_mov_b32_e32 v30, 0
	s_mov_b32 s73, exec_lo
	v_cmpx_ne_u32_e32 0, v103
	s_cbranch_execz .LBB2_10926
; %bb.10915:                            ;   in Loop: Header=BB2_10850 Depth=3
	v_bfe_u32 v30, v103, 23, 8
	v_or_b32_e32 v116, 0x800000, v2
	s_delay_alu instid0(VALU_DEP_2) | instskip(SKIP_1) | instid1(VALU_DEP_2)
	v_dual_mov_b32 v117, v3 :: v_dual_sub_nc_u32 v18, 0x71, v30
	v_cmp_gt_u32_e32 vcc_lo, 0x72, v30
	v_cndmask_b32_e32 v18, 0, v18, vcc_lo
	v_cmp_eq_u32_e32 vcc_lo, 0, v30
	s_delay_alu instid0(VALU_DEP_2) | instskip(NEXT) | instid1(VALU_DEP_1)
	v_cndmask_b32_e64 v103, v18, 0x70, vcc_lo
	v_dual_cndmask_b32 v116, v116, v2, vcc_lo :: v_dual_add_nc_u32 v18, 21, v103
	v_add_nc_u32_e32 v118, 20, v103
	s_delay_alu instid0(VALU_DEP_2) | instskip(NEXT) | instid1(VALU_DEP_2)
	v_lshlrev_b64_e64 v[18:19], v18, -1
	v_lshlrev_b64_e64 v[118:119], v118, 1
	s_delay_alu instid0(VALU_DEP_2) | instskip(SKIP_1) | instid1(VALU_DEP_4)
	v_bfi_b32 v18, v18, 0, v116
	v_lshrrev_b64 v[116:117], v103, v[116:117]
	v_bfi_b32 v19, v19, 0, 0
	s_delay_alu instid0(VALU_DEP_1) | instskip(NEXT) | instid1(VALU_DEP_3)
	v_cmp_eq_u64_e64 s13, v[18:19], v[118:119]
	v_mov_b64_e32 v[118:119], v[116:117]
	s_and_saveexec_b32 s74, s13
; %bb.10916:                            ;   in Loop: Header=BB2_10850 Depth=3
	v_bfe_u32 v18, v116, 21, 1
	v_mov_b32_e32 v19, v3
	s_delay_alu instid0(VALU_DEP_1) | instskip(NEXT) | instid1(VALU_DEP_1)
	v_add_nc_u64_e32 v[18:19], v[116:117], v[18:19]
	v_add_nc_u64_e32 v[118:119], -1, v[18:19]
; %bb.10917:                            ;   in Loop: Header=BB2_10850 Depth=3
	s_or_b32 exec_lo, exec_lo, s74
	v_add_nc_u32_e32 v2, 0xffffff81, v30
	s_delay_alu instid0(VALU_DEP_2) | instskip(SKIP_2) | instid1(VALU_DEP_3)
	v_and_b32_e32 v19, 0x1fffff, v118
	v_lshrrev_b32_e32 v18, 23, v116
	s_mov_b32 s13, exec_lo
	v_cndmask_b32_e64 v2, v2, 0xffffff82, vcc_lo
	s_delay_alu instid0(VALU_DEP_1) | instskip(SKIP_1) | instid1(VALU_DEP_2)
	v_add3_u32 v30, v103, v2, v18
	v_add_nc_u32_e32 v2, v19, v116
                                        ; implicit-def: $vgpr116_vgpr117
                                        ; implicit-def: $vgpr103
	v_add_nc_u32_e32 v118, 14, v30
	s_delay_alu instid0(VALU_DEP_1)
	v_cmpx_ne_u32_e32 0, v118
	s_xor_b32 s13, exec_lo, s13
; %bb.10918:                            ;   in Loop: Header=BB2_10850 Depth=3
	s_delay_alu instid0(VALU_DEP_3) | instskip(SKIP_1) | instid1(VALU_DEP_1)
	v_cmp_lt_u64_e32 vcc_lo, 0xffffff, v[2:3]
	v_add_nc_u32_e32 v18, 15, v30
	v_cndmask_b32_e32 v103, v118, v18, vcc_lo
	v_cndmask_b32_e64 v18, 0, 1, vcc_lo
	s_delay_alu instid0(VALU_DEP_1)
	v_lshrrev_b64 v[116:117], v18, v[2:3]
; %bb.10919:                            ;   in Loop: Header=BB2_10850 Depth=3
	s_and_not1_saveexec_b32 s13, s13
; %bb.10920:                            ;   in Loop: Header=BB2_10850 Depth=3
	v_mov_b64_e32 v[116:117], v[2:3]
	v_bfe_u32 v103, v2, 23, 1
; %bb.10921:                            ;   in Loop: Header=BB2_10850 Depth=3
	s_or_b32 exec_lo, exec_lo, s13
	s_delay_alu instid0(VALU_DEP_2) | instskip(NEXT) | instid1(VALU_DEP_2)
	v_lshrrev_b64 v[18:19], 21, v[116:117]
	v_cmp_gt_i32_e32 vcc_lo, 32, v103
	v_cmp_ne_u32_e64 s13, 0, v103
                                        ; implicit-def: $vgpr30
	s_delay_alu instid0(VALU_DEP_3) | instskip(NEXT) | instid1(VALU_DEP_1)
	v_dual_cndmask_b32 v117, 0, v19 :: v_dual_cndmask_b32 v116, 3, v18
	v_cmp_ne_u64_e32 vcc_lo, 0, v[116:117]
	s_or_b32 s13, s13, vcc_lo
	s_delay_alu instid0(SALU_CYCLE_1) | instskip(NEXT) | instid1(SALU_CYCLE_1)
	s_and_saveexec_b32 s74, s13
	s_xor_b32 s13, exec_lo, s74
; %bb.10922:                            ;   in Loop: Header=BB2_10850 Depth=3
	v_min_i32_e32 v2, 31, v103
	s_delay_alu instid0(VALU_DEP_1) | instskip(NEXT) | instid1(VALU_DEP_1)
	v_lshl_or_b32 v2, v2, 2, v17
                                        ; implicit-def: $vgpr17
	v_and_or_b32 v30, v116, 3, v2
; %bb.10923:                            ;   in Loop: Header=BB2_10850 Depth=3
	s_and_not1_saveexec_b32 s13, s13
; %bb.10924:                            ;   in Loop: Header=BB2_10850 Depth=3
	v_mov_b32_e32 v30, v17
; %bb.10925:                            ;   in Loop: Header=BB2_10850 Depth=3
	s_or_b32 exec_lo, exec_lo, s13
.LBB2_10926:                            ;   in Loop: Header=BB2_10850 Depth=3
	s_delay_alu instid0(SALU_CYCLE_1)
	s_or_b32 exec_lo, exec_lo, s73
                                        ; implicit-def: $vgpr17
.LBB2_10927:                            ;   in Loop: Header=BB2_10850 Depth=3
	s_and_not1_saveexec_b32 s13, s15
; %bb.10928:                            ;   in Loop: Header=BB2_10850 Depth=3
	v_or_b32_e32 v30, 0x7b, v17
; %bb.10929:                            ;   in Loop: Header=BB2_10850 Depth=3
	s_or_b32 exec_lo, exec_lo, s13
                                        ; implicit-def: $vgpr103
.LBB2_10930:                            ;   in Loop: Header=BB2_10850 Depth=3
	s_and_not1_saveexec_b32 s13, s14
	s_cbranch_execz .LBB2_10849
; %bb.10931:                            ;   in Loop: Header=BB2_10850 Depth=3
	s_mov_b32 s14, exec_lo
                                        ; implicit-def: $vgpr30
	v_cmpx_ne_u64_e32 0, v[2:3]
	s_xor_b32 s14, exec_lo, s14
; %bb.10932:                            ;   in Loop: Header=BB2_10850 Depth=3
	v_lshrrev_b32_e32 v2, 24, v103
                                        ; implicit-def: $vgpr103
	s_delay_alu instid0(VALU_DEP_1)
	v_or_b32_e32 v30, 0x7f, v2
; %bb.10933:                            ;   in Loop: Header=BB2_10850 Depth=3
	s_and_not1_saveexec_b32 s14, s14
	s_cbranch_execz .LBB2_10848
; %bb.10934:                            ;   in Loop: Header=BB2_10850 Depth=3
	v_cmp_lt_i32_e32 vcc_lo, -1, v103
	v_cndmask_b32_e64 v30, -4, 0x7c, vcc_lo
	s_branch .LBB2_10848
.LBB2_10935:                            ;   in Loop: Header=BB2_5115 Depth=2
	s_or_b32 exec_lo, exec_lo, s42
.LBB2_10936:                            ;   in Loop: Header=BB2_5115 Depth=2
	v_cmp_lt_i32_e64 s13, 0, v101
	s_and_saveexec_b32 s14, s2
	s_cbranch_execz .LBB2_10955
.LBB2_10937:                            ;   in Loop: Header=BB2_5115 Depth=2
	s_and_saveexec_b32 s15, s3
	s_delay_alu instid0(SALU_CYCLE_1)
	s_xor_b32 s15, exec_lo, s15
	s_cbranch_execz .LBB2_10952
; %bb.10938:                            ;   in Loop: Header=BB2_5115 Depth=2
	s_and_saveexec_b32 s42, s6
	s_cbranch_execz .LBB2_10951
; %bb.10939:                            ;   in Loop: Header=BB2_5115 Depth=2
	s_mov_b32 s73, exec_lo
	s_mov_b32 s43, exec_lo
	v_mbcnt_lo_u32_b32 v2, s73, 0
	global_wb scope:SCOPE_DEV
	s_wait_storecnt 0x0
	s_wait_loadcnt_dscnt 0x0
	global_inv scope:SCOPE_DEV
	v_cmpx_eq_u32_e32 0, v2
	s_cbranch_execz .LBB2_10941
; %bb.10940:                            ;   in Loop: Header=BB2_5115 Depth=2
	s_bcnt1_i32_b32 s73, s73
	s_delay_alu instid0(SALU_CYCLE_1)
	v_dual_mov_b32 v9, v3 :: v_dual_mov_b32 v8, s73
	s_wait_loadcnt 0x0
	ds_add_u64 v0, v[8:9]
	s_trap 2
.LBB2_10941:                            ;   in Loop: Header=BB2_5115 Depth=2
	s_or_b32 exec_lo, exec_lo, s43
	s_trap 2
	ds_load_b64 v[8:9], v0
	s_wait_dscnt 0x0
	v_add_nc_u64_e32 v[12:13], v[12:13], v[32:33]
	s_mov_b32 s43, exec_lo
	s_delay_alu instid0(VALU_DEP_1)
	v_cmpx_lt_u64_e64 v[8:9], v[12:13]
	s_cbranch_execz .LBB2_10950
; %bb.10942:                            ;   in Loop: Header=BB2_5115 Depth=2
	s_mov_b32 s73, 0
	s_mov_b32 s76, 0
                                        ; implicit-def: $sgpr74
                                        ; implicit-def: $sgpr75
	s_branch .LBB2_10944
.LBB2_10943:                            ;   in Loop: Header=BB2_10944 Depth=3
	s_or_b32 exec_lo, exec_lo, s78
	s_delay_alu instid0(SALU_CYCLE_1) | instskip(NEXT) | instid1(SALU_CYCLE_1)
	s_and_b32 s77, exec_lo, s79
	s_or_b32 s73, s77, s73
	s_and_not1_b32 s74, s74, exec_lo
	s_and_b32 s77, s75, exec_lo
	s_delay_alu instid0(SALU_CYCLE_1)
	s_or_b32 s74, s74, s77
	s_and_not1_b32 exec_lo, exec_lo, s73
	s_cbranch_execz .LBB2_10948
.LBB2_10944:                            ;   Parent Loop BB2_47 Depth=1
                                        ;     Parent Loop BB2_5115 Depth=2
                                        ; =>    This Inner Loop Header: Depth=3
	s_add_co_i32 s76, s76, 1
	s_delay_alu instid0(SALU_CYCLE_1) | instskip(SKIP_1) | instid1(SALU_CYCLE_1)
	s_cmp_lg_u32 s76, 0x2710
	s_cselect_b32 s77, -1, 0
	s_and_b32 vcc_lo, exec_lo, s77
	s_cbranch_vccz .LBB2_10946
; %bb.10945:                            ;   in Loop: Header=BB2_10944 Depth=3
	s_mov_b32 s79, -1
	s_or_b32 s75, s75, exec_lo
	s_and_saveexec_b32 s78, s77
	s_cbranch_execz .LBB2_10943
	s_branch .LBB2_10947
.LBB2_10946:                            ;   in Loop: Header=BB2_10944 Depth=3
	s_trap 2
	ds_load_b64 v[8:9], v0
	s_and_not1_b32 s77, s77, exec_lo
	s_mov_b32 s76, 0
	s_wait_loadcnt_dscnt 0x0
	flat_load_b32 v2, v[8:9] scope:SCOPE_SYS
	s_wait_loadcnt_dscnt 0x0
	global_inv scope:SCOPE_SYS
	v_cmp_eq_u32_e32 vcc_lo, 0, v2
	s_and_b32 s78, vcc_lo, exec_lo
	s_delay_alu instid0(SALU_CYCLE_1)
	s_or_b32 s77, s77, s78
	s_mov_b32 s79, -1
	s_or_b32 s75, s75, exec_lo
	s_and_saveexec_b32 s78, s77
	s_cbranch_execz .LBB2_10943
.LBB2_10947:                            ;   in Loop: Header=BB2_10944 Depth=3
	s_sleep 1
	s_trap 2
	ds_load_b64 v[8:9], v0
	s_wait_dscnt 0x0
	s_and_not1_b32 s75, s75, exec_lo
	v_cmp_ge_u64_e32 vcc_lo, v[8:9], v[12:13]
	s_or_not1_b32 s79, vcc_lo, exec_lo
	s_branch .LBB2_10943
.LBB2_10948:                            ;   in Loop: Header=BB2_5115 Depth=2
	s_or_b32 exec_lo, exec_lo, s73
	s_and_saveexec_b32 s73, s74
	s_delay_alu instid0(SALU_CYCLE_1)
	s_xor_b32 s73, exec_lo, s73
	s_cbranch_execz .LBB2_10950
; %bb.10949:                            ;   in Loop: Header=BB2_5115 Depth=2
	ds_store_b32 v0, v110
	s_trap 2
.LBB2_10950:                            ;   in Loop: Header=BB2_5115 Depth=2
	s_or_b32 exec_lo, exec_lo, s43
	;;#ASMSTART
	s_wakeup
	;;#ASMEND
.LBB2_10951:                            ;   in Loop: Header=BB2_5115 Depth=2
	s_or_b32 exec_lo, exec_lo, s42
.LBB2_10952:                            ;   in Loop: Header=BB2_5115 Depth=2
	s_and_not1_saveexec_b32 s15, s15
	s_cbranch_execz .LBB2_10954
; %bb.10953:                            ;   in Loop: Header=BB2_5115 Depth=2
	global_wb scope:SCOPE_DEV
	s_wait_storecnt 0x0
	s_wait_loadcnt_dscnt 0x0
	global_inv scope:SCOPE_DEV
	s_barrier_signal -1
	s_barrier_wait -1
.LBB2_10954:                            ;   in Loop: Header=BB2_5115 Depth=2
	s_or_b32 exec_lo, exec_lo, s15
.LBB2_10955:                            ;   in Loop: Header=BB2_5115 Depth=2
	s_delay_alu instid0(SALU_CYCLE_1) | instskip(SKIP_2) | instid1(SALU_CYCLE_1)
	s_or_b32 exec_lo, exec_lo, s14
	v_and_b32_e32 v2, 16, v106
	s_and_saveexec_b32 s14, s12
	s_xor_b32 s14, exec_lo, s14
	s_cbranch_execz .LBB2_10959
; %bb.10956:                            ;   in Loop: Header=BB2_5115 Depth=2
	v_and_b32_e32 v2, 16, v106
	s_delay_alu instid0(VALU_DEP_1) | instskip(SKIP_2) | instid1(SALU_CYCLE_1)
	v_cmp_ne_u32_e32 vcc_lo, 0, v2
	v_and_b32_e32 v2, 16, v106
	s_and_b32 s15, vcc_lo, s13
	s_and_saveexec_b32 s13, s15
	s_cbranch_execz .LBB2_10958
; %bb.10957:                            ;   in Loop: Header=BB2_5115 Depth=2
	v_mov_b32_e32 v2, 1
	global_wb scope:SCOPE_SYS
	s_wait_storecnt 0x0
	s_wait_loadcnt_dscnt 0x0
	global_inv scope:SCOPE_SYS
.LBB2_10958:                            ;   in Loop: Header=BB2_5115 Depth=2
	s_or_b32 exec_lo, exec_lo, s13
.LBB2_10959:                            ;   in Loop: Header=BB2_5115 Depth=2
	s_and_not1_saveexec_b32 s13, s14
	s_cbranch_execz .LBB2_10978
; %bb.10960:                            ;   in Loop: Header=BB2_5115 Depth=2
	s_and_saveexec_b32 s14, s3
	s_delay_alu instid0(SALU_CYCLE_1)
	s_xor_b32 s14, exec_lo, s14
	s_cbranch_execz .LBB2_10975
; %bb.10961:                            ;   in Loop: Header=BB2_5115 Depth=2
	s_and_saveexec_b32 s15, s6
	s_cbranch_execz .LBB2_10974
; %bb.10962:                            ;   in Loop: Header=BB2_5115 Depth=2
	s_mov_b32 s43, exec_lo
	s_mov_b32 s42, exec_lo
	v_mbcnt_lo_u32_b32 v8, s43, 0
	;;#ASMSTART
	s_waitcnt lgkmcnt(0) vmcnt(0)
	;;#ASMEND
	s_delay_alu instid0(VALU_DEP_1)
	v_cmpx_eq_u32_e32 0, v8
	s_cbranch_execz .LBB2_10964
; %bb.10963:                            ;   in Loop: Header=BB2_5115 Depth=2
	s_bcnt1_i32_b32 s43, s43
	s_delay_alu instid0(SALU_CYCLE_1)
	v_dual_mov_b32 v9, v3 :: v_dual_mov_b32 v8, s43
	s_wait_storecnt 0x0
	s_wait_loadcnt_dscnt 0x0
	ds_add_u64 v0, v[8:9]
	s_trap 2
.LBB2_10964:                            ;   in Loop: Header=BB2_5115 Depth=2
	s_or_b32 exec_lo, exec_lo, s42
	s_trap 2
	ds_load_b64 v[8:9], v0
	s_wait_dscnt 0x0
	v_add_nc_u64_e32 v[12:13], v[12:13], v[32:33]
	s_mov_b32 s42, exec_lo
	s_delay_alu instid0(VALU_DEP_1)
	v_cmpx_lt_u64_e64 v[8:9], v[12:13]
	s_cbranch_execz .LBB2_10973
; %bb.10965:                            ;   in Loop: Header=BB2_5115 Depth=2
	s_mov_b32 s43, 0
	s_mov_b32 s75, 0
                                        ; implicit-def: $sgpr73
                                        ; implicit-def: $sgpr74
	s_branch .LBB2_10967
.LBB2_10966:                            ;   in Loop: Header=BB2_10967 Depth=3
	s_or_b32 exec_lo, exec_lo, s77
	s_delay_alu instid0(SALU_CYCLE_1) | instskip(NEXT) | instid1(SALU_CYCLE_1)
	s_and_b32 s76, exec_lo, s78
	s_or_b32 s43, s76, s43
	s_and_not1_b32 s73, s73, exec_lo
	s_and_b32 s76, s74, exec_lo
	s_delay_alu instid0(SALU_CYCLE_1)
	s_or_b32 s73, s73, s76
	s_and_not1_b32 exec_lo, exec_lo, s43
	s_cbranch_execz .LBB2_10971
.LBB2_10967:                            ;   Parent Loop BB2_47 Depth=1
                                        ;     Parent Loop BB2_5115 Depth=2
                                        ; =>    This Inner Loop Header: Depth=3
	s_add_co_i32 s75, s75, 1
	s_delay_alu instid0(SALU_CYCLE_1) | instskip(SKIP_1) | instid1(SALU_CYCLE_1)
	s_cmp_lg_u32 s75, 0x2710
	s_cselect_b32 s76, -1, 0
	s_and_b32 vcc_lo, exec_lo, s76
	s_cbranch_vccz .LBB2_10969
; %bb.10968:                            ;   in Loop: Header=BB2_10967 Depth=3
	s_mov_b32 s78, -1
	s_or_b32 s74, s74, exec_lo
	s_and_saveexec_b32 s77, s76
	s_cbranch_execz .LBB2_10966
	s_branch .LBB2_10970
.LBB2_10969:                            ;   in Loop: Header=BB2_10967 Depth=3
	s_trap 2
	ds_load_b64 v[8:9], v0
	s_and_not1_b32 s76, s76, exec_lo
	s_mov_b32 s75, 0
	s_wait_storecnt 0x0
	s_wait_loadcnt_dscnt 0x0
	flat_load_b32 v8, v[8:9] scope:SCOPE_SYS
	s_wait_loadcnt_dscnt 0x0
	global_inv scope:SCOPE_SYS
	v_cmp_eq_u32_e32 vcc_lo, 0, v8
	s_and_b32 s77, vcc_lo, exec_lo
	s_delay_alu instid0(SALU_CYCLE_1)
	s_or_b32 s76, s76, s77
	s_mov_b32 s78, -1
	s_or_b32 s74, s74, exec_lo
	s_and_saveexec_b32 s77, s76
	s_cbranch_execz .LBB2_10966
.LBB2_10970:                            ;   in Loop: Header=BB2_10967 Depth=3
	s_sleep 1
	s_trap 2
	ds_load_b64 v[8:9], v0
	s_wait_dscnt 0x0
	s_and_not1_b32 s74, s74, exec_lo
	v_cmp_ge_u64_e32 vcc_lo, v[8:9], v[12:13]
	s_or_not1_b32 s78, vcc_lo, exec_lo
	s_branch .LBB2_10966
.LBB2_10971:                            ;   in Loop: Header=BB2_5115 Depth=2
	s_or_b32 exec_lo, exec_lo, s43
	s_and_saveexec_b32 s43, s73
	s_delay_alu instid0(SALU_CYCLE_1)
	s_xor_b32 s43, exec_lo, s43
	s_cbranch_execz .LBB2_10973
; %bb.10972:                            ;   in Loop: Header=BB2_5115 Depth=2
	ds_store_b32 v0, v110
	s_trap 2
.LBB2_10973:                            ;   in Loop: Header=BB2_5115 Depth=2
	s_or_b32 exec_lo, exec_lo, s42
	;;#ASMSTART
	s_wakeup
	;;#ASMEND
.LBB2_10974:                            ;   in Loop: Header=BB2_5115 Depth=2
	s_or_b32 exec_lo, exec_lo, s15
.LBB2_10975:                            ;   in Loop: Header=BB2_5115 Depth=2
	s_and_not1_saveexec_b32 s14, s14
	s_cbranch_execz .LBB2_10977
; %bb.10976:                            ;   in Loop: Header=BB2_5115 Depth=2
	;;#ASMSTART
	s_waitcnt lgkmcnt(0) vmcnt(0)
	;;#ASMEND
	s_barrier_signal -1
	s_barrier_wait -1
.LBB2_10977:                            ;   in Loop: Header=BB2_5115 Depth=2
	s_or_b32 exec_lo, exec_lo, s14
.LBB2_10978:                            ;   in Loop: Header=BB2_5115 Depth=2
	s_delay_alu instid0(SALU_CYCLE_1) | instskip(SKIP_2) | instid1(SALU_CYCLE_1)
	s_or_b32 exec_lo, exec_lo, s13
	v_cmp_ne_u32_e32 vcc_lo, 0, v2
	s_xor_b32 s13, s4, -1
	s_and_b32 s14, vcc_lo, s13
	s_delay_alu instid0(SALU_CYCLE_1)
	s_and_saveexec_b32 s13, s14
	s_cbranch_execz .LBB2_10980
; %bb.10979:                            ;   in Loop: Header=BB2_5115 Depth=2
	global_wb scope:SCOPE_SYS
	s_wait_storecnt 0x0
	s_wait_loadcnt_dscnt 0x0
	flat_store_b32 v[26:27], v110 scope:SCOPE_SYS
.LBB2_10980:                            ;   in Loop: Header=BB2_5115 Depth=2
	s_wait_xcnt 0x0
	s_or_b32 exec_lo, exec_lo, s13
	v_and_b32_e32 v2, 48, v106
	s_mov_b32 s13, exec_lo
	s_delay_alu instid0(VALU_DEP_1)
	v_cmpx_ne_u32_e32 0, v2
	s_cbranch_execnz .LBB2_10981
; %bb.11579:                            ;   in Loop: Header=BB2_5115 Depth=2
	s_add_pc_i64 .LBB2_5114-.Lpost_addpc8
.Lpost_addpc8:
.LBB2_10981:                            ;   in Loop: Header=BB2_5115 Depth=2
	v_add_nc_u64_e32 v[86:87], 2, v[86:87]
	global_wb scope:SCOPE_SYS
	s_wait_storecnt 0x0
	s_wait_loadcnt_dscnt 0x0
	flat_store_b64 v[20:21], v[86:87] scope:SCOPE_SYS
; %bb.11565:                            ;   in Loop: Header=BB2_5115 Depth=2
	s_add_pc_i64 .LBB2_5114-.Lpost_addpc1
.Lpost_addpc1:
.LBB2_10982:                            ;   in Loop: Header=BB2_47 Depth=1
	s_or_b32 exec_lo, exec_lo, s29
.LBB2_10983:                            ;   in Loop: Header=BB2_47 Depth=1
	s_delay_alu instid0(SALU_CYCLE_1) | instskip(NEXT) | instid1(SALU_CYCLE_1)
	s_or_b32 exec_lo, exec_lo, s18
	s_mov_b32 s14, exec_lo
	v_cmpx_gt_i32_e32 2, v2
	s_cbranch_execz .LBB2_11059
; %bb.10984:                            ;   in Loop: Header=BB2_47 Depth=1
	v_cmp_eq_u32_e64 s18, 0, v2
	s_mov_b32 s15, 0
	s_branch .LBB2_10986
.LBB2_10985:                            ;   in Loop: Header=BB2_10986 Depth=2
	s_wait_xcnt 0x0
	s_or_b32 exec_lo, exec_lo, s13
	v_add_nc_u32_e32 v102, v100, v102
	s_mov_b32 s18, 0
	s_and_not1_b32 exec_lo, exec_lo, s15
	s_cbranch_execz .LBB2_11058
.LBB2_10986:                            ;   Parent Loop BB2_47 Depth=1
                                        ; =>  This Loop Header: Depth=2
                                        ;       Child Loop BB2_10992 Depth 3
                                        ;       Child Loop BB2_11020 Depth 3
	;; [unrolled: 1-line block ×3, first 2 shown]
	s_delay_alu instid0(VALU_DEP_1) | instskip(SKIP_2) | instid1(VALU_DEP_2)
	v_sub_nc_u32_e32 v2, v123, v102
	v_and_b32_e32 v8, 12, v106
	s_mov_b32 s29, exec_lo
	v_min_i32_e32 v100, v100, v2
	s_delay_alu instid0(VALU_DEP_2)
	v_cmpx_ne_u32_e32 0, v8
	s_cbranch_execz .LBB2_11012
; %bb.10987:                            ;   in Loop: Header=BB2_10986 Depth=2
	v_dual_mov_b32 v11, v3 :: v_dual_bitop2_b32 v10, 8, v106 bitop3:0x40
	v_add_nc_u64_e32 v[8:9], 2, v[86:87]
	s_mov_b32 s42, exec_lo
	s_wait_loadcnt_dscnt 0x1
	s_delay_alu instid0(VALU_DEP_2) | instskip(NEXT) | instid1(VALU_DEP_1)
	v_add_nc_u64_e32 v[16:17], v[28:29], v[10:11]
	v_cmpx_lt_u64_e64 v[16:17], v[8:9]
	s_cbranch_execz .LBB2_10999
; %bb.10988:                            ;   in Loop: Header=BB2_10986 Depth=2
	v_and_b32_e32 v2, 64, v106
	s_mov_b32 s43, 0
	s_mov_b32 s74, 0
                                        ; implicit-def: $sgpr63
                                        ; implicit-def: $sgpr72
                                        ; implicit-def: $sgpr73
	s_delay_alu instid0(VALU_DEP_1)
	v_cmp_eq_u32_e32 vcc_lo, 0, v2
	s_branch .LBB2_10992
.LBB2_10989:                            ;   in Loop: Header=BB2_10992 Depth=3
	s_wait_loadcnt_dscnt 0x0
	v_add_nc_u64_e32 v[16:17], v[28:29], v[10:11]
	s_or_b32 s77, s77, exec_lo
	s_delay_alu instid0(VALU_DEP_1)
	v_cmp_ge_u64_e64 s13, v[16:17], v[8:9]
	s_or_not1_b32 s76, s13, exec_lo
.LBB2_10990:                            ;   in Loop: Header=BB2_10992 Depth=3
	s_or_b32 exec_lo, exec_lo, s79
	s_delay_alu instid0(SALU_CYCLE_1)
	s_and_not1_b32 s13, s73, exec_lo
	s_and_b32 s73, s77, exec_lo
	s_and_not1_b32 s72, s72, exec_lo
	s_and_b32 s76, s76, exec_lo
	s_or_b32 s73, s13, s73
	s_or_b32 s72, s72, s76
.LBB2_10991:                            ;   in Loop: Header=BB2_10992 Depth=3
	s_or_b32 exec_lo, exec_lo, s75
	s_delay_alu instid0(SALU_CYCLE_1) | instskip(NEXT) | instid1(SALU_CYCLE_1)
	s_and_b32 s13, exec_lo, s72
	s_or_b32 s43, s13, s43
	s_and_not1_b32 s13, s63, exec_lo
	s_and_b32 s63, s73, exec_lo
	s_delay_alu instid0(SALU_CYCLE_1)
	s_or_b32 s63, s13, s63
	s_and_not1_b32 exec_lo, exec_lo, s43
	s_cbranch_execz .LBB2_10996
.LBB2_10992:                            ;   Parent Loop BB2_47 Depth=1
                                        ;     Parent Loop BB2_10986 Depth=2
                                        ; =>    This Inner Loop Header: Depth=3
	s_sleep 1
	s_wait_loadcnt_dscnt 0x0
	flat_load_b64 v[28:29], v[20:21] scope:SCOPE_SYS
	s_or_b32 s73, s73, exec_lo
	s_or_b32 s72, s72, exec_lo
                                        ; implicit-def: $vgpr2
	s_wait_xcnt 0x0
	s_and_saveexec_b32 s75, vcc_lo
	s_cbranch_execz .LBB2_10991
; %bb.10993:                            ;   in Loop: Header=BB2_10992 Depth=3
	s_cmp_lt_i32 s74, 0x270f
	s_mov_b32 s76, -1
	s_cselect_b32 s78, -1, 0
	s_cmp_gt_i32 s74, 0x270e
	s_cbranch_scc0 .LBB2_10995
; %bb.10994:                            ;   in Loop: Header=BB2_10992 Depth=3
	s_trap 2
	ds_load_b64 v[16:17], v0
	s_and_not1_b32 s74, s78, exec_lo
	s_mov_b32 s77, 0
	s_wait_storecnt 0x0
	s_wait_loadcnt_dscnt 0x0
	flat_load_b32 v2, v[16:17] scope:SCOPE_SYS
	s_wait_loadcnt_dscnt 0x0
	global_inv scope:SCOPE_SYS
	v_cmp_eq_u32_e64 s13, 0, v2
	s_and_b32 s13, s13, exec_lo
	s_delay_alu instid0(SALU_CYCLE_1)
	s_or_b32 s78, s74, s13
	s_mov_b32 s74, 0
	s_and_saveexec_b32 s79, s78
	s_cbranch_execz .LBB2_10990
	s_branch .LBB2_10989
.LBB2_10995:                            ;   in Loop: Header=BB2_10992 Depth=3
	s_add_co_i32 s74, s74, 1
	s_mov_b32 s77, -1
                                        ; implicit-def: $vgpr2
	s_and_saveexec_b32 s79, s78
	s_cbranch_execz .LBB2_10990
	s_branch .LBB2_10989
.LBB2_10996:                            ;   in Loop: Header=BB2_10986 Depth=2
	s_or_b32 exec_lo, exec_lo, s43
	s_xor_b32 s13, s63, -1
	s_delay_alu instid0(SALU_CYCLE_1) | instskip(NEXT) | instid1(SALU_CYCLE_1)
	s_and_saveexec_b32 s43, s13
	s_xor_b32 s13, exec_lo, s43
	s_cbranch_execz .LBB2_10998
; %bb.10997:                            ;   in Loop: Header=BB2_10986 Depth=2
	v_or_b32_e32 v106, 64, v106
	s_wait_storecnt 0x0
	s_wait_loadcnt_dscnt 0x0
	ds_store_b32 v0, v2
	s_trap 2
.LBB2_10998:                            ;   in Loop: Header=BB2_10986 Depth=2
	s_or_b32 exec_lo, exec_lo, s13
.LBB2_10999:                            ;   in Loop: Header=BB2_10986 Depth=2
	s_delay_alu instid0(SALU_CYCLE_1) | instskip(SKIP_3) | instid1(VALU_DEP_1)
	s_or_b32 exec_lo, exec_lo, s42
	v_and_b32_e32 v2, 0x108, v106
	s_mov_b32 s13, exec_lo
	;;#ASMSTART
	s_wakeup
	;;#ASMEND
                                        ; implicit-def: $vgpr112_vgpr113
	v_cmpx_ne_u32_e32 0x108, v2
	s_xor_b32 s13, exec_lo, s13
; %bb.11000:                            ;   in Loop: Header=BB2_10986 Depth=2
	v_dual_mov_b32 v113, v3 :: v_dual_bitop2_b32 v112, 7, v86 bitop3:0x40
                                        ; implicit-def: $vgpr86_vgpr87
; %bb.11001:                            ;   in Loop: Header=BB2_10986 Depth=2
	s_and_not1_saveexec_b32 s13, s13
	s_cbranch_execz .LBB2_11003
; %bb.11002:                            ;   in Loop: Header=BB2_10986 Depth=2
	v_dual_ashrrev_i32 v101, 31, v100 :: v_dual_bitop2_b32 v112, 7, v86 bitop3:0x40
	v_mov_b32_e32 v113, v3
	s_delay_alu instid0(VALU_DEP_2)
	v_mad_nc_u64_u32 v[16:17], v112, 24, v[6:7]
	flat_store_b64 v[16:17], v[100:101] offset:8
.LBB2_11003:                            ;   in Loop: Header=BB2_10986 Depth=2
	s_wait_xcnt 0x0
	s_or_b32 exec_lo, exec_lo, s13
	v_and_b32_e32 v2, 0x100, v106
	s_mov_b32 s13, -1
	s_mov_b32 s42, exec_lo
                                        ; implicit-def: $vgpr86_vgpr87
	s_delay_alu instid0(VALU_DEP_1)
	v_cmpx_ne_u32_e32 0, v2
	s_cbranch_execz .LBB2_11007
; %bb.11004:                            ;   in Loop: Header=BB2_10986 Depth=2
	v_mad_nc_u64_u32 v[114:115], v112, 24, v[6:7]
	s_mov_b32 s43, exec_lo
                                        ; implicit-def: $vgpr86_vgpr87
	s_delay_alu instid0(VALU_DEP_1)
	v_mad_u32 v115, v113, 24, v115
	flat_load_b32 v2, v[114:115]
	s_wait_loadcnt_dscnt 0x0
	v_cmp_ne_u32_e32 vcc_lo, 1, v2
	s_wait_xcnt 0x0
	v_cmpx_eq_u32_e32 1, v2
	s_cbranch_execz .LBB2_11006
; %bb.11005:                            ;   in Loop: Header=BB2_10986 Depth=2
	flat_load_b32 v86, v[114:115] offset:4 scope:SCOPE_SYS
	s_wait_loadcnt_dscnt 0x0
	v_ashrrev_i32_e32 v87, 31, v86
.LBB2_11006:                            ;   in Loop: Header=BB2_10986 Depth=2
	s_wait_xcnt 0x0
	s_or_b32 exec_lo, exec_lo, s43
	s_delay_alu instid0(SALU_CYCLE_1)
	s_or_not1_b32 s13, vcc_lo, exec_lo
.LBB2_11007:                            ;   in Loop: Header=BB2_10986 Depth=2
	s_or_b32 exec_lo, exec_lo, s42
	s_and_saveexec_b32 s42, s13
; %bb.11008:                            ;   in Loop: Header=BB2_10986 Depth=2
	v_mul_u64_e32 v[86:87], v[112:113], v[22:23]
; %bb.11009:                            ;   in Loop: Header=BB2_10986 Depth=2
	s_or_b32 exec_lo, exec_lo, s42
	v_cmp_eq_u32_e32 vcc_lo, 0, v10
	s_delay_alu instid0(VALU_DEP_2) | instskip(SKIP_3) | instid1(VALU_DEP_1)
	v_add_nc_u64_e32 v[10:11], v[24:25], v[86:87]
	v_and_b32_e32 v16, 0x2000, v106
	s_mov_b32 s13, exec_lo
	v_cndmask_b32_e32 v2, 0xd0, v121, vcc_lo
	v_add_nc_u32_e32 v2, v0, v2
	ds_store_b64 v2, v[10:11] offset:584
	v_cmpx_ne_u32_e32 0, v16
	s_cbranch_execz .LBB2_11011
; %bb.11010:                            ;   in Loop: Header=BB2_10986 Depth=2
	ds_load_b64 v[10:11], v0 offset:872
	s_wait_dscnt 0x0
	v_add_nc_u64_e32 v[10:11], 1, v[10:11]
	ds_store_b64 v0, v[10:11] offset:872
.LBB2_11011:                            ;   in Loop: Header=BB2_10986 Depth=2
	s_or_b32 exec_lo, exec_lo, s13
	v_mov_b64_e32 v[86:87], v[8:9]
.LBB2_11012:                            ;   in Loop: Header=BB2_10986 Depth=2
	s_or_b32 exec_lo, exec_lo, s29
	s_xor_b32 s13, s18, -1
	s_delay_alu instid0(SALU_CYCLE_1) | instskip(NEXT) | instid1(SALU_CYCLE_1)
	s_and_b32 s13, exec_lo, s13
	s_or_b32 s15, s13, s15
	s_and_saveexec_b32 s13, s2
	s_cbranch_execz .LBB2_11031
; %bb.11013:                            ;   in Loop: Header=BB2_10986 Depth=2
	s_and_saveexec_b32 s18, s3
	s_delay_alu instid0(SALU_CYCLE_1)
	s_xor_b32 s18, exec_lo, s18
	s_cbranch_execz .LBB2_11028
; %bb.11014:                            ;   in Loop: Header=BB2_10986 Depth=2
	s_and_saveexec_b32 s29, s6
	s_cbranch_execz .LBB2_11027
; %bb.11015:                            ;   in Loop: Header=BB2_10986 Depth=2
	s_mov_b32 s43, exec_lo
	s_mov_b32 s42, exec_lo
	v_mbcnt_lo_u32_b32 v2, s43, 0
	global_wb scope:SCOPE_DEV
	s_wait_storecnt 0x0
	s_wait_loadcnt_dscnt 0x0
	global_inv scope:SCOPE_DEV
	v_cmpx_eq_u32_e32 0, v2
	s_cbranch_execz .LBB2_11017
; %bb.11016:                            ;   in Loop: Header=BB2_10986 Depth=2
	s_bcnt1_i32_b32 s43, s43
	s_delay_alu instid0(SALU_CYCLE_1)
	v_dual_mov_b32 v9, v3 :: v_dual_mov_b32 v8, s43
	s_wait_loadcnt 0x0
	ds_add_u64 v0, v[8:9]
	s_trap 2
.LBB2_11017:                            ;   in Loop: Header=BB2_10986 Depth=2
	s_or_b32 exec_lo, exec_lo, s42
	s_trap 2
	ds_load_b64 v[8:9], v0
	s_wait_dscnt 0x0
	v_add_nc_u64_e32 v[12:13], v[12:13], v[32:33]
	s_mov_b32 s42, exec_lo
	s_delay_alu instid0(VALU_DEP_1)
	v_cmpx_lt_u64_e64 v[8:9], v[12:13]
	s_cbranch_execz .LBB2_11026
; %bb.11018:                            ;   in Loop: Header=BB2_10986 Depth=2
	s_mov_b32 s43, 0
	s_mov_b32 s73, 0
                                        ; implicit-def: $sgpr63
                                        ; implicit-def: $sgpr72
	s_branch .LBB2_11020
.LBB2_11019:                            ;   in Loop: Header=BB2_11020 Depth=3
	s_or_b32 exec_lo, exec_lo, s75
	s_delay_alu instid0(SALU_CYCLE_1) | instskip(NEXT) | instid1(SALU_CYCLE_1)
	s_and_b32 s74, exec_lo, s76
	s_or_b32 s43, s74, s43
	s_and_not1_b32 s63, s63, exec_lo
	s_and_b32 s74, s72, exec_lo
	s_delay_alu instid0(SALU_CYCLE_1)
	s_or_b32 s63, s63, s74
	s_and_not1_b32 exec_lo, exec_lo, s43
	s_cbranch_execz .LBB2_11024
.LBB2_11020:                            ;   Parent Loop BB2_47 Depth=1
                                        ;     Parent Loop BB2_10986 Depth=2
                                        ; =>    This Inner Loop Header: Depth=3
	s_add_co_i32 s73, s73, 1
	s_delay_alu instid0(SALU_CYCLE_1) | instskip(SKIP_1) | instid1(SALU_CYCLE_1)
	s_cmp_lg_u32 s73, 0x2710
	s_cselect_b32 s74, -1, 0
	s_and_b32 vcc_lo, exec_lo, s74
	s_cbranch_vccz .LBB2_11022
; %bb.11021:                            ;   in Loop: Header=BB2_11020 Depth=3
	s_mov_b32 s76, -1
	s_or_b32 s72, s72, exec_lo
	s_and_saveexec_b32 s75, s74
	s_cbranch_execz .LBB2_11019
	s_branch .LBB2_11023
.LBB2_11022:                            ;   in Loop: Header=BB2_11020 Depth=3
	s_trap 2
	ds_load_b64 v[8:9], v0
	s_and_not1_b32 s74, s74, exec_lo
	s_mov_b32 s73, 0
	s_wait_loadcnt_dscnt 0x0
	flat_load_b32 v2, v[8:9] scope:SCOPE_SYS
	s_wait_loadcnt_dscnt 0x0
	global_inv scope:SCOPE_SYS
	v_cmp_eq_u32_e32 vcc_lo, 0, v2
	s_and_b32 s75, vcc_lo, exec_lo
	s_delay_alu instid0(SALU_CYCLE_1)
	s_or_b32 s74, s74, s75
	s_mov_b32 s76, -1
	s_or_b32 s72, s72, exec_lo
	s_and_saveexec_b32 s75, s74
	s_cbranch_execz .LBB2_11019
.LBB2_11023:                            ;   in Loop: Header=BB2_11020 Depth=3
	s_sleep 1
	s_trap 2
	ds_load_b64 v[8:9], v0
	s_wait_dscnt 0x0
	s_and_not1_b32 s72, s72, exec_lo
	v_cmp_ge_u64_e32 vcc_lo, v[8:9], v[12:13]
	s_or_not1_b32 s76, vcc_lo, exec_lo
	s_branch .LBB2_11019
.LBB2_11024:                            ;   in Loop: Header=BB2_10986 Depth=2
	s_or_b32 exec_lo, exec_lo, s43
	s_and_saveexec_b32 s43, s63
	s_delay_alu instid0(SALU_CYCLE_1)
	s_xor_b32 s43, exec_lo, s43
	s_cbranch_execz .LBB2_11026
; %bb.11025:                            ;   in Loop: Header=BB2_10986 Depth=2
	ds_store_b32 v0, v110
	s_trap 2
.LBB2_11026:                            ;   in Loop: Header=BB2_10986 Depth=2
	s_or_b32 exec_lo, exec_lo, s42
	;;#ASMSTART
	s_wakeup
	;;#ASMEND
.LBB2_11027:                            ;   in Loop: Header=BB2_10986 Depth=2
	s_or_b32 exec_lo, exec_lo, s29
.LBB2_11028:                            ;   in Loop: Header=BB2_10986 Depth=2
	s_and_not1_saveexec_b32 s18, s18
	s_cbranch_execz .LBB2_11030
; %bb.11029:                            ;   in Loop: Header=BB2_10986 Depth=2
	global_wb scope:SCOPE_DEV
	s_wait_storecnt 0x0
	s_wait_loadcnt_dscnt 0x0
	global_inv scope:SCOPE_DEV
	s_barrier_signal -1
	s_barrier_wait -1
.LBB2_11030:                            ;   in Loop: Header=BB2_10986 Depth=2
	s_or_b32 exec_lo, exec_lo, s18
.LBB2_11031:                            ;   in Loop: Header=BB2_10986 Depth=2
	s_delay_alu instid0(SALU_CYCLE_1) | instskip(SKIP_2) | instid1(SALU_CYCLE_1)
	s_or_b32 exec_lo, exec_lo, s13
	v_and_b32_e32 v2, 16, v106
	s_and_saveexec_b32 s13, s12
	s_xor_b32 s18, exec_lo, s13
	s_cbranch_execz .LBB2_11035
; %bb.11032:                            ;   in Loop: Header=BB2_10986 Depth=2
	s_trap 2
	ds_load_b32 v2, v0
	v_cmp_lt_i32_e32 vcc_lo, 0, v100
	s_wait_dscnt 0x0
	v_readfirstlane_b32 s13, v2
	v_and_b32_e32 v2, 16, v106
	s_cmp_eq_u32 s13, 0
	s_delay_alu instid0(VALU_DEP_1) | instskip(SKIP_3) | instid1(SALU_CYCLE_1)
	v_cmp_ne_u32_e64 s13, 0, v2
	s_cselect_b32 s29, -1, 0
	v_and_b32_e32 v2, 16, v106
	s_and_b32 s29, vcc_lo, s29
	s_and_b32 s29, s13, s29
	s_delay_alu instid0(SALU_CYCLE_1)
	s_and_saveexec_b32 s13, s29
	s_cbranch_execz .LBB2_11034
; %bb.11033:                            ;   in Loop: Header=BB2_10986 Depth=2
	v_mov_b32_e32 v2, 1
	global_wb scope:SCOPE_SYS
	s_wait_loadcnt 0x0
	s_wait_storecnt 0x0
	global_inv scope:SCOPE_SYS
.LBB2_11034:                            ;   in Loop: Header=BB2_10986 Depth=2
	s_or_b32 exec_lo, exec_lo, s13
.LBB2_11035:                            ;   in Loop: Header=BB2_10986 Depth=2
	s_and_not1_saveexec_b32 s13, s18
	s_cbranch_execz .LBB2_11054
; %bb.11036:                            ;   in Loop: Header=BB2_10986 Depth=2
	s_and_saveexec_b32 s18, s3
	s_delay_alu instid0(SALU_CYCLE_1)
	s_xor_b32 s18, exec_lo, s18
	s_cbranch_execz .LBB2_11051
; %bb.11037:                            ;   in Loop: Header=BB2_10986 Depth=2
	s_and_saveexec_b32 s29, s6
	s_cbranch_execz .LBB2_11050
; %bb.11038:                            ;   in Loop: Header=BB2_10986 Depth=2
	s_mov_b32 s43, exec_lo
	s_mov_b32 s42, exec_lo
	v_mbcnt_lo_u32_b32 v8, s43, 0
	;;#ASMSTART
	s_waitcnt lgkmcnt(0) vmcnt(0)
	;;#ASMEND
	s_delay_alu instid0(VALU_DEP_1)
	v_cmpx_eq_u32_e32 0, v8
	s_cbranch_execz .LBB2_11040
; %bb.11039:                            ;   in Loop: Header=BB2_10986 Depth=2
	s_bcnt1_i32_b32 s43, s43
	s_delay_alu instid0(SALU_CYCLE_1)
	v_dual_mov_b32 v9, v3 :: v_dual_mov_b32 v8, s43
	s_wait_storecnt 0x0
	s_wait_loadcnt_dscnt 0x0
	ds_add_u64 v0, v[8:9]
	s_trap 2
.LBB2_11040:                            ;   in Loop: Header=BB2_10986 Depth=2
	s_or_b32 exec_lo, exec_lo, s42
	s_trap 2
	ds_load_b64 v[8:9], v0
	s_wait_dscnt 0x0
	v_add_nc_u64_e32 v[12:13], v[12:13], v[32:33]
	s_mov_b32 s42, exec_lo
	s_delay_alu instid0(VALU_DEP_1)
	v_cmpx_lt_u64_e64 v[8:9], v[12:13]
	s_cbranch_execz .LBB2_11049
; %bb.11041:                            ;   in Loop: Header=BB2_10986 Depth=2
	s_mov_b32 s43, 0
	s_mov_b32 s73, 0
                                        ; implicit-def: $sgpr63
                                        ; implicit-def: $sgpr72
	s_branch .LBB2_11043
.LBB2_11042:                            ;   in Loop: Header=BB2_11043 Depth=3
	s_or_b32 exec_lo, exec_lo, s75
	s_delay_alu instid0(SALU_CYCLE_1) | instskip(NEXT) | instid1(SALU_CYCLE_1)
	s_and_b32 s74, exec_lo, s76
	s_or_b32 s43, s74, s43
	s_and_not1_b32 s63, s63, exec_lo
	s_and_b32 s74, s72, exec_lo
	s_delay_alu instid0(SALU_CYCLE_1)
	s_or_b32 s63, s63, s74
	s_and_not1_b32 exec_lo, exec_lo, s43
	s_cbranch_execz .LBB2_11047
.LBB2_11043:                            ;   Parent Loop BB2_47 Depth=1
                                        ;     Parent Loop BB2_10986 Depth=2
                                        ; =>    This Inner Loop Header: Depth=3
	s_add_co_i32 s73, s73, 1
	s_delay_alu instid0(SALU_CYCLE_1) | instskip(SKIP_1) | instid1(SALU_CYCLE_1)
	s_cmp_lg_u32 s73, 0x2710
	s_cselect_b32 s74, -1, 0
	s_and_b32 vcc_lo, exec_lo, s74
	s_cbranch_vccz .LBB2_11045
; %bb.11044:                            ;   in Loop: Header=BB2_11043 Depth=3
	s_mov_b32 s76, -1
	s_or_b32 s72, s72, exec_lo
	s_and_saveexec_b32 s75, s74
	s_cbranch_execz .LBB2_11042
	s_branch .LBB2_11046
.LBB2_11045:                            ;   in Loop: Header=BB2_11043 Depth=3
	s_trap 2
	ds_load_b64 v[8:9], v0
	s_and_not1_b32 s74, s74, exec_lo
	s_mov_b32 s73, 0
	s_wait_storecnt 0x0
	s_wait_loadcnt_dscnt 0x0
	flat_load_b32 v8, v[8:9] scope:SCOPE_SYS
	s_wait_loadcnt_dscnt 0x0
	global_inv scope:SCOPE_SYS
	v_cmp_eq_u32_e32 vcc_lo, 0, v8
	s_and_b32 s75, vcc_lo, exec_lo
	s_delay_alu instid0(SALU_CYCLE_1)
	s_or_b32 s74, s74, s75
	s_mov_b32 s76, -1
	s_or_b32 s72, s72, exec_lo
	s_and_saveexec_b32 s75, s74
	s_cbranch_execz .LBB2_11042
.LBB2_11046:                            ;   in Loop: Header=BB2_11043 Depth=3
	s_sleep 1
	s_trap 2
	ds_load_b64 v[8:9], v0
	s_wait_dscnt 0x0
	s_and_not1_b32 s72, s72, exec_lo
	v_cmp_ge_u64_e32 vcc_lo, v[8:9], v[12:13]
	s_or_not1_b32 s76, vcc_lo, exec_lo
	s_branch .LBB2_11042
.LBB2_11047:                            ;   in Loop: Header=BB2_10986 Depth=2
	s_or_b32 exec_lo, exec_lo, s43
	s_and_saveexec_b32 s43, s63
	s_delay_alu instid0(SALU_CYCLE_1)
	s_xor_b32 s43, exec_lo, s43
	s_cbranch_execz .LBB2_11049
; %bb.11048:                            ;   in Loop: Header=BB2_10986 Depth=2
	ds_store_b32 v0, v110
	s_trap 2
.LBB2_11049:                            ;   in Loop: Header=BB2_10986 Depth=2
	s_or_b32 exec_lo, exec_lo, s42
	;;#ASMSTART
	s_wakeup
	;;#ASMEND
.LBB2_11050:                            ;   in Loop: Header=BB2_10986 Depth=2
	s_or_b32 exec_lo, exec_lo, s29
.LBB2_11051:                            ;   in Loop: Header=BB2_10986 Depth=2
	s_and_not1_saveexec_b32 s18, s18
	s_cbranch_execz .LBB2_11053
; %bb.11052:                            ;   in Loop: Header=BB2_10986 Depth=2
	;;#ASMSTART
	s_waitcnt lgkmcnt(0) vmcnt(0)
	;;#ASMEND
	s_barrier_signal -1
	s_barrier_wait -1
.LBB2_11053:                            ;   in Loop: Header=BB2_10986 Depth=2
	s_or_b32 exec_lo, exec_lo, s18
.LBB2_11054:                            ;   in Loop: Header=BB2_10986 Depth=2
	s_delay_alu instid0(SALU_CYCLE_1) | instskip(SKIP_2) | instid1(SALU_CYCLE_1)
	s_or_b32 exec_lo, exec_lo, s13
	v_cmp_ne_u32_e32 vcc_lo, 0, v2
	s_xor_b32 s13, s4, -1
	s_and_b32 s18, vcc_lo, s13
	s_delay_alu instid0(SALU_CYCLE_1)
	s_and_saveexec_b32 s13, s18
	s_cbranch_execz .LBB2_11056
; %bb.11055:                            ;   in Loop: Header=BB2_10986 Depth=2
	global_wb scope:SCOPE_SYS
	s_wait_storecnt 0x0
	s_wait_loadcnt_dscnt 0x0
	flat_store_b32 v[26:27], v110 scope:SCOPE_SYS
.LBB2_11056:                            ;   in Loop: Header=BB2_10986 Depth=2
	s_wait_xcnt 0x0
	s_or_b32 exec_lo, exec_lo, s13
	v_and_b32_e32 v2, 48, v106
	s_mov_b32 s13, exec_lo
	s_delay_alu instid0(VALU_DEP_1)
	v_cmpx_ne_u32_e32 0, v2
	s_cbranch_execz .LBB2_10985
; %bb.11057:                            ;   in Loop: Header=BB2_10986 Depth=2
	v_add_nc_u64_e32 v[86:87], 2, v[86:87]
	global_wb scope:SCOPE_SYS
	s_wait_storecnt 0x0
	s_wait_loadcnt_dscnt 0x0
	flat_store_b64 v[20:21], v[86:87] scope:SCOPE_SYS
	s_branch .LBB2_10985
.LBB2_11058:                            ;   in Loop: Header=BB2_47 Depth=1
	s_or_b32 exec_lo, exec_lo, s15
.LBB2_11059:                            ;   in Loop: Header=BB2_47 Depth=1
	s_delay_alu instid0(SALU_CYCLE_1) | instskip(NEXT) | instid1(SALU_CYCLE_1)
	s_or_b32 exec_lo, exec_lo, s14
	s_and_not1_b32 vcc_lo, exec_lo, s57
	s_cbranch_vccnz .LBB2_11318
; %bb.11060:                            ;   in Loop: Header=BB2_47 Depth=1
	s_mov_b32 s18, 1
.LBB2_11061:                            ;   Parent Loop BB2_47 Depth=1
                                        ; =>  This Loop Header: Depth=2
                                        ;       Child Loop BB2_11064 Depth 3
                                        ;         Child Loop BB2_11072 Depth 4
                                        ;         Child Loop BB2_11100 Depth 4
	;; [unrolled: 1-line block ×4, first 2 shown]
                                        ;           Child Loop BB2_11143 Depth 5
                                        ;         Child Loop BB2_11149 Depth 4
                                        ;           Child Loop BB2_11150 Depth 5
                                        ;         Child Loop BB2_11157 Depth 4
                                        ;         Child Loop BB2_11162 Depth 4
                                        ;           Child Loop BB2_11163 Depth 5
                                        ;         Child Loop BB2_11175 Depth 4
                                        ;         Child Loop BB2_11180 Depth 4
	;; [unrolled: 1-line block ×6, first 2 shown]
                                        ;       Child Loop BB2_11243 Depth 3
                                        ;         Child Loop BB2_11249 Depth 4
                                        ;         Child Loop BB2_11277 Depth 4
	;; [unrolled: 1-line block ×3, first 2 shown]
	s_delay_alu instid0(SALU_CYCLE_1) | instskip(SKIP_4) | instid1(SALU_CYCLE_1)
	s_sub_co_i32 s13, s46, s18
	s_mov_b32 s63, 0
	s_cmp_ge_i32 s13, s16
	v_mov_b32_e32 v102, 0
	s_cselect_b32 s14, s16, 0
	s_sub_co_i32 s14, s13, s14
	s_delay_alu instid0(SALU_CYCLE_1) | instskip(NEXT) | instid1(SALU_CYCLE_1)
	s_ashr_i32 s15, s14, 31
	v_mul_u64_e32 v[8:9], s[14:15], v[84:85]
	s_delay_alu instid0(VALU_DEP_1) | instskip(NEXT) | instid1(VALU_DEP_1)
	v_sub_nc_u64_e32 v[10:11], v[96:97], v[8:9]
	v_min_i64 v[10:11], v[84:85], v[10:11]
	s_delay_alu instid0(VALU_DEP_1) | instskip(SKIP_1) | instid1(VALU_DEP_2)
	v_max_i32_e32 v16, 0, v10
	v_cmp_lt_i32_e32 vcc_lo, 0, v10
	v_add_nc_u32_e32 v2, 31, v16
	s_and_b32 s13, s60, vcc_lo
	s_delay_alu instid0(VALU_DEP_1) | instskip(NEXT) | instid1(VALU_DEP_1)
	v_lshrrev_b32_e32 v2, 1, v2
	v_and_b32_e32 v11, 0x3ffffff0, v2
	s_delay_alu instid0(VALU_DEP_1)
	v_dual_mov_b32 v2, 0 :: v_dual_max_i32 v100, s56, v11
	s_and_saveexec_b32 s29, s13
	s_cbranch_execz .LBB2_11240
; %bb.11062:                            ;   in Loop: Header=BB2_11061 Depth=2
	v_add_nc_u64_e32 v[112:113], v[8:9], v[98:99]
	v_mov_b32_e32 v102, 0
	s_mov_b32 s73, 1
	s_mov_b32 s72, -1
	s_branch .LBB2_11064
.LBB2_11063:                            ;   in Loop: Header=BB2_11064 Depth=3
	s_wait_xcnt 0x0
	s_or_b32 exec_lo, exec_lo, s13
	v_dual_add_nc_u32 v102, v100, v102 :: v_dual_mov_b32 v2, s73
	s_xor_b32 s13, s72, -1
	s_mov_b32 s72, 0
	s_mov_b32 s73, 2
	s_delay_alu instid0(VALU_DEP_1) | instskip(SKIP_1) | instid1(SALU_CYCLE_1)
	v_cmp_ge_i32_e32 vcc_lo, v102, v16
	s_or_b32 s13, s13, vcc_lo
	s_and_b32 s13, exec_lo, s13
	s_delay_alu instid0(SALU_CYCLE_1) | instskip(NEXT) | instid1(SALU_CYCLE_1)
	s_or_b32 s63, s13, s63
	s_and_not1_b32 exec_lo, exec_lo, s63
	s_cbranch_execz .LBB2_11239
.LBB2_11064:                            ;   Parent Loop BB2_47 Depth=1
                                        ;     Parent Loop BB2_11061 Depth=2
                                        ; =>    This Loop Header: Depth=3
                                        ;         Child Loop BB2_11072 Depth 4
                                        ;         Child Loop BB2_11100 Depth 4
	;; [unrolled: 1-line block ×4, first 2 shown]
                                        ;           Child Loop BB2_11143 Depth 5
                                        ;         Child Loop BB2_11149 Depth 4
                                        ;           Child Loop BB2_11150 Depth 5
                                        ;         Child Loop BB2_11157 Depth 4
                                        ;         Child Loop BB2_11162 Depth 4
                                        ;           Child Loop BB2_11163 Depth 5
                                        ;         Child Loop BB2_11175 Depth 4
                                        ;         Child Loop BB2_11180 Depth 4
	;; [unrolled: 1-line block ×6, first 2 shown]
	s_and_saveexec_b32 s13, s0
	s_cbranch_execz .LBB2_11066
; %bb.11065:                            ;   in Loop: Header=BB2_11064 Depth=3
	s_trap 2
	ds_load_b128 v[8:11], v0
	s_wait_dscnt 0x0
	v_add_nc_u64_e32 v[18:19], v[10:11], v[112:113]
	v_cmp_ne_u64_e32 vcc_lo, 0, v[10:11]
	v_ashrrev_i32_e32 v103, 31, v102
	v_add_nc_u64_e32 v[8:9], v[8:9], v[112:113]
	s_delay_alu instid0(VALU_DEP_2) | instskip(NEXT) | instid1(VALU_DEP_1)
	v_add_nc_u64_e32 v[18:19], v[18:19], v[102:103]
	v_cndmask_b32_e32 v11, 0, v19, vcc_lo
	s_delay_alu instid0(VALU_DEP_3) | instskip(NEXT) | instid1(VALU_DEP_3)
	v_add_nc_u64_e32 v[8:9], v[8:9], v[102:103]
	v_cndmask_b32_e32 v10, 0, v18, vcc_lo
	ds_store_b64 v0, v[8:9]
	ds_store_b64 v0, v[10:11]
.LBB2_11066:                            ;   in Loop: Header=BB2_11064 Depth=3
	s_or_b32 exec_lo, exec_lo, s13
	v_sub_nc_u32_e32 v2, v16, v102
	v_and_b32_e32 v8, 12, v106
	s_mov_b32 s14, exec_lo
	s_delay_alu instid0(VALU_DEP_2) | instskip(NEXT) | instid1(VALU_DEP_2)
	v_min_i32_e32 v100, v100, v2
	v_cmpx_ne_u32_e32 0, v8
	s_cbranch_execz .LBB2_11092
; %bb.11067:                            ;   in Loop: Header=BB2_11064 Depth=3
	v_and_b32_e32 v2, 8, v106
	v_add_nc_u64_e32 v[8:9], 2, v[86:87]
	s_mov_b32 s15, exec_lo
	s_wait_loadcnt_dscnt 0x1
	s_delay_alu instid0(VALU_DEP_2) | instskip(NEXT) | instid1(VALU_DEP_1)
	v_add_nc_u64_e32 v[10:11], v[28:29], v[2:3]
	v_cmpx_lt_u64_e64 v[10:11], v[8:9]
	s_cbranch_execz .LBB2_11079
; %bb.11068:                            ;   in Loop: Header=BB2_11064 Depth=3
	v_and_b32_e32 v10, 64, v106
	s_mov_b32 s42, 0
	s_mov_b32 s76, 0
                                        ; implicit-def: $sgpr43
                                        ; implicit-def: $sgpr74
                                        ; implicit-def: $sgpr75
	s_delay_alu instid0(VALU_DEP_1)
	v_cmp_eq_u32_e32 vcc_lo, 0, v10
	s_branch .LBB2_11072
.LBB2_11069:                            ;   in Loop: Header=BB2_11072 Depth=4
	s_wait_loadcnt_dscnt 0x0
	v_add_nc_u64_e32 v[18:19], v[28:29], v[2:3]
	s_or_b32 s79, s79, exec_lo
	s_delay_alu instid0(VALU_DEP_1)
	v_cmp_ge_u64_e64 s13, v[18:19], v[8:9]
	s_or_not1_b32 s78, s13, exec_lo
.LBB2_11070:                            ;   in Loop: Header=BB2_11072 Depth=4
	s_or_b32 exec_lo, exec_lo, s89
	s_delay_alu instid0(SALU_CYCLE_1)
	s_and_not1_b32 s13, s75, exec_lo
	s_and_b32 s75, s79, exec_lo
	s_and_not1_b32 s74, s74, exec_lo
	s_and_b32 s78, s78, exec_lo
	s_or_b32 s75, s13, s75
	s_or_b32 s74, s74, s78
.LBB2_11071:                            ;   in Loop: Header=BB2_11072 Depth=4
	s_or_b32 exec_lo, exec_lo, s77
	s_delay_alu instid0(SALU_CYCLE_1) | instskip(NEXT) | instid1(SALU_CYCLE_1)
	s_and_b32 s13, exec_lo, s74
	s_or_b32 s42, s13, s42
	s_and_not1_b32 s13, s43, exec_lo
	s_and_b32 s43, s75, exec_lo
	s_delay_alu instid0(SALU_CYCLE_1)
	s_or_b32 s43, s13, s43
	s_and_not1_b32 exec_lo, exec_lo, s42
	s_cbranch_execz .LBB2_11076
.LBB2_11072:                            ;   Parent Loop BB2_47 Depth=1
                                        ;     Parent Loop BB2_11061 Depth=2
                                        ;       Parent Loop BB2_11064 Depth=3
                                        ; =>      This Inner Loop Header: Depth=4
	s_sleep 1
	s_wait_loadcnt_dscnt 0x0
	flat_load_b64 v[28:29], v[20:21] scope:SCOPE_SYS
	s_or_b32 s75, s75, exec_lo
	s_or_b32 s74, s74, exec_lo
                                        ; implicit-def: $vgpr10
	s_wait_xcnt 0x0
	s_and_saveexec_b32 s77, vcc_lo
	s_cbranch_execz .LBB2_11071
; %bb.11073:                            ;   in Loop: Header=BB2_11072 Depth=4
	s_cmp_lt_i32 s76, 0x270f
	s_mov_b32 s78, -1
	s_cselect_b32 s88, -1, 0
	s_cmp_gt_i32 s76, 0x270e
	s_cbranch_scc0 .LBB2_11075
; %bb.11074:                            ;   in Loop: Header=BB2_11072 Depth=4
	s_trap 2
	ds_load_b64 v[10:11], v0
	s_and_not1_b32 s76, s88, exec_lo
	s_mov_b32 s79, 0
	s_wait_storecnt 0x0
	s_wait_loadcnt_dscnt 0x0
	flat_load_b32 v10, v[10:11] scope:SCOPE_SYS
	s_wait_loadcnt_dscnt 0x0
	global_inv scope:SCOPE_SYS
	v_cmp_eq_u32_e64 s13, 0, v10
	s_and_b32 s13, s13, exec_lo
	s_delay_alu instid0(SALU_CYCLE_1)
	s_or_b32 s88, s76, s13
	s_mov_b32 s76, 0
	s_and_saveexec_b32 s89, s88
	s_cbranch_execz .LBB2_11070
	s_branch .LBB2_11069
.LBB2_11075:                            ;   in Loop: Header=BB2_11072 Depth=4
	s_add_co_i32 s76, s76, 1
	s_mov_b32 s79, -1
                                        ; implicit-def: $vgpr10
	s_and_saveexec_b32 s89, s88
	s_cbranch_execz .LBB2_11070
	s_branch .LBB2_11069
.LBB2_11076:                            ;   in Loop: Header=BB2_11064 Depth=3
	s_or_b32 exec_lo, exec_lo, s42
	s_xor_b32 s13, s43, -1
	s_delay_alu instid0(SALU_CYCLE_1) | instskip(NEXT) | instid1(SALU_CYCLE_1)
	s_and_saveexec_b32 s42, s13
	s_xor_b32 s13, exec_lo, s42
	s_cbranch_execz .LBB2_11078
; %bb.11077:                            ;   in Loop: Header=BB2_11064 Depth=3
	v_or_b32_e32 v106, 64, v106
	s_wait_storecnt 0x0
	s_wait_loadcnt_dscnt 0x0
	ds_store_b32 v0, v10
	s_trap 2
.LBB2_11078:                            ;   in Loop: Header=BB2_11064 Depth=3
	s_or_b32 exec_lo, exec_lo, s13
.LBB2_11079:                            ;   in Loop: Header=BB2_11064 Depth=3
	s_delay_alu instid0(SALU_CYCLE_1) | instskip(SKIP_2) | instid1(VALU_DEP_1)
	s_or_b32 exec_lo, exec_lo, s15
	v_and_b32_e32 v10, 0x108, v106
	;;#ASMSTART
	s_wakeup
	;;#ASMEND
	v_cmp_ne_u32_e32 vcc_lo, 0x108, v10
                                        ; implicit-def: $vgpr10_vgpr11
	s_and_saveexec_b32 s13, vcc_lo
	s_delay_alu instid0(SALU_CYCLE_1)
	s_xor_b32 s13, exec_lo, s13
; %bb.11080:                            ;   in Loop: Header=BB2_11064 Depth=3
	v_dual_mov_b32 v11, v3 :: v_dual_bitop2_b32 v10, 7, v86 bitop3:0x40
                                        ; implicit-def: $vgpr86_vgpr87
; %bb.11081:                            ;   in Loop: Header=BB2_11064 Depth=3
	s_and_not1_saveexec_b32 s13, s13
	s_cbranch_execz .LBB2_11083
; %bb.11082:                            ;   in Loop: Header=BB2_11064 Depth=3
	v_dual_ashrrev_i32 v101, 31, v100 :: v_dual_bitop2_b32 v10, 7, v86 bitop3:0x40
	v_mov_b32_e32 v11, v3
	s_delay_alu instid0(VALU_DEP_2)
	v_mad_nc_u64_u32 v[18:19], v10, 24, v[6:7]
	flat_store_b64 v[18:19], v[100:101] offset:8
.LBB2_11083:                            ;   in Loop: Header=BB2_11064 Depth=3
	s_wait_xcnt 0x0
	s_or_b32 exec_lo, exec_lo, s13
	v_and_b32_e32 v17, 0x100, v106
	s_mov_b32 s13, -1
	s_mov_b32 s15, exec_lo
                                        ; implicit-def: $vgpr86_vgpr87
	s_delay_alu instid0(VALU_DEP_1)
	v_cmpx_ne_u32_e32 0, v17
	s_cbranch_execz .LBB2_11087
; %bb.11084:                            ;   in Loop: Header=BB2_11064 Depth=3
	v_mad_nc_u64_u32 v[114:115], v10, 24, v[6:7]
	s_mov_b32 s42, exec_lo
                                        ; implicit-def: $vgpr86_vgpr87
	s_delay_alu instid0(VALU_DEP_1)
	v_mad_u32 v115, v11, 24, v115
	flat_load_b32 v17, v[114:115]
	s_wait_loadcnt_dscnt 0x0
	v_cmp_ne_u32_e32 vcc_lo, 1, v17
	s_wait_xcnt 0x0
	v_cmpx_eq_u32_e32 1, v17
	s_cbranch_execz .LBB2_11086
; %bb.11085:                            ;   in Loop: Header=BB2_11064 Depth=3
	flat_load_b32 v86, v[114:115] offset:4 scope:SCOPE_SYS
	s_wait_loadcnt_dscnt 0x0
	v_ashrrev_i32_e32 v87, 31, v86
.LBB2_11086:                            ;   in Loop: Header=BB2_11064 Depth=3
	s_wait_xcnt 0x0
	s_or_b32 exec_lo, exec_lo, s42
	s_delay_alu instid0(SALU_CYCLE_1)
	s_or_not1_b32 s13, vcc_lo, exec_lo
.LBB2_11087:                            ;   in Loop: Header=BB2_11064 Depth=3
	s_or_b32 exec_lo, exec_lo, s15
	s_and_saveexec_b32 s15, s13
; %bb.11088:                            ;   in Loop: Header=BB2_11064 Depth=3
	v_mul_u64_e32 v[86:87], v[10:11], v[22:23]
; %bb.11089:                            ;   in Loop: Header=BB2_11064 Depth=3
	s_or_b32 exec_lo, exec_lo, s15
	v_cmp_eq_u32_e32 vcc_lo, 0, v2
	s_delay_alu instid0(VALU_DEP_2) | instskip(SKIP_3) | instid1(VALU_DEP_1)
	v_add_nc_u64_e32 v[10:11], v[24:25], v[86:87]
	v_and_b32_e32 v17, 0x2000, v106
	s_mov_b32 s13, exec_lo
	v_cndmask_b32_e32 v2, 0xd0, v122, vcc_lo
	v_add_nc_u32_e32 v2, v0, v2
	ds_store_b64 v2, v[10:11] offset:584
	v_cmpx_ne_u32_e32 0, v17
	s_cbranch_execz .LBB2_11091
; %bb.11090:                            ;   in Loop: Header=BB2_11064 Depth=3
	ds_load_b64 v[10:11], v0 offset:872
	s_wait_dscnt 0x0
	v_add_nc_u64_e32 v[10:11], 1, v[10:11]
	ds_store_b64 v0, v[10:11] offset:872
.LBB2_11091:                            ;   in Loop: Header=BB2_11064 Depth=3
	s_or_b32 exec_lo, exec_lo, s13
	v_mov_b64_e32 v[86:87], v[8:9]
.LBB2_11092:                            ;   in Loop: Header=BB2_11064 Depth=3
	s_or_b32 exec_lo, exec_lo, s14
	s_and_saveexec_b32 s13, s2
	s_cbranch_execz .LBB2_11111
; %bb.11093:                            ;   in Loop: Header=BB2_11064 Depth=3
	s_and_saveexec_b32 s14, s3
	s_delay_alu instid0(SALU_CYCLE_1)
	s_xor_b32 s14, exec_lo, s14
	s_cbranch_execz .LBB2_11108
; %bb.11094:                            ;   in Loop: Header=BB2_11064 Depth=3
	s_and_saveexec_b32 s15, s6
	s_cbranch_execz .LBB2_11107
; %bb.11095:                            ;   in Loop: Header=BB2_11064 Depth=3
	s_mov_b32 s43, exec_lo
	s_mov_b32 s42, exec_lo
	v_mbcnt_lo_u32_b32 v2, s43, 0
	global_wb scope:SCOPE_DEV
	s_wait_storecnt 0x0
	s_wait_loadcnt_dscnt 0x0
	global_inv scope:SCOPE_DEV
	v_cmpx_eq_u32_e32 0, v2
	s_cbranch_execz .LBB2_11097
; %bb.11096:                            ;   in Loop: Header=BB2_11064 Depth=3
	s_bcnt1_i32_b32 s43, s43
	s_delay_alu instid0(SALU_CYCLE_1)
	v_dual_mov_b32 v9, v3 :: v_dual_mov_b32 v8, s43
	s_wait_loadcnt 0x0
	ds_add_u64 v0, v[8:9]
	s_trap 2
.LBB2_11097:                            ;   in Loop: Header=BB2_11064 Depth=3
	s_or_b32 exec_lo, exec_lo, s42
	s_trap 2
	ds_load_b64 v[8:9], v0
	s_wait_dscnt 0x0
	v_add_nc_u64_e32 v[12:13], v[12:13], v[32:33]
	s_mov_b32 s42, exec_lo
	s_delay_alu instid0(VALU_DEP_1)
	v_cmpx_lt_u64_e64 v[8:9], v[12:13]
	s_cbranch_execz .LBB2_11106
; %bb.11098:                            ;   in Loop: Header=BB2_11064 Depth=3
	s_mov_b32 s43, 0
	s_mov_b32 s76, 0
                                        ; implicit-def: $sgpr74
                                        ; implicit-def: $sgpr75
	s_branch .LBB2_11100
.LBB2_11099:                            ;   in Loop: Header=BB2_11100 Depth=4
	s_or_b32 exec_lo, exec_lo, s78
	s_delay_alu instid0(SALU_CYCLE_1) | instskip(NEXT) | instid1(SALU_CYCLE_1)
	s_and_b32 s77, exec_lo, s79
	s_or_b32 s43, s77, s43
	s_and_not1_b32 s74, s74, exec_lo
	s_and_b32 s77, s75, exec_lo
	s_delay_alu instid0(SALU_CYCLE_1)
	s_or_b32 s74, s74, s77
	s_and_not1_b32 exec_lo, exec_lo, s43
	s_cbranch_execz .LBB2_11104
.LBB2_11100:                            ;   Parent Loop BB2_47 Depth=1
                                        ;     Parent Loop BB2_11061 Depth=2
                                        ;       Parent Loop BB2_11064 Depth=3
                                        ; =>      This Inner Loop Header: Depth=4
	s_add_co_i32 s76, s76, 1
	s_delay_alu instid0(SALU_CYCLE_1) | instskip(SKIP_1) | instid1(SALU_CYCLE_1)
	s_cmp_lg_u32 s76, 0x2710
	s_cselect_b32 s77, -1, 0
	s_and_b32 vcc_lo, exec_lo, s77
	s_cbranch_vccz .LBB2_11102
; %bb.11101:                            ;   in Loop: Header=BB2_11100 Depth=4
	s_mov_b32 s79, -1
	s_or_b32 s75, s75, exec_lo
	s_and_saveexec_b32 s78, s77
	s_cbranch_execz .LBB2_11099
	s_branch .LBB2_11103
.LBB2_11102:                            ;   in Loop: Header=BB2_11100 Depth=4
	s_trap 2
	ds_load_b64 v[8:9], v0
	s_and_not1_b32 s77, s77, exec_lo
	s_mov_b32 s76, 0
	s_wait_loadcnt_dscnt 0x0
	flat_load_b32 v2, v[8:9] scope:SCOPE_SYS
	s_wait_loadcnt_dscnt 0x0
	global_inv scope:SCOPE_SYS
	v_cmp_eq_u32_e32 vcc_lo, 0, v2
	s_and_b32 s78, vcc_lo, exec_lo
	s_delay_alu instid0(SALU_CYCLE_1)
	s_or_b32 s77, s77, s78
	s_mov_b32 s79, -1
	s_or_b32 s75, s75, exec_lo
	s_and_saveexec_b32 s78, s77
	s_cbranch_execz .LBB2_11099
.LBB2_11103:                            ;   in Loop: Header=BB2_11100 Depth=4
	s_sleep 1
	s_trap 2
	ds_load_b64 v[8:9], v0
	s_wait_dscnt 0x0
	s_and_not1_b32 s75, s75, exec_lo
	v_cmp_ge_u64_e32 vcc_lo, v[8:9], v[12:13]
	s_or_not1_b32 s79, vcc_lo, exec_lo
	s_branch .LBB2_11099
.LBB2_11104:                            ;   in Loop: Header=BB2_11064 Depth=3
	s_or_b32 exec_lo, exec_lo, s43
	s_and_saveexec_b32 s43, s74
	s_delay_alu instid0(SALU_CYCLE_1)
	s_xor_b32 s43, exec_lo, s43
	s_cbranch_execz .LBB2_11106
; %bb.11105:                            ;   in Loop: Header=BB2_11064 Depth=3
	ds_store_b32 v0, v110
	s_trap 2
.LBB2_11106:                            ;   in Loop: Header=BB2_11064 Depth=3
	s_or_b32 exec_lo, exec_lo, s42
	;;#ASMSTART
	s_wakeup
	;;#ASMEND
.LBB2_11107:                            ;   in Loop: Header=BB2_11064 Depth=3
	s_or_b32 exec_lo, exec_lo, s15
.LBB2_11108:                            ;   in Loop: Header=BB2_11064 Depth=3
	s_and_not1_saveexec_b32 s14, s14
	s_cbranch_execz .LBB2_11110
; %bb.11109:                            ;   in Loop: Header=BB2_11064 Depth=3
	global_wb scope:SCOPE_DEV
	s_wait_storecnt 0x0
	s_wait_loadcnt_dscnt 0x0
	global_inv scope:SCOPE_DEV
	s_barrier_signal -1
	s_barrier_wait -1
.LBB2_11110:                            ;   in Loop: Header=BB2_11064 Depth=3
	s_or_b32 exec_lo, exec_lo, s14
.LBB2_11111:                            ;   in Loop: Header=BB2_11064 Depth=3
	s_delay_alu instid0(SALU_CYCLE_1) | instskip(SKIP_4) | instid1(VALU_DEP_1)
	s_or_b32 exec_lo, exec_lo, s13
	s_trap 2
	ds_load_b32 v2, v0
	v_and_b32_e32 v8, 0x4000, v106
	s_xor_b32 s13, s1, -1
	v_cmp_ne_u32_e32 vcc_lo, 0, v8
	s_and_b32 s14, s13, vcc_lo
	s_delay_alu instid0(SALU_CYCLE_1)
	s_and_saveexec_b32 s13, s14
	s_cbranch_execz .LBB2_11130
; %bb.11112:                            ;   in Loop: Header=BB2_11064 Depth=3
	s_and_saveexec_b32 s14, s3
	s_delay_alu instid0(SALU_CYCLE_1)
	s_xor_b32 s14, exec_lo, s14
	s_cbranch_execz .LBB2_11127
; %bb.11113:                            ;   in Loop: Header=BB2_11064 Depth=3
	s_and_saveexec_b32 s15, s6
	s_cbranch_execz .LBB2_11126
; %bb.11114:                            ;   in Loop: Header=BB2_11064 Depth=3
	s_mov_b32 s43, exec_lo
	s_mov_b32 s42, exec_lo
	v_mbcnt_lo_u32_b32 v8, s43, 0
	global_wb scope:SCOPE_DEV
	s_wait_storecnt 0x0
	s_wait_loadcnt_dscnt 0x0
	global_inv scope:SCOPE_DEV
	v_cmpx_eq_u32_e32 0, v8
	s_cbranch_execz .LBB2_11116
; %bb.11115:                            ;   in Loop: Header=BB2_11064 Depth=3
	s_bcnt1_i32_b32 s43, s43
	s_delay_alu instid0(SALU_CYCLE_1)
	v_dual_mov_b32 v9, v3 :: v_dual_mov_b32 v8, s43
	s_wait_loadcnt 0x0
	ds_add_u64 v0, v[8:9]
	s_trap 2
.LBB2_11116:                            ;   in Loop: Header=BB2_11064 Depth=3
	s_or_b32 exec_lo, exec_lo, s42
	s_trap 2
	ds_load_b64 v[8:9], v0
	s_wait_dscnt 0x0
	v_add_nc_u64_e32 v[12:13], v[12:13], v[32:33]
	s_mov_b32 s42, exec_lo
	s_delay_alu instid0(VALU_DEP_1)
	v_cmpx_lt_u64_e64 v[8:9], v[12:13]
	s_cbranch_execz .LBB2_11125
; %bb.11117:                            ;   in Loop: Header=BB2_11064 Depth=3
	s_mov_b32 s43, 0
	s_mov_b32 s76, 0
                                        ; implicit-def: $sgpr74
                                        ; implicit-def: $sgpr75
	s_branch .LBB2_11119
.LBB2_11118:                            ;   in Loop: Header=BB2_11119 Depth=4
	s_or_b32 exec_lo, exec_lo, s78
	s_delay_alu instid0(SALU_CYCLE_1) | instskip(NEXT) | instid1(SALU_CYCLE_1)
	s_and_b32 s77, exec_lo, s79
	s_or_b32 s43, s77, s43
	s_and_not1_b32 s74, s74, exec_lo
	s_and_b32 s77, s75, exec_lo
	s_delay_alu instid0(SALU_CYCLE_1)
	s_or_b32 s74, s74, s77
	s_and_not1_b32 exec_lo, exec_lo, s43
	s_cbranch_execz .LBB2_11123
.LBB2_11119:                            ;   Parent Loop BB2_47 Depth=1
                                        ;     Parent Loop BB2_11061 Depth=2
                                        ;       Parent Loop BB2_11064 Depth=3
                                        ; =>      This Inner Loop Header: Depth=4
	s_add_co_i32 s76, s76, 1
	s_delay_alu instid0(SALU_CYCLE_1) | instskip(SKIP_1) | instid1(SALU_CYCLE_1)
	s_cmp_lg_u32 s76, 0x2710
	s_cselect_b32 s77, -1, 0
	s_and_b32 vcc_lo, exec_lo, s77
	s_cbranch_vccz .LBB2_11121
; %bb.11120:                            ;   in Loop: Header=BB2_11119 Depth=4
	s_mov_b32 s79, -1
	s_or_b32 s75, s75, exec_lo
	s_and_saveexec_b32 s78, s77
	s_cbranch_execz .LBB2_11118
	s_branch .LBB2_11122
.LBB2_11121:                            ;   in Loop: Header=BB2_11119 Depth=4
	s_trap 2
	ds_load_b64 v[8:9], v0
	s_and_not1_b32 s77, s77, exec_lo
	s_mov_b32 s76, 0
	s_wait_loadcnt_dscnt 0x0
	flat_load_b32 v8, v[8:9] scope:SCOPE_SYS
	s_wait_loadcnt_dscnt 0x0
	global_inv scope:SCOPE_SYS
	v_cmp_eq_u32_e32 vcc_lo, 0, v8
	s_and_b32 s78, vcc_lo, exec_lo
	s_delay_alu instid0(SALU_CYCLE_1)
	s_or_b32 s77, s77, s78
	s_mov_b32 s79, -1
	s_or_b32 s75, s75, exec_lo
	s_and_saveexec_b32 s78, s77
	s_cbranch_execz .LBB2_11118
.LBB2_11122:                            ;   in Loop: Header=BB2_11119 Depth=4
	s_sleep 1
	s_trap 2
	ds_load_b64 v[8:9], v0
	s_wait_dscnt 0x0
	s_and_not1_b32 s75, s75, exec_lo
	v_cmp_ge_u64_e32 vcc_lo, v[8:9], v[12:13]
	s_or_not1_b32 s79, vcc_lo, exec_lo
	s_branch .LBB2_11118
.LBB2_11123:                            ;   in Loop: Header=BB2_11064 Depth=3
	s_or_b32 exec_lo, exec_lo, s43
	s_and_saveexec_b32 s43, s74
	s_delay_alu instid0(SALU_CYCLE_1)
	s_xor_b32 s43, exec_lo, s43
	s_cbranch_execz .LBB2_11125
; %bb.11124:                            ;   in Loop: Header=BB2_11064 Depth=3
	ds_store_b32 v0, v110
	s_trap 2
.LBB2_11125:                            ;   in Loop: Header=BB2_11064 Depth=3
	s_or_b32 exec_lo, exec_lo, s42
	;;#ASMSTART
	s_wakeup
	;;#ASMEND
.LBB2_11126:                            ;   in Loop: Header=BB2_11064 Depth=3
	s_or_b32 exec_lo, exec_lo, s15
.LBB2_11127:                            ;   in Loop: Header=BB2_11064 Depth=3
	s_and_not1_saveexec_b32 s14, s14
	s_cbranch_execz .LBB2_11129
; %bb.11128:                            ;   in Loop: Header=BB2_11064 Depth=3
	global_wb scope:SCOPE_DEV
	s_wait_storecnt 0x0
	s_wait_loadcnt_dscnt 0x0
	global_inv scope:SCOPE_DEV
	s_barrier_signal -1
	s_barrier_wait -1
.LBB2_11129:                            ;   in Loop: Header=BB2_11064 Depth=3
	s_or_b32 exec_lo, exec_lo, s14
.LBB2_11130:                            ;   in Loop: Header=BB2_11064 Depth=3
	s_delay_alu instid0(SALU_CYCLE_1)
	s_or_b32 exec_lo, exec_lo, s13
	s_trap 2
	ds_load_b64 v[114:115], v0
	s_wait_dscnt 0x0
	v_cmp_eq_u64_e32 vcc_lo, 0, v[114:115]
	s_cbranch_vccnz .LBB2_11139
; %bb.11131:                            ;   in Loop: Header=BB2_11064 Depth=3
	s_trap 2
	ds_load_b64 v[116:117], v0
	s_wait_dscnt 0x0
	v_cmp_eq_u64_e32 vcc_lo, 0, v[116:117]
	s_cbranch_vccnz .LBB2_11139
; %bb.11132:                            ;   in Loop: Header=BB2_11064 Depth=3
	s_trap 2
	ds_load_b64 v[118:119], v0
	v_cmp_eq_u32_e64 s13, 0, v2
	s_delay_alu instid0(VALU_DEP_1)
	v_cndmask_b32_e64 v2, 0, v100, s13
	s_mov_b32 s13, -1
	s_wait_dscnt 0x0
	v_cmp_ne_u64_e32 vcc_lo, 0, v[118:119]
	s_cbranch_vccz .LBB2_11166
; %bb.11133:                            ;   in Loop: Header=BB2_11064 Depth=3
	s_and_saveexec_b32 s14, s10
	s_cbranch_execz .LBB2_11135
; %bb.11134:                            ;   in Loop: Header=BB2_11064 Depth=3
	ds_load_b32 v8, v0 offset:720
	s_wait_dscnt 0x0
	v_and_b32_e32 v8, 15, v8
	s_delay_alu instid0(VALU_DEP_1)
	v_cmp_eq_u32_e32 vcc_lo, 0, v8
	s_or_not1_b32 s13, vcc_lo, exec_lo
.LBB2_11135:                            ;   in Loop: Header=BB2_11064 Depth=3
	s_or_b32 exec_lo, exec_lo, s14
	s_and_saveexec_b32 s14, s11
	s_cbranch_execz .LBB2_11137
; %bb.11136:                            ;   in Loop: Header=BB2_11064 Depth=3
	ds_load_b32 v8, v0 offset:784
	s_wait_dscnt 0x0
	v_and_b32_e32 v8, 15, v8
	s_delay_alu instid0(VALU_DEP_1) | instskip(SKIP_3) | instid1(SALU_CYCLE_1)
	v_cmp_eq_u32_e32 vcc_lo, 0, v8
	s_and_b32 s15, s13, vcc_lo
	s_and_not1_b32 s13, s13, exec_lo
	s_and_b32 s15, s15, exec_lo
	s_or_b32 s13, s13, s15
.LBB2_11137:                            ;   in Loop: Header=BB2_11064 Depth=3
	s_or_b32 exec_lo, exec_lo, s14
	s_xor_b32 s13, s13, -1
	v_dual_mov_b32 v17, 0 :: v_dual_mov_b32 v101, v2
	v_cndmask_b32_e64 v8, 0, 1, s13
	v_mov_b32_e32 v40, v0
	s_mov_b32 s14, -1
	s_delay_alu instid0(VALU_DEP_2)
	v_cmp_ne_u32_e32 vcc_lo, 0, v8
	s_cbranch_vccz .LBB2_11140
; %bb.11138:                            ;   in Loop: Header=BB2_11064 Depth=3
	s_and_saveexec_b32 s15, s14
	s_cbranch_execnz .LBB2_11155
	s_branch .LBB2_11165
.LBB2_11139:                            ;   in Loop: Header=BB2_11064 Depth=3
	s_mov_b32 s13, 0
	s_and_saveexec_b32 s14, s2
	s_cbranch_execnz .LBB2_11194
	s_branch .LBB2_11212
.LBB2_11140:                            ;   in Loop: Header=BB2_11064 Depth=3
	v_ashrrev_i32_e32 v8, 31, v2
	s_mov_b32 s74, exec_lo
	s_delay_alu instid0(VALU_DEP_1) | instskip(NEXT) | instid1(VALU_DEP_1)
	v_dual_sub_nc_u32 v17, v2, v38 :: v_dual_lshrrev_b32 v8, 23, v8
	v_add_nc_u32_e32 v8, v2, v8
	s_delay_alu instid0(VALU_DEP_1) | instskip(NEXT) | instid1(VALU_DEP_1)
	v_and_b32_e32 v30, 0xfffffe00, v8
	v_dual_ashrrev_i32 v8, 9, v8 :: v_dual_sub_nc_u32 v46, v2, v30
	s_delay_alu instid0(VALU_DEP_1) | instskip(NEXT) | instid1(VALU_DEP_2)
	v_sub_nc_u32_e32 v8, v8, v109
	v_cmp_lt_i32_e64 s13, 15, v46
	s_delay_alu instid0(VALU_DEP_1)
	v_add_co_ci_u32_e64 v47, null, 0, v8, s13
	v_cmpx_lt_i32_e32 15, v17
	s_cbranch_execz .LBB2_11146
; %bb.11141:                            ;   in Loop: Header=BB2_11064 Depth=3
	v_add_nc_u64_e32 v[40:41], v[114:115], v[38:39]
	v_add_nc_u64_e32 v[42:43], v[116:117], v[38:39]
	;; [unrolled: 1-line block ×3, first 2 shown]
	s_mov_b32 s75, 0
.LBB2_11142:                            ;   Parent Loop BB2_47 Depth=1
                                        ;     Parent Loop BB2_11061 Depth=2
                                        ;       Parent Loop BB2_11064 Depth=3
                                        ; =>      This Loop Header: Depth=4
                                        ;           Child Loop BB2_11143 Depth 5
	global_load_b128 v[8:11], v[40:41], off th:TH_LOAD_NT
	s_mov_b64 s[42:43], 0
	s_mov_b32 s76, -1
.LBB2_11143:                            ;   Parent Loop BB2_47 Depth=1
                                        ;     Parent Loop BB2_11061 Depth=2
                                        ;       Parent Loop BB2_11064 Depth=3
                                        ;         Parent Loop BB2_11142 Depth=4
                                        ; =>        This Inner Loop Header: Depth=5
	s_cmp_eq_u32 s42, 1
	s_cselect_b32 vcc_lo, -1, 0
	s_cmp_eq_u32 s42, 0
	s_wait_xcnt 0x0
	v_dual_cndmask_b32 v19, v43, v45 :: v_dual_cndmask_b32 v18, v42, v44
	s_cselect_b32 s14, -1, 0
	s_and_b32 s15, exec_lo, s76
	s_mov_b64 s[42:43], 1
	s_mov_b32 s76, 0
	v_add_nc_u64_e32 v[56:57], 0x200, v[18:19]
	s_wait_loadcnt 0x0
	global_store_b128 v[18:19], v[8:11], off th:TH_STORE_NT
	v_dual_cndmask_b32 v45, v45, v57 :: v_dual_cndmask_b32 v44, v44, v56
	v_dual_cndmask_b32 v43, v43, v57, s14 :: v_dual_cndmask_b32 v42, v42, v56, s14
	s_mov_b32 vcc_lo, s15
	s_cbranch_vccnz .LBB2_11143
; %bb.11144:                            ;   in Loop: Header=BB2_11142 Depth=4
	v_sub_nc_u32_e32 v17, v17, v52
	s_delay_alu instid0(VALU_DEP_2)
	v_add_nc_u64_e32 v[42:43], v[42:43], v[70:71]
	v_add_nc_u64_e32 v[44:45], v[44:45], v[70:71]
	s_wait_xcnt 0x1
	v_add_nc_u64_e32 v[40:41], v[82:83], v[40:41]
	v_sub_nc_u32_e32 v47, v47, v32
	v_cmp_gt_i32_e32 vcc_lo, 16, v17
	s_or_b32 s75, vcc_lo, s75
	s_wait_xcnt 0x0
	s_and_not1_b32 exec_lo, exec_lo, s75
	s_cbranch_execnz .LBB2_11142
; %bb.11145:                            ;   in Loop: Header=BB2_11064 Depth=3
	s_or_b32 exec_lo, exec_lo, s75
.LBB2_11146:                            ;   in Loop: Header=BB2_11064 Depth=3
	s_delay_alu instid0(SALU_CYCLE_1) | instskip(SKIP_3) | instid1(VALU_DEP_1)
	s_or_b32 exec_lo, exec_lo, s74
	v_dual_mov_b32 v17, 0 :: v_dual_bitop2_b32 v8, 15, v2 bitop3:0x40
	s_mov_b32 s14, 0
	s_mov_b32 s74, exec_lo
                                        ; implicit-def: $vgpr101
                                        ; implicit-def: $vgpr40
	v_cndmask_b32_e64 v103, v46, v8, s13
	s_delay_alu instid0(VALU_DEP_1)
	v_cmpx_ne_u32_e32 0, v103
	s_cbranch_execz .LBB2_11154
; %bb.11147:                            ;   in Loop: Header=BB2_11064 Depth=3
	v_cmp_lt_i32_e32 vcc_lo, 0, v47
	s_mov_b32 s75, exec_lo
	v_dual_ashrrev_i32 v11, 31, v103 :: v_dual_sub_nc_u32 v18, v46, v8
	s_delay_alu instid0(VALU_DEP_1) | instskip(NEXT) | instid1(VALU_DEP_1)
	v_dual_cndmask_b32 v9, 0, v32, vcc_lo :: v_dual_lshrrev_b32 v11, 23, v11
	v_sub_nc_u32_e32 v9, v9, v47
	s_delay_alu instid0(VALU_DEP_1) | instskip(NEXT) | instid1(VALU_DEP_1)
	v_lshl_or_b32 v9, v9, 5, v108
	v_ashrrev_i32_e32 v10, 31, v9
	s_delay_alu instid0(VALU_DEP_1) | instskip(NEXT) | instid1(VALU_DEP_1)
	v_lshrrev_b32_e32 v10, 27, v10
	v_add_nc_u32_e32 v10, v9, v10
	s_delay_alu instid0(VALU_DEP_1) | instskip(NEXT) | instid1(VALU_DEP_1)
	v_and_b32_e32 v17, 0xffffffe0, v10
	v_dual_add_nc_u32 v11, v103, v11 :: v_dual_sub_nc_u32 v47, v9, v17
	s_delay_alu instid0(VALU_DEP_1) | instskip(SKIP_1) | instid1(VALU_DEP_2)
	v_and_b32_e32 v17, 0xfffffe00, v11
	v_dual_ashrrev_i32 v9, 5, v10 :: v_dual_ashrrev_i32 v11, 9, v11
	v_dual_lshlrev_b32 v10, 4, v47 :: v_dual_sub_nc_u32 v101, v103, v17
	s_delay_alu instid0(VALU_DEP_1) | instskip(SKIP_1) | instid1(VALU_DEP_3)
	v_lshl_add_u32 v8, v9, 9, v10
	v_cndmask_b32_e64 v10, 0, v18, s13
	v_cmp_lt_i32_e64 s13, 15, v101
	s_delay_alu instid0(VALU_DEP_3) | instskip(NEXT) | instid1(VALU_DEP_2)
	v_sub_nc_u32_e32 v56, v103, v8
	v_add_co_ci_u32_e64 v11, null, 0, v11, s13
	s_delay_alu instid0(VALU_DEP_1) | instskip(NEXT) | instid1(VALU_DEP_3)
	v_dual_add_nc_u32 v30, v10, v30 :: v_dual_sub_nc_u32 v46, v11, v9
	v_cmpx_lt_i32_e32 15, v56
	s_cbranch_execz .LBB2_11153
; %bb.11148:                            ;   in Loop: Header=BB2_11064 Depth=3
	s_delay_alu instid0(VALU_DEP_2) | instskip(SKIP_1) | instid1(VALU_DEP_1)
	v_add_nc_u32_e32 v8, v8, v30
	s_mov_b32 s76, 0
	v_ashrrev_i32_e32 v9, 31, v8
	s_delay_alu instid0(VALU_DEP_1)
	v_add_nc_u64_e32 v[40:41], v[8:9], v[114:115]
	v_add_nc_u64_e32 v[42:43], v[8:9], v[116:117]
	;; [unrolled: 1-line block ×3, first 2 shown]
.LBB2_11149:                            ;   Parent Loop BB2_47 Depth=1
                                        ;     Parent Loop BB2_11061 Depth=2
                                        ;       Parent Loop BB2_11064 Depth=3
                                        ; =>      This Loop Header: Depth=4
                                        ;           Child Loop BB2_11150 Depth 5
	global_load_b128 v[8:11], v[40:41], off th:TH_LOAD_NT
	s_mov_b64 s[42:43], 0
	s_mov_b32 s77, -1
.LBB2_11150:                            ;   Parent Loop BB2_47 Depth=1
                                        ;     Parent Loop BB2_11061 Depth=2
                                        ;       Parent Loop BB2_11064 Depth=3
                                        ;         Parent Loop BB2_11149 Depth=4
                                        ; =>        This Inner Loop Header: Depth=5
	s_cmp_eq_u32 s42, 1
	s_cselect_b32 vcc_lo, -1, 0
	s_cmp_eq_u32 s42, 0
	s_wait_xcnt 0x0
	v_dual_cndmask_b32 v19, v43, v45 :: v_dual_cndmask_b32 v18, v42, v44
	s_cselect_b32 s14, -1, 0
	s_and_b32 s15, exec_lo, s77
	s_mov_b64 s[42:43], 1
	s_mov_b32 s77, 0
	v_add_nc_u64_e32 v[58:59], 0x200, v[18:19]
	s_wait_loadcnt 0x0
	global_store_b128 v[18:19], v[8:11], off th:TH_STORE_NT
	v_dual_cndmask_b32 v45, v45, v59 :: v_dual_cndmask_b32 v44, v44, v58
	v_dual_cndmask_b32 v43, v43, v59, s14 :: v_dual_cndmask_b32 v42, v42, v58, s14
	s_mov_b32 vcc_lo, s15
	s_cbranch_vccnz .LBB2_11150
; %bb.11151:                            ;   in Loop: Header=BB2_11149 Depth=4
	v_sub_nc_u32_e32 v56, v56, v52
	s_delay_alu instid0(VALU_DEP_2)
	v_add_nc_u64_e32 v[42:43], v[42:43], v[70:71]
	v_add_nc_u64_e32 v[44:45], v[44:45], v[70:71]
	s_wait_xcnt 0x1
	v_add_nc_u64_e32 v[40:41], v[82:83], v[40:41]
	v_sub_nc_u32_e32 v46, v46, v32
	v_cmp_gt_i32_e32 vcc_lo, 16, v56
	s_or_b32 s76, vcc_lo, s76
	s_wait_xcnt 0x0
	s_and_not1_b32 exec_lo, exec_lo, s76
	s_cbranch_execnz .LBB2_11149
; %bb.11152:                            ;   in Loop: Header=BB2_11064 Depth=3
	s_or_b32 exec_lo, exec_lo, s76
.LBB2_11153:                            ;   in Loop: Header=BB2_11064 Depth=3
	s_delay_alu instid0(SALU_CYCLE_1) | instskip(NEXT) | instid1(VALU_DEP_2)
	s_or_b32 exec_lo, exec_lo, s75
	v_cmp_lt_i32_e32 vcc_lo, 0, v46
	v_dual_cndmask_b32 v10, 0, v32, vcc_lo :: v_dual_bitop2_b32 v8, 15, v103 bitop3:0x40
	s_delay_alu instid0(VALU_DEP_1) | instskip(NEXT) | instid1(VALU_DEP_1)
	v_dual_sub_nc_u32 v9, v101, v8 :: v_dual_cndmask_b32 v101, v101, v8, s13
	v_dual_cndmask_b32 v8, 0, v9, s13 :: v_dual_sub_nc_u32 v9, v10, v46
	s_delay_alu instid0(VALU_DEP_2) | instskip(NEXT) | instid1(VALU_DEP_2)
	v_cmp_ne_u32_e32 vcc_lo, 0, v101
	v_add3_u32 v17, v17, v30, v8
	s_delay_alu instid0(VALU_DEP_3)
	v_lshl_add_u32 v40, v9, 5, v47
	s_and_b32 s14, vcc_lo, exec_lo
.LBB2_11154:                            ;   in Loop: Header=BB2_11064 Depth=3
	s_or_b32 exec_lo, exec_lo, s74
	s_and_saveexec_b32 s15, s14
	s_cbranch_execz .LBB2_11165
.LBB2_11155:                            ;   in Loop: Header=BB2_11064 Depth=3
	v_dual_ashrrev_i32 v8, 31, v40 :: v_dual_ashrrev_i32 v9, 31, v101
	s_mov_b32 s13, exec_lo
	s_delay_alu instid0(VALU_DEP_1) | instskip(NEXT) | instid1(VALU_DEP_1)
	v_dual_lshrrev_b32 v8, 27, v8 :: v_dual_lshrrev_b32 v9, 24, v9
	v_dual_add_nc_u32 v8, v40, v8 :: v_dual_add_nc_u32 v9, v101, v9
	s_delay_alu instid0(VALU_DEP_1) | instskip(NEXT) | instid1(VALU_DEP_1)
	v_dual_ashrrev_i32 v30, 5, v8 :: v_dual_ashrrev_i32 v41, 8, v9
	v_sub_nc_u32_e32 v103, v41, v30
	s_delay_alu instid0(VALU_DEP_1)
	v_cmpx_lt_i32_e32 0, v103
	s_cbranch_execz .LBB2_11159
; %bb.11156:                            ;   in Loop: Header=BB2_11064 Depth=3
	v_and_b32_e32 v8, 0xffffffe0, v8
	v_lshlrev_b32_e32 v9, 8, v30
	v_add_nc_u64_e32 v[42:43], 0xe0, v[114:115]
	s_mov_b32 s14, 0
	s_delay_alu instid0(VALU_DEP_3) | instskip(NEXT) | instid1(VALU_DEP_1)
	v_sub_nc_u32_e32 v8, v40, v8
	v_add3_u32 v18, v17, v8, v9
	s_delay_alu instid0(VALU_DEP_1) | instskip(NEXT) | instid1(VALU_DEP_1)
	v_ashrrev_i32_e32 v19, 31, v18
	v_add_nc_u64_e32 v[8:9], v[18:19], v[116:117]
	v_add_nc_u64_e32 v[10:11], v[18:19], v[118:119]
	;; [unrolled: 1-line block ×3, first 2 shown]
.LBB2_11157:                            ;   Parent Loop BB2_47 Depth=1
                                        ;     Parent Loop BB2_11061 Depth=2
                                        ;       Parent Loop BB2_11064 Depth=3
                                        ; =>      This Inner Loop Header: Depth=4
	s_clause 0x7
	flat_load_u8 v18, v[118:119] offset:-224 th:TH_LOAD_NT
	flat_load_u8 v19, v[118:119] offset:-192 th:TH_LOAD_NT
	;; [unrolled: 1-line block ×7, first 2 shown]
	flat_load_u8 v47, v[118:119] th:TH_LOAD_NT
	v_sub_nc_u32_e32 v103, v103, v32
	s_wait_xcnt 0x0
	v_add_nc_u64_e32 v[118:119], v[118:119], v[54:55]
	s_wait_loadcnt_dscnt 0x707
	flat_store_b8 v[8:9], v18 th:TH_STORE_NT
	s_wait_loadcnt_dscnt 0x607
	flat_store_b8 v[8:9], v19 offset:32 th:TH_STORE_NT
	s_wait_loadcnt_dscnt 0x507
	flat_store_b8 v[8:9], v42 offset:64 th:TH_STORE_NT
	s_wait_loadcnt_dscnt 0x407
	flat_store_b8 v[8:9], v43 offset:96 th:TH_STORE_NT
	s_wait_loadcnt_dscnt 0x307
	flat_store_b8 v[8:9], v44 offset:128 th:TH_STORE_NT
	s_wait_loadcnt_dscnt 0x207
	flat_store_b8 v[8:9], v45 offset:160 th:TH_STORE_NT
	s_wait_loadcnt_dscnt 0x107
	flat_store_b8 v[8:9], v46 offset:192 th:TH_STORE_NT
	s_wait_loadcnt_dscnt 0x7
	flat_store_b8 v[8:9], v47 offset:224 th:TH_STORE_NT
	s_clause 0x7
	flat_store_b8 v[10:11], v18 th:TH_STORE_NT
	flat_store_b8 v[10:11], v19 offset:32 th:TH_STORE_NT
	flat_store_b8 v[10:11], v42 offset:64 th:TH_STORE_NT
	;; [unrolled: 1-line block ×7, first 2 shown]
	v_cmp_gt_i32_e32 vcc_lo, 1, v103
	s_wait_xcnt 0x8
	v_add_nc_u64_e32 v[8:9], v[8:9], v[54:55]
	s_wait_xcnt 0x0
	v_add_nc_u64_e32 v[10:11], v[10:11], v[54:55]
	s_or_b32 s14, vcc_lo, s14
	s_delay_alu instid0(SALU_CYCLE_1)
	s_and_not1_b32 exec_lo, exec_lo, s14
	s_cbranch_execnz .LBB2_11157
; %bb.11158:                            ;   in Loop: Header=BB2_11064 Depth=3
	s_or_b32 exec_lo, exec_lo, s14
.LBB2_11159:                            ;   in Loop: Header=BB2_11064 Depth=3
	s_delay_alu instid0(SALU_CYCLE_1) | instskip(SKIP_1) | instid1(VALU_DEP_1)
	s_or_b32 exec_lo, exec_lo, s13
	v_lshlrev_b32_e32 v8, 8, v41
	v_cmp_ne_u32_e32 vcc_lo, v101, v8
	s_and_b32 exec_lo, exec_lo, vcc_lo
	s_cbranch_execz .LBB2_11165
; %bb.11160:                            ;   in Loop: Header=BB2_11064 Depth=3
	v_dual_lshlrev_b32 v9, 5, v30 :: v_dual_lshlrev_b32 v10, 5, v103
	s_delay_alu instid0(VALU_DEP_1) | instskip(NEXT) | instid1(VALU_DEP_1)
	v_sub_nc_u32_e32 v9, v40, v9
	v_sub_nc_u32_e32 v9, v9, v10
	s_delay_alu instid0(VALU_DEP_1) | instskip(NEXT) | instid1(VALU_DEP_1)
	v_add_nc_u32_e32 v8, v8, v9
	v_sub_nc_u32_e32 v30, v101, v8
	s_delay_alu instid0(VALU_DEP_1)
	v_cmp_lt_i32_e32 vcc_lo, 0, v30
	s_and_b32 exec_lo, exec_lo, vcc_lo
	s_cbranch_execz .LBB2_11165
; %bb.11161:                            ;   in Loop: Header=BB2_11064 Depth=3
	s_trap 2
	ds_load_b64 v[10:11], v0
	ds_load_b128 v[40:43], v0
	v_add_nc_u32_e32 v18, v8, v17
	s_mov_b32 s74, 0
	s_delay_alu instid0(VALU_DEP_1) | instskip(SKIP_1) | instid1(VALU_DEP_1)
	v_ashrrev_i32_e32 v19, 31, v18
	s_wait_dscnt 0x1
	v_add_nc_u64_e32 v[8:9], v[10:11], v[18:19]
	s_wait_dscnt 0x0
	v_add_nc_u64_e32 v[10:11], v[40:41], v[18:19]
	v_add_nc_u64_e32 v[118:119], v[42:43], v[18:19]
.LBB2_11162:                            ;   Parent Loop BB2_47 Depth=1
                                        ;     Parent Loop BB2_11061 Depth=2
                                        ;       Parent Loop BB2_11064 Depth=3
                                        ; =>      This Loop Header: Depth=4
                                        ;           Child Loop BB2_11163 Depth 5
	flat_load_u8 v17, v[8:9] th:TH_LOAD_NT
	s_mov_b64 s[42:43], 0
	s_mov_b32 s75, -1
.LBB2_11163:                            ;   Parent Loop BB2_47 Depth=1
                                        ;     Parent Loop BB2_11061 Depth=2
                                        ;       Parent Loop BB2_11064 Depth=3
                                        ;         Parent Loop BB2_11162 Depth=4
                                        ; =>        This Inner Loop Header: Depth=5
	s_cmp_eq_u32 s42, 1
	s_cselect_b32 vcc_lo, -1, 0
	s_cmp_eq_u32 s42, 0
	s_wait_xcnt 0x0
	v_dual_cndmask_b32 v19, v11, v119 :: v_dual_cndmask_b32 v18, v10, v118
	s_cselect_b32 s13, -1, 0
	s_and_b32 s14, exec_lo, s75
	s_mov_b64 s[42:43], 1
	s_mov_b32 s75, 0
	v_add_nc_u64_e32 v[40:41], 32, v[18:19]
	s_wait_loadcnt_dscnt 0x0
	flat_store_b8 v[18:19], v17 th:TH_STORE_NT
	v_dual_cndmask_b32 v119, v119, v41 :: v_dual_cndmask_b32 v118, v118, v40
	v_dual_cndmask_b32 v11, v11, v41, s13 :: v_dual_cndmask_b32 v10, v10, v40, s13
	s_mov_b32 vcc_lo, s14
	s_cbranch_vccnz .LBB2_11163
; %bb.11164:                            ;   in Loop: Header=BB2_11162 Depth=4
	v_sub_nc_u32_e32 v30, v30, v34
	s_delay_alu instid0(VALU_DEP_2)
	v_add_nc_u64_e32 v[10:11], v[10:11], v[66:67]
	v_add_nc_u64_e32 v[118:119], v[118:119], v[66:67]
	s_wait_xcnt 0x1
	v_add_nc_u64_e32 v[8:9], v[80:81], v[8:9]
	v_cmp_gt_i32_e32 vcc_lo, 1, v30
	s_or_b32 s74, vcc_lo, s74
	s_wait_xcnt 0x0
	s_and_not1_b32 exec_lo, exec_lo, s74
	s_cbranch_execnz .LBB2_11162
.LBB2_11165:                            ;   in Loop: Header=BB2_11064 Depth=3
	s_or_b32 exec_lo, exec_lo, s15
	s_mov_b32 s13, 0
.LBB2_11166:                            ;   in Loop: Header=BB2_11064 Depth=3
	s_delay_alu instid0(SALU_CYCLE_1)
	s_and_b32 vcc_lo, exec_lo, s13
	s_cbranch_vccz .LBB2_11193
; %bb.11167:                            ;   in Loop: Header=BB2_11064 Depth=3
	s_mov_b32 s13, -1
	s_and_saveexec_b32 s14, s10
	s_cbranch_execz .LBB2_11169
; %bb.11168:                            ;   in Loop: Header=BB2_11064 Depth=3
	ds_load_b32 v8, v0 offset:720
	s_wait_dscnt 0x0
	v_and_b32_e32 v8, 15, v8
	s_delay_alu instid0(VALU_DEP_1)
	v_cmp_eq_u32_e32 vcc_lo, 0, v8
	s_or_not1_b32 s13, vcc_lo, exec_lo
.LBB2_11169:                            ;   in Loop: Header=BB2_11064 Depth=3
	s_or_b32 exec_lo, exec_lo, s14
	s_and_saveexec_b32 s14, s7
	s_cbranch_execz .LBB2_11171
; %bb.11170:                            ;   in Loop: Header=BB2_11064 Depth=3
	ds_load_b32 v8, v0 offset:784
	s_wait_dscnt 0x0
	v_and_b32_e32 v8, 15, v8
	s_delay_alu instid0(VALU_DEP_1) | instskip(SKIP_3) | instid1(SALU_CYCLE_1)
	v_cmp_eq_u32_e32 vcc_lo, 0, v8
	s_and_b32 s15, s13, vcc_lo
	s_and_not1_b32 s13, s13, exec_lo
	s_and_b32 s15, s15, exec_lo
	s_or_b32 s13, s13, s15
.LBB2_11171:                            ;   in Loop: Header=BB2_11064 Depth=3
	s_or_b32 exec_lo, exec_lo, s14
	s_xor_b32 s13, s13, -1
	v_dual_mov_b32 v10, 0 :: v_dual_mov_b32 v11, v2
	v_cndmask_b32_e64 v8, 0, 1, s13
	v_mov_b32_e32 v17, v0
	s_mov_b32 s15, -1
	s_delay_alu instid0(VALU_DEP_2)
	v_cmp_ne_u32_e32 vcc_lo, 0, v8
	s_cbranch_vccz .LBB2_11173
; %bb.11172:                            ;   in Loop: Header=BB2_11064 Depth=3
	s_and_saveexec_b32 s13, s15
	s_cbranch_execnz .LBB2_11184
	s_branch .LBB2_11192
.LBB2_11173:                            ;   in Loop: Header=BB2_11064 Depth=3
	v_ashrrev_i32_e32 v8, 31, v2
	s_mov_b32 s13, exec_lo
	s_delay_alu instid0(VALU_DEP_1) | instskip(NEXT) | instid1(VALU_DEP_1)
	v_lshrrev_b32_e32 v8, 22, v8
	v_add_nc_u32_e32 v8, v2, v8
	s_delay_alu instid0(VALU_DEP_1) | instskip(NEXT) | instid1(VALU_DEP_1)
	v_ashrrev_i32_e32 v10, 10, v8
	v_sub_nc_u32_e32 v101, v10, v109
	s_delay_alu instid0(VALU_DEP_1)
	v_cmpx_lt_i32_e32 0, v101
	s_cbranch_execz .LBB2_11177
; %bb.11174:                            ;   in Loop: Header=BB2_11064 Depth=3
	v_mov_b64_e32 v[8:9], v[68:69]
	s_mov_b32 s14, 0
.LBB2_11175:                            ;   Parent Loop BB2_47 Depth=1
                                        ;     Parent Loop BB2_11061 Depth=2
                                        ;       Parent Loop BB2_11064 Depth=3
                                        ; =>      This Inner Loop Header: Depth=4
	s_delay_alu instid0(VALU_DEP_1)
	v_add_nc_u64_e32 v[18:19], v[114:115], v[8:9]
	v_sub_nc_u32_e32 v101, v101, v32
	s_clause 0x1
	global_load_b128 v[40:43], v[18:19], off th:TH_LOAD_NT
	global_load_b128 v[44:47], v[18:19], off offset:512 th:TH_LOAD_NT
	s_wait_xcnt 0x0
	v_add_nc_u64_e32 v[18:19], v[116:117], v[8:9]
	v_cmp_gt_i32_e32 vcc_lo, 1, v101
	v_add_nc_u64_e32 v[8:9], v[8:9], v[50:51]
	s_wait_loadcnt 0x1
	global_store_b128 v[18:19], v[40:43], off th:TH_STORE_NT
	s_wait_loadcnt 0x0
	global_store_b128 v[18:19], v[44:47], off offset:512 th:TH_STORE_NT
	s_or_b32 s14, vcc_lo, s14
	s_wait_xcnt 0x0
	s_and_not1_b32 exec_lo, exec_lo, s14
	s_cbranch_execnz .LBB2_11175
; %bb.11176:                            ;   in Loop: Header=BB2_11064 Depth=3
	s_or_b32 exec_lo, exec_lo, s14
.LBB2_11177:                            ;   in Loop: Header=BB2_11064 Depth=3
	s_delay_alu instid0(SALU_CYCLE_1) | instskip(SKIP_3) | instid1(VALU_DEP_1)
	s_or_b32 exec_lo, exec_lo, s13
	v_dual_lshlrev_b32 v30, 10, v10 :: v_dual_mov_b32 v10, 0
	s_mov_b32 s15, 0
	s_mov_b32 s14, exec_lo
                                        ; implicit-def: $vgpr11
                                        ; implicit-def: $vgpr17
	v_cmpx_ne_u32_e64 v2, v30
	s_cbranch_execz .LBB2_11183
; %bb.11178:                            ;   in Loop: Header=BB2_11064 Depth=3
	v_dual_lshlrev_b32 v8, 5, v101 :: v_dual_sub_nc_u32 v18, v2, v30
	s_mov_b32 s15, exec_lo
	s_delay_alu instid0(VALU_DEP_1) | instskip(NEXT) | instid1(VALU_DEP_1)
	v_dual_sub_nc_u32 v8, v108, v8 :: v_dual_ashrrev_i32 v10, 31, v18
	v_dual_ashrrev_i32 v9, 31, v8 :: v_dual_lshrrev_b32 v10, 23, v10
	s_delay_alu instid0(VALU_DEP_1) | instskip(NEXT) | instid1(VALU_DEP_1)
	v_lshrrev_b32_e32 v9, 27, v9
	v_add_nc_u32_e32 v9, v8, v9
	s_delay_alu instid0(VALU_DEP_1) | instskip(NEXT) | instid1(VALU_DEP_1)
	v_and_b32_e32 v11, 0xffffffe0, v9
	v_dual_add_nc_u32 v19, v18, v10 :: v_dual_sub_nc_u32 v17, v8, v11
	s_delay_alu instid0(VALU_DEP_1) | instskip(SKIP_1) | instid1(VALU_DEP_2)
	v_and_b32_e32 v10, 0xfffffe00, v19
	v_dual_ashrrev_i32 v9, 5, v9 :: v_dual_ashrrev_i32 v19, 9, v19
	v_dual_lshlrev_b32 v8, 4, v17 :: v_dual_sub_nc_u32 v11, v18, v10
	s_delay_alu instid0(VALU_DEP_1) | instskip(NEXT) | instid1(VALU_DEP_2)
	v_lshl_add_u32 v8, v9, 9, v8
	v_cmp_lt_i32_e32 vcc_lo, 15, v11
	s_delay_alu instid0(VALU_DEP_4) | instskip(NEXT) | instid1(VALU_DEP_1)
	v_add_co_ci_u32_e64 v19, null, 0, v19, vcc_lo
	v_dual_sub_nc_u32 v103, v18, v8 :: v_dual_sub_nc_u32 v101, v19, v9
	s_delay_alu instid0(VALU_DEP_1)
	v_cmpx_lt_i32_e32 15, v103
	s_cbranch_execz .LBB2_11182
; %bb.11179:                            ;   in Loop: Header=BB2_11064 Depth=3
	v_add_nc_u32_e32 v8, v8, v30
	s_mov_b32 s42, 0
	s_delay_alu instid0(VALU_DEP_1)
	v_ashrrev_i32_e32 v9, 31, v8
.LBB2_11180:                            ;   Parent Loop BB2_47 Depth=1
                                        ;     Parent Loop BB2_11061 Depth=2
                                        ;       Parent Loop BB2_11064 Depth=3
                                        ; =>      This Inner Loop Header: Depth=4
	s_delay_alu instid0(VALU_DEP_1) | instskip(SKIP_2) | instid1(VALU_DEP_2)
	v_add_nc_u64_e32 v[18:19], v[114:115], v[8:9]
	v_sub_nc_u32_e32 v103, v103, v52
	v_sub_nc_u32_e32 v101, v101, v32
	v_cmp_gt_i32_e64 s13, 16, v103
	global_load_b128 v[40:43], v[18:19], off th:TH_LOAD_NT
	s_wait_xcnt 0x0
	v_add_nc_u64_e32 v[18:19], v[116:117], v[8:9]
	v_add_nc_u64_e32 v[8:9], v[8:9], v[52:53]
	s_or_b32 s42, s13, s42
	s_wait_loadcnt 0x0
	global_store_b128 v[18:19], v[40:43], off th:TH_STORE_NT
	s_wait_xcnt 0x0
	s_and_not1_b32 exec_lo, exec_lo, s42
	s_cbranch_execnz .LBB2_11180
; %bb.11181:                            ;   in Loop: Header=BB2_11064 Depth=3
	s_or_b32 exec_lo, exec_lo, s42
.LBB2_11182:                            ;   in Loop: Header=BB2_11064 Depth=3
	s_delay_alu instid0(SALU_CYCLE_1) | instskip(NEXT) | instid1(VALU_DEP_2)
	s_or_b32 exec_lo, exec_lo, s15
	v_cmp_lt_i32_e64 s13, 0, v101
	s_delay_alu instid0(VALU_DEP_1) | instskip(NEXT) | instid1(VALU_DEP_1)
	v_dual_cndmask_b32 v18, 0, v32, s13 :: v_dual_bitop2_b32 v8, 15, v2 bitop3:0x40
	v_dual_sub_nc_u32 v9, v11, v8 :: v_dual_cndmask_b32 v11, v11, v8, vcc_lo
	s_delay_alu instid0(VALU_DEP_1) | instskip(NEXT) | instid1(VALU_DEP_3)
	v_cndmask_b32_e32 v8, 0, v9, vcc_lo
	v_sub_nc_u32_e32 v9, v18, v101
	s_delay_alu instid0(VALU_DEP_3) | instskip(NEXT) | instid1(VALU_DEP_3)
	v_cmp_ne_u32_e32 vcc_lo, 0, v11
	v_add3_u32 v10, v10, v30, v8
	s_delay_alu instid0(VALU_DEP_3)
	v_lshl_add_u32 v17, v9, 5, v17
	s_and_b32 s15, vcc_lo, exec_lo
.LBB2_11183:                            ;   in Loop: Header=BB2_11064 Depth=3
	s_or_b32 exec_lo, exec_lo, s14
	s_and_saveexec_b32 s13, s15
	s_cbranch_execz .LBB2_11192
.LBB2_11184:                            ;   in Loop: Header=BB2_11064 Depth=3
	v_dual_ashrrev_i32 v8, 31, v17 :: v_dual_ashrrev_i32 v9, 31, v11
	s_mov_b32 s14, exec_lo
	s_delay_alu instid0(VALU_DEP_1) | instskip(NEXT) | instid1(VALU_DEP_1)
	v_dual_lshrrev_b32 v8, 27, v8 :: v_dual_lshrrev_b32 v9, 24, v9
	v_dual_add_nc_u32 v8, v17, v8 :: v_dual_add_nc_u32 v9, v11, v9
	s_delay_alu instid0(VALU_DEP_1) | instskip(NEXT) | instid1(VALU_DEP_1)
	v_dual_ashrrev_i32 v30, 5, v8 :: v_dual_ashrrev_i32 v103, 8, v9
	v_sub_nc_u32_e32 v101, v103, v30
	s_delay_alu instid0(VALU_DEP_1)
	v_cmpx_lt_i32_e32 0, v101
	s_cbranch_execz .LBB2_11188
; %bb.11185:                            ;   in Loop: Header=BB2_11064 Depth=3
	v_and_b32_e32 v8, 0xffffffe0, v8
	s_mov_b32 s15, 0
	s_delay_alu instid0(VALU_DEP_1) | instskip(NEXT) | instid1(VALU_DEP_1)
	v_dual_lshlrev_b32 v9, 8, v30 :: v_dual_sub_nc_u32 v8, v17, v8
	v_add3_u32 v8, v10, v8, v9
	s_delay_alu instid0(VALU_DEP_1)
	v_ashrrev_i32_e32 v9, 31, v8
.LBB2_11186:                            ;   Parent Loop BB2_47 Depth=1
                                        ;     Parent Loop BB2_11061 Depth=2
                                        ;       Parent Loop BB2_11064 Depth=3
                                        ; =>      This Inner Loop Header: Depth=4
	s_delay_alu instid0(VALU_DEP_1)
	v_add_nc_u64_e32 v[18:19], v[8:9], v[114:115]
	v_sub_nc_u32_e32 v101, v101, v32
	v_add_nc_u64_e32 v[114:115], v[114:115], v[54:55]
	s_clause 0x7
	flat_load_u8 v118, v[18:19] th:TH_LOAD_NT
	flat_load_u8 v119, v[18:19] offset:32 th:TH_LOAD_NT
	flat_load_u8 v40, v[18:19] offset:64 th:TH_LOAD_NT
	;; [unrolled: 1-line block ×7, first 2 shown]
	s_wait_xcnt 0x0
	v_add_nc_u64_e32 v[18:19], v[8:9], v[116:117]
	v_add_nc_u64_e32 v[116:117], v[116:117], v[54:55]
	v_cmp_gt_i32_e32 vcc_lo, 1, v101
	s_wait_loadcnt_dscnt 0x707
	flat_store_b8 v[18:19], v118 th:TH_STORE_NT
	s_wait_loadcnt_dscnt 0x607
	flat_store_b8 v[18:19], v119 offset:32 th:TH_STORE_NT
	s_wait_loadcnt_dscnt 0x507
	flat_store_b8 v[18:19], v40 offset:64 th:TH_STORE_NT
	;; [unrolled: 2-line block ×7, first 2 shown]
	s_or_b32 s15, vcc_lo, s15
	s_wait_xcnt 0x0
	s_and_not1_b32 exec_lo, exec_lo, s15
	s_cbranch_execnz .LBB2_11186
; %bb.11187:                            ;   in Loop: Header=BB2_11064 Depth=3
	s_or_b32 exec_lo, exec_lo, s15
.LBB2_11188:                            ;   in Loop: Header=BB2_11064 Depth=3
	s_delay_alu instid0(SALU_CYCLE_1) | instskip(SKIP_1) | instid1(VALU_DEP_1)
	s_or_b32 exec_lo, exec_lo, s14
	v_lshlrev_b32_e32 v8, 8, v103
	v_cmp_ne_u32_e32 vcc_lo, v11, v8
	s_and_b32 exec_lo, exec_lo, vcc_lo
	s_cbranch_execz .LBB2_11192
; %bb.11189:                            ;   in Loop: Header=BB2_11064 Depth=3
	v_lshlrev_b32_e32 v9, 5, v30
	s_delay_alu instid0(VALU_DEP_1) | instskip(SKIP_1) | instid1(VALU_DEP_1)
	v_sub_nc_u32_e32 v9, v17, v9
	v_lshlrev_b32_e32 v17, 5, v101
	v_sub_nc_u32_e32 v9, v9, v17
	s_delay_alu instid0(VALU_DEP_1) | instskip(NEXT) | instid1(VALU_DEP_1)
	v_add_nc_u32_e32 v30, v8, v9
	v_sub_nc_u32_e32 v17, v11, v30
	s_delay_alu instid0(VALU_DEP_1)
	v_cmp_lt_i32_e32 vcc_lo, 0, v17
	s_and_b32 exec_lo, exec_lo, vcc_lo
	s_cbranch_execz .LBB2_11192
; %bb.11190:                            ;   in Loop: Header=BB2_11064 Depth=3
	s_trap 2
	ds_load_b64 v[8:9], v0
	v_add_nc_u32_e32 v10, v30, v10
	s_mov_b32 s14, 0
	s_delay_alu instid0(VALU_DEP_1)
	v_ashrrev_i32_e32 v11, 31, v10
.LBB2_11191:                            ;   Parent Loop BB2_47 Depth=1
                                        ;     Parent Loop BB2_11061 Depth=2
                                        ;       Parent Loop BB2_11064 Depth=3
                                        ; =>      This Inner Loop Header: Depth=4
	s_wait_dscnt 0x0
	s_delay_alu instid0(VALU_DEP_1) | instskip(SKIP_2) | instid1(VALU_DEP_2)
	v_add_nc_u64_e32 v[18:19], v[8:9], v[10:11]
	v_sub_nc_u32_e32 v17, v17, v34
	v_add_nc_u64_e32 v[10:11], v[10:11], v[34:35]
	v_cmp_gt_i32_e32 vcc_lo, 1, v17
	flat_load_u8 v30, v[18:19] th:TH_LOAD_NT
	s_or_b32 s14, vcc_lo, s14
	s_wait_loadcnt_dscnt 0x0
	flat_store_b8 v[18:19], v30 th:TH_STORE_NT
	s_wait_xcnt 0x0
	s_and_not1_b32 exec_lo, exec_lo, s14
	s_cbranch_execnz .LBB2_11191
.LBB2_11192:                            ;   in Loop: Header=BB2_11064 Depth=3
	s_or_b32 exec_lo, exec_lo, s13
.LBB2_11193:                            ;   in Loop: Header=BB2_11064 Depth=3
	v_cmp_lt_i32_e64 s13, 0, v2
	s_and_saveexec_b32 s14, s2
	s_cbranch_execz .LBB2_11212
.LBB2_11194:                            ;   in Loop: Header=BB2_11064 Depth=3
	s_and_saveexec_b32 s15, s3
	s_delay_alu instid0(SALU_CYCLE_1)
	s_xor_b32 s15, exec_lo, s15
	s_cbranch_execz .LBB2_11209
; %bb.11195:                            ;   in Loop: Header=BB2_11064 Depth=3
	s_and_saveexec_b32 s42, s6
	s_cbranch_execz .LBB2_11208
; %bb.11196:                            ;   in Loop: Header=BB2_11064 Depth=3
	s_mov_b32 s74, exec_lo
	s_mov_b32 s43, exec_lo
	v_mbcnt_lo_u32_b32 v2, s74, 0
	global_wb scope:SCOPE_DEV
	s_wait_storecnt 0x0
	s_wait_loadcnt_dscnt 0x0
	global_inv scope:SCOPE_DEV
	v_cmpx_eq_u32_e32 0, v2
	s_cbranch_execz .LBB2_11198
; %bb.11197:                            ;   in Loop: Header=BB2_11064 Depth=3
	s_bcnt1_i32_b32 s74, s74
	s_delay_alu instid0(SALU_CYCLE_1)
	v_dual_mov_b32 v9, v3 :: v_dual_mov_b32 v8, s74
	s_wait_loadcnt 0x0
	ds_add_u64 v0, v[8:9]
	s_trap 2
.LBB2_11198:                            ;   in Loop: Header=BB2_11064 Depth=3
	s_or_b32 exec_lo, exec_lo, s43
	s_trap 2
	ds_load_b64 v[8:9], v0
	s_wait_dscnt 0x0
	v_add_nc_u64_e32 v[12:13], v[12:13], v[32:33]
	s_mov_b32 s43, exec_lo
	s_delay_alu instid0(VALU_DEP_1)
	v_cmpx_lt_u64_e64 v[8:9], v[12:13]
	s_cbranch_execz .LBB2_11207
; %bb.11199:                            ;   in Loop: Header=BB2_11064 Depth=3
	s_mov_b32 s74, 0
	s_mov_b32 s77, 0
                                        ; implicit-def: $sgpr75
                                        ; implicit-def: $sgpr76
	s_branch .LBB2_11201
.LBB2_11200:                            ;   in Loop: Header=BB2_11201 Depth=4
	s_or_b32 exec_lo, exec_lo, s79
	s_delay_alu instid0(SALU_CYCLE_1) | instskip(NEXT) | instid1(SALU_CYCLE_1)
	s_and_b32 s78, exec_lo, s88
	s_or_b32 s74, s78, s74
	s_and_not1_b32 s75, s75, exec_lo
	s_and_b32 s78, s76, exec_lo
	s_delay_alu instid0(SALU_CYCLE_1)
	s_or_b32 s75, s75, s78
	s_and_not1_b32 exec_lo, exec_lo, s74
	s_cbranch_execz .LBB2_11205
.LBB2_11201:                            ;   Parent Loop BB2_47 Depth=1
                                        ;     Parent Loop BB2_11061 Depth=2
                                        ;       Parent Loop BB2_11064 Depth=3
                                        ; =>      This Inner Loop Header: Depth=4
	s_add_co_i32 s77, s77, 1
	s_delay_alu instid0(SALU_CYCLE_1) | instskip(SKIP_1) | instid1(SALU_CYCLE_1)
	s_cmp_lg_u32 s77, 0x2710
	s_cselect_b32 s78, -1, 0
	s_and_b32 vcc_lo, exec_lo, s78
	s_cbranch_vccz .LBB2_11203
; %bb.11202:                            ;   in Loop: Header=BB2_11201 Depth=4
	s_mov_b32 s88, -1
	s_or_b32 s76, s76, exec_lo
	s_and_saveexec_b32 s79, s78
	s_cbranch_execz .LBB2_11200
	s_branch .LBB2_11204
.LBB2_11203:                            ;   in Loop: Header=BB2_11201 Depth=4
	s_trap 2
	ds_load_b64 v[8:9], v0
	s_and_not1_b32 s78, s78, exec_lo
	s_mov_b32 s77, 0
	s_wait_loadcnt_dscnt 0x0
	flat_load_b32 v2, v[8:9] scope:SCOPE_SYS
	s_wait_loadcnt_dscnt 0x0
	global_inv scope:SCOPE_SYS
	v_cmp_eq_u32_e32 vcc_lo, 0, v2
	s_and_b32 s79, vcc_lo, exec_lo
	s_delay_alu instid0(SALU_CYCLE_1)
	s_or_b32 s78, s78, s79
	s_mov_b32 s88, -1
	s_or_b32 s76, s76, exec_lo
	s_and_saveexec_b32 s79, s78
	s_cbranch_execz .LBB2_11200
.LBB2_11204:                            ;   in Loop: Header=BB2_11201 Depth=4
	s_sleep 1
	s_trap 2
	ds_load_b64 v[8:9], v0
	s_wait_dscnt 0x0
	s_and_not1_b32 s76, s76, exec_lo
	v_cmp_ge_u64_e32 vcc_lo, v[8:9], v[12:13]
	s_or_not1_b32 s88, vcc_lo, exec_lo
	s_branch .LBB2_11200
.LBB2_11205:                            ;   in Loop: Header=BB2_11064 Depth=3
	s_or_b32 exec_lo, exec_lo, s74
	s_and_saveexec_b32 s74, s75
	s_delay_alu instid0(SALU_CYCLE_1)
	s_xor_b32 s74, exec_lo, s74
	s_cbranch_execz .LBB2_11207
; %bb.11206:                            ;   in Loop: Header=BB2_11064 Depth=3
	ds_store_b32 v0, v110
	s_trap 2
.LBB2_11207:                            ;   in Loop: Header=BB2_11064 Depth=3
	s_or_b32 exec_lo, exec_lo, s43
	;;#ASMSTART
	s_wakeup
	;;#ASMEND
.LBB2_11208:                            ;   in Loop: Header=BB2_11064 Depth=3
	s_or_b32 exec_lo, exec_lo, s42
.LBB2_11209:                            ;   in Loop: Header=BB2_11064 Depth=3
	s_and_not1_saveexec_b32 s15, s15
	s_cbranch_execz .LBB2_11211
; %bb.11210:                            ;   in Loop: Header=BB2_11064 Depth=3
	global_wb scope:SCOPE_DEV
	s_wait_storecnt 0x0
	s_wait_loadcnt_dscnt 0x0
	global_inv scope:SCOPE_DEV
	s_barrier_signal -1
	s_barrier_wait -1
.LBB2_11211:                            ;   in Loop: Header=BB2_11064 Depth=3
	s_or_b32 exec_lo, exec_lo, s15
.LBB2_11212:                            ;   in Loop: Header=BB2_11064 Depth=3
	s_delay_alu instid0(SALU_CYCLE_1) | instskip(SKIP_2) | instid1(SALU_CYCLE_1)
	s_or_b32 exec_lo, exec_lo, s14
	v_and_b32_e32 v2, 16, v106
	s_and_saveexec_b32 s14, s12
	s_xor_b32 s14, exec_lo, s14
	s_cbranch_execz .LBB2_11216
; %bb.11213:                            ;   in Loop: Header=BB2_11064 Depth=3
	v_and_b32_e32 v2, 16, v106
	s_delay_alu instid0(VALU_DEP_1) | instskip(SKIP_2) | instid1(SALU_CYCLE_1)
	v_cmp_ne_u32_e32 vcc_lo, 0, v2
	v_and_b32_e32 v2, 16, v106
	s_and_b32 s15, vcc_lo, s13
	s_and_saveexec_b32 s13, s15
	s_cbranch_execz .LBB2_11215
; %bb.11214:                            ;   in Loop: Header=BB2_11064 Depth=3
	v_mov_b32_e32 v2, 1
	global_wb scope:SCOPE_SYS
	s_wait_storecnt 0x0
	s_wait_loadcnt_dscnt 0x0
	global_inv scope:SCOPE_SYS
.LBB2_11215:                            ;   in Loop: Header=BB2_11064 Depth=3
	s_or_b32 exec_lo, exec_lo, s13
.LBB2_11216:                            ;   in Loop: Header=BB2_11064 Depth=3
	s_and_not1_saveexec_b32 s13, s14
	s_cbranch_execz .LBB2_11235
; %bb.11217:                            ;   in Loop: Header=BB2_11064 Depth=3
	s_and_saveexec_b32 s14, s3
	s_delay_alu instid0(SALU_CYCLE_1)
	s_xor_b32 s14, exec_lo, s14
	s_cbranch_execz .LBB2_11232
; %bb.11218:                            ;   in Loop: Header=BB2_11064 Depth=3
	s_and_saveexec_b32 s15, s6
	s_cbranch_execz .LBB2_11231
; %bb.11219:                            ;   in Loop: Header=BB2_11064 Depth=3
	s_mov_b32 s43, exec_lo
	s_mov_b32 s42, exec_lo
	v_mbcnt_lo_u32_b32 v8, s43, 0
	;;#ASMSTART
	s_waitcnt lgkmcnt(0) vmcnt(0)
	;;#ASMEND
	s_delay_alu instid0(VALU_DEP_1)
	v_cmpx_eq_u32_e32 0, v8
	s_cbranch_execz .LBB2_11221
; %bb.11220:                            ;   in Loop: Header=BB2_11064 Depth=3
	s_bcnt1_i32_b32 s43, s43
	s_delay_alu instid0(SALU_CYCLE_1)
	v_dual_mov_b32 v9, v3 :: v_dual_mov_b32 v8, s43
	s_wait_storecnt 0x0
	s_wait_loadcnt_dscnt 0x0
	ds_add_u64 v0, v[8:9]
	s_trap 2
.LBB2_11221:                            ;   in Loop: Header=BB2_11064 Depth=3
	s_or_b32 exec_lo, exec_lo, s42
	s_trap 2
	ds_load_b64 v[8:9], v0
	s_wait_dscnt 0x0
	v_add_nc_u64_e32 v[12:13], v[12:13], v[32:33]
	s_mov_b32 s42, exec_lo
	s_delay_alu instid0(VALU_DEP_1)
	v_cmpx_lt_u64_e64 v[8:9], v[12:13]
	s_cbranch_execz .LBB2_11230
; %bb.11222:                            ;   in Loop: Header=BB2_11064 Depth=3
	s_mov_b32 s43, 0
	s_mov_b32 s76, 0
                                        ; implicit-def: $sgpr74
                                        ; implicit-def: $sgpr75
	s_branch .LBB2_11224
.LBB2_11223:                            ;   in Loop: Header=BB2_11224 Depth=4
	s_or_b32 exec_lo, exec_lo, s78
	s_delay_alu instid0(SALU_CYCLE_1) | instskip(NEXT) | instid1(SALU_CYCLE_1)
	s_and_b32 s77, exec_lo, s79
	s_or_b32 s43, s77, s43
	s_and_not1_b32 s74, s74, exec_lo
	s_and_b32 s77, s75, exec_lo
	s_delay_alu instid0(SALU_CYCLE_1)
	s_or_b32 s74, s74, s77
	s_and_not1_b32 exec_lo, exec_lo, s43
	s_cbranch_execz .LBB2_11228
.LBB2_11224:                            ;   Parent Loop BB2_47 Depth=1
                                        ;     Parent Loop BB2_11061 Depth=2
                                        ;       Parent Loop BB2_11064 Depth=3
                                        ; =>      This Inner Loop Header: Depth=4
	s_add_co_i32 s76, s76, 1
	s_delay_alu instid0(SALU_CYCLE_1) | instskip(SKIP_1) | instid1(SALU_CYCLE_1)
	s_cmp_lg_u32 s76, 0x2710
	s_cselect_b32 s77, -1, 0
	s_and_b32 vcc_lo, exec_lo, s77
	s_cbranch_vccz .LBB2_11226
; %bb.11225:                            ;   in Loop: Header=BB2_11224 Depth=4
	s_mov_b32 s79, -1
	s_or_b32 s75, s75, exec_lo
	s_and_saveexec_b32 s78, s77
	s_cbranch_execz .LBB2_11223
	s_branch .LBB2_11227
.LBB2_11226:                            ;   in Loop: Header=BB2_11224 Depth=4
	s_trap 2
	ds_load_b64 v[8:9], v0
	s_and_not1_b32 s77, s77, exec_lo
	s_mov_b32 s76, 0
	s_wait_storecnt 0x0
	s_wait_loadcnt_dscnt 0x0
	flat_load_b32 v8, v[8:9] scope:SCOPE_SYS
	s_wait_loadcnt_dscnt 0x0
	global_inv scope:SCOPE_SYS
	v_cmp_eq_u32_e32 vcc_lo, 0, v8
	s_and_b32 s78, vcc_lo, exec_lo
	s_delay_alu instid0(SALU_CYCLE_1)
	s_or_b32 s77, s77, s78
	s_mov_b32 s79, -1
	s_or_b32 s75, s75, exec_lo
	s_and_saveexec_b32 s78, s77
	s_cbranch_execz .LBB2_11223
.LBB2_11227:                            ;   in Loop: Header=BB2_11224 Depth=4
	s_sleep 1
	s_trap 2
	ds_load_b64 v[8:9], v0
	s_wait_dscnt 0x0
	s_and_not1_b32 s75, s75, exec_lo
	v_cmp_ge_u64_e32 vcc_lo, v[8:9], v[12:13]
	s_or_not1_b32 s79, vcc_lo, exec_lo
	s_branch .LBB2_11223
.LBB2_11228:                            ;   in Loop: Header=BB2_11064 Depth=3
	s_or_b32 exec_lo, exec_lo, s43
	s_and_saveexec_b32 s43, s74
	s_delay_alu instid0(SALU_CYCLE_1)
	s_xor_b32 s43, exec_lo, s43
	s_cbranch_execz .LBB2_11230
; %bb.11229:                            ;   in Loop: Header=BB2_11064 Depth=3
	ds_store_b32 v0, v110
	s_trap 2
.LBB2_11230:                            ;   in Loop: Header=BB2_11064 Depth=3
	s_or_b32 exec_lo, exec_lo, s42
	;;#ASMSTART
	s_wakeup
	;;#ASMEND
.LBB2_11231:                            ;   in Loop: Header=BB2_11064 Depth=3
	s_or_b32 exec_lo, exec_lo, s15
.LBB2_11232:                            ;   in Loop: Header=BB2_11064 Depth=3
	s_and_not1_saveexec_b32 s14, s14
	s_cbranch_execz .LBB2_11234
; %bb.11233:                            ;   in Loop: Header=BB2_11064 Depth=3
	;;#ASMSTART
	s_waitcnt lgkmcnt(0) vmcnt(0)
	;;#ASMEND
	s_barrier_signal -1
	s_barrier_wait -1
.LBB2_11234:                            ;   in Loop: Header=BB2_11064 Depth=3
	s_or_b32 exec_lo, exec_lo, s14
.LBB2_11235:                            ;   in Loop: Header=BB2_11064 Depth=3
	s_delay_alu instid0(SALU_CYCLE_1) | instskip(SKIP_2) | instid1(SALU_CYCLE_1)
	s_or_b32 exec_lo, exec_lo, s13
	v_cmp_ne_u32_e32 vcc_lo, 0, v2
	s_xor_b32 s13, s4, -1
	s_and_b32 s14, vcc_lo, s13
	s_delay_alu instid0(SALU_CYCLE_1)
	s_and_saveexec_b32 s13, s14
	s_cbranch_execz .LBB2_11237
; %bb.11236:                            ;   in Loop: Header=BB2_11064 Depth=3
	global_wb scope:SCOPE_SYS
	s_wait_storecnt 0x0
	s_wait_loadcnt_dscnt 0x0
	flat_store_b32 v[26:27], v110 scope:SCOPE_SYS
.LBB2_11237:                            ;   in Loop: Header=BB2_11064 Depth=3
	s_wait_xcnt 0x0
	s_or_b32 exec_lo, exec_lo, s13
	v_and_b32_e32 v2, 48, v106
	s_mov_b32 s13, exec_lo
	s_delay_alu instid0(VALU_DEP_1)
	v_cmpx_ne_u32_e32 0, v2
	s_cbranch_execz .LBB2_11063
; %bb.11238:                            ;   in Loop: Header=BB2_11064 Depth=3
	v_add_nc_u64_e32 v[86:87], 2, v[86:87]
	global_wb scope:SCOPE_SYS
	s_wait_storecnt 0x0
	s_wait_loadcnt_dscnt 0x0
	flat_store_b64 v[20:21], v[86:87] scope:SCOPE_SYS
	s_branch .LBB2_11063
.LBB2_11239:                            ;   in Loop: Header=BB2_11061 Depth=2
	s_or_b32 exec_lo, exec_lo, s63
.LBB2_11240:                            ;   in Loop: Header=BB2_11061 Depth=2
	s_delay_alu instid0(SALU_CYCLE_1) | instskip(NEXT) | instid1(SALU_CYCLE_1)
	s_or_b32 exec_lo, exec_lo, s29
	s_mov_b32 s14, exec_lo
	v_cmpx_gt_i32_e32 2, v2
	s_cbranch_execz .LBB2_11316
; %bb.11241:                            ;   in Loop: Header=BB2_11061 Depth=2
	v_cmp_eq_u32_e64 s29, 0, v2
	s_mov_b32 s15, 0
	s_branch .LBB2_11243
.LBB2_11242:                            ;   in Loop: Header=BB2_11243 Depth=3
	s_wait_xcnt 0x0
	s_or_b32 exec_lo, exec_lo, s13
	v_add_nc_u32_e32 v102, v100, v102
	s_mov_b32 s29, 0
	s_and_not1_b32 exec_lo, exec_lo, s15
	s_cbranch_execz .LBB2_11315
.LBB2_11243:                            ;   Parent Loop BB2_47 Depth=1
                                        ;     Parent Loop BB2_11061 Depth=2
                                        ; =>    This Loop Header: Depth=3
                                        ;         Child Loop BB2_11249 Depth 4
                                        ;         Child Loop BB2_11277 Depth 4
	;; [unrolled: 1-line block ×3, first 2 shown]
	s_delay_alu instid0(VALU_DEP_1) | instskip(SKIP_2) | instid1(VALU_DEP_2)
	v_sub_nc_u32_e32 v2, v16, v102
	v_and_b32_e32 v8, 12, v106
	s_mov_b32 s42, exec_lo
	v_min_i32_e32 v100, v100, v2
	s_delay_alu instid0(VALU_DEP_2)
	v_cmpx_ne_u32_e32 0, v8
	s_cbranch_execz .LBB2_11269
; %bb.11244:                            ;   in Loop: Header=BB2_11243 Depth=3
	v_and_b32_e32 v2, 8, v106
	v_add_nc_u64_e32 v[8:9], 2, v[86:87]
	s_mov_b32 s43, exec_lo
	s_wait_loadcnt_dscnt 0x1
	s_delay_alu instid0(VALU_DEP_2) | instskip(NEXT) | instid1(VALU_DEP_1)
	v_add_nc_u64_e32 v[10:11], v[28:29], v[2:3]
	v_cmpx_lt_u64_e64 v[10:11], v[8:9]
	s_cbranch_execz .LBB2_11256
; %bb.11245:                            ;   in Loop: Header=BB2_11243 Depth=3
	v_and_b32_e32 v10, 64, v106
	s_mov_b32 s63, 0
	s_mov_b32 s75, 0
                                        ; implicit-def: $sgpr72
                                        ; implicit-def: $sgpr73
                                        ; implicit-def: $sgpr74
	s_delay_alu instid0(VALU_DEP_1)
	v_cmp_eq_u32_e32 vcc_lo, 0, v10
	s_branch .LBB2_11249
.LBB2_11246:                            ;   in Loop: Header=BB2_11249 Depth=4
	s_wait_loadcnt_dscnt 0x0
	v_add_nc_u64_e32 v[18:19], v[28:29], v[2:3]
	s_or_b32 s78, s78, exec_lo
	s_delay_alu instid0(VALU_DEP_1)
	v_cmp_ge_u64_e64 s13, v[18:19], v[8:9]
	s_or_not1_b32 s77, s13, exec_lo
.LBB2_11247:                            ;   in Loop: Header=BB2_11249 Depth=4
	s_or_b32 exec_lo, exec_lo, s88
	s_delay_alu instid0(SALU_CYCLE_1)
	s_and_not1_b32 s13, s74, exec_lo
	s_and_b32 s74, s78, exec_lo
	s_and_not1_b32 s73, s73, exec_lo
	s_and_b32 s77, s77, exec_lo
	s_or_b32 s74, s13, s74
	s_or_b32 s73, s73, s77
.LBB2_11248:                            ;   in Loop: Header=BB2_11249 Depth=4
	s_or_b32 exec_lo, exec_lo, s76
	s_delay_alu instid0(SALU_CYCLE_1) | instskip(NEXT) | instid1(SALU_CYCLE_1)
	s_and_b32 s13, exec_lo, s73
	s_or_b32 s63, s13, s63
	s_and_not1_b32 s13, s72, exec_lo
	s_and_b32 s72, s74, exec_lo
	s_delay_alu instid0(SALU_CYCLE_1)
	s_or_b32 s72, s13, s72
	s_and_not1_b32 exec_lo, exec_lo, s63
	s_cbranch_execz .LBB2_11253
.LBB2_11249:                            ;   Parent Loop BB2_47 Depth=1
                                        ;     Parent Loop BB2_11061 Depth=2
                                        ;       Parent Loop BB2_11243 Depth=3
                                        ; =>      This Inner Loop Header: Depth=4
	s_sleep 1
	s_wait_loadcnt_dscnt 0x0
	flat_load_b64 v[28:29], v[20:21] scope:SCOPE_SYS
	s_or_b32 s74, s74, exec_lo
	s_or_b32 s73, s73, exec_lo
                                        ; implicit-def: $vgpr10
	s_wait_xcnt 0x0
	s_and_saveexec_b32 s76, vcc_lo
	s_cbranch_execz .LBB2_11248
; %bb.11250:                            ;   in Loop: Header=BB2_11249 Depth=4
	s_cmp_lt_i32 s75, 0x270f
	s_mov_b32 s77, -1
	s_cselect_b32 s79, -1, 0
	s_cmp_gt_i32 s75, 0x270e
	s_cbranch_scc0 .LBB2_11252
; %bb.11251:                            ;   in Loop: Header=BB2_11249 Depth=4
	s_trap 2
	ds_load_b64 v[10:11], v0
	s_and_not1_b32 s75, s79, exec_lo
	s_mov_b32 s78, 0
	s_wait_storecnt 0x0
	s_wait_loadcnt_dscnt 0x0
	flat_load_b32 v10, v[10:11] scope:SCOPE_SYS
	s_wait_loadcnt_dscnt 0x0
	global_inv scope:SCOPE_SYS
	v_cmp_eq_u32_e64 s13, 0, v10
	s_and_b32 s13, s13, exec_lo
	s_delay_alu instid0(SALU_CYCLE_1)
	s_or_b32 s79, s75, s13
	s_mov_b32 s75, 0
	s_and_saveexec_b32 s88, s79
	s_cbranch_execz .LBB2_11247
	s_branch .LBB2_11246
.LBB2_11252:                            ;   in Loop: Header=BB2_11249 Depth=4
	s_add_co_i32 s75, s75, 1
	s_mov_b32 s78, -1
                                        ; implicit-def: $vgpr10
	s_and_saveexec_b32 s88, s79
	s_cbranch_execz .LBB2_11247
	s_branch .LBB2_11246
.LBB2_11253:                            ;   in Loop: Header=BB2_11243 Depth=3
	s_or_b32 exec_lo, exec_lo, s63
	s_xor_b32 s13, s72, -1
	s_delay_alu instid0(SALU_CYCLE_1) | instskip(NEXT) | instid1(SALU_CYCLE_1)
	s_and_saveexec_b32 s63, s13
	s_xor_b32 s13, exec_lo, s63
	s_cbranch_execz .LBB2_11255
; %bb.11254:                            ;   in Loop: Header=BB2_11243 Depth=3
	v_or_b32_e32 v106, 64, v106
	s_wait_storecnt 0x0
	s_wait_loadcnt_dscnt 0x0
	ds_store_b32 v0, v10
	s_trap 2
.LBB2_11255:                            ;   in Loop: Header=BB2_11243 Depth=3
	s_or_b32 exec_lo, exec_lo, s13
.LBB2_11256:                            ;   in Loop: Header=BB2_11243 Depth=3
	s_delay_alu instid0(SALU_CYCLE_1) | instskip(SKIP_2) | instid1(VALU_DEP_1)
	s_or_b32 exec_lo, exec_lo, s43
	v_and_b32_e32 v10, 0x108, v106
	;;#ASMSTART
	s_wakeup
	;;#ASMEND
	v_cmp_ne_u32_e32 vcc_lo, 0x108, v10
                                        ; implicit-def: $vgpr10_vgpr11
	s_and_saveexec_b32 s13, vcc_lo
	s_delay_alu instid0(SALU_CYCLE_1)
	s_xor_b32 s13, exec_lo, s13
; %bb.11257:                            ;   in Loop: Header=BB2_11243 Depth=3
	v_dual_mov_b32 v11, v3 :: v_dual_bitop2_b32 v10, 7, v86 bitop3:0x40
                                        ; implicit-def: $vgpr86_vgpr87
; %bb.11258:                            ;   in Loop: Header=BB2_11243 Depth=3
	s_and_not1_saveexec_b32 s13, s13
	s_cbranch_execz .LBB2_11260
; %bb.11259:                            ;   in Loop: Header=BB2_11243 Depth=3
	v_dual_ashrrev_i32 v101, 31, v100 :: v_dual_bitop2_b32 v10, 7, v86 bitop3:0x40
	v_mov_b32_e32 v11, v3
	s_delay_alu instid0(VALU_DEP_2)
	v_mad_nc_u64_u32 v[18:19], v10, 24, v[6:7]
	flat_store_b64 v[18:19], v[100:101] offset:8
.LBB2_11260:                            ;   in Loop: Header=BB2_11243 Depth=3
	s_wait_xcnt 0x0
	s_or_b32 exec_lo, exec_lo, s13
	v_and_b32_e32 v17, 0x100, v106
	s_mov_b32 s13, -1
	s_mov_b32 s43, exec_lo
                                        ; implicit-def: $vgpr86_vgpr87
	s_delay_alu instid0(VALU_DEP_1)
	v_cmpx_ne_u32_e32 0, v17
	s_cbranch_execz .LBB2_11264
; %bb.11261:                            ;   in Loop: Header=BB2_11243 Depth=3
	v_mad_nc_u64_u32 v[112:113], v10, 24, v[6:7]
	s_mov_b32 s63, exec_lo
                                        ; implicit-def: $vgpr86_vgpr87
	s_delay_alu instid0(VALU_DEP_1)
	v_mad_u32 v113, v11, 24, v113
	flat_load_b32 v17, v[112:113]
	s_wait_loadcnt_dscnt 0x0
	v_cmp_ne_u32_e32 vcc_lo, 1, v17
	s_wait_xcnt 0x0
	v_cmpx_eq_u32_e32 1, v17
	s_cbranch_execz .LBB2_11263
; %bb.11262:                            ;   in Loop: Header=BB2_11243 Depth=3
	flat_load_b32 v86, v[112:113] offset:4 scope:SCOPE_SYS
	s_wait_loadcnt_dscnt 0x0
	v_ashrrev_i32_e32 v87, 31, v86
.LBB2_11263:                            ;   in Loop: Header=BB2_11243 Depth=3
	s_wait_xcnt 0x0
	s_or_b32 exec_lo, exec_lo, s63
	s_delay_alu instid0(SALU_CYCLE_1)
	s_or_not1_b32 s13, vcc_lo, exec_lo
.LBB2_11264:                            ;   in Loop: Header=BB2_11243 Depth=3
	s_or_b32 exec_lo, exec_lo, s43
	s_and_saveexec_b32 s43, s13
; %bb.11265:                            ;   in Loop: Header=BB2_11243 Depth=3
	v_mul_u64_e32 v[86:87], v[10:11], v[22:23]
; %bb.11266:                            ;   in Loop: Header=BB2_11243 Depth=3
	s_or_b32 exec_lo, exec_lo, s43
	v_cmp_eq_u32_e32 vcc_lo, 0, v2
	s_delay_alu instid0(VALU_DEP_2) | instskip(SKIP_3) | instid1(VALU_DEP_1)
	v_add_nc_u64_e32 v[10:11], v[24:25], v[86:87]
	v_and_b32_e32 v17, 0x2000, v106
	s_mov_b32 s13, exec_lo
	v_cndmask_b32_e32 v2, 0xd0, v122, vcc_lo
	v_add_nc_u32_e32 v2, v0, v2
	ds_store_b64 v2, v[10:11] offset:584
	v_cmpx_ne_u32_e32 0, v17
	s_cbranch_execz .LBB2_11268
; %bb.11267:                            ;   in Loop: Header=BB2_11243 Depth=3
	ds_load_b64 v[10:11], v0 offset:872
	s_wait_dscnt 0x0
	v_add_nc_u64_e32 v[10:11], 1, v[10:11]
	ds_store_b64 v0, v[10:11] offset:872
.LBB2_11268:                            ;   in Loop: Header=BB2_11243 Depth=3
	s_or_b32 exec_lo, exec_lo, s13
	v_mov_b64_e32 v[86:87], v[8:9]
.LBB2_11269:                            ;   in Loop: Header=BB2_11243 Depth=3
	s_or_b32 exec_lo, exec_lo, s42
	s_xor_b32 s13, s29, -1
	s_delay_alu instid0(SALU_CYCLE_1) | instskip(NEXT) | instid1(SALU_CYCLE_1)
	s_and_b32 s13, exec_lo, s13
	s_or_b32 s15, s13, s15
	s_and_saveexec_b32 s13, s2
	s_cbranch_execz .LBB2_11288
; %bb.11270:                            ;   in Loop: Header=BB2_11243 Depth=3
	s_and_saveexec_b32 s29, s3
	s_delay_alu instid0(SALU_CYCLE_1)
	s_xor_b32 s29, exec_lo, s29
	s_cbranch_execz .LBB2_11285
; %bb.11271:                            ;   in Loop: Header=BB2_11243 Depth=3
	s_and_saveexec_b32 s42, s6
	s_cbranch_execz .LBB2_11284
; %bb.11272:                            ;   in Loop: Header=BB2_11243 Depth=3
	s_mov_b32 s63, exec_lo
	s_mov_b32 s43, exec_lo
	v_mbcnt_lo_u32_b32 v2, s63, 0
	global_wb scope:SCOPE_DEV
	s_wait_storecnt 0x0
	s_wait_loadcnt_dscnt 0x0
	global_inv scope:SCOPE_DEV
	v_cmpx_eq_u32_e32 0, v2
	s_cbranch_execz .LBB2_11274
; %bb.11273:                            ;   in Loop: Header=BB2_11243 Depth=3
	s_bcnt1_i32_b32 s63, s63
	s_delay_alu instid0(SALU_CYCLE_1)
	v_dual_mov_b32 v9, v3 :: v_dual_mov_b32 v8, s63
	s_wait_loadcnt 0x0
	ds_add_u64 v0, v[8:9]
	s_trap 2
.LBB2_11274:                            ;   in Loop: Header=BB2_11243 Depth=3
	s_or_b32 exec_lo, exec_lo, s43
	s_trap 2
	ds_load_b64 v[8:9], v0
	s_wait_dscnt 0x0
	v_add_nc_u64_e32 v[12:13], v[12:13], v[32:33]
	s_mov_b32 s43, exec_lo
	s_delay_alu instid0(VALU_DEP_1)
	v_cmpx_lt_u64_e64 v[8:9], v[12:13]
	s_cbranch_execz .LBB2_11283
; %bb.11275:                            ;   in Loop: Header=BB2_11243 Depth=3
	s_mov_b32 s63, 0
	s_mov_b32 s74, 0
                                        ; implicit-def: $sgpr72
                                        ; implicit-def: $sgpr73
	s_branch .LBB2_11277
.LBB2_11276:                            ;   in Loop: Header=BB2_11277 Depth=4
	s_or_b32 exec_lo, exec_lo, s76
	s_delay_alu instid0(SALU_CYCLE_1) | instskip(NEXT) | instid1(SALU_CYCLE_1)
	s_and_b32 s75, exec_lo, s77
	s_or_b32 s63, s75, s63
	s_and_not1_b32 s72, s72, exec_lo
	s_and_b32 s75, s73, exec_lo
	s_delay_alu instid0(SALU_CYCLE_1)
	s_or_b32 s72, s72, s75
	s_and_not1_b32 exec_lo, exec_lo, s63
	s_cbranch_execz .LBB2_11281
.LBB2_11277:                            ;   Parent Loop BB2_47 Depth=1
                                        ;     Parent Loop BB2_11061 Depth=2
                                        ;       Parent Loop BB2_11243 Depth=3
                                        ; =>      This Inner Loop Header: Depth=4
	s_add_co_i32 s74, s74, 1
	s_delay_alu instid0(SALU_CYCLE_1) | instskip(SKIP_1) | instid1(SALU_CYCLE_1)
	s_cmp_lg_u32 s74, 0x2710
	s_cselect_b32 s75, -1, 0
	s_and_b32 vcc_lo, exec_lo, s75
	s_cbranch_vccz .LBB2_11279
; %bb.11278:                            ;   in Loop: Header=BB2_11277 Depth=4
	s_mov_b32 s77, -1
	s_or_b32 s73, s73, exec_lo
	s_and_saveexec_b32 s76, s75
	s_cbranch_execz .LBB2_11276
	s_branch .LBB2_11280
.LBB2_11279:                            ;   in Loop: Header=BB2_11277 Depth=4
	s_trap 2
	ds_load_b64 v[8:9], v0
	s_and_not1_b32 s75, s75, exec_lo
	s_mov_b32 s74, 0
	s_wait_loadcnt_dscnt 0x0
	flat_load_b32 v2, v[8:9] scope:SCOPE_SYS
	s_wait_loadcnt_dscnt 0x0
	global_inv scope:SCOPE_SYS
	v_cmp_eq_u32_e32 vcc_lo, 0, v2
	s_and_b32 s76, vcc_lo, exec_lo
	s_delay_alu instid0(SALU_CYCLE_1)
	s_or_b32 s75, s75, s76
	s_mov_b32 s77, -1
	s_or_b32 s73, s73, exec_lo
	s_and_saveexec_b32 s76, s75
	s_cbranch_execz .LBB2_11276
.LBB2_11280:                            ;   in Loop: Header=BB2_11277 Depth=4
	s_sleep 1
	s_trap 2
	ds_load_b64 v[8:9], v0
	s_wait_dscnt 0x0
	s_and_not1_b32 s73, s73, exec_lo
	v_cmp_ge_u64_e32 vcc_lo, v[8:9], v[12:13]
	s_or_not1_b32 s77, vcc_lo, exec_lo
	s_branch .LBB2_11276
.LBB2_11281:                            ;   in Loop: Header=BB2_11243 Depth=3
	s_or_b32 exec_lo, exec_lo, s63
	s_and_saveexec_b32 s63, s72
	s_delay_alu instid0(SALU_CYCLE_1)
	s_xor_b32 s63, exec_lo, s63
	s_cbranch_execz .LBB2_11283
; %bb.11282:                            ;   in Loop: Header=BB2_11243 Depth=3
	ds_store_b32 v0, v110
	s_trap 2
.LBB2_11283:                            ;   in Loop: Header=BB2_11243 Depth=3
	s_or_b32 exec_lo, exec_lo, s43
	;;#ASMSTART
	s_wakeup
	;;#ASMEND
.LBB2_11284:                            ;   in Loop: Header=BB2_11243 Depth=3
	s_or_b32 exec_lo, exec_lo, s42
.LBB2_11285:                            ;   in Loop: Header=BB2_11243 Depth=3
	s_and_not1_saveexec_b32 s29, s29
	s_cbranch_execz .LBB2_11287
; %bb.11286:                            ;   in Loop: Header=BB2_11243 Depth=3
	global_wb scope:SCOPE_DEV
	s_wait_storecnt 0x0
	s_wait_loadcnt_dscnt 0x0
	global_inv scope:SCOPE_DEV
	s_barrier_signal -1
	s_barrier_wait -1
.LBB2_11287:                            ;   in Loop: Header=BB2_11243 Depth=3
	s_or_b32 exec_lo, exec_lo, s29
.LBB2_11288:                            ;   in Loop: Header=BB2_11243 Depth=3
	s_delay_alu instid0(SALU_CYCLE_1) | instskip(SKIP_2) | instid1(SALU_CYCLE_1)
	s_or_b32 exec_lo, exec_lo, s13
	v_and_b32_e32 v2, 16, v106
	s_and_saveexec_b32 s13, s12
	s_xor_b32 s29, exec_lo, s13
	s_cbranch_execz .LBB2_11292
; %bb.11289:                            ;   in Loop: Header=BB2_11243 Depth=3
	s_trap 2
	ds_load_b32 v2, v0
	v_cmp_lt_i32_e32 vcc_lo, 0, v100
	s_wait_dscnt 0x0
	v_readfirstlane_b32 s13, v2
	v_and_b32_e32 v2, 16, v106
	s_cmp_eq_u32 s13, 0
	s_delay_alu instid0(VALU_DEP_1) | instskip(SKIP_3) | instid1(SALU_CYCLE_1)
	v_cmp_ne_u32_e64 s13, 0, v2
	s_cselect_b32 s42, -1, 0
	v_and_b32_e32 v2, 16, v106
	s_and_b32 s42, vcc_lo, s42
	s_and_b32 s42, s13, s42
	s_delay_alu instid0(SALU_CYCLE_1)
	s_and_saveexec_b32 s13, s42
	s_cbranch_execz .LBB2_11291
; %bb.11290:                            ;   in Loop: Header=BB2_11243 Depth=3
	v_mov_b32_e32 v2, 1
	global_wb scope:SCOPE_SYS
	s_wait_loadcnt 0x0
	s_wait_storecnt 0x0
	global_inv scope:SCOPE_SYS
.LBB2_11291:                            ;   in Loop: Header=BB2_11243 Depth=3
	s_or_b32 exec_lo, exec_lo, s13
.LBB2_11292:                            ;   in Loop: Header=BB2_11243 Depth=3
	s_and_not1_saveexec_b32 s13, s29
	s_cbranch_execz .LBB2_11311
; %bb.11293:                            ;   in Loop: Header=BB2_11243 Depth=3
	s_and_saveexec_b32 s29, s3
	s_delay_alu instid0(SALU_CYCLE_1)
	s_xor_b32 s29, exec_lo, s29
	s_cbranch_execz .LBB2_11308
; %bb.11294:                            ;   in Loop: Header=BB2_11243 Depth=3
	s_and_saveexec_b32 s42, s6
	s_cbranch_execz .LBB2_11307
; %bb.11295:                            ;   in Loop: Header=BB2_11243 Depth=3
	s_mov_b32 s63, exec_lo
	s_mov_b32 s43, exec_lo
	v_mbcnt_lo_u32_b32 v8, s63, 0
	;;#ASMSTART
	s_waitcnt lgkmcnt(0) vmcnt(0)
	;;#ASMEND
	s_delay_alu instid0(VALU_DEP_1)
	v_cmpx_eq_u32_e32 0, v8
	s_cbranch_execz .LBB2_11297
; %bb.11296:                            ;   in Loop: Header=BB2_11243 Depth=3
	s_bcnt1_i32_b32 s63, s63
	s_delay_alu instid0(SALU_CYCLE_1)
	v_dual_mov_b32 v9, v3 :: v_dual_mov_b32 v8, s63
	s_wait_storecnt 0x0
	s_wait_loadcnt_dscnt 0x0
	ds_add_u64 v0, v[8:9]
	s_trap 2
.LBB2_11297:                            ;   in Loop: Header=BB2_11243 Depth=3
	s_or_b32 exec_lo, exec_lo, s43
	s_trap 2
	ds_load_b64 v[8:9], v0
	s_wait_dscnt 0x0
	v_add_nc_u64_e32 v[12:13], v[12:13], v[32:33]
	s_mov_b32 s43, exec_lo
	s_delay_alu instid0(VALU_DEP_1)
	v_cmpx_lt_u64_e64 v[8:9], v[12:13]
	s_cbranch_execz .LBB2_11306
; %bb.11298:                            ;   in Loop: Header=BB2_11243 Depth=3
	s_mov_b32 s63, 0
	s_mov_b32 s74, 0
                                        ; implicit-def: $sgpr72
                                        ; implicit-def: $sgpr73
	s_branch .LBB2_11300
.LBB2_11299:                            ;   in Loop: Header=BB2_11300 Depth=4
	s_or_b32 exec_lo, exec_lo, s76
	s_delay_alu instid0(SALU_CYCLE_1) | instskip(NEXT) | instid1(SALU_CYCLE_1)
	s_and_b32 s75, exec_lo, s77
	s_or_b32 s63, s75, s63
	s_and_not1_b32 s72, s72, exec_lo
	s_and_b32 s75, s73, exec_lo
	s_delay_alu instid0(SALU_CYCLE_1)
	s_or_b32 s72, s72, s75
	s_and_not1_b32 exec_lo, exec_lo, s63
	s_cbranch_execz .LBB2_11304
.LBB2_11300:                            ;   Parent Loop BB2_47 Depth=1
                                        ;     Parent Loop BB2_11061 Depth=2
                                        ;       Parent Loop BB2_11243 Depth=3
                                        ; =>      This Inner Loop Header: Depth=4
	s_add_co_i32 s74, s74, 1
	s_delay_alu instid0(SALU_CYCLE_1) | instskip(SKIP_1) | instid1(SALU_CYCLE_1)
	s_cmp_lg_u32 s74, 0x2710
	s_cselect_b32 s75, -1, 0
	s_and_b32 vcc_lo, exec_lo, s75
	s_cbranch_vccz .LBB2_11302
; %bb.11301:                            ;   in Loop: Header=BB2_11300 Depth=4
	s_mov_b32 s77, -1
	s_or_b32 s73, s73, exec_lo
	s_and_saveexec_b32 s76, s75
	s_cbranch_execz .LBB2_11299
	s_branch .LBB2_11303
.LBB2_11302:                            ;   in Loop: Header=BB2_11300 Depth=4
	s_trap 2
	ds_load_b64 v[8:9], v0
	s_and_not1_b32 s75, s75, exec_lo
	s_mov_b32 s74, 0
	s_wait_storecnt 0x0
	s_wait_loadcnt_dscnt 0x0
	flat_load_b32 v8, v[8:9] scope:SCOPE_SYS
	s_wait_loadcnt_dscnt 0x0
	global_inv scope:SCOPE_SYS
	v_cmp_eq_u32_e32 vcc_lo, 0, v8
	s_and_b32 s76, vcc_lo, exec_lo
	s_delay_alu instid0(SALU_CYCLE_1)
	s_or_b32 s75, s75, s76
	s_mov_b32 s77, -1
	s_or_b32 s73, s73, exec_lo
	s_and_saveexec_b32 s76, s75
	s_cbranch_execz .LBB2_11299
.LBB2_11303:                            ;   in Loop: Header=BB2_11300 Depth=4
	s_sleep 1
	s_trap 2
	ds_load_b64 v[8:9], v0
	s_wait_dscnt 0x0
	s_and_not1_b32 s73, s73, exec_lo
	v_cmp_ge_u64_e32 vcc_lo, v[8:9], v[12:13]
	s_or_not1_b32 s77, vcc_lo, exec_lo
	s_branch .LBB2_11299
.LBB2_11304:                            ;   in Loop: Header=BB2_11243 Depth=3
	s_or_b32 exec_lo, exec_lo, s63
	s_and_saveexec_b32 s63, s72
	s_delay_alu instid0(SALU_CYCLE_1)
	s_xor_b32 s63, exec_lo, s63
	s_cbranch_execz .LBB2_11306
; %bb.11305:                            ;   in Loop: Header=BB2_11243 Depth=3
	ds_store_b32 v0, v110
	s_trap 2
.LBB2_11306:                            ;   in Loop: Header=BB2_11243 Depth=3
	s_or_b32 exec_lo, exec_lo, s43
	;;#ASMSTART
	s_wakeup
	;;#ASMEND
.LBB2_11307:                            ;   in Loop: Header=BB2_11243 Depth=3
	s_or_b32 exec_lo, exec_lo, s42
.LBB2_11308:                            ;   in Loop: Header=BB2_11243 Depth=3
	s_and_not1_saveexec_b32 s29, s29
	s_cbranch_execz .LBB2_11310
; %bb.11309:                            ;   in Loop: Header=BB2_11243 Depth=3
	;;#ASMSTART
	s_waitcnt lgkmcnt(0) vmcnt(0)
	;;#ASMEND
	s_barrier_signal -1
	s_barrier_wait -1
.LBB2_11310:                            ;   in Loop: Header=BB2_11243 Depth=3
	s_or_b32 exec_lo, exec_lo, s29
.LBB2_11311:                            ;   in Loop: Header=BB2_11243 Depth=3
	s_delay_alu instid0(SALU_CYCLE_1) | instskip(SKIP_2) | instid1(SALU_CYCLE_1)
	s_or_b32 exec_lo, exec_lo, s13
	v_cmp_ne_u32_e32 vcc_lo, 0, v2
	s_xor_b32 s13, s4, -1
	s_and_b32 s29, vcc_lo, s13
	s_delay_alu instid0(SALU_CYCLE_1)
	s_and_saveexec_b32 s13, s29
	s_cbranch_execz .LBB2_11313
; %bb.11312:                            ;   in Loop: Header=BB2_11243 Depth=3
	global_wb scope:SCOPE_SYS
	s_wait_storecnt 0x0
	s_wait_loadcnt_dscnt 0x0
	flat_store_b32 v[26:27], v110 scope:SCOPE_SYS
.LBB2_11313:                            ;   in Loop: Header=BB2_11243 Depth=3
	s_wait_xcnt 0x0
	s_or_b32 exec_lo, exec_lo, s13
	v_and_b32_e32 v2, 48, v106
	s_mov_b32 s13, exec_lo
	s_delay_alu instid0(VALU_DEP_1)
	v_cmpx_ne_u32_e32 0, v2
	s_cbranch_execz .LBB2_11242
; %bb.11314:                            ;   in Loop: Header=BB2_11243 Depth=3
	v_add_nc_u64_e32 v[86:87], 2, v[86:87]
	global_wb scope:SCOPE_SYS
	s_wait_storecnt 0x0
	s_wait_loadcnt_dscnt 0x0
	flat_store_b64 v[20:21], v[86:87] scope:SCOPE_SYS
	s_branch .LBB2_11242
.LBB2_11315:                            ;   in Loop: Header=BB2_11061 Depth=2
	s_or_b32 exec_lo, exec_lo, s15
.LBB2_11316:                            ;   in Loop: Header=BB2_11061 Depth=2
	s_delay_alu instid0(SALU_CYCLE_1)
	s_or_b32 exec_lo, exec_lo, s14
	s_add_co_i32 s13, s18, 1
	s_cmp_eq_u32 s18, s59
	s_cbranch_scc1 .LBB2_11318
; %bb.11317:                            ;   in Loop: Header=BB2_11061 Depth=2
	s_mov_b32 s18, s13
	s_branch .LBB2_11061
.LBB2_11318:                            ;   in Loop: Header=BB2_47 Depth=1
	v_mul_u64_e32 v[10:11], s[40:41], v[84:85]
	s_delay_alu instid0(VALU_DEP_1) | instskip(NEXT) | instid1(VALU_DEP_1)
	v_sub_nc_u64_e32 v[8:9], v[96:97], v[10:11]
	v_min_i64 v[8:9], v[84:85], v[8:9]
	s_delay_alu instid0(VALU_DEP_1) | instskip(SKIP_1) | instid1(VALU_DEP_2)
	v_max_i32_e32 v2, 0, v8
	v_cmp_lt_i32_e32 vcc_lo, 0, v8
	v_dual_mov_b32 v8, 0 :: v_dual_add_nc_u32 v9, 31, v2
	s_and_b32 s13, s60, vcc_lo
	s_delay_alu instid0(VALU_DEP_1) | instskip(NEXT) | instid1(VALU_DEP_1)
	v_lshrrev_b32_e32 v9, 1, v9
	v_and_b32_e32 v16, 0x3ffffff0, v9
	s_delay_alu instid0(VALU_DEP_1)
	v_dual_mov_b32 v9, 0 :: v_dual_max_i32 v16, s56, v16
	s_and_saveexec_b32 s14, s13
	s_cbranch_execz .LBB2_11456
; %bb.11319:                            ;   in Loop: Header=BB2_47 Depth=1
	v_add_nc_u64_e32 v[10:11], v[10:11], v[98:99]
	v_mov_b32_e32 v8, 0
	s_mov_b32 s29, 1
	s_mov_b32 s18, -1
	s_mov_b32 s15, 0
	s_branch .LBB2_11321
.LBB2_11320:                            ;   in Loop: Header=BB2_11321 Depth=2
	s_wait_xcnt 0x0
	s_or_b32 exec_lo, exec_lo, s13
	v_dual_mov_b32 v9, s29 :: v_dual_add_nc_u32 v8, v16, v8
	s_xor_b32 s13, s18, -1
	s_mov_b32 s18, 0
	s_mov_b32 s29, 2
	s_delay_alu instid0(VALU_DEP_1) | instskip(SKIP_1) | instid1(SALU_CYCLE_1)
	v_cmp_ge_i32_e32 vcc_lo, v8, v2
	s_or_b32 s13, s13, vcc_lo
	s_and_b32 s13, exec_lo, s13
	s_delay_alu instid0(SALU_CYCLE_1) | instskip(NEXT) | instid1(SALU_CYCLE_1)
	s_or_b32 s15, s13, s15
	s_and_not1_b32 exec_lo, exec_lo, s15
	s_cbranch_execz .LBB2_11455
.LBB2_11321:                            ;   Parent Loop BB2_47 Depth=1
                                        ; =>  This Loop Header: Depth=2
                                        ;       Child Loop BB2_11329 Depth 3
                                        ;       Child Loop BB2_11353 Depth 3
                                        ;       Child Loop BB2_11372 Depth 3
                                        ;       Child Loop BB2_11398 Depth 3
                                        ;       Child Loop BB2_11403 Depth 3
                                        ;       Child Loop BB2_11409 Depth 3
                                        ;       Child Loop BB2_11414 Depth 3
                                        ;       Child Loop BB2_11423 Depth 3
                                        ;       Child Loop BB2_11442 Depth 3
	s_and_saveexec_b32 s13, s0
	s_cbranch_execz .LBB2_11323
; %bb.11322:                            ;   in Loop: Header=BB2_11321 Depth=2
	s_trap 2
	ds_load_b128 v[96:99], v0
	s_wait_dscnt 0x0
	v_add_nc_u64_e32 v[18:19], v[98:99], v[10:11]
	v_cmp_ne_u64_e32 vcc_lo, 0, v[98:99]
	v_ashrrev_i32_e32 v9, 31, v8
	v_add_nc_u64_e32 v[96:97], v[96:97], v[10:11]
	s_delay_alu instid0(VALU_DEP_2) | instskip(NEXT) | instid1(VALU_DEP_1)
	v_add_nc_u64_e32 v[18:19], v[18:19], v[8:9]
	v_cndmask_b32_e32 v19, 0, v19, vcc_lo
	s_delay_alu instid0(VALU_DEP_3) | instskip(NEXT) | instid1(VALU_DEP_3)
	v_add_nc_u64_e32 v[96:97], v[96:97], v[8:9]
	v_cndmask_b32_e32 v18, 0, v18, vcc_lo
	ds_store_b64 v0, v[96:97]
	ds_store_b64 v0, v[18:19]
.LBB2_11323:                            ;   in Loop: Header=BB2_11321 Depth=2
	s_or_b32 exec_lo, exec_lo, s13
	v_and_b32_e32 v9, 4, v106
	s_mov_b32 s42, exec_lo
	s_delay_alu instid0(VALU_DEP_1)
	v_cmpx_ne_u32_e32 0, v9
	s_cbranch_execz .LBB2_11345
; %bb.11324:                            ;   in Loop: Header=BB2_11321 Depth=2
	v_add_nc_u64_e32 v[96:97], 2, v[86:87]
	s_mov_b32 s43, exec_lo
	s_wait_loadcnt_dscnt 0x1
	s_delay_alu instid0(VALU_DEP_1)
	v_cmpx_lt_u64_e64 v[28:29], v[96:97]
	s_cbranch_execz .LBB2_11336
; %bb.11325:                            ;   in Loop: Header=BB2_11321 Depth=2
	v_and_b32_e32 v9, 64, v106
	s_mov_b32 s63, 0
	s_mov_b32 s75, 0
                                        ; implicit-def: $sgpr72
                                        ; implicit-def: $sgpr73
                                        ; implicit-def: $sgpr74
	s_delay_alu instid0(VALU_DEP_1)
	v_cmp_eq_u32_e32 vcc_lo, 0, v9
	s_branch .LBB2_11329
.LBB2_11326:                            ;   in Loop: Header=BB2_11329 Depth=3
	s_wait_loadcnt_dscnt 0x0
	v_cmp_ge_u64_e64 s13, v[28:29], v[96:97]
	s_or_b32 s78, s78, exec_lo
	s_or_not1_b32 s77, s13, exec_lo
.LBB2_11327:                            ;   in Loop: Header=BB2_11329 Depth=3
	s_or_b32 exec_lo, exec_lo, s88
	s_delay_alu instid0(SALU_CYCLE_1)
	s_and_not1_b32 s13, s74, exec_lo
	s_and_b32 s74, s78, exec_lo
	s_and_not1_b32 s73, s73, exec_lo
	s_and_b32 s77, s77, exec_lo
	s_or_b32 s74, s13, s74
	s_or_b32 s73, s73, s77
.LBB2_11328:                            ;   in Loop: Header=BB2_11329 Depth=3
	s_or_b32 exec_lo, exec_lo, s76
	s_delay_alu instid0(SALU_CYCLE_1) | instskip(NEXT) | instid1(SALU_CYCLE_1)
	s_and_b32 s13, exec_lo, s73
	s_or_b32 s63, s13, s63
	s_and_not1_b32 s13, s72, exec_lo
	s_and_b32 s72, s74, exec_lo
	s_delay_alu instid0(SALU_CYCLE_1)
	s_or_b32 s72, s13, s72
	s_and_not1_b32 exec_lo, exec_lo, s63
	s_cbranch_execz .LBB2_11333
.LBB2_11329:                            ;   Parent Loop BB2_47 Depth=1
                                        ;     Parent Loop BB2_11321 Depth=2
                                        ; =>    This Inner Loop Header: Depth=3
	s_sleep 1
	s_wait_loadcnt_dscnt 0x0
	flat_load_b64 v[28:29], v[20:21] scope:SCOPE_SYS
	s_or_b32 s74, s74, exec_lo
	s_or_b32 s73, s73, exec_lo
                                        ; implicit-def: $vgpr9
	s_wait_xcnt 0x0
	s_and_saveexec_b32 s76, vcc_lo
	s_cbranch_execz .LBB2_11328
; %bb.11330:                            ;   in Loop: Header=BB2_11329 Depth=3
	s_cmp_lt_i32 s75, 0x270f
	s_mov_b32 s77, -1
	s_cselect_b32 s79, -1, 0
	s_cmp_gt_i32 s75, 0x270e
	s_cbranch_scc0 .LBB2_11332
; %bb.11331:                            ;   in Loop: Header=BB2_11329 Depth=3
	s_trap 2
	ds_load_b64 v[18:19], v0
	s_and_not1_b32 s75, s79, exec_lo
	s_mov_b32 s78, 0
	s_wait_storecnt 0x0
	s_wait_loadcnt_dscnt 0x0
	flat_load_b32 v9, v[18:19] scope:SCOPE_SYS
	s_wait_loadcnt_dscnt 0x0
	global_inv scope:SCOPE_SYS
	v_cmp_eq_u32_e64 s13, 0, v9
	s_and_b32 s13, s13, exec_lo
	s_delay_alu instid0(SALU_CYCLE_1)
	s_or_b32 s79, s75, s13
	s_mov_b32 s75, 0
	s_and_saveexec_b32 s88, s79
	s_cbranch_execz .LBB2_11327
	s_branch .LBB2_11326
.LBB2_11332:                            ;   in Loop: Header=BB2_11329 Depth=3
	s_add_co_i32 s75, s75, 1
	s_mov_b32 s78, -1
                                        ; implicit-def: $vgpr9
	s_and_saveexec_b32 s88, s79
	s_cbranch_execz .LBB2_11327
	s_branch .LBB2_11326
.LBB2_11333:                            ;   in Loop: Header=BB2_11321 Depth=2
	s_or_b32 exec_lo, exec_lo, s63
	s_xor_b32 s13, s72, -1
	s_delay_alu instid0(SALU_CYCLE_1) | instskip(NEXT) | instid1(SALU_CYCLE_1)
	s_and_saveexec_b32 s63, s13
	s_xor_b32 s13, exec_lo, s63
	s_cbranch_execz .LBB2_11335
; %bb.11334:                            ;   in Loop: Header=BB2_11321 Depth=2
	v_or_b32_e32 v106, 64, v106
	s_wait_storecnt 0x0
	s_wait_loadcnt_dscnt 0x0
	ds_store_b32 v0, v9
	s_trap 2
.LBB2_11335:                            ;   in Loop: Header=BB2_11321 Depth=2
	s_or_b32 exec_lo, exec_lo, s13
.LBB2_11336:                            ;   in Loop: Header=BB2_11321 Depth=2
	s_delay_alu instid0(SALU_CYCLE_1)
	s_or_b32 exec_lo, exec_lo, s43
	v_and_b32_e32 v9, 0x100, v106
	v_dual_mov_b32 v87, v3 :: v_dual_bitop2_b32 v86, 7, v86 bitop3:0x40
	s_mov_b32 s13, -1
	s_mov_b32 s43, exec_lo
	;;#ASMSTART
	s_wakeup
	;;#ASMEND
                                        ; implicit-def: $vgpr98_vgpr99
	v_cmpx_ne_u32_e32 0, v9
	s_cbranch_execz .LBB2_11340
; %bb.11337:                            ;   in Loop: Header=BB2_11321 Depth=2
	v_mad_nc_u64_u32 v[100:101], v86, 24, v[6:7]
	s_mov_b32 s63, exec_lo
                                        ; implicit-def: $vgpr98_vgpr99
	flat_load_b32 v9, v[100:101]
	s_wait_loadcnt_dscnt 0x0
	v_cmp_ne_u32_e32 vcc_lo, 1, v9
	s_wait_xcnt 0x0
	v_cmpx_eq_u32_e32 1, v9
	s_cbranch_execz .LBB2_11339
; %bb.11338:                            ;   in Loop: Header=BB2_11321 Depth=2
	flat_load_b32 v98, v[100:101] offset:4 scope:SCOPE_SYS
	s_wait_loadcnt_dscnt 0x0
	v_ashrrev_i32_e32 v99, 31, v98
.LBB2_11339:                            ;   in Loop: Header=BB2_11321 Depth=2
	s_wait_xcnt 0x0
	s_or_b32 exec_lo, exec_lo, s63
	s_delay_alu instid0(SALU_CYCLE_1)
	s_or_not1_b32 s13, vcc_lo, exec_lo
.LBB2_11340:                            ;   in Loop: Header=BB2_11321 Depth=2
	s_or_b32 exec_lo, exec_lo, s43
	s_and_saveexec_b32 s43, s13
; %bb.11341:                            ;   in Loop: Header=BB2_11321 Depth=2
	v_mul_u64_e32 v[98:99], v[86:87], v[22:23]
; %bb.11342:                            ;   in Loop: Header=BB2_11321 Depth=2
	s_or_b32 exec_lo, exec_lo, s43
	s_delay_alu instid0(VALU_DEP_1)
	v_add_nc_u64_e32 v[18:19], v[24:25], v[98:99]
	v_and_b32_e32 v9, 0x2000, v106
	s_mov_b32 s13, exec_lo
	ds_store_b64 v0, v[18:19] offset:720
	v_cmpx_ne_u32_e32 0, v9
	s_cbranch_execz .LBB2_11344
; %bb.11343:                            ;   in Loop: Header=BB2_11321 Depth=2
	ds_load_b64 v[18:19], v0 offset:872
	s_wait_dscnt 0x0
	v_add_nc_u64_e32 v[18:19], 1, v[18:19]
	ds_store_b64 v0, v[18:19] offset:872
.LBB2_11344:                            ;   in Loop: Header=BB2_11321 Depth=2
	s_or_b32 exec_lo, exec_lo, s13
	v_mov_b64_e32 v[86:87], v[96:97]
.LBB2_11345:                            ;   in Loop: Header=BB2_11321 Depth=2
	s_or_b32 exec_lo, exec_lo, s42
	s_and_saveexec_b32 s13, s2
	s_cbranch_execz .LBB2_11364
; %bb.11346:                            ;   in Loop: Header=BB2_11321 Depth=2
	s_and_saveexec_b32 s42, s3
	s_delay_alu instid0(SALU_CYCLE_1)
	s_xor_b32 s42, exec_lo, s42
	s_cbranch_execz .LBB2_11361
; %bb.11347:                            ;   in Loop: Header=BB2_11321 Depth=2
	s_and_saveexec_b32 s43, s6
	s_cbranch_execz .LBB2_11360
; %bb.11348:                            ;   in Loop: Header=BB2_11321 Depth=2
	s_mov_b32 s72, exec_lo
	s_mov_b32 s63, exec_lo
	v_mbcnt_lo_u32_b32 v9, s72, 0
	global_wb scope:SCOPE_DEV
	s_wait_storecnt 0x0
	s_wait_loadcnt_dscnt 0x0
	global_inv scope:SCOPE_DEV
	v_cmpx_eq_u32_e32 0, v9
	s_cbranch_execz .LBB2_11350
; %bb.11349:                            ;   in Loop: Header=BB2_11321 Depth=2
	s_bcnt1_i32_b32 s72, s72
	s_delay_alu instid0(SALU_CYCLE_1)
	v_dual_mov_b32 v19, v3 :: v_dual_mov_b32 v18, s72
	s_wait_loadcnt 0x0
	ds_add_u64 v0, v[18:19]
	s_trap 2
.LBB2_11350:                            ;   in Loop: Header=BB2_11321 Depth=2
	s_or_b32 exec_lo, exec_lo, s63
	s_trap 2
	ds_load_b64 v[18:19], v0
	s_wait_dscnt 0x0
	v_add_nc_u64_e32 v[12:13], v[12:13], v[32:33]
	s_mov_b32 s63, exec_lo
	s_delay_alu instid0(VALU_DEP_1)
	v_cmpx_lt_u64_e64 v[18:19], v[12:13]
	s_cbranch_execz .LBB2_11359
; %bb.11351:                            ;   in Loop: Header=BB2_11321 Depth=2
	s_mov_b32 s72, 0
	s_mov_b32 s75, 0
                                        ; implicit-def: $sgpr73
                                        ; implicit-def: $sgpr74
	s_branch .LBB2_11353
.LBB2_11352:                            ;   in Loop: Header=BB2_11353 Depth=3
	s_or_b32 exec_lo, exec_lo, s77
	s_delay_alu instid0(SALU_CYCLE_1) | instskip(NEXT) | instid1(SALU_CYCLE_1)
	s_and_b32 s76, exec_lo, s78
	s_or_b32 s72, s76, s72
	s_and_not1_b32 s73, s73, exec_lo
	s_and_b32 s76, s74, exec_lo
	s_delay_alu instid0(SALU_CYCLE_1)
	s_or_b32 s73, s73, s76
	s_and_not1_b32 exec_lo, exec_lo, s72
	s_cbranch_execz .LBB2_11357
.LBB2_11353:                            ;   Parent Loop BB2_47 Depth=1
                                        ;     Parent Loop BB2_11321 Depth=2
                                        ; =>    This Inner Loop Header: Depth=3
	s_add_co_i32 s75, s75, 1
	s_delay_alu instid0(SALU_CYCLE_1) | instskip(SKIP_1) | instid1(SALU_CYCLE_1)
	s_cmp_lg_u32 s75, 0x2710
	s_cselect_b32 s76, -1, 0
	s_and_b32 vcc_lo, exec_lo, s76
	s_cbranch_vccz .LBB2_11355
; %bb.11354:                            ;   in Loop: Header=BB2_11353 Depth=3
	s_mov_b32 s78, -1
	s_or_b32 s74, s74, exec_lo
	s_and_saveexec_b32 s77, s76
	s_cbranch_execz .LBB2_11352
	s_branch .LBB2_11356
.LBB2_11355:                            ;   in Loop: Header=BB2_11353 Depth=3
	s_trap 2
	ds_load_b64 v[18:19], v0
	s_and_not1_b32 s76, s76, exec_lo
	s_mov_b32 s75, 0
	s_wait_loadcnt_dscnt 0x0
	flat_load_b32 v9, v[18:19] scope:SCOPE_SYS
	s_wait_loadcnt_dscnt 0x0
	global_inv scope:SCOPE_SYS
	v_cmp_eq_u32_e32 vcc_lo, 0, v9
	s_and_b32 s77, vcc_lo, exec_lo
	s_delay_alu instid0(SALU_CYCLE_1)
	s_or_b32 s76, s76, s77
	s_mov_b32 s78, -1
	s_or_b32 s74, s74, exec_lo
	s_and_saveexec_b32 s77, s76
	s_cbranch_execz .LBB2_11352
.LBB2_11356:                            ;   in Loop: Header=BB2_11353 Depth=3
	s_sleep 1
	s_trap 2
	ds_load_b64 v[18:19], v0
	s_wait_dscnt 0x0
	s_and_not1_b32 s74, s74, exec_lo
	v_cmp_ge_u64_e32 vcc_lo, v[18:19], v[12:13]
	s_or_not1_b32 s78, vcc_lo, exec_lo
	s_branch .LBB2_11352
.LBB2_11357:                            ;   in Loop: Header=BB2_11321 Depth=2
	s_or_b32 exec_lo, exec_lo, s72
	s_and_saveexec_b32 s72, s73
	s_delay_alu instid0(SALU_CYCLE_1)
	s_xor_b32 s72, exec_lo, s72
	s_cbranch_execz .LBB2_11359
; %bb.11358:                            ;   in Loop: Header=BB2_11321 Depth=2
	ds_store_b32 v0, v110
	s_trap 2
.LBB2_11359:                            ;   in Loop: Header=BB2_11321 Depth=2
	s_or_b32 exec_lo, exec_lo, s63
	;;#ASMSTART
	s_wakeup
	;;#ASMEND
.LBB2_11360:                            ;   in Loop: Header=BB2_11321 Depth=2
	s_or_b32 exec_lo, exec_lo, s43
.LBB2_11361:                            ;   in Loop: Header=BB2_11321 Depth=2
	s_and_not1_saveexec_b32 s42, s42
	s_cbranch_execz .LBB2_11363
; %bb.11362:                            ;   in Loop: Header=BB2_11321 Depth=2
	global_wb scope:SCOPE_DEV
	s_wait_storecnt 0x0
	s_wait_loadcnt_dscnt 0x0
	global_inv scope:SCOPE_DEV
	s_barrier_signal -1
	s_barrier_wait -1
.LBB2_11363:                            ;   in Loop: Header=BB2_11321 Depth=2
	s_or_b32 exec_lo, exec_lo, s42
.LBB2_11364:                            ;   in Loop: Header=BB2_11321 Depth=2
	s_delay_alu instid0(SALU_CYCLE_1) | instskip(SKIP_4) | instid1(VALU_DEP_1)
	s_or_b32 exec_lo, exec_lo, s13
	s_trap 2
	ds_load_b32 v9, v0
	v_and_b32_e32 v17, 0x4000, v106
	s_xor_b32 s13, s1, -1
	v_cmp_ne_u32_e32 vcc_lo, 0, v17
	s_and_b32 s42, s13, vcc_lo
	s_delay_alu instid0(SALU_CYCLE_1)
	s_and_saveexec_b32 s13, s42
	s_cbranch_execz .LBB2_11383
; %bb.11365:                            ;   in Loop: Header=BB2_11321 Depth=2
	s_and_saveexec_b32 s42, s3
	s_delay_alu instid0(SALU_CYCLE_1)
	s_xor_b32 s42, exec_lo, s42
	s_cbranch_execz .LBB2_11380
; %bb.11366:                            ;   in Loop: Header=BB2_11321 Depth=2
	s_and_saveexec_b32 s43, s6
	s_cbranch_execz .LBB2_11379
; %bb.11367:                            ;   in Loop: Header=BB2_11321 Depth=2
	s_mov_b32 s72, exec_lo
	s_mov_b32 s63, exec_lo
	v_mbcnt_lo_u32_b32 v17, s72, 0
	global_wb scope:SCOPE_DEV
	s_wait_storecnt 0x0
	s_wait_loadcnt_dscnt 0x0
	global_inv scope:SCOPE_DEV
	v_cmpx_eq_u32_e32 0, v17
	s_cbranch_execz .LBB2_11369
; %bb.11368:                            ;   in Loop: Header=BB2_11321 Depth=2
	s_bcnt1_i32_b32 s72, s72
	s_delay_alu instid0(SALU_CYCLE_1)
	v_dual_mov_b32 v19, v3 :: v_dual_mov_b32 v18, s72
	s_wait_loadcnt 0x0
	ds_add_u64 v0, v[18:19]
	s_trap 2
.LBB2_11369:                            ;   in Loop: Header=BB2_11321 Depth=2
	s_or_b32 exec_lo, exec_lo, s63
	s_trap 2
	ds_load_b64 v[18:19], v0
	s_wait_dscnt 0x0
	v_add_nc_u64_e32 v[12:13], v[12:13], v[32:33]
	s_mov_b32 s63, exec_lo
	s_delay_alu instid0(VALU_DEP_1)
	v_cmpx_lt_u64_e64 v[18:19], v[12:13]
	s_cbranch_execz .LBB2_11378
; %bb.11370:                            ;   in Loop: Header=BB2_11321 Depth=2
	s_mov_b32 s72, 0
	s_mov_b32 s75, 0
                                        ; implicit-def: $sgpr73
                                        ; implicit-def: $sgpr74
	s_branch .LBB2_11372
.LBB2_11371:                            ;   in Loop: Header=BB2_11372 Depth=3
	s_or_b32 exec_lo, exec_lo, s77
	s_delay_alu instid0(SALU_CYCLE_1) | instskip(NEXT) | instid1(SALU_CYCLE_1)
	s_and_b32 s76, exec_lo, s78
	s_or_b32 s72, s76, s72
	s_and_not1_b32 s73, s73, exec_lo
	s_and_b32 s76, s74, exec_lo
	s_delay_alu instid0(SALU_CYCLE_1)
	s_or_b32 s73, s73, s76
	s_and_not1_b32 exec_lo, exec_lo, s72
	s_cbranch_execz .LBB2_11376
.LBB2_11372:                            ;   Parent Loop BB2_47 Depth=1
                                        ;     Parent Loop BB2_11321 Depth=2
                                        ; =>    This Inner Loop Header: Depth=3
	s_add_co_i32 s75, s75, 1
	s_delay_alu instid0(SALU_CYCLE_1) | instskip(SKIP_1) | instid1(SALU_CYCLE_1)
	s_cmp_lg_u32 s75, 0x2710
	s_cselect_b32 s76, -1, 0
	s_and_b32 vcc_lo, exec_lo, s76
	s_cbranch_vccz .LBB2_11374
; %bb.11373:                            ;   in Loop: Header=BB2_11372 Depth=3
	s_mov_b32 s78, -1
	s_or_b32 s74, s74, exec_lo
	s_and_saveexec_b32 s77, s76
	s_cbranch_execz .LBB2_11371
	s_branch .LBB2_11375
.LBB2_11374:                            ;   in Loop: Header=BB2_11372 Depth=3
	s_trap 2
	ds_load_b64 v[18:19], v0
	s_and_not1_b32 s76, s76, exec_lo
	s_mov_b32 s75, 0
	s_wait_loadcnt_dscnt 0x0
	flat_load_b32 v17, v[18:19] scope:SCOPE_SYS
	s_wait_loadcnt_dscnt 0x0
	global_inv scope:SCOPE_SYS
	v_cmp_eq_u32_e32 vcc_lo, 0, v17
	s_and_b32 s77, vcc_lo, exec_lo
	s_delay_alu instid0(SALU_CYCLE_1)
	s_or_b32 s76, s76, s77
	s_mov_b32 s78, -1
	s_or_b32 s74, s74, exec_lo
	s_and_saveexec_b32 s77, s76
	s_cbranch_execz .LBB2_11371
.LBB2_11375:                            ;   in Loop: Header=BB2_11372 Depth=3
	s_sleep 1
	s_trap 2
	ds_load_b64 v[18:19], v0
	s_wait_dscnt 0x0
	s_and_not1_b32 s74, s74, exec_lo
	v_cmp_ge_u64_e32 vcc_lo, v[18:19], v[12:13]
	s_or_not1_b32 s78, vcc_lo, exec_lo
	s_branch .LBB2_11371
.LBB2_11376:                            ;   in Loop: Header=BB2_11321 Depth=2
	s_or_b32 exec_lo, exec_lo, s72
	s_and_saveexec_b32 s72, s73
	s_delay_alu instid0(SALU_CYCLE_1)
	s_xor_b32 s72, exec_lo, s72
	s_cbranch_execz .LBB2_11378
; %bb.11377:                            ;   in Loop: Header=BB2_11321 Depth=2
	ds_store_b32 v0, v110
	s_trap 2
.LBB2_11378:                            ;   in Loop: Header=BB2_11321 Depth=2
	s_or_b32 exec_lo, exec_lo, s63
	;;#ASMSTART
	s_wakeup
	;;#ASMEND
.LBB2_11379:                            ;   in Loop: Header=BB2_11321 Depth=2
	s_or_b32 exec_lo, exec_lo, s43
.LBB2_11380:                            ;   in Loop: Header=BB2_11321 Depth=2
	s_and_not1_saveexec_b32 s42, s42
	s_cbranch_execz .LBB2_11382
; %bb.11381:                            ;   in Loop: Header=BB2_11321 Depth=2
	global_wb scope:SCOPE_DEV
	s_wait_storecnt 0x0
	s_wait_loadcnt_dscnt 0x0
	global_inv scope:SCOPE_DEV
	s_barrier_signal -1
	s_barrier_wait -1
.LBB2_11382:                            ;   in Loop: Header=BB2_11321 Depth=2
	s_or_b32 exec_lo, exec_lo, s42
.LBB2_11383:                            ;   in Loop: Header=BB2_11321 Depth=2
	s_delay_alu instid0(SALU_CYCLE_1) | instskip(SKIP_3) | instid1(VALU_DEP_1)
	s_or_b32 exec_lo, exec_lo, s13
	s_trap 2
	ds_load_b64 v[96:97], v0
	v_sub_nc_u32_e32 v17, v2, v8
	v_min_i32_e32 v16, v16, v17
	s_wait_dscnt 0x0
	v_cmp_eq_u64_e32 vcc_lo, 0, v[96:97]
	s_cbranch_vccnz .LBB2_11391
; %bb.11384:                            ;   in Loop: Header=BB2_11321 Depth=2
	s_trap 2
	ds_load_b64 v[98:99], v0
	s_wait_dscnt 0x0
	v_cmp_eq_u64_e32 vcc_lo, 0, v[98:99]
	s_cbranch_vccnz .LBB2_11391
; %bb.11385:                            ;   in Loop: Header=BB2_11321 Depth=2
	s_mov_b32 s13, -1
	s_and_saveexec_b32 s42, s10
	s_cbranch_execz .LBB2_11387
; %bb.11386:                            ;   in Loop: Header=BB2_11321 Depth=2
	ds_load_b32 v17, v0 offset:720
	s_wait_dscnt 0x0
	v_and_b32_e32 v17, 15, v17
	s_delay_alu instid0(VALU_DEP_1)
	v_cmp_eq_u32_e32 vcc_lo, 0, v17
	s_or_not1_b32 s13, vcc_lo, exec_lo
.LBB2_11387:                            ;   in Loop: Header=BB2_11321 Depth=2
	s_or_b32 exec_lo, exec_lo, s42
	s_and_saveexec_b32 s42, s7
	s_cbranch_execz .LBB2_11389
; %bb.11388:                            ;   in Loop: Header=BB2_11321 Depth=2
	ds_load_b32 v17, v0 offset:784
	s_wait_dscnt 0x0
	v_and_b32_e32 v17, 15, v17
	s_delay_alu instid0(VALU_DEP_1) | instskip(SKIP_3) | instid1(SALU_CYCLE_1)
	v_cmp_eq_u32_e32 vcc_lo, 0, v17
	s_and_b32 s43, s13, vcc_lo
	s_and_not1_b32 s13, s13, exec_lo
	s_and_b32 s43, s43, exec_lo
	s_or_b32 s13, s13, s43
.LBB2_11389:                            ;   in Loop: Header=BB2_11321 Depth=2
	s_or_b32 exec_lo, exec_lo, s42
	v_cmp_eq_u32_e32 vcc_lo, 0, v9
	s_xor_b32 s13, s13, -1
	s_mov_b32 s43, -1
	v_cndmask_b32_e64 v17, 0, 1, s13
	v_dual_mov_b32 v102, v0 :: v_dual_cndmask_b32 v9, 0, v16
	s_delay_alu instid0(VALU_DEP_2) | instskip(NEXT) | instid1(VALU_DEP_2)
	v_cmp_ne_u32_e32 vcc_lo, 0, v17
	v_dual_mov_b32 v17, 0 :: v_dual_mov_b32 v30, v9
	s_cbranch_vccz .LBB2_11396
; %bb.11390:                            ;   in Loop: Header=BB2_11321 Depth=2
	s_and_saveexec_b32 s13, s43
	s_cbranch_execnz .LBB2_11407
	s_branch .LBB2_11415
.LBB2_11391:                            ;   in Loop: Header=BB2_11321 Depth=2
	s_mov_b32 s13, 0
	s_and_saveexec_b32 s42, s2
	s_cbranch_execnz .LBB2_11416
.LBB2_11392:                            ;   in Loop: Header=BB2_11321 Depth=2
	s_or_b32 exec_lo, exec_lo, s42
	s_and_saveexec_b32 s42, s12
	s_delay_alu instid0(SALU_CYCLE_1)
	s_xor_b32 s42, exec_lo, s42
	s_cbranch_execz .LBB2_11434
.LBB2_11393:                            ;   in Loop: Header=BB2_11321 Depth=2
	v_and_b32_e32 v9, 16, v106
	s_delay_alu instid0(VALU_DEP_1) | instskip(SKIP_1) | instid1(SALU_CYCLE_1)
	v_cmp_ne_u32_e32 vcc_lo, 0, v9
	s_and_b32 s43, vcc_lo, s13
	s_and_saveexec_b32 s13, s43
	s_cbranch_execz .LBB2_11395
; %bb.11394:                            ;   in Loop: Header=BB2_11321 Depth=2
	global_wb scope:SCOPE_SYS
	s_wait_storecnt 0x0
	s_wait_loadcnt_dscnt 0x0
	global_inv scope:SCOPE_SYS
.LBB2_11395:                            ;   in Loop: Header=BB2_11321 Depth=2
	s_or_b32 exec_lo, exec_lo, s13
	s_and_not1_saveexec_b32 s13, s42
	s_cbranch_execz .LBB2_11453
	s_branch .LBB2_11435
.LBB2_11396:                            ;   in Loop: Header=BB2_11321 Depth=2
	v_ashrrev_i32_e32 v17, 31, v9
	s_mov_b32 s13, exec_lo
	s_delay_alu instid0(VALU_DEP_1) | instskip(NEXT) | instid1(VALU_DEP_1)
	v_lshrrev_b32_e32 v17, 22, v17
	v_add_nc_u32_e32 v17, v9, v17
	s_delay_alu instid0(VALU_DEP_1) | instskip(NEXT) | instid1(VALU_DEP_1)
	v_ashrrev_i32_e32 v17, 10, v17
	v_sub_nc_u32_e32 v112, v17, v109
	s_delay_alu instid0(VALU_DEP_1)
	v_cmpx_lt_i32_e32 0, v112
	s_cbranch_execz .LBB2_11400
; %bb.11397:                            ;   in Loop: Header=BB2_11321 Depth=2
	v_mov_b64_e32 v[100:101], v[68:69]
	s_mov_b32 s42, 0
.LBB2_11398:                            ;   Parent Loop BB2_47 Depth=1
                                        ;     Parent Loop BB2_11321 Depth=2
                                        ; =>    This Inner Loop Header: Depth=3
	s_delay_alu instid0(VALU_DEP_1)
	v_add_nc_u64_e32 v[18:19], v[96:97], v[100:101]
	v_sub_nc_u32_e32 v112, v112, v32
	s_clause 0x1
	global_load_b128 v[114:117], v[18:19], off th:TH_LOAD_NT
	global_load_b128 v[40:43], v[18:19], off offset:512 th:TH_LOAD_NT
	s_wait_xcnt 0x0
	v_add_nc_u64_e32 v[18:19], v[98:99], v[100:101]
	v_cmp_gt_i32_e32 vcc_lo, 1, v112
	v_add_nc_u64_e32 v[100:101], v[100:101], v[50:51]
	s_wait_loadcnt 0x1
	global_store_b128 v[18:19], v[114:117], off th:TH_STORE_NT
	s_wait_loadcnt 0x0
	global_store_b128 v[18:19], v[40:43], off offset:512 th:TH_STORE_NT
	s_or_b32 s42, vcc_lo, s42
	s_wait_xcnt 0x0
	s_and_not1_b32 exec_lo, exec_lo, s42
	s_cbranch_execnz .LBB2_11398
; %bb.11399:                            ;   in Loop: Header=BB2_11321 Depth=2
	s_or_b32 exec_lo, exec_lo, s42
.LBB2_11400:                            ;   in Loop: Header=BB2_11321 Depth=2
	s_delay_alu instid0(SALU_CYCLE_1) | instskip(SKIP_3) | instid1(VALU_DEP_1)
	s_or_b32 exec_lo, exec_lo, s13
	v_dual_lshlrev_b32 v103, 10, v17 :: v_dual_mov_b32 v17, 0
	s_mov_b32 s43, 0
	s_mov_b32 s42, exec_lo
                                        ; implicit-def: $vgpr30
                                        ; implicit-def: $vgpr102
	v_cmpx_ne_u32_e64 v9, v103
	s_cbranch_execz .LBB2_11406
; %bb.11401:                            ;   in Loop: Header=BB2_11321 Depth=2
	v_dual_lshlrev_b32 v17, 5, v112 :: v_dual_sub_nc_u32 v19, v9, v103
	s_mov_b32 s43, exec_lo
	s_delay_alu instid0(VALU_DEP_1) | instskip(NEXT) | instid1(VALU_DEP_1)
	v_dual_sub_nc_u32 v17, v108, v17 :: v_dual_ashrrev_i32 v30, 31, v19
	v_dual_ashrrev_i32 v18, 31, v17 :: v_dual_lshrrev_b32 v30, 23, v30
	s_delay_alu instid0(VALU_DEP_1) | instskip(NEXT) | instid1(VALU_DEP_2)
	v_lshrrev_b32_e32 v18, 27, v18
	v_add_nc_u32_e32 v101, v19, v30
	s_delay_alu instid0(VALU_DEP_2) | instskip(NEXT) | instid1(VALU_DEP_1)
	v_add_nc_u32_e32 v18, v17, v18
	v_and_b32_e32 v100, 0xffffffe0, v18
	s_delay_alu instid0(VALU_DEP_1) | instskip(NEXT) | instid1(VALU_DEP_4)
	v_sub_nc_u32_e32 v102, v17, v100
	v_and_b32_e32 v17, 0xfffffe00, v101
	v_ashrrev_i32_e32 v18, 5, v18
	s_delay_alu instid0(VALU_DEP_2) | instskip(SKIP_1) | instid1(VALU_DEP_2)
	v_dual_lshlrev_b32 v100, 4, v102 :: v_dual_sub_nc_u32 v30, v19, v17
	v_ashrrev_i32_e32 v101, 9, v101
	v_lshl_add_u32 v100, v18, 9, v100
	s_delay_alu instid0(VALU_DEP_3) | instskip(NEXT) | instid1(VALU_DEP_2)
	v_cmp_lt_i32_e32 vcc_lo, 15, v30
	v_sub_nc_u32_e32 v113, v19, v100
	s_delay_alu instid0(VALU_DEP_4) | instskip(NEXT) | instid1(VALU_DEP_1)
	v_add_co_ci_u32_e64 v101, null, 0, v101, vcc_lo
	v_sub_nc_u32_e32 v112, v101, v18
	s_delay_alu instid0(VALU_DEP_3)
	v_cmpx_lt_i32_e32 15, v113
	s_cbranch_execz .LBB2_11405
; %bb.11402:                            ;   in Loop: Header=BB2_11321 Depth=2
	v_add_nc_u32_e32 v100, v100, v103
	s_mov_b32 s63, 0
	s_delay_alu instid0(VALU_DEP_1)
	v_ashrrev_i32_e32 v101, 31, v100
.LBB2_11403:                            ;   Parent Loop BB2_47 Depth=1
                                        ;     Parent Loop BB2_11321 Depth=2
                                        ; =>    This Inner Loop Header: Depth=3
	s_delay_alu instid0(VALU_DEP_1) | instskip(SKIP_2) | instid1(VALU_DEP_2)
	v_add_nc_u64_e32 v[18:19], v[96:97], v[100:101]
	v_sub_nc_u32_e32 v113, v113, v52
	v_sub_nc_u32_e32 v112, v112, v32
	v_cmp_gt_i32_e64 s13, 16, v113
	global_load_b128 v[114:117], v[18:19], off th:TH_LOAD_NT
	s_wait_xcnt 0x0
	v_add_nc_u64_e32 v[18:19], v[98:99], v[100:101]
	v_add_nc_u64_e32 v[100:101], v[100:101], v[52:53]
	s_or_b32 s63, s13, s63
	s_wait_loadcnt 0x0
	global_store_b128 v[18:19], v[114:117], off th:TH_STORE_NT
	s_wait_xcnt 0x0
	s_and_not1_b32 exec_lo, exec_lo, s63
	s_cbranch_execnz .LBB2_11403
; %bb.11404:                            ;   in Loop: Header=BB2_11321 Depth=2
	s_or_b32 exec_lo, exec_lo, s63
.LBB2_11405:                            ;   in Loop: Header=BB2_11321 Depth=2
	s_delay_alu instid0(SALU_CYCLE_1) | instskip(NEXT) | instid1(VALU_DEP_2)
	s_or_b32 exec_lo, exec_lo, s43
	v_cmp_lt_i32_e64 s13, 0, v112
	s_delay_alu instid0(VALU_DEP_1) | instskip(NEXT) | instid1(VALU_DEP_1)
	v_dual_cndmask_b32 v100, 0, v32, s13 :: v_dual_bitop2_b32 v18, 15, v9 bitop3:0x40
	v_dual_cndmask_b32 v30, v30, v18 :: v_dual_sub_nc_u32 v19, v30, v18
	s_delay_alu instid0(VALU_DEP_1) | instskip(NEXT) | instid1(VALU_DEP_2)
	v_dual_cndmask_b32 v18, 0, v19 :: v_dual_sub_nc_u32 v19, v100, v112
	v_cmp_ne_u32_e32 vcc_lo, 0, v30
	s_delay_alu instid0(VALU_DEP_2) | instskip(NEXT) | instid1(VALU_DEP_3)
	v_add3_u32 v17, v17, v103, v18
	v_lshl_add_u32 v102, v19, 5, v102
	s_and_b32 s43, vcc_lo, exec_lo
.LBB2_11406:                            ;   in Loop: Header=BB2_11321 Depth=2
	s_or_b32 exec_lo, exec_lo, s42
	s_and_saveexec_b32 s13, s43
	s_cbranch_execz .LBB2_11415
.LBB2_11407:                            ;   in Loop: Header=BB2_11321 Depth=2
	v_ashrrev_i32_e32 v19, 31, v30
	v_ashrrev_i32_e32 v18, 31, v102
	s_mov_b32 s42, exec_lo
	s_delay_alu instid0(VALU_DEP_1) | instskip(NEXT) | instid1(VALU_DEP_1)
	v_dual_lshrrev_b32 v19, 24, v19 :: v_dual_lshrrev_b32 v18, 27, v18
	v_add_nc_u32_e32 v100, v102, v18
	s_delay_alu instid0(VALU_DEP_2) | instskip(NEXT) | instid1(VALU_DEP_1)
	v_add_nc_u32_e32 v18, v30, v19
	v_dual_ashrrev_i32 v113, 8, v18 :: v_dual_ashrrev_i32 v103, 5, v100
	s_delay_alu instid0(VALU_DEP_1) | instskip(NEXT) | instid1(VALU_DEP_1)
	v_sub_nc_u32_e32 v112, v113, v103
	v_cmpx_lt_i32_e32 0, v112
	s_cbranch_execz .LBB2_11411
; %bb.11408:                            ;   in Loop: Header=BB2_11321 Depth=2
	v_and_b32_e32 v18, 0xffffffe0, v100
	s_mov_b32 s43, 0
	s_delay_alu instid0(VALU_DEP_1) | instskip(NEXT) | instid1(VALU_DEP_1)
	v_dual_lshlrev_b32 v19, 8, v103 :: v_dual_sub_nc_u32 v18, v102, v18
	v_add3_u32 v100, v17, v18, v19
	s_delay_alu instid0(VALU_DEP_1)
	v_ashrrev_i32_e32 v101, 31, v100
.LBB2_11409:                            ;   Parent Loop BB2_47 Depth=1
                                        ;     Parent Loop BB2_11321 Depth=2
                                        ; =>    This Inner Loop Header: Depth=3
	s_delay_alu instid0(VALU_DEP_1)
	v_add_nc_u64_e32 v[18:19], v[100:101], v[96:97]
	v_sub_nc_u32_e32 v112, v112, v32
	v_add_nc_u64_e32 v[96:97], v[96:97], v[54:55]
	s_clause 0x7
	flat_load_u8 v114, v[18:19] th:TH_LOAD_NT
	flat_load_u8 v115, v[18:19] offset:32 th:TH_LOAD_NT
	flat_load_u8 v116, v[18:19] offset:64 th:TH_LOAD_NT
	flat_load_u8 v117, v[18:19] offset:96 th:TH_LOAD_NT
	flat_load_u8 v118, v[18:19] offset:128 th:TH_LOAD_NT
	flat_load_u8 v119, v[18:19] offset:160 th:TH_LOAD_NT
	flat_load_u8 v40, v[18:19] offset:192 th:TH_LOAD_NT
	flat_load_u8 v41, v[18:19] offset:224 th:TH_LOAD_NT
	s_wait_xcnt 0x0
	v_add_nc_u64_e32 v[18:19], v[100:101], v[98:99]
	v_add_nc_u64_e32 v[98:99], v[98:99], v[54:55]
	v_cmp_gt_i32_e32 vcc_lo, 1, v112
	s_wait_loadcnt_dscnt 0x707
	flat_store_b8 v[18:19], v114 th:TH_STORE_NT
	s_wait_loadcnt_dscnt 0x607
	flat_store_b8 v[18:19], v115 offset:32 th:TH_STORE_NT
	s_wait_loadcnt_dscnt 0x507
	flat_store_b8 v[18:19], v116 offset:64 th:TH_STORE_NT
	;; [unrolled: 2-line block ×7, first 2 shown]
	s_or_b32 s43, vcc_lo, s43
	s_wait_xcnt 0x0
	s_and_not1_b32 exec_lo, exec_lo, s43
	s_cbranch_execnz .LBB2_11409
; %bb.11410:                            ;   in Loop: Header=BB2_11321 Depth=2
	s_or_b32 exec_lo, exec_lo, s43
.LBB2_11411:                            ;   in Loop: Header=BB2_11321 Depth=2
	s_delay_alu instid0(SALU_CYCLE_1) | instskip(SKIP_1) | instid1(VALU_DEP_1)
	s_or_b32 exec_lo, exec_lo, s42
	v_lshlrev_b32_e32 v96, 8, v113
	v_cmp_ne_u32_e32 vcc_lo, v30, v96
	s_and_b32 exec_lo, exec_lo, vcc_lo
	s_cbranch_execz .LBB2_11415
; %bb.11412:                            ;   in Loop: Header=BB2_11321 Depth=2
	v_dual_lshlrev_b32 v18, 5, v103 :: v_dual_lshlrev_b32 v19, 5, v112
	s_delay_alu instid0(VALU_DEP_1) | instskip(NEXT) | instid1(VALU_DEP_1)
	v_sub_nc_u32_e32 v18, v102, v18
	v_sub_nc_u32_e32 v18, v18, v19
	s_delay_alu instid0(VALU_DEP_1) | instskip(NEXT) | instid1(VALU_DEP_1)
	v_add_nc_u32_e32 v98, v96, v18
	v_sub_nc_u32_e32 v30, v30, v98
	s_delay_alu instid0(VALU_DEP_1)
	v_cmp_lt_i32_e32 vcc_lo, 0, v30
	s_and_b32 exec_lo, exec_lo, vcc_lo
	s_cbranch_execz .LBB2_11415
; %bb.11413:                            ;   in Loop: Header=BB2_11321 Depth=2
	s_trap 2
	ds_load_b64 v[96:97], v0
	v_add_nc_u32_e32 v98, v98, v17
	s_mov_b32 s42, 0
	s_delay_alu instid0(VALU_DEP_1)
	v_ashrrev_i32_e32 v99, 31, v98
.LBB2_11414:                            ;   Parent Loop BB2_47 Depth=1
                                        ;     Parent Loop BB2_11321 Depth=2
                                        ; =>    This Inner Loop Header: Depth=3
	s_wait_dscnt 0x0
	s_delay_alu instid0(VALU_DEP_1) | instskip(SKIP_2) | instid1(VALU_DEP_2)
	v_add_nc_u64_e32 v[18:19], v[96:97], v[98:99]
	v_sub_nc_u32_e32 v30, v30, v34
	v_add_nc_u64_e32 v[98:99], v[98:99], v[34:35]
	v_cmp_gt_i32_e32 vcc_lo, 1, v30
	flat_load_u8 v17, v[18:19] th:TH_LOAD_NT
	s_or_b32 s42, vcc_lo, s42
	s_wait_loadcnt_dscnt 0x0
	flat_store_b8 v[18:19], v17 th:TH_STORE_NT
	s_wait_xcnt 0x0
	s_and_not1_b32 exec_lo, exec_lo, s42
	s_cbranch_execnz .LBB2_11414
.LBB2_11415:                            ;   in Loop: Header=BB2_11321 Depth=2
	s_or_b32 exec_lo, exec_lo, s13
	v_cmp_lt_i32_e64 s13, 0, v9
	s_and_saveexec_b32 s42, s2
	s_cbranch_execz .LBB2_11392
.LBB2_11416:                            ;   in Loop: Header=BB2_11321 Depth=2
	s_and_saveexec_b32 s43, s3
	s_delay_alu instid0(SALU_CYCLE_1)
	s_xor_b32 s43, exec_lo, s43
	s_cbranch_execz .LBB2_11431
; %bb.11417:                            ;   in Loop: Header=BB2_11321 Depth=2
	s_and_saveexec_b32 s63, s6
	s_cbranch_execz .LBB2_11430
; %bb.11418:                            ;   in Loop: Header=BB2_11321 Depth=2
	s_mov_b32 s73, exec_lo
	s_mov_b32 s72, exec_lo
	v_mbcnt_lo_u32_b32 v9, s73, 0
	global_wb scope:SCOPE_DEV
	s_wait_storecnt 0x0
	s_wait_loadcnt_dscnt 0x0
	global_inv scope:SCOPE_DEV
	v_cmpx_eq_u32_e32 0, v9
	s_cbranch_execz .LBB2_11420
; %bb.11419:                            ;   in Loop: Header=BB2_11321 Depth=2
	s_bcnt1_i32_b32 s73, s73
	s_delay_alu instid0(SALU_CYCLE_1)
	v_dual_mov_b32 v19, v3 :: v_dual_mov_b32 v18, s73
	s_wait_loadcnt 0x0
	ds_add_u64 v0, v[18:19]
	s_trap 2
.LBB2_11420:                            ;   in Loop: Header=BB2_11321 Depth=2
	s_or_b32 exec_lo, exec_lo, s72
	s_trap 2
	ds_load_b64 v[18:19], v0
	s_wait_dscnt 0x0
	v_add_nc_u64_e32 v[12:13], v[12:13], v[32:33]
	s_mov_b32 s72, exec_lo
	s_delay_alu instid0(VALU_DEP_1)
	v_cmpx_lt_u64_e64 v[18:19], v[12:13]
	s_cbranch_execz .LBB2_11429
; %bb.11421:                            ;   in Loop: Header=BB2_11321 Depth=2
	s_mov_b32 s73, 0
	s_mov_b32 s76, 0
                                        ; implicit-def: $sgpr74
                                        ; implicit-def: $sgpr75
	s_branch .LBB2_11423
.LBB2_11422:                            ;   in Loop: Header=BB2_11423 Depth=3
	s_or_b32 exec_lo, exec_lo, s78
	s_delay_alu instid0(SALU_CYCLE_1) | instskip(NEXT) | instid1(SALU_CYCLE_1)
	s_and_b32 s77, exec_lo, s79
	s_or_b32 s73, s77, s73
	s_and_not1_b32 s74, s74, exec_lo
	s_and_b32 s77, s75, exec_lo
	s_delay_alu instid0(SALU_CYCLE_1)
	s_or_b32 s74, s74, s77
	s_and_not1_b32 exec_lo, exec_lo, s73
	s_cbranch_execz .LBB2_11427
.LBB2_11423:                            ;   Parent Loop BB2_47 Depth=1
                                        ;     Parent Loop BB2_11321 Depth=2
                                        ; =>    This Inner Loop Header: Depth=3
	s_add_co_i32 s76, s76, 1
	s_delay_alu instid0(SALU_CYCLE_1) | instskip(SKIP_1) | instid1(SALU_CYCLE_1)
	s_cmp_lg_u32 s76, 0x2710
	s_cselect_b32 s77, -1, 0
	s_and_b32 vcc_lo, exec_lo, s77
	s_cbranch_vccz .LBB2_11425
; %bb.11424:                            ;   in Loop: Header=BB2_11423 Depth=3
	s_mov_b32 s79, -1
	s_or_b32 s75, s75, exec_lo
	s_and_saveexec_b32 s78, s77
	s_cbranch_execz .LBB2_11422
	s_branch .LBB2_11426
.LBB2_11425:                            ;   in Loop: Header=BB2_11423 Depth=3
	s_trap 2
	ds_load_b64 v[18:19], v0
	s_and_not1_b32 s77, s77, exec_lo
	s_mov_b32 s76, 0
	s_wait_loadcnt_dscnt 0x0
	flat_load_b32 v9, v[18:19] scope:SCOPE_SYS
	s_wait_loadcnt_dscnt 0x0
	global_inv scope:SCOPE_SYS
	v_cmp_eq_u32_e32 vcc_lo, 0, v9
	s_and_b32 s78, vcc_lo, exec_lo
	s_delay_alu instid0(SALU_CYCLE_1)
	s_or_b32 s77, s77, s78
	s_mov_b32 s79, -1
	s_or_b32 s75, s75, exec_lo
	s_and_saveexec_b32 s78, s77
	s_cbranch_execz .LBB2_11422
.LBB2_11426:                            ;   in Loop: Header=BB2_11423 Depth=3
	s_sleep 1
	s_trap 2
	ds_load_b64 v[18:19], v0
	s_wait_dscnt 0x0
	s_and_not1_b32 s75, s75, exec_lo
	v_cmp_ge_u64_e32 vcc_lo, v[18:19], v[12:13]
	s_or_not1_b32 s79, vcc_lo, exec_lo
	s_branch .LBB2_11422
.LBB2_11427:                            ;   in Loop: Header=BB2_11321 Depth=2
	s_or_b32 exec_lo, exec_lo, s73
	s_and_saveexec_b32 s73, s74
	s_delay_alu instid0(SALU_CYCLE_1)
	s_xor_b32 s73, exec_lo, s73
	s_cbranch_execz .LBB2_11429
; %bb.11428:                            ;   in Loop: Header=BB2_11321 Depth=2
	ds_store_b32 v0, v110
	s_trap 2
.LBB2_11429:                            ;   in Loop: Header=BB2_11321 Depth=2
	s_or_b32 exec_lo, exec_lo, s72
	;;#ASMSTART
	s_wakeup
	;;#ASMEND
.LBB2_11430:                            ;   in Loop: Header=BB2_11321 Depth=2
	s_or_b32 exec_lo, exec_lo, s63
.LBB2_11431:                            ;   in Loop: Header=BB2_11321 Depth=2
	s_and_not1_saveexec_b32 s43, s43
	s_cbranch_execz .LBB2_11433
; %bb.11432:                            ;   in Loop: Header=BB2_11321 Depth=2
	global_wb scope:SCOPE_DEV
	s_wait_storecnt 0x0
	s_wait_loadcnt_dscnt 0x0
	global_inv scope:SCOPE_DEV
	s_barrier_signal -1
	s_barrier_wait -1
.LBB2_11433:                            ;   in Loop: Header=BB2_11321 Depth=2
	s_or_b32 exec_lo, exec_lo, s43
	s_delay_alu instid0(SALU_CYCLE_1) | instskip(SKIP_1) | instid1(SALU_CYCLE_1)
	s_or_b32 exec_lo, exec_lo, s42
	s_and_saveexec_b32 s42, s12
	s_xor_b32 s42, exec_lo, s42
	s_cbranch_execnz .LBB2_11393
.LBB2_11434:                            ;   in Loop: Header=BB2_11321 Depth=2
	s_and_not1_saveexec_b32 s13, s42
	s_cbranch_execz .LBB2_11453
.LBB2_11435:                            ;   in Loop: Header=BB2_11321 Depth=2
	s_and_saveexec_b32 s42, s3
	s_delay_alu instid0(SALU_CYCLE_1)
	s_xor_b32 s42, exec_lo, s42
	s_cbranch_execz .LBB2_11450
; %bb.11436:                            ;   in Loop: Header=BB2_11321 Depth=2
	s_and_saveexec_b32 s43, s6
	s_cbranch_execz .LBB2_11449
; %bb.11437:                            ;   in Loop: Header=BB2_11321 Depth=2
	s_mov_b32 s72, exec_lo
	s_mov_b32 s63, exec_lo
	v_mbcnt_lo_u32_b32 v9, s72, 0
	;;#ASMSTART
	s_waitcnt lgkmcnt(0) vmcnt(0)
	;;#ASMEND
	s_delay_alu instid0(VALU_DEP_1)
	v_cmpx_eq_u32_e32 0, v9
	s_cbranch_execz .LBB2_11439
; %bb.11438:                            ;   in Loop: Header=BB2_11321 Depth=2
	s_bcnt1_i32_b32 s72, s72
	s_delay_alu instid0(SALU_CYCLE_1)
	v_dual_mov_b32 v19, v3 :: v_dual_mov_b32 v18, s72
	s_wait_storecnt 0x0
	s_wait_loadcnt_dscnt 0x0
	ds_add_u64 v0, v[18:19]
	s_trap 2
.LBB2_11439:                            ;   in Loop: Header=BB2_11321 Depth=2
	s_or_b32 exec_lo, exec_lo, s63
	s_trap 2
	ds_load_b64 v[18:19], v0
	s_wait_dscnt 0x0
	v_add_nc_u64_e32 v[12:13], v[12:13], v[32:33]
	s_mov_b32 s63, exec_lo
	s_delay_alu instid0(VALU_DEP_1)
	v_cmpx_lt_u64_e64 v[18:19], v[12:13]
	s_cbranch_execz .LBB2_11448
; %bb.11440:                            ;   in Loop: Header=BB2_11321 Depth=2
	s_mov_b32 s72, 0
	s_mov_b32 s75, 0
                                        ; implicit-def: $sgpr73
                                        ; implicit-def: $sgpr74
	s_branch .LBB2_11442
.LBB2_11441:                            ;   in Loop: Header=BB2_11442 Depth=3
	s_or_b32 exec_lo, exec_lo, s77
	s_delay_alu instid0(SALU_CYCLE_1) | instskip(NEXT) | instid1(SALU_CYCLE_1)
	s_and_b32 s76, exec_lo, s78
	s_or_b32 s72, s76, s72
	s_and_not1_b32 s73, s73, exec_lo
	s_and_b32 s76, s74, exec_lo
	s_delay_alu instid0(SALU_CYCLE_1)
	s_or_b32 s73, s73, s76
	s_and_not1_b32 exec_lo, exec_lo, s72
	s_cbranch_execz .LBB2_11446
.LBB2_11442:                            ;   Parent Loop BB2_47 Depth=1
                                        ;     Parent Loop BB2_11321 Depth=2
                                        ; =>    This Inner Loop Header: Depth=3
	s_add_co_i32 s75, s75, 1
	s_delay_alu instid0(SALU_CYCLE_1) | instskip(SKIP_1) | instid1(SALU_CYCLE_1)
	s_cmp_lg_u32 s75, 0x2710
	s_cselect_b32 s76, -1, 0
	s_and_b32 vcc_lo, exec_lo, s76
	s_cbranch_vccz .LBB2_11444
; %bb.11443:                            ;   in Loop: Header=BB2_11442 Depth=3
	s_mov_b32 s78, -1
	s_or_b32 s74, s74, exec_lo
	s_and_saveexec_b32 s77, s76
	s_cbranch_execz .LBB2_11441
	s_branch .LBB2_11445
.LBB2_11444:                            ;   in Loop: Header=BB2_11442 Depth=3
	s_trap 2
	ds_load_b64 v[18:19], v0
	s_and_not1_b32 s76, s76, exec_lo
	s_mov_b32 s75, 0
	s_wait_storecnt 0x0
	s_wait_loadcnt_dscnt 0x0
	flat_load_b32 v9, v[18:19] scope:SCOPE_SYS
	s_wait_loadcnt_dscnt 0x0
	global_inv scope:SCOPE_SYS
	v_cmp_eq_u32_e32 vcc_lo, 0, v9
	s_and_b32 s77, vcc_lo, exec_lo
	s_delay_alu instid0(SALU_CYCLE_1)
	s_or_b32 s76, s76, s77
	s_mov_b32 s78, -1
	s_or_b32 s74, s74, exec_lo
	s_and_saveexec_b32 s77, s76
	s_cbranch_execz .LBB2_11441
.LBB2_11445:                            ;   in Loop: Header=BB2_11442 Depth=3
	s_sleep 1
	s_trap 2
	ds_load_b64 v[18:19], v0
	s_wait_dscnt 0x0
	s_and_not1_b32 s74, s74, exec_lo
	v_cmp_ge_u64_e32 vcc_lo, v[18:19], v[12:13]
	s_or_not1_b32 s78, vcc_lo, exec_lo
	s_branch .LBB2_11441
.LBB2_11446:                            ;   in Loop: Header=BB2_11321 Depth=2
	s_or_b32 exec_lo, exec_lo, s72
	s_and_saveexec_b32 s72, s73
	s_delay_alu instid0(SALU_CYCLE_1)
	s_xor_b32 s72, exec_lo, s72
	s_cbranch_execz .LBB2_11448
; %bb.11447:                            ;   in Loop: Header=BB2_11321 Depth=2
	ds_store_b32 v0, v110
	s_trap 2
.LBB2_11448:                            ;   in Loop: Header=BB2_11321 Depth=2
	s_or_b32 exec_lo, exec_lo, s63
	;;#ASMSTART
	s_wakeup
	;;#ASMEND
.LBB2_11449:                            ;   in Loop: Header=BB2_11321 Depth=2
	s_or_b32 exec_lo, exec_lo, s43
.LBB2_11450:                            ;   in Loop: Header=BB2_11321 Depth=2
	s_and_not1_saveexec_b32 s42, s42
	s_cbranch_execz .LBB2_11452
; %bb.11451:                            ;   in Loop: Header=BB2_11321 Depth=2
	;;#ASMSTART
	s_waitcnt lgkmcnt(0) vmcnt(0)
	;;#ASMEND
	s_barrier_signal -1
	s_barrier_wait -1
.LBB2_11452:                            ;   in Loop: Header=BB2_11321 Depth=2
	s_or_b32 exec_lo, exec_lo, s42
.LBB2_11453:                            ;   in Loop: Header=BB2_11321 Depth=2
	s_delay_alu instid0(SALU_CYCLE_1) | instskip(SKIP_2) | instid1(VALU_DEP_1)
	s_or_b32 exec_lo, exec_lo, s13
	v_and_b32_e32 v9, 32, v106
	s_mov_b32 s13, exec_lo
	v_cmpx_ne_u32_e32 0, v9
	s_cbranch_execz .LBB2_11320
; %bb.11454:                            ;   in Loop: Header=BB2_11321 Depth=2
	v_add_nc_u64_e32 v[86:87], 2, v[86:87]
	global_wb scope:SCOPE_SYS
	s_wait_storecnt 0x0
	s_wait_loadcnt_dscnt 0x0
	flat_store_b64 v[20:21], v[86:87] scope:SCOPE_SYS
	s_branch .LBB2_11320
.LBB2_11455:                            ;   in Loop: Header=BB2_47 Depth=1
	s_or_b32 exec_lo, exec_lo, s15
.LBB2_11456:                            ;   in Loop: Header=BB2_47 Depth=1
	s_delay_alu instid0(SALU_CYCLE_1) | instskip(NEXT) | instid1(SALU_CYCLE_1)
	s_or_b32 exec_lo, exec_lo, s14
	s_mov_b32 s14, exec_lo
	v_cmpx_gt_i32_e32 2, v9
	s_cbranch_execnz .LBB2_11457
; %bb.11581:                            ;   in Loop: Header=BB2_47 Depth=1
	s_add_pc_i64 .LBB2_46-.Lpost_addpc9
.Lpost_addpc9:
.LBB2_11457:                            ;   in Loop: Header=BB2_47 Depth=1
	v_cmp_eq_u32_e64 s18, 0, v9
	s_mov_b32 s15, 0
	s_branch .LBB2_11459
.LBB2_11458:                            ;   in Loop: Header=BB2_11459 Depth=2
	s_wait_xcnt 0x0
	s_or_b32 exec_lo, exec_lo, s13
	v_add_nc_u32_e32 v8, v16, v8
	s_mov_b32 s18, 0
	s_and_not1_b32 exec_lo, exec_lo, s15
	s_cbranch_execnz .LBB2_11459
; %bb.11583:                            ;   in Loop: Header=BB2_47 Depth=1
	s_add_pc_i64 .LBB2_45-.Lpost_addpc10
.Lpost_addpc10:
.LBB2_11459:                            ;   Parent Loop BB2_47 Depth=1
                                        ; =>  This Loop Header: Depth=2
                                        ;       Child Loop BB2_11465 Depth 3
                                        ;       Child Loop BB2_11489 Depth 3
	;; [unrolled: 1-line block ×3, first 2 shown]
	v_and_b32_e32 v9, 4, v106
	s_mov_b32 s29, exec_lo
	s_delay_alu instid0(VALU_DEP_1)
	v_cmpx_ne_u32_e32 0, v9
	s_cbranch_execz .LBB2_11481
; %bb.11460:                            ;   in Loop: Header=BB2_11459 Depth=2
	v_add_nc_u64_e32 v[10:11], 2, v[86:87]
	s_mov_b32 s42, exec_lo
	s_wait_loadcnt_dscnt 0x1
	s_delay_alu instid0(VALU_DEP_1)
	v_cmpx_lt_u64_e64 v[28:29], v[10:11]
	s_cbranch_execz .LBB2_11472
; %bb.11461:                            ;   in Loop: Header=BB2_11459 Depth=2
	v_and_b32_e32 v9, 64, v106
	s_mov_b32 s43, 0
	s_mov_b32 s74, 0
                                        ; implicit-def: $sgpr63
                                        ; implicit-def: $sgpr72
                                        ; implicit-def: $sgpr73
	s_delay_alu instid0(VALU_DEP_1)
	v_cmp_eq_u32_e32 vcc_lo, 0, v9
	s_branch .LBB2_11465
.LBB2_11462:                            ;   in Loop: Header=BB2_11465 Depth=3
	s_wait_loadcnt_dscnt 0x0
	v_cmp_ge_u64_e64 s13, v[28:29], v[10:11]
	s_or_b32 s77, s77, exec_lo
	s_or_not1_b32 s76, s13, exec_lo
.LBB2_11463:                            ;   in Loop: Header=BB2_11465 Depth=3
	s_or_b32 exec_lo, exec_lo, s79
	s_delay_alu instid0(SALU_CYCLE_1)
	s_and_not1_b32 s13, s73, exec_lo
	s_and_b32 s73, s77, exec_lo
	s_and_not1_b32 s72, s72, exec_lo
	s_and_b32 s76, s76, exec_lo
	s_or_b32 s73, s13, s73
	s_or_b32 s72, s72, s76
.LBB2_11464:                            ;   in Loop: Header=BB2_11465 Depth=3
	s_or_b32 exec_lo, exec_lo, s75
	s_delay_alu instid0(SALU_CYCLE_1) | instskip(NEXT) | instid1(SALU_CYCLE_1)
	s_and_b32 s13, exec_lo, s72
	s_or_b32 s43, s13, s43
	s_and_not1_b32 s13, s63, exec_lo
	s_and_b32 s63, s73, exec_lo
	s_delay_alu instid0(SALU_CYCLE_1)
	s_or_b32 s63, s13, s63
	s_and_not1_b32 exec_lo, exec_lo, s43
	s_cbranch_execz .LBB2_11469
.LBB2_11465:                            ;   Parent Loop BB2_47 Depth=1
                                        ;     Parent Loop BB2_11459 Depth=2
                                        ; =>    This Inner Loop Header: Depth=3
	s_sleep 1
	s_wait_loadcnt_dscnt 0x0
	flat_load_b64 v[28:29], v[20:21] scope:SCOPE_SYS
	s_or_b32 s73, s73, exec_lo
	s_or_b32 s72, s72, exec_lo
                                        ; implicit-def: $vgpr9
	s_wait_xcnt 0x0
	s_and_saveexec_b32 s75, vcc_lo
	s_cbranch_execz .LBB2_11464
; %bb.11466:                            ;   in Loop: Header=BB2_11465 Depth=3
	s_cmp_lt_i32 s74, 0x270f
	s_mov_b32 s76, -1
	s_cselect_b32 s78, -1, 0
	s_cmp_gt_i32 s74, 0x270e
	s_cbranch_scc0 .LBB2_11468
; %bb.11467:                            ;   in Loop: Header=BB2_11465 Depth=3
	s_trap 2
	ds_load_b64 v[18:19], v0
	s_and_not1_b32 s74, s78, exec_lo
	s_mov_b32 s77, 0
	s_wait_storecnt 0x0
	s_wait_loadcnt_dscnt 0x0
	flat_load_b32 v9, v[18:19] scope:SCOPE_SYS
	s_wait_loadcnt_dscnt 0x0
	global_inv scope:SCOPE_SYS
	v_cmp_eq_u32_e64 s13, 0, v9
	s_and_b32 s13, s13, exec_lo
	s_delay_alu instid0(SALU_CYCLE_1)
	s_or_b32 s78, s74, s13
	s_mov_b32 s74, 0
	s_and_saveexec_b32 s79, s78
	s_cbranch_execz .LBB2_11463
	s_branch .LBB2_11462
.LBB2_11468:                            ;   in Loop: Header=BB2_11465 Depth=3
	s_add_co_i32 s74, s74, 1
	s_mov_b32 s77, -1
                                        ; implicit-def: $vgpr9
	s_and_saveexec_b32 s79, s78
	s_cbranch_execz .LBB2_11463
	s_branch .LBB2_11462
.LBB2_11469:                            ;   in Loop: Header=BB2_11459 Depth=2
	s_or_b32 exec_lo, exec_lo, s43
	s_xor_b32 s13, s63, -1
	s_delay_alu instid0(SALU_CYCLE_1) | instskip(NEXT) | instid1(SALU_CYCLE_1)
	s_and_saveexec_b32 s43, s13
	s_xor_b32 s13, exec_lo, s43
	s_cbranch_execz .LBB2_11471
; %bb.11470:                            ;   in Loop: Header=BB2_11459 Depth=2
	v_or_b32_e32 v106, 64, v106
	s_wait_storecnt 0x0
	s_wait_loadcnt_dscnt 0x0
	ds_store_b32 v0, v9
	s_trap 2
.LBB2_11471:                            ;   in Loop: Header=BB2_11459 Depth=2
	s_or_b32 exec_lo, exec_lo, s13
.LBB2_11472:                            ;   in Loop: Header=BB2_11459 Depth=2
	s_delay_alu instid0(SALU_CYCLE_1)
	s_or_b32 exec_lo, exec_lo, s42
	v_and_b32_e32 v9, 0x100, v106
	v_dual_mov_b32 v87, v3 :: v_dual_bitop2_b32 v86, 7, v86 bitop3:0x40
	s_mov_b32 s13, -1
	s_mov_b32 s42, exec_lo
	;;#ASMSTART
	s_wakeup
	;;#ASMEND
                                        ; implicit-def: $vgpr96_vgpr97
	v_cmpx_ne_u32_e32 0, v9
	s_cbranch_execz .LBB2_11476
; %bb.11473:                            ;   in Loop: Header=BB2_11459 Depth=2
	v_mad_nc_u64_u32 v[98:99], v86, 24, v[6:7]
	s_mov_b32 s43, exec_lo
                                        ; implicit-def: $vgpr96_vgpr97
	flat_load_b32 v9, v[98:99]
	s_wait_loadcnt_dscnt 0x0
	v_cmp_ne_u32_e32 vcc_lo, 1, v9
	s_wait_xcnt 0x0
	v_cmpx_eq_u32_e32 1, v9
	s_cbranch_execz .LBB2_11475
; %bb.11474:                            ;   in Loop: Header=BB2_11459 Depth=2
	flat_load_b32 v96, v[98:99] offset:4 scope:SCOPE_SYS
	s_wait_loadcnt_dscnt 0x0
	v_ashrrev_i32_e32 v97, 31, v96
.LBB2_11475:                            ;   in Loop: Header=BB2_11459 Depth=2
	s_wait_xcnt 0x0
	s_or_b32 exec_lo, exec_lo, s43
	s_delay_alu instid0(SALU_CYCLE_1)
	s_or_not1_b32 s13, vcc_lo, exec_lo
.LBB2_11476:                            ;   in Loop: Header=BB2_11459 Depth=2
	s_or_b32 exec_lo, exec_lo, s42
	s_and_saveexec_b32 s42, s13
; %bb.11477:                            ;   in Loop: Header=BB2_11459 Depth=2
	v_mul_u64_e32 v[96:97], v[86:87], v[22:23]
; %bb.11478:                            ;   in Loop: Header=BB2_11459 Depth=2
	s_or_b32 exec_lo, exec_lo, s42
	s_delay_alu instid0(VALU_DEP_1)
	v_add_nc_u64_e32 v[18:19], v[24:25], v[96:97]
	v_and_b32_e32 v9, 0x2000, v106
	s_mov_b32 s13, exec_lo
	ds_store_b64 v0, v[18:19] offset:720
	v_cmpx_ne_u32_e32 0, v9
	s_cbranch_execz .LBB2_11480
; %bb.11479:                            ;   in Loop: Header=BB2_11459 Depth=2
	ds_load_b64 v[18:19], v0 offset:872
	s_wait_dscnt 0x0
	v_add_nc_u64_e32 v[18:19], 1, v[18:19]
	ds_store_b64 v0, v[18:19] offset:872
.LBB2_11480:                            ;   in Loop: Header=BB2_11459 Depth=2
	s_or_b32 exec_lo, exec_lo, s13
	v_mov_b64_e32 v[86:87], v[10:11]
.LBB2_11481:                            ;   in Loop: Header=BB2_11459 Depth=2
	s_or_b32 exec_lo, exec_lo, s29
	s_xor_b32 s13, s18, -1
	s_delay_alu instid0(SALU_CYCLE_1) | instskip(NEXT) | instid1(SALU_CYCLE_1)
	s_and_b32 s13, exec_lo, s13
	s_or_b32 s15, s13, s15
	s_and_saveexec_b32 s13, s2
	s_cbranch_execz .LBB2_11500
; %bb.11482:                            ;   in Loop: Header=BB2_11459 Depth=2
	s_and_saveexec_b32 s18, s3
	s_delay_alu instid0(SALU_CYCLE_1)
	s_xor_b32 s18, exec_lo, s18
	s_cbranch_execz .LBB2_11497
; %bb.11483:                            ;   in Loop: Header=BB2_11459 Depth=2
	s_and_saveexec_b32 s29, s6
	s_cbranch_execz .LBB2_11496
; %bb.11484:                            ;   in Loop: Header=BB2_11459 Depth=2
	s_mov_b32 s43, exec_lo
	s_mov_b32 s42, exec_lo
	v_mbcnt_lo_u32_b32 v9, s43, 0
	global_wb scope:SCOPE_DEV
	s_wait_storecnt 0x0
	s_wait_loadcnt_dscnt 0x0
	global_inv scope:SCOPE_DEV
	v_cmpx_eq_u32_e32 0, v9
	s_cbranch_execz .LBB2_11486
; %bb.11485:                            ;   in Loop: Header=BB2_11459 Depth=2
	s_bcnt1_i32_b32 s43, s43
	s_delay_alu instid0(SALU_CYCLE_1)
	v_dual_mov_b32 v11, v3 :: v_dual_mov_b32 v10, s43
	s_wait_loadcnt 0x0
	ds_add_u64 v0, v[10:11]
	s_trap 2
.LBB2_11486:                            ;   in Loop: Header=BB2_11459 Depth=2
	s_or_b32 exec_lo, exec_lo, s42
	s_trap 2
	ds_load_b64 v[10:11], v0
	s_wait_dscnt 0x0
	v_add_nc_u64_e32 v[12:13], v[12:13], v[32:33]
	s_mov_b32 s42, exec_lo
	s_delay_alu instid0(VALU_DEP_1)
	v_cmpx_lt_u64_e64 v[10:11], v[12:13]
	s_cbranch_execz .LBB2_11495
; %bb.11487:                            ;   in Loop: Header=BB2_11459 Depth=2
	s_mov_b32 s43, 0
	s_mov_b32 s73, 0
                                        ; implicit-def: $sgpr63
                                        ; implicit-def: $sgpr72
	s_branch .LBB2_11489
.LBB2_11488:                            ;   in Loop: Header=BB2_11489 Depth=3
	s_or_b32 exec_lo, exec_lo, s75
	s_delay_alu instid0(SALU_CYCLE_1) | instskip(NEXT) | instid1(SALU_CYCLE_1)
	s_and_b32 s74, exec_lo, s76
	s_or_b32 s43, s74, s43
	s_and_not1_b32 s63, s63, exec_lo
	s_and_b32 s74, s72, exec_lo
	s_delay_alu instid0(SALU_CYCLE_1)
	s_or_b32 s63, s63, s74
	s_and_not1_b32 exec_lo, exec_lo, s43
	s_cbranch_execz .LBB2_11493
.LBB2_11489:                            ;   Parent Loop BB2_47 Depth=1
                                        ;     Parent Loop BB2_11459 Depth=2
                                        ; =>    This Inner Loop Header: Depth=3
	s_add_co_i32 s73, s73, 1
	s_delay_alu instid0(SALU_CYCLE_1) | instskip(SKIP_1) | instid1(SALU_CYCLE_1)
	s_cmp_lg_u32 s73, 0x2710
	s_cselect_b32 s74, -1, 0
	s_and_b32 vcc_lo, exec_lo, s74
	s_cbranch_vccz .LBB2_11491
; %bb.11490:                            ;   in Loop: Header=BB2_11489 Depth=3
	s_mov_b32 s76, -1
	s_or_b32 s72, s72, exec_lo
	s_and_saveexec_b32 s75, s74
	s_cbranch_execz .LBB2_11488
	s_branch .LBB2_11492
.LBB2_11491:                            ;   in Loop: Header=BB2_11489 Depth=3
	s_trap 2
	ds_load_b64 v[10:11], v0
	s_and_not1_b32 s74, s74, exec_lo
	s_mov_b32 s73, 0
	s_wait_loadcnt_dscnt 0x0
	flat_load_b32 v9, v[10:11] scope:SCOPE_SYS
	s_wait_loadcnt_dscnt 0x0
	global_inv scope:SCOPE_SYS
	v_cmp_eq_u32_e32 vcc_lo, 0, v9
	s_and_b32 s75, vcc_lo, exec_lo
	s_delay_alu instid0(SALU_CYCLE_1)
	s_or_b32 s74, s74, s75
	s_mov_b32 s76, -1
	s_or_b32 s72, s72, exec_lo
	s_and_saveexec_b32 s75, s74
	s_cbranch_execz .LBB2_11488
.LBB2_11492:                            ;   in Loop: Header=BB2_11489 Depth=3
	s_sleep 1
	s_trap 2
	ds_load_b64 v[10:11], v0
	s_wait_dscnt 0x0
	s_and_not1_b32 s72, s72, exec_lo
	v_cmp_ge_u64_e32 vcc_lo, v[10:11], v[12:13]
	s_or_not1_b32 s76, vcc_lo, exec_lo
	s_branch .LBB2_11488
.LBB2_11493:                            ;   in Loop: Header=BB2_11459 Depth=2
	s_or_b32 exec_lo, exec_lo, s43
	s_and_saveexec_b32 s43, s63
	s_delay_alu instid0(SALU_CYCLE_1)
	s_xor_b32 s43, exec_lo, s43
	s_cbranch_execz .LBB2_11495
; %bb.11494:                            ;   in Loop: Header=BB2_11459 Depth=2
	ds_store_b32 v0, v110
	s_trap 2
.LBB2_11495:                            ;   in Loop: Header=BB2_11459 Depth=2
	s_or_b32 exec_lo, exec_lo, s42
	;;#ASMSTART
	s_wakeup
	;;#ASMEND
.LBB2_11496:                            ;   in Loop: Header=BB2_11459 Depth=2
	s_or_b32 exec_lo, exec_lo, s29
.LBB2_11497:                            ;   in Loop: Header=BB2_11459 Depth=2
	s_and_not1_saveexec_b32 s18, s18
	s_cbranch_execz .LBB2_11499
; %bb.11498:                            ;   in Loop: Header=BB2_11459 Depth=2
	global_wb scope:SCOPE_DEV
	s_wait_storecnt 0x0
	s_wait_loadcnt_dscnt 0x0
	global_inv scope:SCOPE_DEV
	s_barrier_signal -1
	s_barrier_wait -1
.LBB2_11499:                            ;   in Loop: Header=BB2_11459 Depth=2
	s_or_b32 exec_lo, exec_lo, s18
.LBB2_11500:                            ;   in Loop: Header=BB2_11459 Depth=2
	s_delay_alu instid0(SALU_CYCLE_1) | instskip(SKIP_1) | instid1(VALU_DEP_1)
	s_or_b32 exec_lo, exec_lo, s13
	v_sub_nc_u32_e32 v9, v2, v8
	v_min_i32_e32 v16, v16, v9
	s_and_saveexec_b32 s13, s12
	s_delay_alu instid0(SALU_CYCLE_1)
	s_xor_b32 s18, exec_lo, s13
	s_cbranch_execz .LBB2_11504
; %bb.11501:                            ;   in Loop: Header=BB2_11459 Depth=2
	s_trap 2
	ds_load_b32 v9, v0
	v_cmp_lt_i32_e32 vcc_lo, 0, v16
	s_wait_dscnt 0x0
	v_readfirstlane_b32 s13, v9
	v_and_b32_e32 v9, 16, v106
	s_cmp_eq_u32 s13, 0
	s_delay_alu instid0(VALU_DEP_1) | instskip(SKIP_1) | instid1(SALU_CYCLE_1)
	v_cmp_ne_u32_e64 s13, 0, v9
	s_cselect_b32 s29, -1, 0
	s_and_b32 s29, vcc_lo, s29
	s_delay_alu instid0(SALU_CYCLE_1) | instskip(NEXT) | instid1(SALU_CYCLE_1)
	s_and_b32 s29, s13, s29
	s_and_saveexec_b32 s13, s29
	s_cbranch_execz .LBB2_11503
; %bb.11502:                            ;   in Loop: Header=BB2_11459 Depth=2
	global_wb scope:SCOPE_SYS
	s_wait_loadcnt 0x0
	s_wait_storecnt 0x0
	global_inv scope:SCOPE_SYS
.LBB2_11503:                            ;   in Loop: Header=BB2_11459 Depth=2
	s_or_b32 exec_lo, exec_lo, s13
.LBB2_11504:                            ;   in Loop: Header=BB2_11459 Depth=2
	s_and_not1_saveexec_b32 s13, s18
	s_cbranch_execz .LBB2_11523
; %bb.11505:                            ;   in Loop: Header=BB2_11459 Depth=2
	s_and_saveexec_b32 s18, s3
	s_delay_alu instid0(SALU_CYCLE_1)
	s_xor_b32 s18, exec_lo, s18
	s_cbranch_execz .LBB2_11520
; %bb.11506:                            ;   in Loop: Header=BB2_11459 Depth=2
	s_and_saveexec_b32 s29, s6
	s_cbranch_execz .LBB2_11519
; %bb.11507:                            ;   in Loop: Header=BB2_11459 Depth=2
	s_mov_b32 s43, exec_lo
	s_mov_b32 s42, exec_lo
	v_mbcnt_lo_u32_b32 v9, s43, 0
	;;#ASMSTART
	s_waitcnt lgkmcnt(0) vmcnt(0)
	;;#ASMEND
	s_delay_alu instid0(VALU_DEP_1)
	v_cmpx_eq_u32_e32 0, v9
	s_cbranch_execz .LBB2_11509
; %bb.11508:                            ;   in Loop: Header=BB2_11459 Depth=2
	s_bcnt1_i32_b32 s43, s43
	s_delay_alu instid0(SALU_CYCLE_1)
	v_dual_mov_b32 v11, v3 :: v_dual_mov_b32 v10, s43
	s_wait_storecnt 0x0
	s_wait_loadcnt_dscnt 0x0
	ds_add_u64 v0, v[10:11]
	s_trap 2
.LBB2_11509:                            ;   in Loop: Header=BB2_11459 Depth=2
	s_or_b32 exec_lo, exec_lo, s42
	s_trap 2
	ds_load_b64 v[10:11], v0
	s_wait_dscnt 0x0
	v_add_nc_u64_e32 v[12:13], v[12:13], v[32:33]
	s_mov_b32 s42, exec_lo
	s_delay_alu instid0(VALU_DEP_1)
	v_cmpx_lt_u64_e64 v[10:11], v[12:13]
	s_cbranch_execz .LBB2_11518
; %bb.11510:                            ;   in Loop: Header=BB2_11459 Depth=2
	s_mov_b32 s43, 0
	s_mov_b32 s73, 0
                                        ; implicit-def: $sgpr63
                                        ; implicit-def: $sgpr72
	s_branch .LBB2_11512
.LBB2_11511:                            ;   in Loop: Header=BB2_11512 Depth=3
	s_or_b32 exec_lo, exec_lo, s75
	s_delay_alu instid0(SALU_CYCLE_1) | instskip(NEXT) | instid1(SALU_CYCLE_1)
	s_and_b32 s74, exec_lo, s76
	s_or_b32 s43, s74, s43
	s_and_not1_b32 s63, s63, exec_lo
	s_and_b32 s74, s72, exec_lo
	s_delay_alu instid0(SALU_CYCLE_1)
	s_or_b32 s63, s63, s74
	s_and_not1_b32 exec_lo, exec_lo, s43
	s_cbranch_execz .LBB2_11516
.LBB2_11512:                            ;   Parent Loop BB2_47 Depth=1
                                        ;     Parent Loop BB2_11459 Depth=2
                                        ; =>    This Inner Loop Header: Depth=3
	s_add_co_i32 s73, s73, 1
	s_delay_alu instid0(SALU_CYCLE_1) | instskip(SKIP_1) | instid1(SALU_CYCLE_1)
	s_cmp_lg_u32 s73, 0x2710
	s_cselect_b32 s74, -1, 0
	s_and_b32 vcc_lo, exec_lo, s74
	s_cbranch_vccz .LBB2_11514
; %bb.11513:                            ;   in Loop: Header=BB2_11512 Depth=3
	s_mov_b32 s76, -1
	s_or_b32 s72, s72, exec_lo
	s_and_saveexec_b32 s75, s74
	s_cbranch_execz .LBB2_11511
	s_branch .LBB2_11515
.LBB2_11514:                            ;   in Loop: Header=BB2_11512 Depth=3
	s_trap 2
	ds_load_b64 v[10:11], v0
	s_and_not1_b32 s74, s74, exec_lo
	s_mov_b32 s73, 0
	s_wait_storecnt 0x0
	s_wait_loadcnt_dscnt 0x0
	flat_load_b32 v9, v[10:11] scope:SCOPE_SYS
	s_wait_loadcnt_dscnt 0x0
	global_inv scope:SCOPE_SYS
	v_cmp_eq_u32_e32 vcc_lo, 0, v9
	s_and_b32 s75, vcc_lo, exec_lo
	s_delay_alu instid0(SALU_CYCLE_1)
	s_or_b32 s74, s74, s75
	s_mov_b32 s76, -1
	s_or_b32 s72, s72, exec_lo
	s_and_saveexec_b32 s75, s74
	s_cbranch_execz .LBB2_11511
.LBB2_11515:                            ;   in Loop: Header=BB2_11512 Depth=3
	s_sleep 1
	s_trap 2
	ds_load_b64 v[10:11], v0
	s_wait_dscnt 0x0
	s_and_not1_b32 s72, s72, exec_lo
	v_cmp_ge_u64_e32 vcc_lo, v[10:11], v[12:13]
	s_or_not1_b32 s76, vcc_lo, exec_lo
	s_branch .LBB2_11511
.LBB2_11516:                            ;   in Loop: Header=BB2_11459 Depth=2
	s_or_b32 exec_lo, exec_lo, s43
	s_and_saveexec_b32 s43, s63
	s_delay_alu instid0(SALU_CYCLE_1)
	s_xor_b32 s43, exec_lo, s43
	s_cbranch_execz .LBB2_11518
; %bb.11517:                            ;   in Loop: Header=BB2_11459 Depth=2
	ds_store_b32 v0, v110
	s_trap 2
.LBB2_11518:                            ;   in Loop: Header=BB2_11459 Depth=2
	s_or_b32 exec_lo, exec_lo, s42
	;;#ASMSTART
	s_wakeup
	;;#ASMEND
.LBB2_11519:                            ;   in Loop: Header=BB2_11459 Depth=2
	s_or_b32 exec_lo, exec_lo, s29
.LBB2_11520:                            ;   in Loop: Header=BB2_11459 Depth=2
	s_and_not1_saveexec_b32 s18, s18
	s_cbranch_execz .LBB2_11522
; %bb.11521:                            ;   in Loop: Header=BB2_11459 Depth=2
	;;#ASMSTART
	s_waitcnt lgkmcnt(0) vmcnt(0)
	;;#ASMEND
	s_barrier_signal -1
	s_barrier_wait -1
.LBB2_11522:                            ;   in Loop: Header=BB2_11459 Depth=2
	s_or_b32 exec_lo, exec_lo, s18
.LBB2_11523:                            ;   in Loop: Header=BB2_11459 Depth=2
	s_delay_alu instid0(SALU_CYCLE_1) | instskip(SKIP_2) | instid1(VALU_DEP_1)
	s_or_b32 exec_lo, exec_lo, s13
	v_and_b32_e32 v9, 32, v106
	s_mov_b32 s13, exec_lo
	v_cmpx_ne_u32_e32 0, v9
	s_cbranch_execz .LBB2_11458
; %bb.11524:                            ;   in Loop: Header=BB2_11459 Depth=2
	v_add_nc_u64_e32 v[86:87], 2, v[86:87]
	global_wb scope:SCOPE_SYS
	s_wait_storecnt 0x0
	s_wait_loadcnt_dscnt 0x0
	flat_store_b64 v[20:21], v[86:87] scope:SCOPE_SYS
	s_branch .LBB2_11458
.LBB2_11525:
	s_or_b32 exec_lo, exec_lo, s62
	scratch_load_b64 v[36:37], off, s33 offset:188 ; 8-byte Folded Reload
.LBB2_11526:
	s_wait_xcnt 0x0
	s_or_b32 exec_lo, exec_lo, s45
	v_and_b32_e32 v0, 0x800, v106
	s_mov_b32 s1, exec_lo
	s_delay_alu instid0(VALU_DEP_1)
	v_cmpx_eq_u32_e32 0, v0
	s_cbranch_execz .LBB2_11559
; %bb.11527:
	v_and_b32_e32 v0, 48, v106
	s_mov_b32 s0, exec_lo
	s_delay_alu instid0(VALU_DEP_1)
	v_cmpx_ne_u32_e32 0, v0
	s_cbranch_execz .LBB2_11529
; %bb.11528:
	s_wait_loadcnt 0x0
	flat_store_b64 v[36:37], v[86:87] offset:104
.LBB2_11529:
	s_wait_xcnt 0x0
	s_or_b32 exec_lo, exec_lo, s0
	v_and_b32_e32 v0, 0x88, v106
	s_mov_b32 s2, exec_lo
	s_delay_alu instid0(VALU_DEP_1)
	v_cmpx_eq_u32_e32 0x88, v0
	s_cbranch_execz .LBB2_11539
; %bb.11530:
	v_add_nc_u32_e32 v0, 6, v86
	s_mov_b32 s3, 0
	s_delay_alu instid0(VALU_DEP_1) | instskip(NEXT) | instid1(VALU_DEP_1)
	v_and_b32_e32 v0, 7, v0
	v_mad_nc_u64_u32 v[2:3], v0, 24, v[6:7]
	v_and_b32_e32 v0, 64, v106
	s_delay_alu instid0(VALU_DEP_1)
	v_cmp_eq_u32_e64 s0, 0, v0
	flat_load_b64 v[4:5], v[2:3] offset:8 scope:SCOPE_SYS
	s_wait_loadcnt_dscnt 0x0
	v_cmp_ne_u64_e32 vcc_lo, -1, v[4:5]
	s_and_b32 s0, vcc_lo, s0
	s_wait_xcnt 0x0
	s_and_b32 exec_lo, exec_lo, s0
	s_cbranch_execz .LBB2_11539
; %bb.11531:
	s_mov_b32 s5, 0
                                        ; implicit-def: $sgpr0
                                        ; implicit-def: $sgpr4
	s_branch .LBB2_11534
.LBB2_11532:                            ;   in Loop: Header=BB2_11534 Depth=1
	flat_load_b64 v[4:5], v[2:3] offset:8 scope:SCOPE_SYS
	s_wait_loadcnt 0x0
	s_and_not1_b32 s4, s4, exec_lo
	s_wait_dscnt 0x0
	v_cmp_eq_u64_e32 vcc_lo, -1, v[4:5]
	s_or_not1_b32 s7, vcc_lo, exec_lo
.LBB2_11533:                            ;   in Loop: Header=BB2_11534 Depth=1
	s_wait_xcnt 0x0
	s_or_b32 exec_lo, exec_lo, s10
	s_delay_alu instid0(SALU_CYCLE_1) | instskip(NEXT) | instid1(SALU_CYCLE_1)
	s_and_b32 s6, exec_lo, s7
	s_or_b32 s3, s6, s3
	s_and_not1_b32 s0, s0, exec_lo
	s_and_b32 s6, s4, exec_lo
	s_delay_alu instid0(SALU_CYCLE_1)
	s_or_b32 s0, s0, s6
	s_and_not1_b32 exec_lo, exec_lo, s3
	s_cbranch_execz .LBB2_11537
.LBB2_11534:                            ; =>This Inner Loop Header: Depth=1
	s_cmp_lt_i32 s5, 0x270f
	s_cselect_b32 s6, -1, 0
	s_delay_alu instid0(SALU_CYCLE_1)
	s_and_b32 vcc_lo, exec_lo, s6
	s_cbranch_vccnz .LBB2_11536
; %bb.11535:                            ;   in Loop: Header=BB2_11534 Depth=1
	s_trap 2
	ds_load_b64 v[4:5], v0
	s_and_not1_b32 s6, s6, exec_lo
	s_mov_b32 s5, 0
	s_wait_storecnt_dscnt 0x0
	flat_load_b32 v0, v[4:5] scope:SCOPE_SYS
	s_wait_loadcnt_dscnt 0x0
	global_inv scope:SCOPE_SYS
	v_cmp_eq_u32_e32 vcc_lo, 0, v0
	s_and_b32 s7, vcc_lo, exec_lo
	s_delay_alu instid0(SALU_CYCLE_1)
	s_or_b32 s6, s6, s7
	s_mov_b32 s7, -1
	s_or_b32 s4, s4, exec_lo
	s_wait_xcnt 0x0
	s_and_saveexec_b32 s10, s6
	s_cbranch_execz .LBB2_11533
	s_branch .LBB2_11532
.LBB2_11536:                            ;   in Loop: Header=BB2_11534 Depth=1
	s_add_co_i32 s5, s5, 1
                                        ; implicit-def: $vgpr0
	s_mov_b32 s7, -1
	s_or_b32 s4, s4, exec_lo
	s_and_saveexec_b32 s10, s6
	s_cbranch_execz .LBB2_11533
	s_branch .LBB2_11532
.LBB2_11537:
	s_or_b32 exec_lo, exec_lo, s3
	s_and_saveexec_b32 s3, s0
	s_delay_alu instid0(SALU_CYCLE_1)
	s_xor_b32 s3, exec_lo, s3
	s_cbranch_execz .LBB2_11539
; %bb.11538:
	s_wait_loadcnt 0x0
	s_wait_storecnt 0x0
	ds_store_b32 v0, v0
	s_trap 2
.LBB2_11539:
	s_or_b32 exec_lo, exec_lo, s2
	v_and_b32_e32 v0, 0x2000, v106
	s_mov_b32 s0, exec_lo
	s_delay_alu instid0(VALU_DEP_1)
	v_cmpx_ne_u32_e32 0, v0
	s_cbranch_execz .LBB2_11541
; %bb.11540:
	s_trap 2
	scratch_load_b64 v[4:5], off, s33 offset:196 th:TH_LOAD_LU ; 8-byte Folded Reload
	ds_load_b64 v[2:3], v0
	s_wait_loadcnt_dscnt 0x0
	flat_store_b64 v[4:5], v[2:3] offset:16
.LBB2_11541:
	s_wait_xcnt 0x0
	s_or_b32 exec_lo, exec_lo, s0
	v_cmp_ne_u32_e32 vcc_lo, 32, v1
	s_and_b32 exec_lo, exec_lo, vcc_lo
	s_cbranch_execz .LBB2_11559
; %bb.11542:
	s_mov_b32 s0, exec_lo
	v_cmpx_ne_u32_e64 v1, v107
	s_xor_b32 s0, exec_lo, s0
	s_cbranch_execz .LBB2_11557
; %bb.11543:
	v_and_b32_e32 v0, 31, v31
	s_mov_b32 s2, exec_lo
	s_delay_alu instid0(VALU_DEP_1)
	v_cmpx_eq_u32_e32 0, v0
	s_cbranch_execz .LBB2_11556
; %bb.11544:
	s_mov_b32 s4, exec_lo
	s_mov_b32 s3, exec_lo
	v_mbcnt_lo_u32_b32 v0, s4, 0
	global_wb scope:SCOPE_DEV
	s_wait_storecnt 0x0
	s_wait_loadcnt_dscnt 0x0
	global_inv scope:SCOPE_DEV
	v_cmpx_eq_u32_e32 0, v0
	s_cbranch_execz .LBB2_11546
; %bb.11545:
	s_bcnt1_i32_b32 s4, s4
	s_delay_alu instid0(SALU_CYCLE_1)
	v_dual_mov_b32 v3, 0 :: v_dual_mov_b32 v2, s4
	s_wait_loadcnt 0x0
	ds_add_u64 v0, v[2:3]
	s_trap 2
.LBB2_11546:
	s_or_b32 exec_lo, exec_lo, s3
	s_trap 2
	ds_load_b64 v[2:3], v0
	s_wait_dscnt 0x0
	v_dual_mov_b32 v1, 0 :: v_dual_lshrrev_b32 v0, 5, v1
	s_mov_b32 s3, exec_lo
	s_delay_alu instid0(VALU_DEP_1) | instskip(NEXT) | instid1(VALU_DEP_1)
	v_add_nc_u64_e32 v[0:1], v[12:13], v[0:1]
	v_cmpx_lt_u64_e64 v[2:3], v[0:1]
	s_cbranch_execz .LBB2_11555
; %bb.11547:
	s_mov_b32 s4, 0
	s_mov_b32 s7, 0
                                        ; implicit-def: $sgpr5
                                        ; implicit-def: $sgpr6
	s_branch .LBB2_11549
.LBB2_11548:                            ;   in Loop: Header=BB2_11549 Depth=1
	s_or_b32 exec_lo, exec_lo, s11
	s_delay_alu instid0(SALU_CYCLE_1) | instskip(NEXT) | instid1(SALU_CYCLE_1)
	s_and_b32 s10, exec_lo, s12
	s_or_b32 s4, s10, s4
	s_and_not1_b32 s5, s5, exec_lo
	s_and_b32 s10, s6, exec_lo
	s_delay_alu instid0(SALU_CYCLE_1)
	s_or_b32 s5, s5, s10
	s_and_not1_b32 exec_lo, exec_lo, s4
	s_cbranch_execz .LBB2_11553
.LBB2_11549:                            ; =>This Inner Loop Header: Depth=1
	s_add_co_i32 s7, s7, 1
	s_delay_alu instid0(SALU_CYCLE_1) | instskip(SKIP_1) | instid1(SALU_CYCLE_1)
	s_cmp_lg_u32 s7, 0x2710
	s_cselect_b32 s10, -1, 0
	s_and_b32 vcc_lo, exec_lo, s10
	s_cbranch_vccz .LBB2_11551
; %bb.11550:                            ;   in Loop: Header=BB2_11549 Depth=1
	s_mov_b32 s12, -1
	s_or_b32 s6, s6, exec_lo
	s_and_saveexec_b32 s11, s10
	s_cbranch_execz .LBB2_11548
	s_branch .LBB2_11552
.LBB2_11551:                            ;   in Loop: Header=BB2_11549 Depth=1
	s_trap 2
	ds_load_b64 v[2:3], v0
	s_and_not1_b32 s10, s10, exec_lo
	s_mov_b32 s7, 0
	s_wait_loadcnt_dscnt 0x0
	flat_load_b32 v2, v[2:3] scope:SCOPE_SYS
	s_wait_loadcnt_dscnt 0x0
	global_inv scope:SCOPE_SYS
	v_cmp_eq_u32_e32 vcc_lo, 0, v2
	s_and_b32 s11, vcc_lo, exec_lo
	s_delay_alu instid0(SALU_CYCLE_1)
	s_or_b32 s10, s10, s11
	s_mov_b32 s12, -1
	s_or_b32 s6, s6, exec_lo
	s_and_saveexec_b32 s11, s10
	s_cbranch_execz .LBB2_11548
.LBB2_11552:                            ;   in Loop: Header=BB2_11549 Depth=1
	s_sleep 1
	s_trap 2
	ds_load_b64 v[2:3], v0
	s_wait_dscnt 0x0
	s_and_not1_b32 s6, s6, exec_lo
	v_cmp_ge_u64_e32 vcc_lo, v[2:3], v[0:1]
	s_or_not1_b32 s12, vcc_lo, exec_lo
	s_branch .LBB2_11548
.LBB2_11553:
	s_or_b32 exec_lo, exec_lo, s4
	s_and_saveexec_b32 s4, s5
	s_delay_alu instid0(SALU_CYCLE_1)
	s_xor_b32 s4, exec_lo, s4
	s_cbranch_execz .LBB2_11555
; %bb.11554:
	v_mov_b32_e32 v0, 1
	ds_store_b32 v0, v0
	s_trap 2
.LBB2_11555:
	s_or_b32 exec_lo, exec_lo, s3
	;;#ASMSTART
	s_wakeup
	;;#ASMEND
.LBB2_11556:
	s_or_b32 exec_lo, exec_lo, s2
.LBB2_11557:
	s_and_not1_saveexec_b32 s0, s0
	s_cbranch_execz .LBB2_11559
; %bb.11558:
	global_wb scope:SCOPE_DEV
	s_wait_storecnt 0x0
	s_wait_loadcnt_dscnt 0x0
	global_inv scope:SCOPE_DEV
	s_barrier_signal -1
	s_barrier_wait -1
.LBB2_11559:
	s_or_b32 exec_lo, exec_lo, s1
.LBB2_11560:
	s_and_not1_saveexec_b32 s21, s44
	s_cbranch_execz .LBB2_11562
; %bb.11561:
	s_get_pc_i64 s[0:1]
	s_add_nc_u64 s[0:1], s[0:1], __PRETTY_FUNCTION__._ZN10PrimitivesI14__hip_fp8_e5m213FuncPreMulSumIS0_E12FanSymmetricILi1EELi0E11ProtoSimpleILi2ELi2ELi0ELi1ELi0ELi0EELi0ELb0ELi0ELi0ELi0EEC2EiiPKiS9_PKvPvmhhhP15ncclDevWorkCollP14ncclDevWorkP2pii@rel64+4
	s_get_pc_i64 s[2:3]
	s_add_nc_u64 s[2:3], s[2:3], __assert_fail@rel64+4
	v_dual_mov_b32 v0, s0 :: v_dual_mov_b32 v1, s1
	s_swap_pc_i64 s[30:31], s[2:3]
	; divergent unreachable
.LBB2_11562:
	s_or_b32 exec_lo, exec_lo, s21
	s_clause 0x2e
	scratch_load_b32 v126, off, s33
	scratch_load_b32 v125, off, s33 offset:4
	scratch_load_b32 v124, off, s33 offset:8
	scratch_load_b32 v123, off, s33 offset:12
	scratch_load_b32 v122, off, s33 offset:16
	scratch_load_b32 v121, off, s33 offset:20
	scratch_load_b32 v120, off, s33 offset:24
	scratch_load_b32 v111, off, s33 offset:28
	scratch_load_b32 v110, off, s33 offset:32
	scratch_load_b32 v109, off, s33 offset:36
	scratch_load_b32 v108, off, s33 offset:40
	scratch_load_b32 v107, off, s33 offset:44
	scratch_load_b32 v106, off, s33 offset:48
	scratch_load_b32 v105, off, s33 offset:52
	scratch_load_b32 v104, off, s33 offset:56
	scratch_load_b32 v95, off, s33 offset:60
	scratch_load_b32 v94, off, s33 offset:64
	scratch_load_b32 v93, off, s33 offset:68
	scratch_load_b32 v92, off, s33 offset:72
	scratch_load_b32 v91, off, s33 offset:76
	scratch_load_b32 v90, off, s33 offset:80
	scratch_load_b32 v89, off, s33 offset:84
	scratch_load_b32 v88, off, s33 offset:88
	scratch_load_b32 v79, off, s33 offset:92
	scratch_load_b32 v78, off, s33 offset:96
	scratch_load_b32 v77, off, s33 offset:100
	scratch_load_b32 v76, off, s33 offset:104
	scratch_load_b32 v75, off, s33 offset:108
	scratch_load_b32 v74, off, s33 offset:112
	scratch_load_b32 v73, off, s33 offset:116
	scratch_load_b32 v72, off, s33 offset:120
	scratch_load_b32 v63, off, s33 offset:124
	scratch_load_b32 v62, off, s33 offset:128
	scratch_load_b32 v61, off, s33 offset:132
	scratch_load_b32 v60, off, s33 offset:136
	scratch_load_b32 v59, off, s33 offset:140
	scratch_load_b32 v58, off, s33 offset:144
	scratch_load_b32 v57, off, s33 offset:148
	scratch_load_b32 v56, off, s33 offset:152
	scratch_load_b32 v47, off, s33 offset:156
	scratch_load_b32 v46, off, s33 offset:160
	scratch_load_b32 v45, off, s33 offset:164
	scratch_load_b32 v44, off, s33 offset:168
	scratch_load_b32 v43, off, s33 offset:172
	scratch_load_b32 v42, off, s33 offset:176
	scratch_load_b32 v41, off, s33 offset:180
	scratch_load_b32 v40, off, s33 offset:184
	v_readlane_b32 s30, v127, 0
	v_readlane_b32 s31, v127, 1
	s_mov_b32 s32, s33
	s_wait_xcnt 0x0
	s_or_saveexec_b32 s0, -1
	scratch_load_b32 v127, off, s33 offset:204 ; 4-byte Folded Reload
	s_wait_xcnt 0x0
	s_mov_b32 exec_lo, s0
	s_mov_b32 s33, s90
	s_wait_loadcnt_dscnt 0x0
	s_set_pc_i64 s[30:31]
.Lfunc_end2:
	.size	_ZN12_GLOBAL__N_17runRingI14__hip_fp8_e5m213FuncPreMulSumIS1_E11ProtoSimpleILi2ELi2ELi0ELi1ELi0ELi0EELi0ELi0ELi1ELi0EEEviiP15ncclDevWorkColl, .Lfunc_end2-_ZN12_GLOBAL__N_17runRingI14__hip_fp8_e5m213FuncPreMulSumIS1_E11ProtoSimpleILi2ELi2ELi0ELi1ELi0ELi0EELi0ELi0ELi1ELi0EEEviiP15ncclDevWorkColl
                                        ; -- End function
	.set .L_ZN12_GLOBAL__N_17runRingI14__hip_fp8_e5m213FuncPreMulSumIS1_E11ProtoSimpleILi2ELi2ELi0ELi1ELi0ELi0EELi0ELi0ELi1ELi0EEEviiP15ncclDevWorkColl.num_vgpr, max(128, .L__assert_fail.num_vgpr)
	.set .L_ZN12_GLOBAL__N_17runRingI14__hip_fp8_e5m213FuncPreMulSumIS1_E11ProtoSimpleILi2ELi2ELi0ELi1ELi0ELi0EELi0ELi0ELi1ELi0EEEviiP15ncclDevWorkColl.num_agpr, max(0, .L__assert_fail.num_agpr)
	.set .L_ZN12_GLOBAL__N_17runRingI14__hip_fp8_e5m213FuncPreMulSumIS1_E11ProtoSimpleILi2ELi2ELi0ELi1ELi0ELi0EELi0ELi0ELi1ELi0EEEviiP15ncclDevWorkColl.numbered_sgpr, max(91, .L__assert_fail.numbered_sgpr)
	.set .L_ZN12_GLOBAL__N_17runRingI14__hip_fp8_e5m213FuncPreMulSumIS1_E11ProtoSimpleILi2ELi2ELi0ELi1ELi0ELi0EELi0ELi0ELi1ELi0EEEviiP15ncclDevWorkColl.num_named_barrier, max(0, .L__assert_fail.num_named_barrier)
	.set .L_ZN12_GLOBAL__N_17runRingI14__hip_fp8_e5m213FuncPreMulSumIS1_E11ProtoSimpleILi2ELi2ELi0ELi1ELi0ELi0EELi0ELi0ELi1ELi0EEEviiP15ncclDevWorkColl.private_seg_size, 224+max(.L__assert_fail.private_seg_size)
	.set .L_ZN12_GLOBAL__N_17runRingI14__hip_fp8_e5m213FuncPreMulSumIS1_E11ProtoSimpleILi2ELi2ELi0ELi1ELi0ELi0EELi0ELi0ELi1ELi0EEEviiP15ncclDevWorkColl.uses_vcc, or(1, .L__assert_fail.uses_vcc)
	.set .L_ZN12_GLOBAL__N_17runRingI14__hip_fp8_e5m213FuncPreMulSumIS1_E11ProtoSimpleILi2ELi2ELi0ELi1ELi0ELi0EELi0ELi0ELi1ELi0EEEviiP15ncclDevWorkColl.uses_flat_scratch, or(1, .L__assert_fail.uses_flat_scratch)
	.set .L_ZN12_GLOBAL__N_17runRingI14__hip_fp8_e5m213FuncPreMulSumIS1_E11ProtoSimpleILi2ELi2ELi0ELi1ELi0ELi0EELi0ELi0ELi1ELi0EEEviiP15ncclDevWorkColl.has_dyn_sized_stack, or(0, .L__assert_fail.has_dyn_sized_stack)
	.set .L_ZN12_GLOBAL__N_17runRingI14__hip_fp8_e5m213FuncPreMulSumIS1_E11ProtoSimpleILi2ELi2ELi0ELi1ELi0ELi0EELi0ELi0ELi1ELi0EEEviiP15ncclDevWorkColl.has_recursion, or(1, .L__assert_fail.has_recursion)
	.set .L_ZN12_GLOBAL__N_17runRingI14__hip_fp8_e5m213FuncPreMulSumIS1_E11ProtoSimpleILi2ELi2ELi0ELi1ELi0ELi0EELi0ELi0ELi1ELi0EEEviiP15ncclDevWorkColl.has_indirect_call, or(0, .L__assert_fail.has_indirect_call)
	.section	.AMDGPU.csdata,"",@progbits
; Function info:
; codeLenInByte = 338980
; TotalNumSgprs: 93
; NumVgprs: 128
; ScratchSize: 288
; MemoryBound: 1
	.text
	.p2align	2                               ; -- Begin function _Z56ncclDevFunc_AllReduce_RING_SIMPLE_PreMulSum_f8e5m2_0_0_1v
	.type	_Z56ncclDevFunc_AllReduce_RING_SIMPLE_PreMulSum_f8e5m2_0_0_1v,@function
_Z56ncclDevFunc_AllReduce_RING_SIMPLE_PreMulSum_f8e5m2_0_0_1v: ; @_Z56ncclDevFunc_AllReduce_RING_SIMPLE_PreMulSum_f8e5m2_0_0_1v
; %bb.0:
	s_wait_loadcnt_dscnt 0x0
	s_wait_kmcnt 0x0
	s_mov_b32 s0, s33
	s_mov_b32 s33, s32
	s_or_saveexec_b32 s1, -1
	scratch_store_b32 off, v42, s33 offset:12 ; 4-byte Folded Spill
	s_wait_xcnt 0x0
	s_mov_b32 exec_lo, s1
	v_writelane_b32 v42, s0, 3
	s_add_co_i32 s32, s32, 32
	s_clause 0x2
	scratch_store_b32 off, v40, s33 offset:8
	; meta instruction
	scratch_store_b32 off, v41, s33 offset:4
	; meta instruction
	scratch_store_b32 off, v127, s33
	v_writelane_b32 v42, s34, 0
	v_writelane_b32 v42, s30, 1
	;; [unrolled: 1-line block ×3, first 2 shown]
	s_trap 2
	ds_load_b32 v0, v0
	s_wait_xcnt 0x2
	v_mov_b32_e32 v40, v31
	s_mov_b32 s91, s12
	s_mov_b64 s[92:93], s[8:9]
	s_mov_b32 s2, exec_lo
	s_wait_xcnt 0x1
	v_and_b32_e32 v41, 0x3ff, v40
	s_wait_dscnt 0x0
	s_wait_xcnt 0x0
	s_delay_alu instid0(VALU_DEP_1)
	v_cmpx_lt_i32_e64 v41, v0
	s_cbranch_execz .LBB3_5
; %bb.1:
	s_load_b32 s0, s[92:93], 0x0
	s_bfe_u32 s1, ttmp6, 0x4000c
	s_and_b32 s3, ttmp6, 15
	s_add_co_i32 s1, s1, 1
	s_getreg_b32 s4, hwreg(HW_REG_IB_STS2, 6, 4)
	s_mul_i32 s1, ttmp9, s1
	v_mov_b32_e32 v2, v41
	s_add_co_i32 s3, s3, s1
	s_cmp_eq_u32 s4, 0
                                        ; implicit-def: $vgpr3
	s_cselect_b32 s1, ttmp9, s3
	s_mov_b32 s3, 0
	s_wait_kmcnt 0x0
	s_cmp_lt_u32 s1, s0
	s_mov_b32 s1, 0
	s_cselect_b32 s0, 12, 18
	s_delay_alu instid0(SALU_CYCLE_1)
	s_add_nc_u64 s[4:5], s[92:93], s[0:1]
	s_load_u16 s0, s[4:5], 0x0
	s_trap 2
	ds_load_b32 v1, v0
	s_wait_dscnt 0x0
	s_wait_kmcnt 0x0
	v_mul_lo_u32 v1, v1, s0
	s_branch .LBB3_3
.LBB3_2:                                ;   in Loop: Header=BB3_3 Depth=1
	s_or_b32 exec_lo, exec_lo, s4
	v_dual_add_nc_u32 v2, s0, v2 :: v_dual_add_nc_u32 v3, v3, v1
	s_delay_alu instid0(VALU_DEP_1) | instskip(SKIP_1) | instid1(SALU_CYCLE_1)
	v_cmp_ge_i32_e32 vcc_lo, v2, v0
	s_or_b32 s3, vcc_lo, s3
	s_and_not1_b32 exec_lo, exec_lo, s3
	s_cbranch_execz .LBB3_5
.LBB3_3:                                ; =>This Inner Loop Header: Depth=1
	ds_load_b32 v4, v3
	s_mov_b32 s4, exec_lo
	s_wait_dscnt 0x0
	v_and_b32_e32 v4, 0x1000000, v4
	s_delay_alu instid0(VALU_DEP_1)
	v_cmpx_ne_u32_e32 0, v4
	s_cbranch_execz .LBB3_2
; %bb.4:                                ;   in Loop: Header=BB3_3 Depth=1
	ds_load_b64 v[4:5], v3 offset:104
	s_wait_dscnt 0x0
	flat_load_u8 v4, v[4:5]
	s_wait_xcnt 0x0
	v_mov_b32_e32 v5, s1
	s_wait_loadcnt_dscnt 0x0
	v_and_b32_e32 v4, 0xffff, v4
	ds_store_b64 v3, v[4:5] offset:104
	s_branch .LBB3_2
.LBB3_5:
	s_or_b32 exec_lo, exec_lo, s2
	s_wait_storecnt_dscnt 0x0
	s_barrier_signal -1
	s_barrier_wait -1
	s_trap 2
	ds_load_b32 v0, v0
	s_wait_dscnt 0x0
	v_cmp_gt_i32_e32 vcc_lo, 1, v0
	s_cbranch_vccnz .LBB3_13
; %bb.6:
	s_mov_b32 vcc_hi, 0
	s_get_pc_i64 s[94:95]
	s_add_nc_u64 s[94:95], s[94:95], _ZN12_GLOBAL__N_17runRingI14__hip_fp8_e5m213FuncPreMulSumIS1_E11ProtoSimpleILi2ELi2ELi0ELi1ELi0ELi0EELi0ELi0ELi1ELi0EEEviiP15ncclDevWorkColl@rel64+4
	s_branch .LBB3_8
.LBB3_7:                                ;   in Loop: Header=BB3_8 Depth=1
	s_or_b32 exec_lo, exec_lo, s34
	s_trap 2
	ds_load_b32 v0, v0
	s_add_co_i32 vcc_hi, vcc_hi, 1
	s_wait_dscnt 0x0
	v_cmp_lt_i32_e32 vcc_lo, vcc_hi, v0
	s_cbranch_vccz .LBB3_13
.LBB3_8:                                ; =>This Inner Loop Header: Depth=1
	s_trap 2
	ds_load_b32 v0, v0
	s_cmp_eq_u32 vcc_hi, 0
	s_cbranch_scc1 .LBB3_11
; %bb.9:                                ;   in Loop: Header=BB3_8 Depth=1
	s_trap 2
	s_wait_dscnt 0x0
	ds_load_b32 v1, v0
	s_wait_dscnt 0x0
	v_xor_b32_e32 v1, v1, v0
	s_delay_alu instid0(VALU_DEP_1) | instskip(NEXT) | instid1(VALU_DEP_1)
	v_and_b32_e32 v1, 0xff0000, v1
	v_cmp_eq_u32_e32 vcc_lo, 0, v1
	s_cbranch_vccnz .LBB3_11
; %bb.10:                               ;   in Loop: Header=BB3_8 Depth=1
	s_barrier_signal -1
	s_barrier_wait -1
	ds_load_b32 v0, v0
.LBB3_11:                               ;   in Loop: Header=BB3_8 Depth=1
	s_wait_dscnt 0x0
	v_lshrrev_b32_e32 v0, 11, v0
	s_mov_b32 s34, exec_lo
	s_delay_alu instid0(VALU_DEP_1) | instskip(NEXT) | instid1(VALU_DEP_1)
	v_and_b32_e32 v1, 0x1fe0, v0
	v_cmpx_lt_u32_e64 v41, v1
	s_cbranch_execz .LBB3_7
; %bb.12:                               ;   in Loop: Header=BB3_8 Depth=1
	s_mov_b64 s[0:1], src_shared_base
	v_dual_mov_b32 v31, v40 :: v_dual_mov_b32 v0, v41
	v_mov_b32_e32 v3, s1
	s_mov_b64 s[8:9], s[92:93]
	s_mov_b32 s12, s91
	s_swap_pc_i64 s[30:31], s[94:95]
	s_branch .LBB3_7
.LBB3_13:
	s_clause 0x2
	scratch_load_b32 v127, off, s33
	scratch_load_b32 v41, off, s33 offset:4
	scratch_load_b32 v40, off, s33 offset:8
	v_readlane_b32 s30, v42, 1
	v_readlane_b32 s31, v42, 2
	;; [unrolled: 1-line block ×3, first 2 shown]
	s_mov_b32 s32, s33
	v_readlane_b32 s0, v42, 3
	s_wait_xcnt 0x0
	s_or_saveexec_b32 s1, -1
	scratch_load_b32 v42, off, s33 offset:12 ; 4-byte Folded Reload
	s_wait_xcnt 0x0
	s_mov_b32 exec_lo, s1
	s_mov_b32 s33, s0
	s_wait_loadcnt 0x0
	s_set_pc_i64 s[30:31]
.Lfunc_end3:
	.size	_Z56ncclDevFunc_AllReduce_RING_SIMPLE_PreMulSum_f8e5m2_0_0_1v, .Lfunc_end3-_Z56ncclDevFunc_AllReduce_RING_SIMPLE_PreMulSum_f8e5m2_0_0_1v
                                        ; -- End function
	.set .L_Z56ncclDevFunc_AllReduce_RING_SIMPLE_PreMulSum_f8e5m2_0_0_1v.num_vgpr, max(128, .L_ZN12_GLOBAL__N_17runRingI14__hip_fp8_e5m213FuncPreMulSumIS1_E11ProtoSimpleILi2ELi2ELi0ELi1ELi0ELi0EELi0ELi0ELi1ELi0EEEviiP15ncclDevWorkColl.num_vgpr)
	.set .L_Z56ncclDevFunc_AllReduce_RING_SIMPLE_PreMulSum_f8e5m2_0_0_1v.num_agpr, max(0, .L_ZN12_GLOBAL__N_17runRingI14__hip_fp8_e5m213FuncPreMulSumIS1_E11ProtoSimpleILi2ELi2ELi0ELi1ELi0ELi0EELi0ELi0ELi1ELi0EEEviiP15ncclDevWorkColl.num_agpr)
	.set .L_Z56ncclDevFunc_AllReduce_RING_SIMPLE_PreMulSum_f8e5m2_0_0_1v.numbered_sgpr, max(96, .L_ZN12_GLOBAL__N_17runRingI14__hip_fp8_e5m213FuncPreMulSumIS1_E11ProtoSimpleILi2ELi2ELi0ELi1ELi0ELi0EELi0ELi0ELi1ELi0EEEviiP15ncclDevWorkColl.numbered_sgpr)
	.set .L_Z56ncclDevFunc_AllReduce_RING_SIMPLE_PreMulSum_f8e5m2_0_0_1v.num_named_barrier, max(0, .L_ZN12_GLOBAL__N_17runRingI14__hip_fp8_e5m213FuncPreMulSumIS1_E11ProtoSimpleILi2ELi2ELi0ELi1ELi0ELi0EELi0ELi0ELi1ELi0EEEviiP15ncclDevWorkColl.num_named_barrier)
	.set .L_Z56ncclDevFunc_AllReduce_RING_SIMPLE_PreMulSum_f8e5m2_0_0_1v.private_seg_size, 32+max(.L_ZN12_GLOBAL__N_17runRingI14__hip_fp8_e5m213FuncPreMulSumIS1_E11ProtoSimpleILi2ELi2ELi0ELi1ELi0ELi0EELi0ELi0ELi1ELi0EEEviiP15ncclDevWorkColl.private_seg_size)
	.set .L_Z56ncclDevFunc_AllReduce_RING_SIMPLE_PreMulSum_f8e5m2_0_0_1v.uses_vcc, or(1, .L_ZN12_GLOBAL__N_17runRingI14__hip_fp8_e5m213FuncPreMulSumIS1_E11ProtoSimpleILi2ELi2ELi0ELi1ELi0ELi0EELi0ELi0ELi1ELi0EEEviiP15ncclDevWorkColl.uses_vcc)
	.set .L_Z56ncclDevFunc_AllReduce_RING_SIMPLE_PreMulSum_f8e5m2_0_0_1v.uses_flat_scratch, or(1, .L_ZN12_GLOBAL__N_17runRingI14__hip_fp8_e5m213FuncPreMulSumIS1_E11ProtoSimpleILi2ELi2ELi0ELi1ELi0ELi0EELi0ELi0ELi1ELi0EEEviiP15ncclDevWorkColl.uses_flat_scratch)
	.set .L_Z56ncclDevFunc_AllReduce_RING_SIMPLE_PreMulSum_f8e5m2_0_0_1v.has_dyn_sized_stack, or(0, .L_ZN12_GLOBAL__N_17runRingI14__hip_fp8_e5m213FuncPreMulSumIS1_E11ProtoSimpleILi2ELi2ELi0ELi1ELi0ELi0EELi0ELi0ELi1ELi0EEEviiP15ncclDevWorkColl.has_dyn_sized_stack)
	.set .L_Z56ncclDevFunc_AllReduce_RING_SIMPLE_PreMulSum_f8e5m2_0_0_1v.has_recursion, or(1, .L_ZN12_GLOBAL__N_17runRingI14__hip_fp8_e5m213FuncPreMulSumIS1_E11ProtoSimpleILi2ELi2ELi0ELi1ELi0ELi0EELi0ELi0ELi1ELi0EEEviiP15ncclDevWorkColl.has_recursion)
	.set .L_Z56ncclDevFunc_AllReduce_RING_SIMPLE_PreMulSum_f8e5m2_0_0_1v.has_indirect_call, or(0, .L_ZN12_GLOBAL__N_17runRingI14__hip_fp8_e5m213FuncPreMulSumIS1_E11ProtoSimpleILi2ELi2ELi0ELi1ELi0ELi0EELi0ELi0ELi1ELi0EEEviiP15ncclDevWorkColl.has_indirect_call)
	.section	.AMDGPU.csdata,"",@progbits
; Function info:
; codeLenInByte = 788
; TotalNumSgprs: 98
; NumVgprs: 128
; ScratchSize: 320
; MemoryBound: 0
	.text
	.p2align	2                               ; -- Begin function _ZN12_GLOBAL__N_17runRingI14__hip_fp8_e5m213FuncPreMulSumIS1_E11ProtoSimpleILi2ELi2ELi0ELi2ELi0ELi0EELi0ELi0ELi2ELi0EEEviiP15ncclDevWorkColl
	.type	_ZN12_GLOBAL__N_17runRingI14__hip_fp8_e5m213FuncPreMulSumIS1_E11ProtoSimpleILi2ELi2ELi0ELi2ELi0ELi0EELi0ELi0ELi2ELi0EEEviiP15ncclDevWorkColl,@function
_ZN12_GLOBAL__N_17runRingI14__hip_fp8_e5m213FuncPreMulSumIS1_E11ProtoSimpleILi2ELi2ELi0ELi2ELi0ELi0EELi0ELi0ELi2ELi0EEEviiP15ncclDevWorkColl: ; @_ZN12_GLOBAL__N_17runRingI14__hip_fp8_e5m213FuncPreMulSumIS1_E11ProtoSimpleILi2ELi2ELi0ELi2ELi0ELi0EELi0ELi0ELi2ELi0EEEviiP15ncclDevWorkColl
; %bb.0:
	s_wait_loadcnt_dscnt 0x0
	s_wait_kmcnt 0x0
	s_mov_b32 s90, s33
	s_mov_b32 s33, s32
	s_or_saveexec_b32 s0, -1
	scratch_store_b32 off, v127, s33 offset:312 ; 4-byte Folded Spill
	s_wait_xcnt 0x0
	s_mov_b32 exec_lo, s0
	s_addk_co_i32 s32, 0x140
	s_clause 0x2e
	scratch_store_b32 off, v40, s33 offset:184
	; meta instruction
	scratch_store_b32 off, v41, s33 offset:180
	; meta instruction
	;; [unrolled: 2-line block ×46, first 2 shown]
	scratch_store_b32 off, v126, s33
	v_writelane_b32 v127, s30, 0
	v_writelane_b32 v127, s31, 1
	v_mov_b32_e32 v19, v1
	s_trap 2
	flat_load_b32 v1, v[2:3]
	ds_load_b32 v6, v0
	s_mov_b32 s0, exec_lo
                                        ; implicit-def: $vgpr10_vgpr11
                                        ; implicit-def: $vgpr4_vgpr5
                                        ; kill: killed $vgpr10_vgpr11
                                        ; implicit-def: $vgpr10_vgpr11
	scratch_store_b128 off, v[10:13], s33 offset:252 ; 16-byte Folded Spill
	s_wait_dscnt 0x0
	v_readfirstlane_b32 s16, v6
	s_wait_loadcnt 0x0
	v_and_b32_e32 v8, 0xff, v1
	s_wait_xcnt 0x0
	s_delay_alu instid0(VALU_DEP_1)
	v_cmpx_ne_u32_e64 v6, v8
	s_xor_b32 s0, exec_lo, s0
	s_cbranch_execz .LBB4_6
; %bb.1:
	v_bfe_u32 v7, v1, 8, 8
	v_not_b32_e32 v1, v8
	s_mov_b32 s1, exec_lo
                                        ; implicit-def: $vgpr8_vgpr9
                                        ; implicit-def: $vgpr4_vgpr5
                                        ; kill: killed $vgpr8_vgpr9
                                        ; implicit-def: $vgpr8_vgpr9
	scratch_store_b128 off, v[8:11], s33 offset:252 ; 16-byte Folded Spill
	s_wait_xcnt 0x0
	v_cmpx_ne_u32_e64 v6, v7
	s_xor_b32 s1, exec_lo, s1
	s_cbranch_execz .LBB4_3
; %bb.2:
	s_clause 0x1
	flat_load_b128 v[8:11], v[2:3] offset:72
	flat_load_b64 v[4:5], v[2:3] offset:96
	v_add_nc_u32_e32 v1, v6, v1
	s_wait_loadcnt_dscnt 0x101
	s_delay_alu instid0(VALU_DEP_1) | instskip(SKIP_2) | instid1(VALU_DEP_2)
	v_mad_nc_u64_u32 v[8:9], v10, v1, v[8:9]
	s_wait_loadcnt_dscnt 0x0
	v_lshrrev_b64 v[4:5], 12, v[4:5]
	v_mad_u32 v6, v11, v1, v9
	v_ashrrev_i32_e32 v1, 31, v1
	s_delay_alu instid0(VALU_DEP_1)
	v_mad_u32 v9, v10, v1, v6
	v_mov_b64_e32 v[6:7], v[10:11]
                                        ; implicit-def: $vgpr1
	s_clause 0x1
	scratch_store_b64 off, v[8:9], s33 offset:268
	scratch_store_b128 off, v[6:9], s33 offset:252
                                        ; implicit-def: $vgpr7
.LBB4_3:
	s_wait_xcnt 0x0
	s_and_not1_saveexec_b32 s1, s1
	s_cbranch_execz .LBB4_5
; %bb.4:
	s_clause 0x1
	flat_load_b128 v[8:11], v[2:3] offset:72
	flat_load_b128 v[12:15], v[2:3] offset:88
	v_add_nc_u32_e32 v1, v7, v1
	s_wait_loadcnt_dscnt 0x101
	s_delay_alu instid0(VALU_DEP_1) | instskip(NEXT) | instid1(VALU_DEP_1)
	v_mad_nc_u64_u32 v[6:7], v10, v1, v[8:9]
	v_mad_u32 v4, v11, v1, v7
	v_ashrrev_i32_e32 v1, 31, v1
	s_delay_alu instid0(VALU_DEP_1)
	v_mad_u32 v7, v10, v1, v4
	s_wait_loadcnt_dscnt 0x0
	v_mov_b64_e32 v[4:5], v[12:13]
	s_clause 0x1
	scratch_store_b64 off, v[6:7], s33 offset:268
	scratch_store_b128 off, v[4:7], s33 offset:252
	s_wait_xcnt 0x0
	v_lshrrev_b32_e32 v4, 1, v15
.LBB4_5:
	s_or_b32 exec_lo, exec_lo, s1
.LBB4_6:
	s_and_not1_saveexec_b32 s0, s0
	s_cbranch_execz .LBB4_8
; %bb.7:
	s_clause 0x1
	flat_load_b64 v[4:5], v[2:3] offset:96
	flat_load_b64 v[6:7], v[2:3] offset:72
	s_wait_loadcnt_dscnt 0x101
	v_lshlrev_b64_e32 v[4:5], 9, v[4:5]
	s_wait_loadcnt_dscnt 0x0
	scratch_store_b128 off, v[6:9], s33 offset:252 ; 16-byte Folded Spill
	s_wait_xcnt 0x0
	v_mov_b64_e32 v[6:7], 0
	scratch_store_b64 off, v[6:7], s33 offset:268 ; 8-byte Folded Spill
.LBB4_8:
	s_wait_xcnt 0x0
	s_or_b32 exec_lo, exec_lo, s0
	s_trap 2
	ds_load_b64 v[6:7], v0
	s_mov_b32 s1, 0
	s_mov_b32 s2, exec_lo
	s_wait_dscnt 0x0
	v_cmp_ne_u32_e32 vcc_lo, -1, v6
	v_cndmask_b32_e64 v5, 0, 1, vcc_lo
	v_cmp_ne_u32_e32 vcc_lo, -1, v7
	s_delay_alu instid0(VALU_DEP_2) | instskip(NEXT) | instid1(VALU_DEP_1)
	v_add_co_ci_u32_e64 v8, null, 0, v5, vcc_lo
	v_lshlrev_b32_e32 v1, 1, v8
	s_delay_alu instid0(VALU_DEP_1)
	v_cmpx_le_u32_e64 v1, v19
	s_xor_b32 s44, exec_lo, s2
	s_cbranch_execnz .LBB4_9
; %bb.18225:
	s_add_pc_i64 .LBB4_18212-.Lpost_addpc16
.Lpost_addpc16:
.LBB4_9:
	s_clause 0x3
	flat_load_b128 v[10:13], v[2:3] offset:16
	flat_load_b64 v[14:15], v[2:3] offset:104
	flat_load_u16 v7, v[2:3] offset:8
	flat_load_b32 v6, v[2:3] offset:4
	s_trap 2
	s_load_b32 s0, s[8:9], 0x0
	s_bfe_u32 s2, ttmp6, 0x4000c
	s_and_b32 s3, ttmp6, 15
	s_add_co_i32 s2, s2, 1
	s_getreg_b32 s4, hwreg(HW_REG_IB_STS2, 6, 4)
	s_mul_i32 s2, ttmp9, s2
	v_dual_mov_b32 v1, 0 :: v_dual_mov_b32 v126, 4
	s_add_co_i32 s3, s3, s2
	s_cmp_eq_u32 s4, 0
	ds_load_b32 v9, v0
	s_cselect_b32 s2, ttmp9, s3
	s_wait_kmcnt 0x0
	s_cmp_lt_u32 s2, s0
	s_cselect_b32 s0, 12, 18
	s_delay_alu instid0(SALU_CYCLE_1)
	s_add_nc_u64 s[0:1], s[8:9], s[0:1]
	global_load_u16 v1, v1, s[0:1]
	s_wait_xcnt 0x0
	s_mov_b32 s1, exec_lo
	s_wait_dscnt 0x0
	v_readfirstlane_b32 s12, v9
	v_cmpx_ge_u32_e64 v0, v5
	s_cbranch_execz .LBB4_19
; %bb.10:
	v_cmp_ge_u32_e64 s0, v0, v8
                                        ; implicit-def: $vgpr126
	s_and_saveexec_b32 s2, s0
	s_delay_alu instid0(SALU_CYCLE_1)
	s_xor_b32 s0, exec_lo, s2
	s_cbranch_execz .LBB4_16
; %bb.11:
	v_cndmask_b32_e64 v9, 0, 1, vcc_lo
	s_mov_b32 s2, exec_lo
	s_delay_alu instid0(VALU_DEP_1) | instskip(NEXT) | instid1(VALU_DEP_1)
	v_sub_nc_u32_e32 v9, v19, v9
	v_cmpx_ge_u32_e64 v0, v9
	s_xor_b32 s2, exec_lo, s2
; %bb.12:
                                        ; implicit-def: $vgpr8
; %bb.13:
	s_delay_alu instid0(SALU_CYCLE_1)
	s_or_saveexec_b32 s2, s2
	v_mov_b32_e32 v126, 16
	s_xor_b32 exec_lo, exec_lo, s2
; %bb.14:
	v_sub_nc_u32_e32 v8, v19, v8
	s_delay_alu instid0(VALU_DEP_1)
	v_cmp_lt_i32_e32 vcc_lo, v0, v8
	v_cndmask_b32_e64 v126, 32, 0, vcc_lo
; %bb.15:
	s_or_b32 exec_lo, exec_lo, s2
.LBB4_16:
	s_and_not1_saveexec_b32 s0, s0
; %bb.17:
	v_mov_b32_e32 v126, 8
; %bb.18:
	s_or_b32 exec_lo, exec_lo, s0
.LBB4_19:
	s_delay_alu instid0(SALU_CYCLE_1) | instskip(NEXT) | instid1(VALU_DEP_1)
	s_or_b32 exec_lo, exec_lo, s1
	v_dual_mov_b32 v16, -1 :: v_dual_bitop2_b32 v8, 36, v126 bitop3:0x40
	s_delay_alu instid0(VALU_DEP_1)
	v_cmp_ne_u32_e32 vcc_lo, 0, v8
	s_and_saveexec_b32 s0, vcc_lo
	s_cbranch_execz .LBB4_21
; %bb.20:
	s_trap 2
	ds_load_b32 v16, v0
.LBB4_21:
	s_or_b32 exec_lo, exec_lo, s0
	v_and_b32_e32 v8, 24, v126
	s_mov_b32 s1, exec_lo
	s_delay_alu instid0(VALU_DEP_1)
	v_cmpx_ne_u32_e32 0, v8
	s_cbranch_execz .LBB4_23
; %bb.22:
	s_trap 2
	s_wait_dscnt 0x0
	ds_load_b32 v16, v0
.LBB4_23:
	s_or_b32 exec_lo, exec_lo, s1
	s_wait_loadcnt 0x1
	v_lshrrev_b64 v[8:9], 31, v[6:7]
	v_mov_b64_e32 v[20:21], 0
	v_mov_b64_e32 v[6:7], 0
                                        ; implicit-def: $vgpr24
                                        ; implicit-def: $vgpr98_vgpr99
                                        ; implicit-def: $vgpr26_vgpr27
                                        ; implicit-def: $vgpr34_vgpr35
                                        ; implicit-def: $vgpr22_vgpr23
	s_delay_alu instid0(VALU_DEP_3)
	v_and_b32_e32 v17, 3, v8
                                        ; implicit-def: $vgpr8_vgpr9
                                        ; kill: killed $vgpr8_vgpr9
	s_and_saveexec_b32 s0, vcc_lo
	s_cbranch_execz .LBB4_33
; %bb.24:
	s_trap 2
	ds_load_b64 v[6:7], v0
	v_and_b32_e32 v8, 0xffff, v17
	s_wait_dscnt 0x0
	v_readfirstlane_b32 s2, v6
	v_readfirstlane_b32 s3, v7
	flat_load_b64 v[6:7], v16, s[2:3] scale_offset
	s_wait_loadcnt_dscnt 0x0
	v_mad_nc_u64_u32 v[8:9], 0xa8, v8, v[6:7]
	flat_load_b32 v6, v[8:9] offset:640
	s_wait_loadcnt_dscnt 0x0
	v_cmp_eq_u32_e32 vcc_lo, 1, v6
                                        ; implicit-def: $vgpr6_vgpr7
                                        ; kill: killed $vgpr6_vgpr7
	s_wait_xcnt 0x0
	s_and_saveexec_b32 s1, vcc_lo
	s_cbranch_execz .LBB4_26
; %bb.25:
	flat_load_b64 v[20:21], v[8:9] offset:648
	v_or_b32_e32 v126, 0x2000, v126
	s_wait_loadcnt_dscnt 0x0
	flat_load_b64 v[6:7], v[20:21]
	s_trap 2
	scratch_store_b64 off, v[20:21], s33 offset:304 ; 8-byte Folded Spill
	s_wait_loadcnt_dscnt 0x0
	ds_store_b64 v0, v[6:7]
	flat_load_b64 v[6:7], v[20:21] offset:8
	s_wait_loadcnt_dscnt 0x0
	ds_store_b64 v0, v[6:7]
	flat_load_b64 v[6:7], v[20:21] offset:16
	s_wait_loadcnt_dscnt 0x0
	ds_store_b64 v0, v[6:7]
.LBB4_26:
	s_wait_xcnt 0x0
	s_or_b32 exec_lo, exec_lo, s1
	flat_load_b64 v[6:7], v[8:9] offset:608
	s_mov_b32 s1, exec_lo
                                        ; implicit-def: $vgpr22_vgpr23
	s_wait_loadcnt_dscnt 0x0
	v_add_nc_u64_e32 v[98:99], 3, v[6:7]
	v_and_b32_e32 v6, 32, v126
	s_delay_alu instid0(VALU_DEP_2) | instskip(SKIP_1) | instid1(VALU_DEP_2)
	v_and_b32_e32 v98, -4, v98
	s_wait_xcnt 0x0
	v_cmpx_ne_u32_e32 0, v6
	s_cbranch_execz .LBB4_28
; %bb.27:
	flat_load_b64 v[22:23], v[8:9] offset:560
	global_wb scope:SCOPE_SYS
	s_wait_storecnt 0x0
	s_wait_xcnt 0x0
	s_wait_loadcnt_dscnt 0x0
	flat_store_b64 v[22:23], v[98:99] scope:SCOPE_SYS
.LBB4_28:
	s_wait_xcnt 0x0
	s_or_b32 exec_lo, exec_lo, s1
	v_add_nc_u64_e32 v[20:21], 0x1f8, v[8:9]
	v_mov_b64_e32 v[6:7], 0
	v_and_b32_e32 v18, 4, v126
	s_mov_b32 s1, exec_lo
                                        ; implicit-def: $vgpr24
                                        ; implicit-def: $vgpr26_vgpr27
                                        ; implicit-def: $vgpr34_vgpr35
	s_delay_alu instid0(VALU_DEP_1)
	v_cmpx_ne_u32_e32 0, v18
	s_cbranch_execz .LBB4_32
; %bb.29:
	v_and_b32_e32 v6, 0x800, v126
	s_mov_b32 s2, exec_lo
	s_delay_alu instid0(VALU_DEP_1)
	v_cmpx_eq_u32_e32 0, v6
	s_cbranch_execz .LBB4_31
; %bb.30:
	s_trap 2
	ds_store_b64 v0, v[20:21]
.LBB4_31:
	s_or_b32 exec_lo, exec_lo, s2
	flat_load_b64 v[22:23], v[8:9] offset:552
	s_wait_loadcnt_dscnt 0x0
	flat_load_b64 v[34:35], v[22:23] scope:SCOPE_SYS
	s_clause 0x2
	flat_load_b64 v[6:7], v[8:9] offset:600
	flat_load_b32 v24, v[8:9] offset:576
	flat_load_b64 v[26:27], v[8:9] offset:520
	s_wait_xcnt 0x0
	v_or_b32_e32 v8, 0x100, v126
	s_wait_loadcnt_dscnt 0x202
	v_cmp_eq_u64_e32 vcc_lo, 0, v[6:7]
	s_delay_alu instid0(VALU_DEP_2)
	v_cndmask_b32_e32 v126, v8, v126, vcc_lo
.LBB4_32:
	s_or_b32 exec_lo, exec_lo, s1
.LBB4_33:
	s_delay_alu instid0(SALU_CYCLE_1) | instskip(NEXT) | instid1(VALU_DEP_1)
	s_or_b32 exec_lo, exec_lo, s0
	v_and_b32_e32 v8, 24, v126
	s_mov_b32 s0, exec_lo
                                        ; implicit-def: $vgpr28_vgpr29
	s_delay_alu instid0(VALU_DEP_1)
	v_cmpx_ne_u32_e32 0, v8
	s_cbranch_execz .LBB4_41
; %bb.34:
	s_trap 2
	ds_load_b64 v[6:7], v0
	v_and_b32_e32 v8, 0xffff, v17
	s_mov_b32 s1, exec_lo
                                        ; implicit-def: $vgpr28_vgpr29
	s_wait_dscnt 0x0
	v_readfirstlane_b32 s2, v6
	v_readfirstlane_b32 s3, v7
	flat_load_b64 v[6:7], v16, s[2:3] scale_offset
	s_wait_xcnt 0x0
	v_or_b32_e32 v16, 0x100, v126
	s_wait_loadcnt_dscnt 0x0
	v_mad_nc_u64_u32 v[20:21], 0xa8, v8, v[6:7]
	flat_load_b128 v[6:9], v[20:21] offset:96
	s_wait_loadcnt_dscnt 0x0
	v_cmp_eq_u64_e32 vcc_lo, 0, v[6:7]
	v_cndmask_b32_e32 v126, v16, v126, vcc_lo
	s_delay_alu instid0(VALU_DEP_1) | instskip(SKIP_1) | instid1(VALU_DEP_1)
	v_and_b32_e32 v16, 16, v126
	s_wait_xcnt 0x0
	v_cmpx_ne_u32_e32 0, v16
	s_cbranch_execz .LBB4_36
; %bb.35:
	s_clause 0x2
	flat_load_b64 v[22:23], v[20:21] offset:48
	flat_load_b64 v[28:29], v[20:21] offset:120
	;; [unrolled: 1-line block ×3, first 2 shown]
.LBB4_36:
	s_wait_xcnt 0x0
	s_or_b32 exec_lo, exec_lo, s1
	v_add_nc_u64_e32 v[98:99], 3, v[8:9]
	v_and_b32_e32 v8, 8, v126
	s_mov_b32 s1, exec_lo
	s_delay_alu instid0(VALU_DEP_2) | instskip(NEXT) | instid1(VALU_DEP_2)
	v_and_b32_e32 v98, -4, v98
	v_cmpx_ne_u32_e32 0, v8
	s_cbranch_execz .LBB4_40
; %bb.37:
	v_and_b32_e32 v8, 0x800, v126
	s_mov_b32 s2, exec_lo
	s_delay_alu instid0(VALU_DEP_1)
	v_cmpx_eq_u32_e32 0, v8
	s_cbranch_execz .LBB4_39
; %bb.38:
	s_trap 2
	ds_store_b64 v0, v[20:21]
.LBB4_39:
	s_or_b32 exec_lo, exec_lo, s2
	s_wait_loadcnt_dscnt 0x202
	flat_load_b64 v[22:23], v[20:21] offset:56
	s_wait_loadcnt_dscnt 0x0
	flat_load_b64 v[34:35], v[22:23] scope:SCOPE_SYS
	s_clause 0x1
	flat_load_b32 v24, v[20:21] offset:72
	flat_load_b64 v[26:27], v[20:21] offset:16
.LBB4_40:
	s_wait_xcnt 0x0
	s_or_b32 exec_lo, exec_lo, s1
.LBB4_41:
	s_delay_alu instid0(SALU_CYCLE_1)
	s_or_b32 exec_lo, exec_lo, s0
	v_cmp_eq_u32_e64 s0, 0, v0
	s_and_saveexec_b32 s1, s0
	s_cbranch_execz .LBB4_43
; %bb.42:
	flat_load_b64 v[8:9], v[2:3] offset:32
	ds_store_2addr_b64 v0, v[12:13], v[10:11] offset1:1
	s_trap 2
	s_wait_loadcnt_dscnt 0x1
	ds_store_b64 v0, v[8:9]
	ds_store_b64 v0, v[14:15]
.LBB4_43:
	s_wait_xcnt 0x0
	s_or_b32 exec_lo, exec_lo, s1
	scratch_load_b128 v[8:11], off, s33 offset:252 ; 16-byte Folded Reload
	v_mov_b64_e32 v[32:33], 0
	s_wait_loadcnt 0x0
	v_cmp_lt_i64_e32 vcc_lo, 0, v[8:9]
	v_and_b32_e32 v8, 0xffff, v1
	s_wait_xcnt 0x0
	s_and_saveexec_b32 s45, vcc_lo
	s_cbranch_execnz .LBB4_44
; %bb.18227:
	s_add_pc_i64 .LBB4_18178-.Lpost_addpc17
.Lpost_addpc17:
.LBB4_44:
	flat_load_b32 v2, v[2:3] offset:4
	s_wait_xcnt 0x0
	v_mov_b32_e32 v3, 0
	v_and_b32_e32 v10, 0x3ffffe00, v4
	s_ashr_i32 s17, s16, 31
	s_add_co_i32 s46, s16, s16
	s_not_b32 s6, s16
	v_and_b32_e32 v4, 31, v31
	scratch_store_b32 off, v8, s33 offset:300 ; 4-byte Folded Spill
	v_cmp_ne_u32_e64 s3, v19, v8
	s_wait_xcnt 0x0
	v_dual_lshrrev_b32 v9, 5, v0 :: v_dual_bitop2_b32 v8, 31, v0 bitop3:0x40
	v_dual_mov_b32 v11, v3 :: v_dual_mov_b32 v37, v3
	s_clause 0x1
	scratch_store_b64 off, v[20:21], s33 offset:292
	scratch_store_b32 off, v19, s33 offset:284
	s_cmp_gt_i32 s16, 0
	v_mov_b32_e32 v49, 0x7c
	s_cselect_b32 s6, s6, -1
	scratch_store_b64 off, v[10:11], s33 offset:204 ; 8-byte Folded Spill
	s_add_co_i32 s26, s6, s46
	v_cmp_eq_u32_e64 s6, 0, v4
	v_lshlrev_b32_e32 v4, 4, v8
	v_mul_u64_e32 v[14:15], s[16:17], v[10:11]
	s_ashr_i32 s7, s12, 31
	v_cmp_lt_u32_e64 s10, v8, v5
	s_lshr_b32 s13, s7, 25
	s_wait_xcnt 0x0
	v_lshl_or_b32 v10, v9, 10, v4
	scratch_store_b32 off, v31, s33 offset:288 ; 4-byte Folded Spill
	v_cmp_eq_u32_e64 s7, 0, v8
	v_cmp_le_u32_e64 s11, v8, v5
	v_lshl_or_b32 v80, v9, 11, v4
	scratch_store_b64 off, v[10:11], s33 offset:212 ; 8-byte Folded Spill
	s_trap 2
	scratch_load_b128 v[8:11], off, s33 offset:252 ; 16-byte Folded Reload
	v_and_b32_e32 v38, 0x1fe0, v19
	s_wait_dscnt 0x2
	v_dual_ashrrev_i32 v25, 31, v24 :: v_dual_lshrrev_b32 v36, 5, v19
	s_add_co_i32 s12, s12, s13
	s_ashr_i32 s27, s26, 31
	v_subrev_nc_u32_e32 v70, 32, v38
	s_ashr_i32 s56, s12, 7
	v_dual_mov_b32 v55, v3 :: v_dual_lshlrev_b32 v54, 9, v36
	s_cmp_gt_i32 s16, 2
	s_delay_alu instid0(VALU_DEP_2) | instskip(SKIP_1) | instid1(VALU_DEP_2)
	v_ashrrev_i32_e32 v71, 31, v70
	s_cselect_b32 s57, -1, 0
	v_add_nc_u32_e32 v82, 0xfffffe00, v54
	s_add_co_i32 s13, s16, 1
	v_cmp_ge_u32_e32 vcc_lo, v0, v19
	v_cmp_eq_u64_e64 s4, 0, v[28:29]
	v_cmp_ne_u64_e64 s5, 0, v[28:29]
	v_mov_b64_e32 v[12:13], 0
	v_mov_b64_e32 v[32:33], 0
	v_add_nc_u64_e32 v[84:85], 32, v[70:71]
	v_cmp_eq_u32_e64 s1, 32, v19
	v_cmp_ne_u32_e64 s2, 32, v19
	v_dual_mov_b32 v1, 1 :: v_dual_mov_b32 v48, 0x7f800000
	v_dual_mov_b32 v53, v3 :: v_dual_lshlrev_b32 v52, 11, v36
	v_dual_mov_b32 v39, v3 :: v_dual_lshlrev_b32 v68, 10, v36
	v_dual_mov_b32 v69, v3 :: v_dual_mov_b32 v81, v3
	v_ashrrev_i32_e32 v83, 31, v82
	s_mov_b32 s19, 0
	s_mov_b64 s[20:21], 0xffffffff
	s_mov_b32 s47, 0x7f800000
	s_mov_b64 s[22:23], 0xffffffffffffff
	s_add_nc_u64 s[24:25], s[16:17], -1
	s_mov_b32 s62, 0
	scratch_store_b64 off, v[14:15], s33 offset:276 ; 8-byte Folded Spill
	s_wait_loadcnt_dscnt 0x100
	v_and_b32_e32 v2, 1, v2
	s_delay_alu instid0(VALU_DEP_1)
	v_cmp_eq_u32_e64 s12, 1, v2
	s_xor_b32 s58, s12, -1
	s_cmp_ge_i32 s13, s16
	s_cselect_b32 s14, s16, 0
	s_add_co_i32 s59, s16, -2
	s_sub_co_i32 s40, s13, s14
	s_xor_b32 s60, vcc_lo, -1
	s_ashr_i32 s28, s17, 31
	s_sub_co_i32 s61, 0, s16
	s_ashr_i32 s41, s40, 31
	s_wait_loadcnt 0x0
	v_mov_b64_e32 v[4:5], v[8:9]
	s_branch .LBB4_47
.LBB4_45:                               ;   in Loop: Header=BB4_47 Depth=1
	s_or_b32 exec_lo, exec_lo, s15
.LBB4_46:                               ;   in Loop: Header=BB4_47 Depth=1
	s_delay_alu instid0(SALU_CYCLE_1)
	s_or_b32 exec_lo, exec_lo, s14
	s_clause 0x2
	scratch_load_b64 v[12:13], off, s33 offset:244 th:TH_LOAD_LU
	scratch_load_b64 v[14:15], off, s33 offset:276
	scratch_load_b128 v[8:11], off, s33 offset:252
	s_wait_loadcnt 0x1
	v_add_nc_u64_e32 v[12:13], v[12:13], v[14:15]
	s_wait_loadcnt 0x0
	v_mov_b64_e32 v[4:5], v[8:9]
	s_delay_alu instid0(VALU_DEP_1)
	v_cmp_ge_i64_e32 vcc_lo, v[12:13], v[4:5]
	s_or_b32 s62, vcc_lo, s62
	s_wait_xcnt 0x0
	s_and_not1_b32 exec_lo, exec_lo, s62
	s_cbranch_execnz .LBB4_47
; %bb.18229:
	s_add_pc_i64 .LBB4_18177-.Lpost_addpc18
.Lpost_addpc18:
.LBB4_47:                               ; =>This Loop Header: Depth=1
                                        ;     Child Loop BB4_57 Depth 2
                                        ;       Child Loop BB4_65 Depth 3
                                        ;       Child Loop BB4_89 Depth 3
	;; [unrolled: 1-line block ×9, first 2 shown]
                                        ;     Child Loop BB4_3207 Depth 2
                                        ;       Child Loop BB4_3213 Depth 3
                                        ;       Child Loop BB4_3237 Depth 3
	;; [unrolled: 1-line block ×3, first 2 shown]
                                        ;     Child Loop BB4_3279 Depth 2
                                        ;       Child Loop BB4_3282 Depth 3
                                        ;         Child Loop BB4_3290 Depth 4
                                        ;         Child Loop BB4_3318 Depth 4
	;; [unrolled: 1-line block ×9, first 2 shown]
                                        ;       Child Loop BB4_8080 Depth 3
                                        ;         Child Loop BB4_8086 Depth 4
                                        ;         Child Loop BB4_8114 Depth 4
	;; [unrolled: 1-line block ×3, first 2 shown]
                                        ;     Child Loop BB4_8155 Depth 2
                                        ;       Child Loop BB4_8163 Depth 3
                                        ;       Child Loop BB4_8191 Depth 3
	;; [unrolled: 1-line block ×5, first 2 shown]
                                        ;         Child Loop BB4_11531 Depth 4
                                        ;       Child Loop BB4_11564 Depth 3
                                        ;       Child Loop BB4_12823 Depth 3
                                        ;         Child Loop BB4_12910 Depth 4
                                        ;       Child Loop BB4_12924 Depth 3
                                        ;       Child Loop BB4_15177 Depth 3
                                        ;       Child Loop BB4_16247 Depth 3
                                        ;       Child Loop BB4_17508 Depth 3
                                        ;       Child Loop BB4_17602 Depth 3
                                        ;       Child Loop BB4_17621 Depth 3
                                        ;     Child Loop BB4_17640 Depth 2
                                        ;       Child Loop BB4_17646 Depth 3
                                        ;       Child Loop BB4_17674 Depth 3
	;; [unrolled: 1-line block ×3, first 2 shown]
                                        ;     Child Loop BB4_17715 Depth 2
                                        ;       Child Loop BB4_17718 Depth 3
                                        ;         Child Loop BB4_17726 Depth 4
                                        ;         Child Loop BB4_17754 Depth 4
	;; [unrolled: 1-line block ×5, first 2 shown]
                                        ;           Child Loop BB4_17806 Depth 5
                                        ;         Child Loop BB4_17813 Depth 4
                                        ;         Child Loop BB4_17818 Depth 4
                                        ;           Child Loop BB4_17819 Depth 5
                                        ;         Child Loop BB4_17831 Depth 4
                                        ;         Child Loop BB4_17836 Depth 4
	;; [unrolled: 1-line block ×6, first 2 shown]
                                        ;       Child Loop BB4_17895 Depth 3
                                        ;         Child Loop BB4_17901 Depth 4
                                        ;         Child Loop BB4_17929 Depth 4
	;; [unrolled: 1-line block ×3, first 2 shown]
                                        ;     Child Loop BB4_17973 Depth 2
                                        ;       Child Loop BB4_17981 Depth 3
                                        ;       Child Loop BB4_18005 Depth 3
                                        ;       Child Loop BB4_18024 Depth 3
                                        ;       Child Loop BB4_18050 Depth 3
                                        ;       Child Loop BB4_18055 Depth 3
                                        ;       Child Loop BB4_18061 Depth 3
                                        ;       Child Loop BB4_18066 Depth 3
                                        ;       Child Loop BB4_18075 Depth 3
                                        ;       Child Loop BB4_18094 Depth 3
                                        ;     Child Loop BB4_18111 Depth 2
                                        ;       Child Loop BB4_18117 Depth 3
                                        ;       Child Loop BB4_18141 Depth 3
	;; [unrolled: 1-line block ×3, first 2 shown]
	s_delay_alu instid0(VALU_DEP_1)
	v_sub_nc_u64_e32 v[4:5], v[4:5], v[12:13]
	s_mov_b32 s42, exec_lo
	s_clause 0x1
	scratch_store_b64 off, v[12:13], s33 offset:244
	scratch_store_b64 off, v[4:5], s33 offset:196
	s_wait_xcnt 0x0
	v_cmpx_lt_i64_e64 v[4:5], v[14:15]
	s_cbranch_execz .LBB4_53
; %bb.48:                               ;   in Loop: Header=BB4_47 Depth=1
	scratch_load_b64 v[4:5], off, s33 offset:196 ; 8-byte Folded Reload
	v_mov_b32_e32 v8, v3
	s_wait_loadcnt 0x0
	v_add_nc_u64_e32 v[4:5], s[24:25], v[4:5]
	s_delay_alu instid0(VALU_DEP_1) | instskip(NEXT) | instid1(VALU_DEP_1)
	v_or_b32_e32 v9, s17, v5
	v_cmp_ne_u64_e32 vcc_lo, 0, v[8:9]
                                        ; implicit-def: $vgpr8_vgpr9
	s_wait_xcnt 0x0
	s_and_saveexec_b32 s13, vcc_lo
	s_delay_alu instid0(SALU_CYCLE_1)
	s_xor_b32 s43, exec_lo, s13
	s_cbranch_execz .LBB4_50
; %bb.49:                               ;   in Loop: Header=BB4_47 Depth=1
	s_mov_b32 s29, s28
	v_dual_mov_b32 v11, v3 :: v_dual_ashrrev_i32 v8, 31, v5
	s_add_nc_u64 s[14:15], s[16:17], s[28:29]
	v_mov_b32_e32 v15, v3
	s_xor_b64 s[14:15], s[14:15], s[28:29]
	s_delay_alu instid0(VALU_DEP_2)
	v_mov_b32_e32 v9, v8
	s_cvt_f32_u32 s13, s14
	s_cvt_f32_u32 s18, s15
	s_sub_nc_u64 s[74:75], 0, s[14:15]
	v_mov_b32_e32 v19, v3
	v_add_nc_u64_e32 v[4:5], v[4:5], v[8:9]
	s_fmamk_f32 s13, s18, 0x4f800000, s13
	s_delay_alu instid0(SALU_CYCLE_3) | instskip(NEXT) | instid1(VALU_DEP_1)
	v_s_rcp_f32 s13, s13
	v_xor_b32_e32 v10, v4, v8
	s_delay_alu instid0(VALU_DEP_2) | instskip(NEXT) | instid1(TRANS32_DEP_1)
	v_xor_b32_e32 v14, v5, v8
	s_mul_f32 s13, s13, 0x5f7ffffc
	s_delay_alu instid0(SALU_CYCLE_3) | instskip(NEXT) | instid1(SALU_CYCLE_3)
	s_mul_f32 s18, s13, 0x2f800000
	s_trunc_f32 s18, s18
	s_delay_alu instid0(SALU_CYCLE_3) | instskip(SKIP_1) | instid1(SALU_CYCLE_2)
	s_fmamk_f32 s13, s18, 0xcf800000, s13
	s_cvt_u32_f32 s73, s18
	s_cvt_u32_f32 s72, s13
	s_delay_alu instid0(SALU_CYCLE_3) | instskip(NEXT) | instid1(SALU_CYCLE_1)
	s_mul_u64 s[76:77], s[74:75], s[72:73]
	s_mul_hi_u32 s79, s72, s77
	s_mul_i32 s78, s72, s77
	s_mul_hi_u32 s18, s72, s76
	s_mul_i32 s29, s73, s76
	s_add_nc_u64 s[78:79], s[18:19], s[78:79]
	s_mul_hi_u32 s13, s73, s76
	s_mul_hi_u32 s63, s73, s77
	s_add_co_u32 s18, s78, s29
	s_add_co_ci_u32 s18, s79, s13
	s_mul_i32 s76, s73, s77
	s_add_co_ci_u32 s77, s63, 0
	s_delay_alu instid0(SALU_CYCLE_1) | instskip(NEXT) | instid1(SALU_CYCLE_1)
	s_add_nc_u64 s[76:77], s[18:19], s[76:77]
	s_add_co_u32 s72, s72, s76
	s_cselect_b32 s13, -1, 0
	s_delay_alu instid0(SALU_CYCLE_1) | instskip(SKIP_1) | instid1(SALU_CYCLE_1)
	s_cmp_lg_u32 s13, 0
	s_add_co_ci_u32 s73, s73, s77
	s_mul_u64 s[74:75], s[74:75], s[72:73]
	s_delay_alu instid0(SALU_CYCLE_1)
	s_mul_hi_u32 s77, s72, s75
	s_mul_i32 s76, s72, s75
	s_mul_hi_u32 s18, s72, s74
	s_mul_i32 s29, s73, s74
	s_add_nc_u64 s[76:77], s[18:19], s[76:77]
	s_mul_hi_u32 s13, s73, s74
	s_mul_hi_u32 s63, s73, s75
	s_add_co_u32 s18, s76, s29
	s_add_co_ci_u32 s18, s77, s13
	s_mul_i32 s74, s73, s75
	s_add_co_ci_u32 s75, s63, 0
	s_delay_alu instid0(SALU_CYCLE_1) | instskip(NEXT) | instid1(SALU_CYCLE_1)
	s_add_nc_u64 s[74:75], s[18:19], s[74:75]
	s_add_co_u32 s72, s72, s74
	s_cselect_b32 s13, -1, 0
	v_mul_hi_u32 v18, v10, s72
	s_cmp_lg_u32 s13, 0
	s_add_co_ci_u32 s18, s73, s75
	s_and_b64 s[74:75], s[72:73], s[20:21]
	v_mul_u64_e32 v[12:13], s[18:19], v[10:11]
	v_mul_u64_e32 v[4:5], s[74:75], v[14:15]
	;; [unrolled: 1-line block ×3, first 2 shown]
	s_delay_alu instid0(VALU_DEP_3) | instskip(NEXT) | instid1(VALU_DEP_1)
	v_add_nc_u64_e32 v[12:13], v[18:19], v[12:13]
	v_add_co_u32 v2, vcc_lo, v12, v4
	s_delay_alu instid0(VALU_DEP_2) | instskip(NEXT) | instid1(VALU_DEP_4)
	v_add_co_ci_u32_e32 v18, vcc_lo, v13, v5, vcc_lo
	v_add_co_ci_u32_e32 v17, vcc_lo, 0, v17, vcc_lo
	s_delay_alu instid0(VALU_DEP_1) | instskip(NEXT) | instid1(VALU_DEP_1)
	v_add_nc_u64_e32 v[4:5], v[18:19], v[16:17]
	v_mul_u64_e32 v[12:13], s[14:15], v[4:5]
	s_delay_alu instid0(VALU_DEP_1) | instskip(NEXT) | instid1(VALU_DEP_2)
	v_sub_nc_u32_e32 v2, v14, v13
	v_sub_co_u32 v9, vcc_lo, v10, v12
	s_delay_alu instid0(VALU_DEP_1) | instskip(NEXT) | instid1(VALU_DEP_3)
	v_sub_co_ci_u32_e64 v14, null, v14, v13, vcc_lo
	v_subrev_co_ci_u32_e64 v2, null, s15, v2, vcc_lo
	s_delay_alu instid0(VALU_DEP_3) | instskip(SKIP_1) | instid1(VALU_DEP_3)
	v_sub_co_u32 v10, s13, v9, s14
	v_add_nc_u64_e32 v[12:13], 1, v[4:5]
	v_subrev_co_ci_u32_e64 v2, null, 0, v2, s13
	s_delay_alu instid0(VALU_DEP_3) | instskip(SKIP_1) | instid1(VALU_DEP_3)
	v_cmp_le_u32_e32 vcc_lo, s14, v10
	v_cndmask_b32_e64 v10, 0, -1, vcc_lo
	v_cmp_le_u32_e32 vcc_lo, s15, v2
	v_cndmask_b32_e64 v11, 0, -1, vcc_lo
	;; [unrolled: 2-line block ×4, first 2 shown]
	v_cmp_eq_u32_e32 vcc_lo, s15, v2
	v_cndmask_b32_e32 v2, v11, v10, vcc_lo
	v_cmp_eq_u32_e32 vcc_lo, s15, v14
	v_add_nc_u64_e32 v[10:11], 2, v[4:5]
	v_cndmask_b32_e32 v9, v15, v9, vcc_lo
	s_delay_alu instid0(VALU_DEP_4) | instskip(NEXT) | instid1(VALU_DEP_3)
	v_cmp_ne_u32_e32 vcc_lo, 0, v2
	v_cndmask_b32_e32 v2, v13, v11, vcc_lo
	s_delay_alu instid0(VALU_DEP_3) | instskip(SKIP_1) | instid1(VALU_DEP_1)
	v_cmp_ne_u32_e64 s13, 0, v9
	v_dual_cndmask_b32 v9, v12, v10, vcc_lo :: v_dual_bitop2_b32 v8, s28, v8 bitop3:0x14
	v_dual_cndmask_b32 v2, v5, v2, s13 :: v_dual_cndmask_b32 v4, v4, v9, s13
	s_delay_alu instid0(VALU_DEP_1) | instskip(NEXT) | instid1(VALU_DEP_2)
	v_dual_mov_b32 v9, v8 :: v_dual_bitop2_b32 v5, v2, v8 bitop3:0x14
	v_xor_b32_e32 v4, v4, v8
	s_delay_alu instid0(VALU_DEP_1)
	v_sub_nc_u64_e32 v[8:9], v[4:5], v[8:9]
                                        ; implicit-def: $vgpr4_vgpr5
.LBB4_50:                               ;   in Loop: Header=BB4_47 Depth=1
	s_and_not1_saveexec_b32 s13, s43
	s_cbranch_execz .LBB4_52
; %bb.51:                               ;   in Loop: Header=BB4_47 Depth=1
	v_cvt_f32_u32_e32 v2, s16
	v_mov_b32_e32 v9, v3
	s_delay_alu instid0(VALU_DEP_2) | instskip(SKIP_1) | instid1(TRANS32_DEP_1)
	v_rcp_iflag_f32_e32 v2, v2
	v_nop
	v_mul_f32_e32 v2, 0x4f7ffffe, v2
	s_delay_alu instid0(VALU_DEP_1) | instskip(NEXT) | instid1(VALU_DEP_1)
	v_cvt_u32_f32_e32 v2, v2
	v_mul_lo_u32 v5, s61, v2
	s_delay_alu instid0(VALU_DEP_1) | instskip(NEXT) | instid1(VALU_DEP_1)
	v_mul_hi_u32 v5, v2, v5
	v_add_nc_u32_e32 v2, v2, v5
	s_delay_alu instid0(VALU_DEP_1) | instskip(NEXT) | instid1(VALU_DEP_1)
	v_mul_hi_u32 v2, v4, v2
	v_mul_lo_u32 v5, v2, s16
	s_delay_alu instid0(VALU_DEP_1) | instskip(NEXT) | instid1(VALU_DEP_1)
	v_sub_nc_u32_e32 v4, v4, v5
	v_subrev_nc_u32_e32 v8, s16, v4
	v_cmp_le_u32_e32 vcc_lo, s16, v4
	s_delay_alu instid0(VALU_DEP_2) | instskip(NEXT) | instid1(VALU_DEP_1)
	v_dual_cndmask_b32 v4, v4, v8 :: v_dual_add_nc_u32 v5, 1, v2
	v_cndmask_b32_e32 v2, v2, v5, vcc_lo
	s_delay_alu instid0(VALU_DEP_2) | instskip(NEXT) | instid1(VALU_DEP_2)
	v_cmp_le_u32_e32 vcc_lo, s16, v4
	v_add_nc_u32_e32 v5, 1, v2
	s_delay_alu instid0(VALU_DEP_1)
	v_cndmask_b32_e32 v8, v2, v5, vcc_lo
.LBB4_52:                               ;   in Loop: Header=BB4_47 Depth=1
	s_or_b32 exec_lo, exec_lo, s13
	s_delay_alu instid0(VALU_DEP_1) | instskip(NEXT) | instid1(VALU_DEP_1)
	v_add_nc_u64_e32 v[4:5], 15, v[8:9]
	v_and_b32_e32 v4, -16, v4
	scratch_store_b64 off, v[4:5], s33 offset:204 ; 8-byte Folded Spill
.LBB4_53:                               ;   in Loop: Header=BB4_47 Depth=1
	s_wait_xcnt 0x0
	s_or_b32 exec_lo, exec_lo, s42
	s_clause 0x1
	scratch_load_b64 v[8:9], off, s33 offset:204
	scratch_load_b64 v[4:5], off, s33 offset:196
	v_mov_b32_e32 v14, 0
	s_wait_loadcnt 0x1
	v_mul_u64_e32 v[10:11], s[26:27], v[8:9]
	s_wait_loadcnt 0x0
	s_delay_alu instid0(VALU_DEP_1)
	v_sub_nc_u64_e32 v[4:5], v[4:5], v[10:11]
	scratch_store_b64 off, v[10:11], s33 offset:220 ; 8-byte Folded Spill
	v_min_i64 v[4:5], v[8:9], v[4:5]
	s_clause 0x1
	scratch_load_b64 v[8:9], off, s33 offset:268
	scratch_load_b64 v[10:11], off, s33 offset:244
	v_max_i32_e32 v20, 0, v4
	v_cmp_lt_i32_e32 vcc_lo, 0, v4
	s_delay_alu instid0(VALU_DEP_2) | instskip(SKIP_1) | instid1(VALU_DEP_1)
	v_add_nc_u32_e32 v2, 31, v20
	s_and_b32 s13, s60, vcc_lo
	v_lshrrev_b32_e32 v2, 1, v2
	s_delay_alu instid0(VALU_DEP_1) | instskip(NEXT) | instid1(VALU_DEP_1)
	v_and_b32_e32 v5, 0x3ffffff0, v2
	v_dual_mov_b32 v2, 0 :: v_dual_max_i32 v12, s56, v5
	s_wait_loadcnt 0x0
	v_add_nc_u64_e32 v[8:9], v[10:11], v[8:9]
	scratch_store_b64 off, v[8:9], s33 offset:188 ; 8-byte Folded Spill
	s_wait_xcnt 0x0
	s_and_saveexec_b32 s18, s13
	s_cbranch_execz .LBB4_3203
; %bb.54:                               ;   in Loop: Header=BB4_47 Depth=1
	v_mov_b32_e32 v14, 0
	s_mov_b32 s43, 1
	s_mov_b32 s42, -1
	s_mov_b32 s29, 0
	s_branch .LBB4_57
.LBB4_55:                               ;   in Loop: Header=BB4_57 Depth=2
	s_wait_xcnt 0x0
	s_or_b32 exec_lo, exec_lo, s14
	v_add_nc_u64_e32 v[98:99], 2, v[98:99]
	global_wb scope:SCOPE_SYS
	s_wait_storecnt 0x0
	s_wait_loadcnt_dscnt 0x0
	flat_store_b64 v[22:23], v[98:99] scope:SCOPE_SYS
.LBB4_56:                               ;   in Loop: Header=BB4_57 Depth=2
	s_wait_xcnt 0x0
	s_or_b32 exec_lo, exec_lo, s13
	v_dual_add_nc_u32 v14, v12, v14 :: v_dual_mov_b32 v2, s43
	s_xor_b32 s13, s42, -1
	s_mov_b32 s42, 0
	s_mov_b32 s43, 2
	s_delay_alu instid0(VALU_DEP_1) | instskip(SKIP_1) | instid1(SALU_CYCLE_1)
	v_cmp_ge_i32_e32 vcc_lo, v14, v20
	s_or_b32 s13, s13, vcc_lo
	s_and_b32 s13, exec_lo, s13
	s_delay_alu instid0(SALU_CYCLE_1) | instskip(NEXT) | instid1(SALU_CYCLE_1)
	s_or_b32 s29, s13, s29
	s_and_not1_b32 exec_lo, exec_lo, s29
	s_cbranch_execz .LBB4_3202
.LBB4_57:                               ;   Parent Loop BB4_47 Depth=1
                                        ; =>  This Loop Header: Depth=2
                                        ;       Child Loop BB4_65 Depth 3
                                        ;       Child Loop BB4_89 Depth 3
	;; [unrolled: 1-line block ×9, first 2 shown]
	s_and_saveexec_b32 s13, s0
	s_cbranch_execz .LBB4_59
; %bb.58:                               ;   in Loop: Header=BB4_57 Depth=2
	s_trap 2
	scratch_load_b64 v[8:9], off, s33 offset:188 ; 8-byte Folded Reload
	ds_load_b64 v[4:5], v0
	v_ashrrev_i32_e32 v15, 31, v14
	s_wait_loadcnt_dscnt 0x0
	v_add_nc_u64_e32 v[4:5], v[4:5], v[8:9]
	scratch_load_b64 v[8:9], off, s33 offset:220 ; 8-byte Folded Reload
	s_wait_loadcnt 0x0
	v_add_nc_u64_e32 v[4:5], v[4:5], v[8:9]
	s_delay_alu instid0(VALU_DEP_1)
	v_add_nc_u64_e32 v[4:5], v[4:5], v[14:15]
	ds_store_b64 v0, v[4:5]
	v_mov_b64_e32 v[4:5], 0
	ds_store_b64 v0, v[4:5]
.LBB4_59:                               ;   in Loop: Header=BB4_57 Depth=2
	s_wait_xcnt 0x0
	s_or_b32 exec_lo, exec_lo, s13
	v_sub_nc_u32_e32 v2, v20, v14
	v_and_b32_e32 v4, 8, v126
	s_mov_b32 s14, exec_lo
	s_delay_alu instid0(VALU_DEP_2) | instskip(NEXT) | instid1(VALU_DEP_2)
	v_min_i32_e32 v12, v12, v2
	v_cmpx_ne_u32_e32 0, v4
	s_cbranch_execz .LBB4_81
; %bb.60:                               ;   in Loop: Header=BB4_57 Depth=2
	s_wait_loadcnt_dscnt 0x1
	v_add_nc_u64_e32 v[8:9], 8, v[34:35]
	v_add_nc_u64_e32 v[4:5], 2, v[98:99]
	s_mov_b32 s15, exec_lo
	s_delay_alu instid0(VALU_DEP_1)
	v_cmpx_lt_u64_e64 v[8:9], v[4:5]
	s_cbranch_execz .LBB4_72
; %bb.61:                               ;   in Loop: Header=BB4_57 Depth=2
	v_and_b32_e32 v2, 64, v126
	s_mov_b32 s63, 0
	s_mov_b32 s75, 0
                                        ; implicit-def: $sgpr72
                                        ; implicit-def: $sgpr73
                                        ; implicit-def: $sgpr74
	s_delay_alu instid0(VALU_DEP_1)
	v_cmp_eq_u32_e32 vcc_lo, 0, v2
	s_branch .LBB4_65
.LBB4_62:                               ;   in Loop: Header=BB4_65 Depth=3
	s_wait_loadcnt_dscnt 0x0
	v_add_nc_u64_e32 v[8:9], 8, v[34:35]
	s_or_b32 s78, s78, exec_lo
	s_delay_alu instid0(VALU_DEP_1)
	v_cmp_ge_u64_e64 s13, v[8:9], v[4:5]
	s_or_not1_b32 s77, s13, exec_lo
.LBB4_63:                               ;   in Loop: Header=BB4_65 Depth=3
	s_or_b32 exec_lo, exec_lo, s88
	s_delay_alu instid0(SALU_CYCLE_1)
	s_and_not1_b32 s13, s74, exec_lo
	s_and_b32 s74, s78, exec_lo
	s_and_not1_b32 s73, s73, exec_lo
	s_and_b32 s77, s77, exec_lo
	s_or_b32 s74, s13, s74
	s_or_b32 s73, s73, s77
.LBB4_64:                               ;   in Loop: Header=BB4_65 Depth=3
	s_or_b32 exec_lo, exec_lo, s76
	s_delay_alu instid0(SALU_CYCLE_1) | instskip(NEXT) | instid1(SALU_CYCLE_1)
	s_and_b32 s13, exec_lo, s73
	s_or_b32 s63, s13, s63
	s_and_not1_b32 s13, s72, exec_lo
	s_and_b32 s72, s74, exec_lo
	s_delay_alu instid0(SALU_CYCLE_1)
	s_or_b32 s72, s13, s72
	s_and_not1_b32 exec_lo, exec_lo, s63
	s_cbranch_execz .LBB4_69
.LBB4_65:                               ;   Parent Loop BB4_47 Depth=1
                                        ;     Parent Loop BB4_57 Depth=2
                                        ; =>    This Inner Loop Header: Depth=3
	s_sleep 1
	s_wait_loadcnt_dscnt 0x0
	flat_load_b64 v[34:35], v[22:23] scope:SCOPE_SYS
	s_or_b32 s74, s74, exec_lo
	s_or_b32 s73, s73, exec_lo
                                        ; implicit-def: $vgpr2
	s_wait_xcnt 0x0
	s_and_saveexec_b32 s76, vcc_lo
	s_cbranch_execz .LBB4_64
; %bb.66:                               ;   in Loop: Header=BB4_65 Depth=3
	s_cmp_lt_i32 s75, 0x270f
	s_mov_b32 s77, -1
	s_cselect_b32 s79, -1, 0
	s_cmp_gt_i32 s75, 0x270e
	s_cbranch_scc0 .LBB4_68
; %bb.67:                               ;   in Loop: Header=BB4_65 Depth=3
	s_trap 2
	ds_load_b64 v[8:9], v0
	s_and_not1_b32 s75, s79, exec_lo
	s_mov_b32 s78, 0
	s_wait_storecnt 0x0
	s_wait_loadcnt_dscnt 0x0
	flat_load_b32 v2, v[8:9] scope:SCOPE_SYS
	s_wait_loadcnt_dscnt 0x0
	global_inv scope:SCOPE_SYS
	v_cmp_eq_u32_e64 s13, 0, v2
	s_and_b32 s13, s13, exec_lo
	s_delay_alu instid0(SALU_CYCLE_1)
	s_or_b32 s79, s75, s13
	s_mov_b32 s75, 0
	s_and_saveexec_b32 s88, s79
	s_cbranch_execz .LBB4_63
	s_branch .LBB4_62
.LBB4_68:                               ;   in Loop: Header=BB4_65 Depth=3
	s_add_co_i32 s75, s75, 1
	s_mov_b32 s78, -1
                                        ; implicit-def: $vgpr2
	s_and_saveexec_b32 s88, s79
	s_cbranch_execz .LBB4_63
	s_branch .LBB4_62
.LBB4_69:                               ;   in Loop: Header=BB4_57 Depth=2
	s_or_b32 exec_lo, exec_lo, s63
	s_xor_b32 s13, s72, -1
	s_delay_alu instid0(SALU_CYCLE_1) | instskip(NEXT) | instid1(SALU_CYCLE_1)
	s_and_saveexec_b32 s63, s13
	s_xor_b32 s13, exec_lo, s63
	s_cbranch_execz .LBB4_71
; %bb.70:                               ;   in Loop: Header=BB4_57 Depth=2
	v_or_b32_e32 v126, 64, v126
	s_wait_storecnt 0x0
	s_wait_loadcnt_dscnt 0x0
	ds_store_b32 v0, v2
	s_trap 2
.LBB4_71:                               ;   in Loop: Header=BB4_57 Depth=2
	s_or_b32 exec_lo, exec_lo, s13
.LBB4_72:                               ;   in Loop: Header=BB4_57 Depth=2
	s_delay_alu instid0(SALU_CYCLE_1)
	s_or_b32 exec_lo, exec_lo, s15
	v_and_b32_e32 v2, 0x100, v126
	v_dual_mov_b32 v9, v3 :: v_dual_bitop2_b32 v8, 7, v98 bitop3:0x40
	s_mov_b32 s13, -1
	s_mov_b32 s15, exec_lo
	;;#ASMSTART
	s_wakeup
	;;#ASMEND
                                        ; implicit-def: $vgpr10_vgpr11
	v_cmpx_ne_u32_e32 0, v2
	s_cbranch_execz .LBB4_76
; %bb.73:                               ;   in Loop: Header=BB4_57 Depth=2
	v_mad_nc_u64_u32 v[16:17], v8, 24, v[6:7]
	v_ashrrev_i32_e32 v13, 31, v12
	s_mov_b32 s63, exec_lo
                                        ; implicit-def: $vgpr10_vgpr11
	s_clause 0x1
	flat_load_b32 v2, v[16:17]
	flat_store_b64 v[16:17], v[12:13] offset:8
	s_wait_loadcnt_dscnt 0x1
	v_cmp_ne_u32_e32 vcc_lo, 1, v2
	s_wait_xcnt 0x0
	v_cmpx_eq_u32_e32 1, v2
	s_cbranch_execz .LBB4_75
; %bb.74:                               ;   in Loop: Header=BB4_57 Depth=2
	flat_load_b32 v10, v[16:17] offset:4 scope:SCOPE_SYS
	s_wait_loadcnt_dscnt 0x0
	v_ashrrev_i32_e32 v11, 31, v10
.LBB4_75:                               ;   in Loop: Header=BB4_57 Depth=2
	s_wait_xcnt 0x0
	s_or_b32 exec_lo, exec_lo, s63
	s_delay_alu instid0(SALU_CYCLE_1)
	s_or_not1_b32 s13, vcc_lo, exec_lo
.LBB4_76:                               ;   in Loop: Header=BB4_57 Depth=2
	s_or_b32 exec_lo, exec_lo, s15
	s_and_saveexec_b32 s15, s13
; %bb.77:                               ;   in Loop: Header=BB4_57 Depth=2
	v_mul_u64_e32 v[10:11], v[8:9], v[24:25]
; %bb.78:                               ;   in Loop: Header=BB4_57 Depth=2
	s_or_b32 exec_lo, exec_lo, s15
	s_delay_alu instid0(VALU_DEP_1)
	v_add_nc_u64_e32 v[8:9], v[26:27], v[10:11]
	v_and_b32_e32 v2, 0x2000, v126
	s_mov_b32 s13, exec_lo
	ds_store_b64 v0, v[8:9] offset:784
	v_cmpx_ne_u32_e32 0, v2
	s_cbranch_execz .LBB4_80
; %bb.79:                               ;   in Loop: Header=BB4_57 Depth=2
	ds_load_b64 v[8:9], v0 offset:872
	s_wait_dscnt 0x0
	v_add_nc_u64_e32 v[8:9], 1, v[8:9]
	ds_store_b64 v0, v[8:9] offset:872
.LBB4_80:                               ;   in Loop: Header=BB4_57 Depth=2
	s_or_b32 exec_lo, exec_lo, s13
	v_mov_b64_e32 v[98:99], v[4:5]
.LBB4_81:                               ;   in Loop: Header=BB4_57 Depth=2
	s_or_b32 exec_lo, exec_lo, s14
	s_and_saveexec_b32 s13, s2
	s_cbranch_execz .LBB4_100
; %bb.82:                               ;   in Loop: Header=BB4_57 Depth=2
	s_and_saveexec_b32 s14, s3
	s_delay_alu instid0(SALU_CYCLE_1)
	s_xor_b32 s14, exec_lo, s14
	s_cbranch_execz .LBB4_97
; %bb.83:                               ;   in Loop: Header=BB4_57 Depth=2
	s_and_saveexec_b32 s15, s6
	s_cbranch_execz .LBB4_96
; %bb.84:                               ;   in Loop: Header=BB4_57 Depth=2
	s_mov_b32 s72, exec_lo
	s_mov_b32 s63, exec_lo
	v_mbcnt_lo_u32_b32 v2, s72, 0
	global_wb scope:SCOPE_DEV
	s_wait_storecnt 0x0
	s_wait_loadcnt_dscnt 0x0
	global_inv scope:SCOPE_DEV
	v_cmpx_eq_u32_e32 0, v2
	s_cbranch_execz .LBB4_86
; %bb.85:                               ;   in Loop: Header=BB4_57 Depth=2
	s_bcnt1_i32_b32 s72, s72
	s_delay_alu instid0(SALU_CYCLE_1)
	v_dual_mov_b32 v5, v3 :: v_dual_mov_b32 v4, s72
	s_wait_loadcnt 0x0
	ds_add_u64 v0, v[4:5]
	s_trap 2
.LBB4_86:                               ;   in Loop: Header=BB4_57 Depth=2
	s_or_b32 exec_lo, exec_lo, s63
	s_trap 2
	ds_load_b64 v[4:5], v0
	s_wait_dscnt 0x0
	v_add_nc_u64_e32 v[32:33], v[32:33], v[36:37]
	s_mov_b32 s63, exec_lo
	s_delay_alu instid0(VALU_DEP_1)
	v_cmpx_lt_u64_e64 v[4:5], v[32:33]
	s_cbranch_execz .LBB4_95
; %bb.87:                               ;   in Loop: Header=BB4_57 Depth=2
	s_mov_b32 s72, 0
	s_mov_b32 s75, 0
                                        ; implicit-def: $sgpr73
                                        ; implicit-def: $sgpr74
	s_branch .LBB4_89
.LBB4_88:                               ;   in Loop: Header=BB4_89 Depth=3
	s_or_b32 exec_lo, exec_lo, s77
	s_delay_alu instid0(SALU_CYCLE_1) | instskip(NEXT) | instid1(SALU_CYCLE_1)
	s_and_b32 s76, exec_lo, s78
	s_or_b32 s72, s76, s72
	s_and_not1_b32 s73, s73, exec_lo
	s_and_b32 s76, s74, exec_lo
	s_delay_alu instid0(SALU_CYCLE_1)
	s_or_b32 s73, s73, s76
	s_and_not1_b32 exec_lo, exec_lo, s72
	s_cbranch_execz .LBB4_93
.LBB4_89:                               ;   Parent Loop BB4_47 Depth=1
                                        ;     Parent Loop BB4_57 Depth=2
                                        ; =>    This Inner Loop Header: Depth=3
	s_add_co_i32 s75, s75, 1
	s_delay_alu instid0(SALU_CYCLE_1) | instskip(SKIP_1) | instid1(SALU_CYCLE_1)
	s_cmp_lg_u32 s75, 0x2710
	s_cselect_b32 s76, -1, 0
	s_and_b32 vcc_lo, exec_lo, s76
	s_cbranch_vccz .LBB4_91
; %bb.90:                               ;   in Loop: Header=BB4_89 Depth=3
	s_mov_b32 s78, -1
	s_or_b32 s74, s74, exec_lo
	s_and_saveexec_b32 s77, s76
	s_cbranch_execz .LBB4_88
	s_branch .LBB4_92
.LBB4_91:                               ;   in Loop: Header=BB4_89 Depth=3
	s_trap 2
	ds_load_b64 v[4:5], v0
	s_and_not1_b32 s76, s76, exec_lo
	s_mov_b32 s75, 0
	s_wait_loadcnt_dscnt 0x0
	flat_load_b32 v2, v[4:5] scope:SCOPE_SYS
	s_wait_loadcnt_dscnt 0x0
	global_inv scope:SCOPE_SYS
	v_cmp_eq_u32_e32 vcc_lo, 0, v2
	s_and_b32 s77, vcc_lo, exec_lo
	s_delay_alu instid0(SALU_CYCLE_1)
	s_or_b32 s76, s76, s77
	s_mov_b32 s78, -1
	s_or_b32 s74, s74, exec_lo
	s_and_saveexec_b32 s77, s76
	s_cbranch_execz .LBB4_88
.LBB4_92:                               ;   in Loop: Header=BB4_89 Depth=3
	s_sleep 1
	s_trap 2
	ds_load_b64 v[4:5], v0
	s_wait_dscnt 0x0
	s_and_not1_b32 s74, s74, exec_lo
	v_cmp_ge_u64_e32 vcc_lo, v[4:5], v[32:33]
	s_or_not1_b32 s78, vcc_lo, exec_lo
	s_branch .LBB4_88
.LBB4_93:                               ;   in Loop: Header=BB4_57 Depth=2
	s_or_b32 exec_lo, exec_lo, s72
	s_and_saveexec_b32 s72, s73
	s_delay_alu instid0(SALU_CYCLE_1)
	s_xor_b32 s72, exec_lo, s72
	s_cbranch_execz .LBB4_95
; %bb.94:                               ;   in Loop: Header=BB4_57 Depth=2
	ds_store_b32 v0, v1
	s_trap 2
.LBB4_95:                               ;   in Loop: Header=BB4_57 Depth=2
	s_or_b32 exec_lo, exec_lo, s63
	;;#ASMSTART
	s_wakeup
	;;#ASMEND
.LBB4_96:                               ;   in Loop: Header=BB4_57 Depth=2
	s_or_b32 exec_lo, exec_lo, s15
.LBB4_97:                               ;   in Loop: Header=BB4_57 Depth=2
	s_and_not1_saveexec_b32 s14, s14
	s_cbranch_execz .LBB4_99
; %bb.98:                               ;   in Loop: Header=BB4_57 Depth=2
	global_wb scope:SCOPE_DEV
	s_wait_storecnt 0x0
	s_wait_loadcnt_dscnt 0x0
	global_inv scope:SCOPE_DEV
	s_barrier_signal -1
	s_barrier_wait -1
.LBB4_99:                               ;   in Loop: Header=BB4_57 Depth=2
	s_or_b32 exec_lo, exec_lo, s14
.LBB4_100:                              ;   in Loop: Header=BB4_57 Depth=2
	s_delay_alu instid0(SALU_CYCLE_1) | instskip(SKIP_4) | instid1(VALU_DEP_1)
	s_or_b32 exec_lo, exec_lo, s13
	s_trap 2
	ds_load_b32 v2, v0
	v_and_b32_e32 v4, 0x4000, v126
	s_xor_b32 s13, s1, -1
	v_cmp_ne_u32_e32 vcc_lo, 0, v4
	s_and_b32 s14, s13, vcc_lo
	s_delay_alu instid0(SALU_CYCLE_1)
	s_and_saveexec_b32 s13, s14
	s_cbranch_execz .LBB4_119
; %bb.101:                              ;   in Loop: Header=BB4_57 Depth=2
	s_and_saveexec_b32 s14, s3
	s_delay_alu instid0(SALU_CYCLE_1)
	s_xor_b32 s14, exec_lo, s14
	s_cbranch_execz .LBB4_116
; %bb.102:                              ;   in Loop: Header=BB4_57 Depth=2
	s_and_saveexec_b32 s15, s6
	s_cbranch_execz .LBB4_115
; %bb.103:                              ;   in Loop: Header=BB4_57 Depth=2
	s_mov_b32 s72, exec_lo
	s_mov_b32 s63, exec_lo
	v_mbcnt_lo_u32_b32 v4, s72, 0
	global_wb scope:SCOPE_DEV
	s_wait_storecnt 0x0
	s_wait_loadcnt_dscnt 0x0
	global_inv scope:SCOPE_DEV
	v_cmpx_eq_u32_e32 0, v4
	s_cbranch_execz .LBB4_105
; %bb.104:                              ;   in Loop: Header=BB4_57 Depth=2
	s_bcnt1_i32_b32 s72, s72
	s_delay_alu instid0(SALU_CYCLE_1)
	v_dual_mov_b32 v5, v3 :: v_dual_mov_b32 v4, s72
	s_wait_loadcnt 0x0
	ds_add_u64 v0, v[4:5]
	s_trap 2
.LBB4_105:                              ;   in Loop: Header=BB4_57 Depth=2
	s_or_b32 exec_lo, exec_lo, s63
	s_trap 2
	ds_load_b64 v[4:5], v0
	s_wait_dscnt 0x0
	v_add_nc_u64_e32 v[32:33], v[32:33], v[36:37]
	s_mov_b32 s63, exec_lo
	s_delay_alu instid0(VALU_DEP_1)
	v_cmpx_lt_u64_e64 v[4:5], v[32:33]
	s_cbranch_execz .LBB4_114
; %bb.106:                              ;   in Loop: Header=BB4_57 Depth=2
	s_mov_b32 s72, 0
	s_mov_b32 s75, 0
                                        ; implicit-def: $sgpr73
                                        ; implicit-def: $sgpr74
	s_branch .LBB4_108
.LBB4_107:                              ;   in Loop: Header=BB4_108 Depth=3
	s_or_b32 exec_lo, exec_lo, s77
	s_delay_alu instid0(SALU_CYCLE_1) | instskip(NEXT) | instid1(SALU_CYCLE_1)
	s_and_b32 s76, exec_lo, s78
	s_or_b32 s72, s76, s72
	s_and_not1_b32 s73, s73, exec_lo
	s_and_b32 s76, s74, exec_lo
	s_delay_alu instid0(SALU_CYCLE_1)
	s_or_b32 s73, s73, s76
	s_and_not1_b32 exec_lo, exec_lo, s72
	s_cbranch_execz .LBB4_112
.LBB4_108:                              ;   Parent Loop BB4_47 Depth=1
                                        ;     Parent Loop BB4_57 Depth=2
                                        ; =>    This Inner Loop Header: Depth=3
	s_add_co_i32 s75, s75, 1
	s_delay_alu instid0(SALU_CYCLE_1) | instskip(SKIP_1) | instid1(SALU_CYCLE_1)
	s_cmp_lg_u32 s75, 0x2710
	s_cselect_b32 s76, -1, 0
	s_and_b32 vcc_lo, exec_lo, s76
	s_cbranch_vccz .LBB4_110
; %bb.109:                              ;   in Loop: Header=BB4_108 Depth=3
	s_mov_b32 s78, -1
	s_or_b32 s74, s74, exec_lo
	s_and_saveexec_b32 s77, s76
	s_cbranch_execz .LBB4_107
	s_branch .LBB4_111
.LBB4_110:                              ;   in Loop: Header=BB4_108 Depth=3
	s_trap 2
	ds_load_b64 v[4:5], v0
	s_and_not1_b32 s76, s76, exec_lo
	s_mov_b32 s75, 0
	s_wait_loadcnt_dscnt 0x0
	flat_load_b32 v4, v[4:5] scope:SCOPE_SYS
	s_wait_loadcnt_dscnt 0x0
	global_inv scope:SCOPE_SYS
	v_cmp_eq_u32_e32 vcc_lo, 0, v4
	s_and_b32 s77, vcc_lo, exec_lo
	s_delay_alu instid0(SALU_CYCLE_1)
	s_or_b32 s76, s76, s77
	s_mov_b32 s78, -1
	s_or_b32 s74, s74, exec_lo
	s_and_saveexec_b32 s77, s76
	s_cbranch_execz .LBB4_107
.LBB4_111:                              ;   in Loop: Header=BB4_108 Depth=3
	s_sleep 1
	s_trap 2
	ds_load_b64 v[4:5], v0
	s_wait_dscnt 0x0
	s_and_not1_b32 s74, s74, exec_lo
	v_cmp_ge_u64_e32 vcc_lo, v[4:5], v[32:33]
	s_or_not1_b32 s78, vcc_lo, exec_lo
	s_branch .LBB4_107
.LBB4_112:                              ;   in Loop: Header=BB4_57 Depth=2
	s_or_b32 exec_lo, exec_lo, s72
	s_and_saveexec_b32 s72, s73
	s_delay_alu instid0(SALU_CYCLE_1)
	s_xor_b32 s72, exec_lo, s72
	s_cbranch_execz .LBB4_114
; %bb.113:                              ;   in Loop: Header=BB4_57 Depth=2
	ds_store_b32 v0, v1
	s_trap 2
.LBB4_114:                              ;   in Loop: Header=BB4_57 Depth=2
	s_or_b32 exec_lo, exec_lo, s63
	;;#ASMSTART
	s_wakeup
	;;#ASMEND
.LBB4_115:                              ;   in Loop: Header=BB4_57 Depth=2
	s_or_b32 exec_lo, exec_lo, s15
.LBB4_116:                              ;   in Loop: Header=BB4_57 Depth=2
	s_and_not1_saveexec_b32 s14, s14
	s_cbranch_execz .LBB4_118
; %bb.117:                              ;   in Loop: Header=BB4_57 Depth=2
	global_wb scope:SCOPE_DEV
	s_wait_storecnt 0x0
	s_wait_loadcnt_dscnt 0x0
	global_inv scope:SCOPE_DEV
	s_barrier_signal -1
	s_barrier_wait -1
.LBB4_118:                              ;   in Loop: Header=BB4_57 Depth=2
	s_or_b32 exec_lo, exec_lo, s14
.LBB4_119:                              ;   in Loop: Header=BB4_57 Depth=2
	s_delay_alu instid0(SALU_CYCLE_1)
	s_or_b32 exec_lo, exec_lo, s13
	s_trap 2
	ds_load_b64 v[114:115], v0
	s_wait_dscnt 0x0
	v_cmp_eq_u64_e32 vcc_lo, 0, v[114:115]
	s_cbranch_vccnz .LBB4_127
; %bb.120:                              ;   in Loop: Header=BB4_57 Depth=2
	s_trap 2
	ds_load_b64 v[116:117], v0
	s_wait_dscnt 0x0
	v_cmp_eq_u64_e32 vcc_lo, 0, v[116:117]
	s_cbranch_vccnz .LBB4_127
; %bb.121:                              ;   in Loop: Header=BB4_57 Depth=2
	s_mov_b32 s13, -1
	s_and_saveexec_b32 s14, s7
	s_cbranch_execz .LBB4_123
; %bb.122:                              ;   in Loop: Header=BB4_57 Depth=2
	ds_load_b32 v4, v0 offset:720
	s_wait_dscnt 0x0
	v_and_b32_e32 v4, 15, v4
	s_delay_alu instid0(VALU_DEP_1)
	v_cmp_eq_u32_e32 vcc_lo, 0, v4
	s_or_not1_b32 s13, vcc_lo, exec_lo
.LBB4_123:                              ;   in Loop: Header=BB4_57 Depth=2
	s_or_b32 exec_lo, exec_lo, s14
	s_and_saveexec_b32 s14, s10
	s_cbranch_execz .LBB4_125
; %bb.124:                              ;   in Loop: Header=BB4_57 Depth=2
	ds_load_b32 v4, v0 offset:784
	s_wait_dscnt 0x0
	v_and_b32_e32 v4, 15, v4
	s_delay_alu instid0(VALU_DEP_1) | instskip(SKIP_3) | instid1(SALU_CYCLE_1)
	v_cmp_eq_u32_e32 vcc_lo, 0, v4
	s_and_b32 s15, s13, vcc_lo
	s_and_not1_b32 s13, s13, exec_lo
	s_and_b32 s15, s15, exec_lo
	s_or_b32 s13, s13, s15
.LBB4_125:                              ;   in Loop: Header=BB4_57 Depth=2
	s_or_b32 exec_lo, exec_lo, s14
	v_cmp_eq_u32_e32 vcc_lo, 0, v2
	s_xor_b32 s13, s13, -1
	v_mov_b32_e32 v2, 0
	v_cndmask_b32_e64 v4, 0, 1, s13
	s_mov_b32 s13, -1
	v_dual_cndmask_b32 v13, 0, v12, vcc_lo :: v_dual_mov_b32 v19, v0
	s_delay_alu instid0(VALU_DEP_2) | instskip(NEXT) | instid1(VALU_DEP_2)
	v_cmp_ne_u32_e32 vcc_lo, 0, v4
	v_mov_b32_e32 v18, v13
	s_cbranch_vccz .LBB4_132
; %bb.126:                              ;   in Loop: Header=BB4_57 Depth=2
	s_and_saveexec_b32 s63, s13
	s_cbranch_execnz .LBB4_2559
	s_branch .LBB4_3161
.LBB4_127:                              ;   in Loop: Header=BB4_57 Depth=2
	s_mov_b32 s13, 0
	s_and_saveexec_b32 s14, s2
	s_cbranch_execnz .LBB4_3162
.LBB4_128:                              ;   in Loop: Header=BB4_57 Depth=2
	s_or_b32 exec_lo, exec_lo, s14
                                        ; implicit-def: $vgpr2
	s_and_saveexec_b32 s14, s12
	s_delay_alu instid0(SALU_CYCLE_1)
	s_xor_b32 s14, exec_lo, s14
	s_cbranch_execz .LBB4_3180
.LBB4_129:                              ;   in Loop: Header=BB4_57 Depth=2
	v_and_b32_e32 v2, 16, v126
	s_delay_alu instid0(VALU_DEP_1) | instskip(SKIP_2) | instid1(SALU_CYCLE_1)
	v_cmp_ne_u32_e32 vcc_lo, 0, v2
	v_and_b32_e32 v2, 16, v126
	s_and_b32 s15, vcc_lo, s13
	s_and_saveexec_b32 s13, s15
	s_cbranch_execz .LBB4_131
; %bb.130:                              ;   in Loop: Header=BB4_57 Depth=2
	v_mov_b32_e32 v2, 1
	global_wb scope:SCOPE_SYS
	s_wait_storecnt 0x0
	s_wait_loadcnt_dscnt 0x0
	global_inv scope:SCOPE_SYS
.LBB4_131:                              ;   in Loop: Header=BB4_57 Depth=2
	s_or_b32 exec_lo, exec_lo, s13
	s_and_not1_saveexec_b32 s13, s14
	s_cbranch_execz .LBB4_3199
	s_branch .LBB4_3181
.LBB4_132:                              ;   in Loop: Header=BB4_57 Depth=2
	v_ashrrev_i32_e32 v2, 31, v13
	s_mov_b32 s14, exec_lo
	s_delay_alu instid0(VALU_DEP_1) | instskip(NEXT) | instid1(VALU_DEP_1)
	v_lshrrev_b32_e32 v2, 21, v2
	v_add_nc_u32_e32 v2, v13, v2
	s_delay_alu instid0(VALU_DEP_1) | instskip(NEXT) | instid1(VALU_DEP_1)
	v_dual_ashrrev_i32 v4, 11, v2 :: v_dual_lshrrev_b32 v2, 5, v0
	v_sub_nc_u32_e32 v15, v4, v2
	s_delay_alu instid0(VALU_DEP_1)
	v_cmpx_lt_i32_e32 0, v15
	s_cbranch_execz .LBB4_2064
; %bb.133:                              ;   in Loop: Header=BB4_57 Depth=2
	scratch_store_b32 off, v4, s33 offset:228 ; 4-byte Folded Spill
	s_trap 2
	s_wait_xcnt 0x0
	ds_load_b64 v[4:5], v0
	v_mov_b64_e32 v[118:119], v[116:117]
	v_mov_b64_e32 v[40:41], v[114:115]
	s_wait_dscnt 0x0
	v_readfirstlane_b32 s72, v4
	v_readfirstlane_b32 s73, v5
	s_and_b32 s15, s72, 3
	s_bfe_i32 s13, s72, 0x80000
	s_clz_i32_u32 s75, s15
	s_bfe_u32 s63, s72, 0x50002
	s_min_u32 s75, s75, 32
	s_and_b32 s74, s72, 0x7c
	s_sub_co_i32 s78, s75, 29
	s_lshl_b32 s76, s72, 24
	s_sext_i32_i8 s77, s72
	s_lshl_b64 s[72:73], s[72:73], s78
	s_and_b32 s76, s76, 0x80000000
	s_sub_co_i32 s73, 30, s75
	s_and_b32 s72, s72, 3
	s_cmp_gt_i32 s77, -1
	s_cselect_b32 s75, s47, 0xff800000
	s_cmp_eq_u32 s15, 0
	s_cselect_b32 s75, s75, 0x7f800001
	s_cmp_eq_u32 s63, 0
	s_cselect_b32 s63, s73, s63
	s_cselect_b32 s15, s72, s15
	s_lshl_b32 s63, s63, 23
	s_lshl_b32 s15, s15, 21
	s_add_co_i32 s63, s63, s76
	s_delay_alu instid0(SALU_CYCLE_1) | instskip(NEXT) | instid1(SALU_CYCLE_1)
	s_or_b32 s15, s63, s15
	s_add_co_i32 s63, s15, 0x38000000
	s_cmp_eq_u32 s74, 0x7c
	s_mov_b32 s15, 0
	s_cselect_b32 s63, s75, s63
	s_and_b32 s72, s13, 0xff
	s_branch .LBB4_136
.LBB4_134:                              ;   in Loop: Header=BB4_136 Depth=3
	s_or_b32 exec_lo, exec_lo, s73
.LBB4_135:                              ;   in Loop: Header=BB4_136 Depth=3
	s_delay_alu instid0(SALU_CYCLE_1)
	s_or_b32 exec_lo, exec_lo, s13
	v_lshl_or_b32 v2, v93, 8, v92
	v_dual_lshlrev_b32 v4, 16, v94 :: v_dual_lshlrev_b32 v5, 24, v95
	v_lshl_or_b32 v9, v89, 8, v88
	v_dual_lshlrev_b32 v10, 16, v90 :: v_dual_lshlrev_b32 v11, 24, v91
	;; [unrolled: 2-line block ×4, first 2 shown]
	v_or3_b32 v87, v2, v4, v5
	v_or3_b32 v86, v9, v10, v11
	v_lshl_or_b32 v2, v59, 8, v58
	v_dual_lshlrev_b32 v4, 16, v60 :: v_dual_lshlrev_b32 v5, 24, v61
	v_lshl_or_b32 v9, v75, 8, v74
	v_dual_lshlrev_b32 v10, 16, v76 :: v_dual_lshlrev_b32 v11, 24, v77
	v_or3_b32 v88, v96, v97, v88
	v_or3_b32 v63, v62, v63, v72
	v_dual_lshlrev_b32 v96, 24, v79 :: v_dual_lshlrev_b32 v100, 16, v100
	v_dual_lshlrev_b32 v67, 16, v67 :: v_dual_lshlrev_b32 v101, 24, v101
	v_lshl_or_b32 v97, v65, 8, v64
	v_lshl_or_b32 v30, v31, 8, v30
	v_dual_lshlrev_b32 v31, 16, v50 :: v_dual_lshlrev_b32 v50, 24, v51
	v_or3_b32 v62, v2, v4, v5
	v_or3_b32 v64, v9, v10, v11
	v_lshl_or_b32 v2, v103, 8, v102
	v_dual_lshlrev_b32 v4, 16, v44 :: v_dual_lshlrev_b32 v5, 24, v45
	v_dual_lshlrev_b32 v9, 24, v57 :: v_dual_lshlrev_b32 v10, 16, v56
	v_lshl_or_b32 v11, v47, 8, v46
	v_dual_sub_nc_u32 v15, v15, v36 :: v_dual_lshlrev_b32 v89, 24, v111
	v_lshlrev_b32_e32 v90, 16, v110
	v_lshl_or_b32 v91, v109, 8, v108
	v_lshl_or_b32 v66, v66, 8, v78
	v_or3_b32 v101, v97, v100, v101
	v_or3_b32 v100, v30, v31, v50
	v_lshl_or_b32 v18, v19, 8, v18
	v_dual_lshlrev_b32 v19, 16, v122 :: v_dual_lshlrev_b32 v30, 24, v123
	v_lshl_or_b32 v31, v43, 8, v42
	v_dual_lshlrev_b32 v50, 16, v120 :: v_dual_lshlrev_b32 v51, 24, v121
	v_or3_b32 v102, v2, v4, v5
	v_or3_b32 v103, v11, v10, v9
	v_lshl_or_b32 v2, v125, 8, v124
	v_dual_lshlrev_b32 v9, 16, v112 :: v_dual_lshlrev_b32 v10, 24, v113
	v_dual_lshlrev_b32 v8, 24, v8 :: v_dual_lshlrev_b32 v11, 16, v21
	v_lshl_or_b32 v16, v17, 8, v16
	v_add_nc_u64_e32 v[4:5], v[80:81], v[118:119]
	v_add_nc_u64_e32 v[40:41], v[40:41], v[52:53]
	v_cmp_gt_i32_e32 vcc_lo, 1, v15
	v_add_nc_u64_e32 v[118:119], v[118:119], v[52:53]
	v_or3_b32 v89, v91, v90, v89
	v_or3_b32 v65, v66, v67, v96
	;; [unrolled: 1-line block ×6, first 2 shown]
	s_or_b32 s15, vcc_lo, s15
	s_clause 0x3
	global_store_b128 v[4:5], v[100:103], off th:TH_STORE_NT
	global_store_b128 v[4:5], v[62:65], off offset:512 th:TH_STORE_NT
	global_store_b128 v[4:5], v[86:89], off offset:1024 th:TH_STORE_NT
	;; [unrolled: 1-line block ×3, first 2 shown]
	s_wait_xcnt 0x0
	s_and_not1_b32 exec_lo, exec_lo, s15
	s_cbranch_execz .LBB4_2063
.LBB4_136:                              ;   Parent Loop BB4_47 Depth=1
                                        ;     Parent Loop BB4_57 Depth=2
                                        ; =>    This Inner Loop Header: Depth=3
	s_cmp_lt_i32 s72, 0x80
	s_cbranch_scc1 .LBB4_140
; %bb.137:                              ;   in Loop: Header=BB4_136 Depth=3
	s_and_b32 s13, 0xffff, s72
	s_delay_alu instid0(SALU_CYCLE_1)
	s_cmp_eq_u32 s13, 0x80
	s_mov_b32 s13, -1
	s_cbranch_scc0 .LBB4_139
; %bb.138:                              ;   in Loop: Header=BB4_136 Depth=3
	s_mov_b32 s13, 0
.LBB4_139:                              ;   in Loop: Header=BB4_136 Depth=3
	s_brev_b32 s73, 1
	s_branch .LBB4_142
.LBB4_140:                              ;   in Loop: Header=BB4_136 Depth=3
	s_mov_b32 s13, 0
	s_brev_b32 s73, 1
	s_cbranch_execz .LBB4_142
; %bb.141:                              ;   in Loop: Header=BB4_136 Depth=3
	s_and_b32 s13, 0xffff, s72
	s_mov_b32 s73, 0
	s_cmp_lg_u32 s13, 0
	s_cselect_b32 s13, -1, 0
.LBB4_142:                              ;   in Loop: Header=BB4_136 Depth=3
	s_delay_alu instid0(SALU_CYCLE_1)
	s_and_not1_b32 vcc_lo, exec_lo, s13
	s_cbranch_vccnz .LBB4_144
; %bb.143:                              ;   in Loop: Header=BB4_136 Depth=3
	s_mov_b32 s73, s63
.LBB4_144:                              ;   in Loop: Header=BB4_136 Depth=3
	v_add_nc_u64_e32 v[42:43], v[80:81], v[40:41]
	global_load_b128 v[8:11], v[42:43], off th:TH_LOAD_NT
	s_wait_loadcnt 0x0
	v_and_b32_e32 v2, 0xff, v8
	s_delay_alu instid0(VALU_DEP_1)
	v_cmp_ne_u16_e32 vcc_lo, 0, v2
	v_mov_b32_e32 v2, 0
	s_wait_xcnt 0x0
	s_and_saveexec_b32 s13, vcc_lo
	s_cbranch_execz .LBB4_154
; %bb.145:                              ;   in Loop: Header=BB4_136 Depth=3
	v_bfe_i32 v5, v8, 0, 8
	v_bfrev_b32_e32 v2, 1
	s_mov_b32 s74, exec_lo
	s_delay_alu instid0(VALU_DEP_2)
	v_cmpx_ne_u16_e32 0xff80, v5
	s_cbranch_execz .LBB4_153
; %bb.146:                              ;   in Loop: Header=BB4_136 Depth=3
	v_and_b32_e32 v2, 0x7c, v8
	v_and_b32_e32 v4, 3, v8
	s_delay_alu instid0(VALU_DEP_2) | instskip(SKIP_1) | instid1(SALU_CYCLE_1)
	v_cmp_ne_u32_e32 vcc_lo, 0x7c, v2
                                        ; implicit-def: $vgpr2
	s_and_saveexec_b32 s75, vcc_lo
	s_xor_b32 s75, exec_lo, s75
	s_cbranch_execz .LBB4_150
; %bb.147:                              ;   in Loop: Header=BB4_136 Depth=3
	v_bfe_u32 v2, v8, 2, 5
	s_mov_b32 s76, exec_lo
	s_delay_alu instid0(VALU_DEP_1)
	v_cmpx_eq_u32_e32 0, v2
; %bb.148:                              ;   in Loop: Header=BB4_136 Depth=3
	v_clz_i32_u32_e32 v2, v4
	s_delay_alu instid0(VALU_DEP_1) | instskip(NEXT) | instid1(VALU_DEP_1)
	v_min_u32_e32 v2, 32, v2
	v_subrev_nc_u32_e32 v4, 29, v2
	s_delay_alu instid0(VALU_DEP_1) | instskip(NEXT) | instid1(VALU_DEP_1)
	v_lshlrev_b64_e32 v[4:5], v4, v[8:9]
	v_dual_sub_nc_u32 v2, 30, v2 :: v_dual_bitop2_b32 v4, 3, v4 bitop3:0x40
; %bb.149:                              ;   in Loop: Header=BB4_136 Depth=3
	s_or_b32 exec_lo, exec_lo, s76
	v_lshlrev_b32_e32 v5, 24, v8
	s_delay_alu instid0(VALU_DEP_1) | instskip(NEXT) | instid1(VALU_DEP_1)
	v_and_b32_e32 v5, 0x80000000, v5
	v_lshl_add_u32 v2, v2, 23, v5
                                        ; implicit-def: $vgpr5
	s_delay_alu instid0(VALU_DEP_1) | instskip(NEXT) | instid1(VALU_DEP_1)
	v_lshl_or_b32 v2, v4, 21, v2
                                        ; implicit-def: $vgpr4
	v_add_nc_u32_e32 v2, 0x38000000, v2
.LBB4_150:                              ;   in Loop: Header=BB4_136 Depth=3
	s_and_not1_saveexec_b32 s75, s75
; %bb.151:                              ;   in Loop: Header=BB4_136 Depth=3
	v_cmp_lt_i16_e32 vcc_lo, -1, v5
	v_cndmask_b32_e32 v2, 0xff800000, v48, vcc_lo
	v_cmp_eq_u32_e32 vcc_lo, 0, v4
	s_delay_alu instid0(VALU_DEP_2)
	v_cndmask_b32_e32 v2, 0x7f800001, v2, vcc_lo
; %bb.152:                              ;   in Loop: Header=BB4_136 Depth=3
	s_or_b32 exec_lo, exec_lo, s75
.LBB4_153:                              ;   in Loop: Header=BB4_136 Depth=3
	s_delay_alu instid0(SALU_CYCLE_1)
	s_or_b32 exec_lo, exec_lo, s74
.LBB4_154:                              ;   in Loop: Header=BB4_136 Depth=3
	s_delay_alu instid0(SALU_CYCLE_1) | instskip(NEXT) | instid1(VALU_DEP_1)
	s_or_b32 exec_lo, exec_lo, s13
	v_dual_mul_f32 v16, s73, v2 :: v_dual_mov_b32 v19, v3
	v_mov_b32_e32 v5, v3
                                        ; implicit-def: $vgpr30
	s_mov_b32 s13, exec_lo
	s_delay_alu instid0(VALU_DEP_2) | instskip(SKIP_2) | instid1(VALU_DEP_3)
	v_and_b32_e32 v18, 0x7f800000, v16
	v_and_b32_e32 v4, 0x7fffff, v16
	v_lshrrev_b32_e32 v2, 24, v16
	v_cmpx_ne_u64_e32 0x7f800000, v[18:19]
	s_xor_b32 s74, exec_lo, s13
	s_cbranch_execz .LBB4_168
; %bb.155:                              ;   in Loop: Header=BB4_136 Depth=3
	v_and_b32_e32 v18, 0x7fffffff, v16
	v_mov_b32_e32 v19, v3
	v_and_b32_e32 v2, 0x80, v2
                                        ; implicit-def: $vgpr30
	s_mov_b32 s13, exec_lo
	s_delay_alu instid0(VALU_DEP_2)
	v_cmpx_gt_u64_e32 0x47600001, v[18:19]
	s_xor_b32 s75, exec_lo, s13
	s_cbranch_execz .LBB4_165
; %bb.156:                              ;   in Loop: Header=BB4_136 Depth=3
	v_mov_b32_e32 v30, 0
	s_mov_b32 s76, exec_lo
	v_cmpx_ne_u32_e32 0, v16
	s_cbranch_execz .LBB4_164
; %bb.157:                              ;   in Loop: Header=BB4_136 Depth=3
	v_bfe_u32 v18, v16, 23, 8
	v_or_b32_e32 v21, 0x800000, v4
	s_delay_alu instid0(VALU_DEP_2) | instskip(SKIP_1) | instid1(VALU_DEP_2)
	v_sub_nc_u32_e32 v16, 0x71, v18
	v_cmp_gt_u32_e32 vcc_lo, 0x72, v18
	v_cndmask_b32_e32 v16, 0, v16, vcc_lo
	v_cmp_eq_u32_e32 vcc_lo, 0, v18
	s_delay_alu instid0(VALU_DEP_2) | instskip(NEXT) | instid1(VALU_DEP_1)
	v_cndmask_b32_e64 v19, v16, 0x70, vcc_lo
	v_dual_cndmask_b32 v4, v21, v4, vcc_lo :: v_dual_add_nc_u32 v16, 21, v19
	v_add_nc_u32_e32 v30, 20, v19
	s_delay_alu instid0(VALU_DEP_2) | instskip(NEXT) | instid1(VALU_DEP_2)
	v_lshlrev_b64_e64 v[16:17], v16, -1
	v_lshlrev_b64_e64 v[30:31], v30, 1
	s_delay_alu instid0(VALU_DEP_2) | instskip(SKIP_1) | instid1(VALU_DEP_4)
	v_bfi_b32 v16, v16, 0, v4
	v_lshrrev_b64 v[4:5], v19, v[4:5]
	v_bfi_b32 v17, v17, 0, 0
	s_delay_alu instid0(VALU_DEP_1) | instskip(NEXT) | instid1(VALU_DEP_3)
	v_cmp_eq_u64_e64 s13, v[16:17], v[30:31]
	v_mov_b64_e32 v[16:17], v[4:5]
	s_and_saveexec_b32 s77, s13
; %bb.158:                              ;   in Loop: Header=BB4_136 Depth=3
	v_bfe_u32 v16, v4, 21, 1
	v_mov_b32_e32 v17, v3
	s_delay_alu instid0(VALU_DEP_1) | instskip(NEXT) | instid1(VALU_DEP_1)
	v_add_nc_u64_e32 v[16:17], v[4:5], v[16:17]
	v_add_nc_u64_e32 v[16:17], -1, v[16:17]
; %bb.159:                              ;   in Loop: Header=BB4_136 Depth=3
	s_or_b32 exec_lo, exec_lo, s77
	v_add_nc_u32_e32 v5, 0xffffff81, v18
	v_lshrrev_b32_e32 v17, 23, v4
	s_mov_b32 s13, exec_lo
	s_delay_alu instid0(VALU_DEP_2) | instskip(NEXT) | instid1(VALU_DEP_1)
	v_cndmask_b32_e64 v5, v5, 0xffffff82, vcc_lo
	v_add3_u32 v17, v19, v5, v17
	v_and_b32_e32 v5, 0x1fffff, v16
                                        ; implicit-def: $vgpr16
	s_delay_alu instid0(VALU_DEP_1) | instskip(SKIP_1) | instid1(VALU_DEP_2)
	v_dual_add_nc_u32 v18, 14, v17 :: v_dual_add_nc_u32 v4, v5, v4
	v_mov_b32_e32 v5, v3
	v_cmpx_ne_u32_e32 0, v18
	s_xor_b32 s13, exec_lo, s13
; %bb.160:                              ;   in Loop: Header=BB4_136 Depth=3
	s_delay_alu instid0(VALU_DEP_2) | instskip(SKIP_2) | instid1(VALU_DEP_2)
	v_cmp_lt_u64_e32 vcc_lo, 0xffffff, v[4:5]
	v_add_nc_u32_e32 v16, 15, v17
	v_cndmask_b32_e64 v17, 0, 1, vcc_lo
	v_cndmask_b32_e32 v16, v18, v16, vcc_lo
	s_delay_alu instid0(VALU_DEP_2)
	v_lshrrev_b64 v[4:5], v17, v[4:5]
; %bb.161:                              ;   in Loop: Header=BB4_136 Depth=3
	s_and_not1_saveexec_b32 s13, s13
; %bb.162:                              ;   in Loop: Header=BB4_136 Depth=3
	s_delay_alu instid0(VALU_DEP_1)
	v_bfe_u32 v16, v4, 23, 1
; %bb.163:                              ;   in Loop: Header=BB4_136 Depth=3
	s_or_b32 exec_lo, exec_lo, s13
	s_delay_alu instid0(VALU_DEP_2) | instskip(NEXT) | instid1(VALU_DEP_2)
	v_lshrrev_b64 v[4:5], 21, v[4:5]
	v_cmp_gt_i32_e32 vcc_lo, 32, v16
	v_min_i32_e32 v17, 31, v16
	v_cmp_eq_u32_e64 s13, 0, v16
	s_delay_alu instid0(VALU_DEP_4) | instskip(NEXT) | instid1(VALU_DEP_3)
	v_cndmask_b32_e32 v5, 0, v5, vcc_lo
	v_dual_cndmask_b32 v4, 3, v4 :: v_dual_lshlrev_b32 v17, 2, v17
	s_delay_alu instid0(VALU_DEP_1) | instskip(NEXT) | instid1(VALU_DEP_2)
	v_and_b32_e32 v17, 0xfc, v17
	v_cmp_eq_u64_e32 vcc_lo, 0, v[4:5]
	s_delay_alu instid0(VALU_DEP_2)
	v_and_or_b32 v4, v4, 3, v17
	s_and_b32 s13, s13, vcc_lo
	s_delay_alu instid0(VALU_DEP_1) | instid1(SALU_CYCLE_1)
	v_cndmask_b32_e64 v4, v4, 0, s13
	s_delay_alu instid0(VALU_DEP_1)
	v_or_b32_e32 v30, v4, v2
.LBB4_164:                              ;   in Loop: Header=BB4_136 Depth=3
	s_or_b32 exec_lo, exec_lo, s76
                                        ; implicit-def: $vgpr2
.LBB4_165:                              ;   in Loop: Header=BB4_136 Depth=3
	s_and_not1_saveexec_b32 s13, s75
; %bb.166:                              ;   in Loop: Header=BB4_136 Depth=3
	v_or_b32_e32 v30, 0x7b, v2
; %bb.167:                              ;   in Loop: Header=BB4_136 Depth=3
	s_or_b32 exec_lo, exec_lo, s13
                                        ; implicit-def: $vgpr16
                                        ; implicit-def: $vgpr4_vgpr5
                                        ; implicit-def: $vgpr2
.LBB4_168:                              ;   in Loop: Header=BB4_136 Depth=3
	s_and_not1_saveexec_b32 s13, s74
	s_cbranch_execz .LBB4_174
; %bb.169:                              ;   in Loop: Header=BB4_136 Depth=3
	s_mov_b32 s74, exec_lo
                                        ; implicit-def: $vgpr30
	v_cmpx_ne_u64_e32 0, v[4:5]
	s_xor_b32 s74, exec_lo, s74
; %bb.170:                              ;   in Loop: Header=BB4_136 Depth=3
	v_or_b32_e32 v30, 0x7f, v2
                                        ; implicit-def: $vgpr16
; %bb.171:                              ;   in Loop: Header=BB4_136 Depth=3
	s_and_not1_saveexec_b32 s74, s74
; %bb.172:                              ;   in Loop: Header=BB4_136 Depth=3
	v_cmp_lt_i32_e32 vcc_lo, -1, v16
	v_cndmask_b32_e32 v30, 0xfc, v49, vcc_lo
; %bb.173:                              ;   in Loop: Header=BB4_136 Depth=3
	s_or_b32 exec_lo, exec_lo, s74
.LBB4_174:                              ;   in Loop: Header=BB4_136 Depth=3
	s_delay_alu instid0(SALU_CYCLE_1) | instskip(SKIP_3) | instid1(VALU_DEP_2)
	s_or_b32 exec_lo, exec_lo, s13
	v_lshrrev_b16 v4, 8, v8
	v_mov_b32_e32 v5, 0
	s_mov_b32 s13, exec_lo
	v_cmpx_ne_u16_e32 0, v4
	s_cbranch_execz .LBB4_184
; %bb.175:                              ;   in Loop: Header=BB4_136 Depth=3
	v_bfrev_b32_e32 v5, 1
	s_mov_b32 s74, exec_lo
	v_cmpx_ne_u16_e32 0x80, v4
	s_cbranch_execz .LBB4_183
; %bb.176:                              ;   in Loop: Header=BB4_136 Depth=3
	v_and_b32_e32 v16, 0xffff, v4
	s_delay_alu instid0(VALU_DEP_1) | instskip(SKIP_1) | instid1(VALU_DEP_2)
	v_and_b32_e32 v5, 0x7c, v16
	v_and_b32_e32 v2, 3, v16
	v_cmp_ne_u32_e32 vcc_lo, 0x7c, v5
                                        ; implicit-def: $vgpr5
	s_and_saveexec_b32 s75, vcc_lo
	s_delay_alu instid0(SALU_CYCLE_1)
	s_xor_b32 s75, exec_lo, s75
	s_cbranch_execz .LBB4_180
; %bb.177:                              ;   in Loop: Header=BB4_136 Depth=3
	v_bfe_u32 v5, v16, 2, 5
	s_mov_b32 s76, exec_lo
	s_delay_alu instid0(VALU_DEP_1)
	v_cmpx_eq_u32_e32 0, v5
; %bb.178:                              ;   in Loop: Header=BB4_136 Depth=3
	v_clz_i32_u32_e32 v2, v2
	v_mov_b32_e32 v5, v3
	s_delay_alu instid0(VALU_DEP_2) | instskip(NEXT) | instid1(VALU_DEP_1)
	v_min_u32_e32 v2, 32, v2
	v_subrev_nc_u32_e32 v16, 29, v2
	s_delay_alu instid0(VALU_DEP_1) | instskip(NEXT) | instid1(VALU_DEP_1)
	v_lshlrev_b64_e32 v[4:5], v16, v[4:5]
	v_dual_sub_nc_u32 v5, 30, v2 :: v_dual_bitop2_b32 v2, 3, v4 bitop3:0x40
; %bb.179:                              ;   in Loop: Header=BB4_136 Depth=3
	s_or_b32 exec_lo, exec_lo, s76
	v_lshlrev_b32_e32 v4, 16, v8
	s_delay_alu instid0(VALU_DEP_1) | instskip(NEXT) | instid1(VALU_DEP_1)
	v_and_b32_e32 v4, 0x80000000, v4
	v_lshl_add_u32 v4, v5, 23, v4
	s_delay_alu instid0(VALU_DEP_1) | instskip(NEXT) | instid1(VALU_DEP_1)
	v_lshl_or_b32 v2, v2, 21, v4
	v_add_nc_u32_e32 v5, 0x38000000, v2
                                        ; implicit-def: $vgpr2
.LBB4_180:                              ;   in Loop: Header=BB4_136 Depth=3
	s_and_not1_saveexec_b32 s75, s75
; %bb.181:                              ;   in Loop: Header=BB4_136 Depth=3
	v_cmp_lt_i16_e32 vcc_lo, -1, v8
	v_cndmask_b32_e32 v4, 0xff800000, v48, vcc_lo
	v_cmp_eq_u32_e32 vcc_lo, 0, v2
	s_delay_alu instid0(VALU_DEP_2)
	v_cndmask_b32_e32 v5, 0x7f800001, v4, vcc_lo
; %bb.182:                              ;   in Loop: Header=BB4_136 Depth=3
	s_or_b32 exec_lo, exec_lo, s75
.LBB4_183:                              ;   in Loop: Header=BB4_136 Depth=3
	s_delay_alu instid0(SALU_CYCLE_1)
	s_or_b32 exec_lo, exec_lo, s74
.LBB4_184:                              ;   in Loop: Header=BB4_136 Depth=3
	s_delay_alu instid0(SALU_CYCLE_1) | instskip(NEXT) | instid1(VALU_DEP_1)
	s_or_b32 exec_lo, exec_lo, s13
	v_dual_mul_f32 v16, s73, v5 :: v_dual_mov_b32 v19, v3
	v_mov_b32_e32 v5, v3
                                        ; implicit-def: $vgpr31
	s_mov_b32 s13, exec_lo
	s_delay_alu instid0(VALU_DEP_2) | instskip(SKIP_2) | instid1(VALU_DEP_3)
	v_and_b32_e32 v18, 0x7f800000, v16
	v_and_b32_e32 v4, 0x7fffff, v16
	v_lshrrev_b32_e32 v2, 24, v16
	v_cmpx_ne_u64_e32 0x7f800000, v[18:19]
	s_xor_b32 s74, exec_lo, s13
	s_cbranch_execz .LBB4_198
; %bb.185:                              ;   in Loop: Header=BB4_136 Depth=3
	v_and_b32_e32 v18, 0x7fffffff, v16
	v_mov_b32_e32 v19, v3
	v_and_b32_e32 v2, 0x80, v2
                                        ; implicit-def: $vgpr31
	s_mov_b32 s13, exec_lo
	s_delay_alu instid0(VALU_DEP_2)
	v_cmpx_gt_u64_e32 0x47600001, v[18:19]
	s_xor_b32 s75, exec_lo, s13
	s_cbranch_execz .LBB4_195
; %bb.186:                              ;   in Loop: Header=BB4_136 Depth=3
	v_mov_b32_e32 v31, 0
	s_mov_b32 s76, exec_lo
	v_cmpx_ne_u32_e32 0, v16
	s_cbranch_execz .LBB4_194
; %bb.187:                              ;   in Loop: Header=BB4_136 Depth=3
	v_bfe_u32 v18, v16, 23, 8
	v_or_b32_e32 v21, 0x800000, v4
	s_delay_alu instid0(VALU_DEP_2) | instskip(SKIP_1) | instid1(VALU_DEP_2)
	v_sub_nc_u32_e32 v16, 0x71, v18
	v_cmp_gt_u32_e32 vcc_lo, 0x72, v18
	v_cndmask_b32_e32 v16, 0, v16, vcc_lo
	v_cmp_eq_u32_e32 vcc_lo, 0, v18
	s_delay_alu instid0(VALU_DEP_2) | instskip(NEXT) | instid1(VALU_DEP_1)
	v_cndmask_b32_e64 v19, v16, 0x70, vcc_lo
	v_dual_cndmask_b32 v4, v21, v4, vcc_lo :: v_dual_add_nc_u32 v16, 21, v19
	v_add_nc_u32_e32 v31, 20, v19
	s_delay_alu instid0(VALU_DEP_2) | instskip(NEXT) | instid1(VALU_DEP_2)
	v_lshlrev_b64_e64 v[16:17], v16, -1
	v_lshlrev_b64_e64 v[50:51], v31, 1
	s_delay_alu instid0(VALU_DEP_2) | instskip(SKIP_1) | instid1(VALU_DEP_4)
	v_bfi_b32 v16, v16, 0, v4
	v_lshrrev_b64 v[4:5], v19, v[4:5]
	v_bfi_b32 v17, v17, 0, 0
	s_delay_alu instid0(VALU_DEP_1) | instskip(NEXT) | instid1(VALU_DEP_3)
	v_cmp_eq_u64_e64 s13, v[16:17], v[50:51]
	v_mov_b64_e32 v[16:17], v[4:5]
	s_and_saveexec_b32 s77, s13
; %bb.188:                              ;   in Loop: Header=BB4_136 Depth=3
	v_bfe_u32 v16, v4, 21, 1
	v_mov_b32_e32 v17, v3
	s_delay_alu instid0(VALU_DEP_1) | instskip(NEXT) | instid1(VALU_DEP_1)
	v_add_nc_u64_e32 v[16:17], v[4:5], v[16:17]
	v_add_nc_u64_e32 v[16:17], -1, v[16:17]
; %bb.189:                              ;   in Loop: Header=BB4_136 Depth=3
	s_or_b32 exec_lo, exec_lo, s77
	v_add_nc_u32_e32 v5, 0xffffff81, v18
	v_lshrrev_b32_e32 v17, 23, v4
	s_mov_b32 s13, exec_lo
	s_delay_alu instid0(VALU_DEP_2) | instskip(NEXT) | instid1(VALU_DEP_1)
	v_cndmask_b32_e64 v5, v5, 0xffffff82, vcc_lo
	v_add3_u32 v17, v19, v5, v17
	v_and_b32_e32 v5, 0x1fffff, v16
                                        ; implicit-def: $vgpr16
	s_delay_alu instid0(VALU_DEP_1) | instskip(SKIP_1) | instid1(VALU_DEP_2)
	v_dual_add_nc_u32 v18, 14, v17 :: v_dual_add_nc_u32 v4, v5, v4
	v_mov_b32_e32 v5, v3
	v_cmpx_ne_u32_e32 0, v18
	s_xor_b32 s13, exec_lo, s13
; %bb.190:                              ;   in Loop: Header=BB4_136 Depth=3
	s_delay_alu instid0(VALU_DEP_2) | instskip(SKIP_2) | instid1(VALU_DEP_2)
	v_cmp_lt_u64_e32 vcc_lo, 0xffffff, v[4:5]
	v_add_nc_u32_e32 v16, 15, v17
	v_cndmask_b32_e64 v17, 0, 1, vcc_lo
	v_cndmask_b32_e32 v16, v18, v16, vcc_lo
	s_delay_alu instid0(VALU_DEP_2)
	v_lshrrev_b64 v[4:5], v17, v[4:5]
; %bb.191:                              ;   in Loop: Header=BB4_136 Depth=3
	s_and_not1_saveexec_b32 s13, s13
; %bb.192:                              ;   in Loop: Header=BB4_136 Depth=3
	s_delay_alu instid0(VALU_DEP_1)
	v_bfe_u32 v16, v4, 23, 1
; %bb.193:                              ;   in Loop: Header=BB4_136 Depth=3
	s_or_b32 exec_lo, exec_lo, s13
	s_delay_alu instid0(VALU_DEP_2) | instskip(NEXT) | instid1(VALU_DEP_2)
	v_lshrrev_b64 v[4:5], 21, v[4:5]
	v_cmp_gt_i32_e32 vcc_lo, 32, v16
	v_min_i32_e32 v17, 31, v16
	v_cmp_eq_u32_e64 s13, 0, v16
	s_delay_alu instid0(VALU_DEP_4) | instskip(NEXT) | instid1(VALU_DEP_3)
	v_cndmask_b32_e32 v5, 0, v5, vcc_lo
	v_dual_cndmask_b32 v4, 3, v4 :: v_dual_lshlrev_b32 v17, 2, v17
	s_delay_alu instid0(VALU_DEP_1) | instskip(NEXT) | instid1(VALU_DEP_2)
	v_and_b32_e32 v17, 0xfc, v17
	v_cmp_eq_u64_e32 vcc_lo, 0, v[4:5]
	s_delay_alu instid0(VALU_DEP_2)
	v_and_or_b32 v4, v4, 3, v17
	s_and_b32 s13, s13, vcc_lo
	s_delay_alu instid0(VALU_DEP_1) | instid1(SALU_CYCLE_1)
	v_cndmask_b32_e64 v4, v4, 0, s13
	s_delay_alu instid0(VALU_DEP_1)
	v_or_b32_e32 v31, v4, v2
.LBB4_194:                              ;   in Loop: Header=BB4_136 Depth=3
	s_or_b32 exec_lo, exec_lo, s76
                                        ; implicit-def: $vgpr2
.LBB4_195:                              ;   in Loop: Header=BB4_136 Depth=3
	s_and_not1_saveexec_b32 s13, s75
; %bb.196:                              ;   in Loop: Header=BB4_136 Depth=3
	v_or_b32_e32 v31, 0x7b, v2
; %bb.197:                              ;   in Loop: Header=BB4_136 Depth=3
	s_or_b32 exec_lo, exec_lo, s13
                                        ; implicit-def: $vgpr16
                                        ; implicit-def: $vgpr4_vgpr5
                                        ; implicit-def: $vgpr2
.LBB4_198:                              ;   in Loop: Header=BB4_136 Depth=3
	s_and_not1_saveexec_b32 s13, s74
	s_cbranch_execz .LBB4_204
; %bb.199:                              ;   in Loop: Header=BB4_136 Depth=3
	s_mov_b32 s74, exec_lo
                                        ; implicit-def: $vgpr31
	v_cmpx_ne_u64_e32 0, v[4:5]
	s_xor_b32 s74, exec_lo, s74
; %bb.200:                              ;   in Loop: Header=BB4_136 Depth=3
	v_or_b32_e32 v31, 0x7f, v2
                                        ; implicit-def: $vgpr16
; %bb.201:                              ;   in Loop: Header=BB4_136 Depth=3
	s_and_not1_saveexec_b32 s74, s74
; %bb.202:                              ;   in Loop: Header=BB4_136 Depth=3
	v_cmp_lt_i32_e32 vcc_lo, -1, v16
	v_cndmask_b32_e32 v31, 0xfc, v49, vcc_lo
; %bb.203:                              ;   in Loop: Header=BB4_136 Depth=3
	s_or_b32 exec_lo, exec_lo, s74
.LBB4_204:                              ;   in Loop: Header=BB4_136 Depth=3
	s_delay_alu instid0(SALU_CYCLE_1) | instskip(SKIP_2) | instid1(VALU_DEP_1)
	s_or_b32 exec_lo, exec_lo, s13
	v_dual_lshrrev_b32 v2, 16, v8 :: v_dual_mov_b32 v4, 0
	s_mov_b32 s13, exec_lo
	v_and_b32_e32 v5, 0xff, v2
	s_delay_alu instid0(VALU_DEP_1)
	v_cmpx_ne_u16_e32 0, v5
	s_cbranch_execz .LBB4_214
; %bb.205:                              ;   in Loop: Header=BB4_136 Depth=3
	v_bfrev_b32_e32 v4, 1
	s_mov_b32 s74, exec_lo
	v_cmpx_ne_u16_e32 0x80, v5
	s_cbranch_execz .LBB4_213
; %bb.206:                              ;   in Loop: Header=BB4_136 Depth=3
	v_and_b32_e32 v4, 0x7c0000, v8
	v_bfe_u32 v5, v8, 16, 2
	s_delay_alu instid0(VALU_DEP_2) | instskip(SKIP_1) | instid1(SALU_CYCLE_1)
	v_cmp_ne_u32_e32 vcc_lo, 0x7c0000, v4
                                        ; implicit-def: $vgpr4
	s_and_saveexec_b32 s75, vcc_lo
	s_xor_b32 s75, exec_lo, s75
	s_cbranch_execz .LBB4_210
; %bb.207:                              ;   in Loop: Header=BB4_136 Depth=3
	v_bfe_u32 v4, v8, 18, 5
	s_mov_b32 s76, exec_lo
	s_delay_alu instid0(VALU_DEP_1)
	v_cmpx_eq_u32_e32 0, v4
; %bb.208:                              ;   in Loop: Header=BB4_136 Depth=3
	v_clz_i32_u32_e32 v4, v5
	s_delay_alu instid0(VALU_DEP_1) | instskip(NEXT) | instid1(VALU_DEP_1)
	v_min_u32_e32 v4, 32, v4
	v_subrev_nc_u32_e32 v5, 29, v4
	v_sub_nc_u32_e32 v4, 30, v4
	s_delay_alu instid0(VALU_DEP_2) | instskip(NEXT) | instid1(VALU_DEP_1)
	v_lshlrev_b64_e32 v[16:17], v5, v[2:3]
	v_and_b32_e32 v5, 3, v16
; %bb.209:                              ;   in Loop: Header=BB4_136 Depth=3
	s_or_b32 exec_lo, exec_lo, s76
	v_lshlrev_b32_e32 v2, 24, v2
	s_delay_alu instid0(VALU_DEP_1) | instskip(NEXT) | instid1(VALU_DEP_1)
	v_and_b32_e32 v2, 0x80000000, v2
	v_lshl_add_u32 v2, v4, 23, v2
	s_delay_alu instid0(VALU_DEP_1) | instskip(NEXT) | instid1(VALU_DEP_1)
	v_lshl_or_b32 v2, v5, 21, v2
                                        ; implicit-def: $vgpr5
	v_add_nc_u32_e32 v4, 0x38000000, v2
                                        ; implicit-def: $vgpr2
.LBB4_210:                              ;   in Loop: Header=BB4_136 Depth=3
	s_and_not1_saveexec_b32 s75, s75
; %bb.211:                              ;   in Loop: Header=BB4_136 Depth=3
	v_bfe_i32 v2, v2, 0, 8
	s_delay_alu instid0(VALU_DEP_1) | instskip(SKIP_2) | instid1(VALU_DEP_2)
	v_cmp_lt_i16_e32 vcc_lo, -1, v2
	v_cndmask_b32_e32 v2, 0xff800000, v48, vcc_lo
	v_cmp_eq_u32_e32 vcc_lo, 0, v5
	v_cndmask_b32_e32 v4, 0x7f800001, v2, vcc_lo
; %bb.212:                              ;   in Loop: Header=BB4_136 Depth=3
	s_or_b32 exec_lo, exec_lo, s75
.LBB4_213:                              ;   in Loop: Header=BB4_136 Depth=3
	s_delay_alu instid0(SALU_CYCLE_1)
	s_or_b32 exec_lo, exec_lo, s74
.LBB4_214:                              ;   in Loop: Header=BB4_136 Depth=3
	s_delay_alu instid0(SALU_CYCLE_1) | instskip(NEXT) | instid1(VALU_DEP_1)
	s_or_b32 exec_lo, exec_lo, s13
	v_dual_mul_f32 v16, s73, v4 :: v_dual_mov_b32 v19, v3
	v_mov_b32_e32 v5, v3
                                        ; implicit-def: $vgpr50
	s_mov_b32 s13, exec_lo
	s_delay_alu instid0(VALU_DEP_2) | instskip(SKIP_2) | instid1(VALU_DEP_3)
	v_and_b32_e32 v18, 0x7f800000, v16
	v_and_b32_e32 v4, 0x7fffff, v16
	v_lshrrev_b32_e32 v2, 24, v16
	v_cmpx_ne_u64_e32 0x7f800000, v[18:19]
	s_xor_b32 s74, exec_lo, s13
	s_cbranch_execz .LBB4_228
; %bb.215:                              ;   in Loop: Header=BB4_136 Depth=3
	v_and_b32_e32 v18, 0x7fffffff, v16
	v_mov_b32_e32 v19, v3
	v_and_b32_e32 v2, 0x80, v2
                                        ; implicit-def: $vgpr50
	s_mov_b32 s13, exec_lo
	s_delay_alu instid0(VALU_DEP_2)
	v_cmpx_gt_u64_e32 0x47600001, v[18:19]
	s_xor_b32 s75, exec_lo, s13
	s_cbranch_execz .LBB4_225
; %bb.216:                              ;   in Loop: Header=BB4_136 Depth=3
	v_mov_b32_e32 v50, 0
	s_mov_b32 s76, exec_lo
	v_cmpx_ne_u32_e32 0, v16
	s_cbranch_execz .LBB4_224
; %bb.217:                              ;   in Loop: Header=BB4_136 Depth=3
	v_bfe_u32 v18, v16, 23, 8
	v_or_b32_e32 v21, 0x800000, v4
	s_delay_alu instid0(VALU_DEP_2) | instskip(SKIP_1) | instid1(VALU_DEP_2)
	v_sub_nc_u32_e32 v16, 0x71, v18
	v_cmp_gt_u32_e32 vcc_lo, 0x72, v18
	v_cndmask_b32_e32 v16, 0, v16, vcc_lo
	v_cmp_eq_u32_e32 vcc_lo, 0, v18
	s_delay_alu instid0(VALU_DEP_2) | instskip(NEXT) | instid1(VALU_DEP_1)
	v_cndmask_b32_e64 v19, v16, 0x70, vcc_lo
	v_dual_cndmask_b32 v4, v21, v4, vcc_lo :: v_dual_add_nc_u32 v16, 21, v19
	v_add_nc_u32_e32 v50, 20, v19
	s_delay_alu instid0(VALU_DEP_2) | instskip(NEXT) | instid1(VALU_DEP_2)
	v_lshlrev_b64_e64 v[16:17], v16, -1
	v_lshlrev_b64_e64 v[50:51], v50, 1
	s_delay_alu instid0(VALU_DEP_2) | instskip(SKIP_1) | instid1(VALU_DEP_4)
	v_bfi_b32 v16, v16, 0, v4
	v_lshrrev_b64 v[4:5], v19, v[4:5]
	v_bfi_b32 v17, v17, 0, 0
	s_delay_alu instid0(VALU_DEP_1) | instskip(NEXT) | instid1(VALU_DEP_3)
	v_cmp_eq_u64_e64 s13, v[16:17], v[50:51]
	v_mov_b64_e32 v[16:17], v[4:5]
	s_and_saveexec_b32 s77, s13
; %bb.218:                              ;   in Loop: Header=BB4_136 Depth=3
	v_bfe_u32 v16, v4, 21, 1
	v_mov_b32_e32 v17, v3
	s_delay_alu instid0(VALU_DEP_1) | instskip(NEXT) | instid1(VALU_DEP_1)
	v_add_nc_u64_e32 v[16:17], v[4:5], v[16:17]
	v_add_nc_u64_e32 v[16:17], -1, v[16:17]
; %bb.219:                              ;   in Loop: Header=BB4_136 Depth=3
	s_or_b32 exec_lo, exec_lo, s77
	v_add_nc_u32_e32 v5, 0xffffff81, v18
	v_lshrrev_b32_e32 v17, 23, v4
	s_mov_b32 s13, exec_lo
	s_delay_alu instid0(VALU_DEP_2) | instskip(NEXT) | instid1(VALU_DEP_1)
	v_cndmask_b32_e64 v5, v5, 0xffffff82, vcc_lo
	v_add3_u32 v17, v19, v5, v17
	v_and_b32_e32 v5, 0x1fffff, v16
                                        ; implicit-def: $vgpr16
	s_delay_alu instid0(VALU_DEP_1) | instskip(SKIP_1) | instid1(VALU_DEP_2)
	v_dual_add_nc_u32 v18, 14, v17 :: v_dual_add_nc_u32 v4, v5, v4
	v_mov_b32_e32 v5, v3
	v_cmpx_ne_u32_e32 0, v18
	s_xor_b32 s13, exec_lo, s13
; %bb.220:                              ;   in Loop: Header=BB4_136 Depth=3
	s_delay_alu instid0(VALU_DEP_2) | instskip(SKIP_2) | instid1(VALU_DEP_2)
	v_cmp_lt_u64_e32 vcc_lo, 0xffffff, v[4:5]
	v_add_nc_u32_e32 v16, 15, v17
	v_cndmask_b32_e64 v17, 0, 1, vcc_lo
	v_cndmask_b32_e32 v16, v18, v16, vcc_lo
	s_delay_alu instid0(VALU_DEP_2)
	v_lshrrev_b64 v[4:5], v17, v[4:5]
; %bb.221:                              ;   in Loop: Header=BB4_136 Depth=3
	s_and_not1_saveexec_b32 s13, s13
; %bb.222:                              ;   in Loop: Header=BB4_136 Depth=3
	s_delay_alu instid0(VALU_DEP_1)
	v_bfe_u32 v16, v4, 23, 1
; %bb.223:                              ;   in Loop: Header=BB4_136 Depth=3
	s_or_b32 exec_lo, exec_lo, s13
	s_delay_alu instid0(VALU_DEP_2) | instskip(NEXT) | instid1(VALU_DEP_2)
	v_lshrrev_b64 v[4:5], 21, v[4:5]
	v_cmp_gt_i32_e32 vcc_lo, 32, v16
	v_min_i32_e32 v17, 31, v16
	v_cmp_eq_u32_e64 s13, 0, v16
	s_delay_alu instid0(VALU_DEP_4) | instskip(NEXT) | instid1(VALU_DEP_3)
	v_cndmask_b32_e32 v5, 0, v5, vcc_lo
	v_dual_cndmask_b32 v4, 3, v4 :: v_dual_lshlrev_b32 v17, 2, v17
	s_delay_alu instid0(VALU_DEP_1) | instskip(NEXT) | instid1(VALU_DEP_2)
	v_and_b32_e32 v17, 0xfc, v17
	v_cmp_eq_u64_e32 vcc_lo, 0, v[4:5]
	s_delay_alu instid0(VALU_DEP_2)
	v_and_or_b32 v4, v4, 3, v17
	s_and_b32 s13, s13, vcc_lo
	s_delay_alu instid0(VALU_DEP_1) | instid1(SALU_CYCLE_1)
	v_cndmask_b32_e64 v4, v4, 0, s13
	s_delay_alu instid0(VALU_DEP_1)
	v_or_b32_e32 v50, v4, v2
.LBB4_224:                              ;   in Loop: Header=BB4_136 Depth=3
	s_or_b32 exec_lo, exec_lo, s76
                                        ; implicit-def: $vgpr2
.LBB4_225:                              ;   in Loop: Header=BB4_136 Depth=3
	s_and_not1_saveexec_b32 s13, s75
; %bb.226:                              ;   in Loop: Header=BB4_136 Depth=3
	v_or_b32_e32 v50, 0x7b, v2
; %bb.227:                              ;   in Loop: Header=BB4_136 Depth=3
	s_or_b32 exec_lo, exec_lo, s13
                                        ; implicit-def: $vgpr16
                                        ; implicit-def: $vgpr4_vgpr5
                                        ; implicit-def: $vgpr2
.LBB4_228:                              ;   in Loop: Header=BB4_136 Depth=3
	s_and_not1_saveexec_b32 s13, s74
	s_cbranch_execz .LBB4_234
; %bb.229:                              ;   in Loop: Header=BB4_136 Depth=3
	s_mov_b32 s74, exec_lo
                                        ; implicit-def: $vgpr50
	v_cmpx_ne_u64_e32 0, v[4:5]
	s_xor_b32 s74, exec_lo, s74
; %bb.230:                              ;   in Loop: Header=BB4_136 Depth=3
	v_or_b32_e32 v50, 0x7f, v2
                                        ; implicit-def: $vgpr16
; %bb.231:                              ;   in Loop: Header=BB4_136 Depth=3
	s_and_not1_saveexec_b32 s74, s74
; %bb.232:                              ;   in Loop: Header=BB4_136 Depth=3
	v_cmp_lt_i32_e32 vcc_lo, -1, v16
	v_cndmask_b32_e32 v50, 0xfc, v49, vcc_lo
; %bb.233:                              ;   in Loop: Header=BB4_136 Depth=3
	s_or_b32 exec_lo, exec_lo, s74
.LBB4_234:                              ;   in Loop: Header=BB4_136 Depth=3
	s_delay_alu instid0(SALU_CYCLE_1)
	s_or_b32 exec_lo, exec_lo, s13
	v_mov_b32_e32 v4, 0
	s_mov_b32 s13, exec_lo
	v_cmpx_lt_u32_e32 0xffffff, v8
	s_cbranch_execz .LBB4_244
; %bb.235:                              ;   in Loop: Header=BB4_136 Depth=3
	v_lshrrev_b32_e32 v2, 24, v8
	v_bfrev_b32_e32 v4, 1
	s_mov_b32 s74, exec_lo
	s_delay_alu instid0(VALU_DEP_2)
	v_cmpx_ne_u32_e32 0x80, v2
	s_cbranch_execz .LBB4_243
; %bb.236:                              ;   in Loop: Header=BB4_136 Depth=3
	v_and_b32_e32 v4, 0x7c000000, v8
	v_bfe_u32 v5, v8, 24, 2
	s_delay_alu instid0(VALU_DEP_2) | instskip(SKIP_1) | instid1(SALU_CYCLE_1)
	v_cmp_ne_u32_e32 vcc_lo, 0x7c000000, v4
                                        ; implicit-def: $vgpr4
	s_and_saveexec_b32 s75, vcc_lo
	s_xor_b32 s75, exec_lo, s75
	s_cbranch_execz .LBB4_240
; %bb.237:                              ;   in Loop: Header=BB4_136 Depth=3
	v_bfe_u32 v4, v8, 26, 5
	s_mov_b32 s76, exec_lo
	s_delay_alu instid0(VALU_DEP_1)
	v_cmpx_eq_u32_e32 0, v4
; %bb.238:                              ;   in Loop: Header=BB4_136 Depth=3
	v_clz_i32_u32_e32 v4, v5
	s_delay_alu instid0(VALU_DEP_1) | instskip(NEXT) | instid1(VALU_DEP_1)
	v_min_u32_e32 v4, 32, v4
	v_subrev_nc_u32_e32 v5, 29, v4
	v_sub_nc_u32_e32 v4, 30, v4
	s_delay_alu instid0(VALU_DEP_2) | instskip(NEXT) | instid1(VALU_DEP_1)
	v_lshlrev_b64_e32 v[16:17], v5, v[2:3]
	v_and_b32_e32 v5, 3, v16
; %bb.239:                              ;   in Loop: Header=BB4_136 Depth=3
	s_or_b32 exec_lo, exec_lo, s76
	v_and_b32_e32 v2, 0x80000000, v8
	s_delay_alu instid0(VALU_DEP_1) | instskip(NEXT) | instid1(VALU_DEP_1)
	v_lshl_add_u32 v2, v4, 23, v2
	v_lshl_or_b32 v2, v5, 21, v2
                                        ; implicit-def: $vgpr5
	s_delay_alu instid0(VALU_DEP_1)
	v_add_nc_u32_e32 v4, 0x38000000, v2
.LBB4_240:                              ;   in Loop: Header=BB4_136 Depth=3
	s_and_not1_saveexec_b32 s75, s75
; %bb.241:                              ;   in Loop: Header=BB4_136 Depth=3
	v_cmp_lt_i32_e32 vcc_lo, -1, v8
	v_cndmask_b32_e32 v2, 0xff800000, v48, vcc_lo
	v_cmp_eq_u32_e32 vcc_lo, 0, v5
	s_delay_alu instid0(VALU_DEP_2)
	v_cndmask_b32_e32 v4, 0x7f800001, v2, vcc_lo
; %bb.242:                              ;   in Loop: Header=BB4_136 Depth=3
	s_or_b32 exec_lo, exec_lo, s75
.LBB4_243:                              ;   in Loop: Header=BB4_136 Depth=3
	s_delay_alu instid0(SALU_CYCLE_1)
	s_or_b32 exec_lo, exec_lo, s74
.LBB4_244:                              ;   in Loop: Header=BB4_136 Depth=3
	s_delay_alu instid0(SALU_CYCLE_1) | instskip(NEXT) | instid1(VALU_DEP_1)
	s_or_b32 exec_lo, exec_lo, s13
	v_dual_mul_f32 v16, s73, v4 :: v_dual_mov_b32 v19, v3
	v_mov_b32_e32 v5, v3
                                        ; implicit-def: $vgpr51
	s_mov_b32 s13, exec_lo
	s_delay_alu instid0(VALU_DEP_2) | instskip(SKIP_2) | instid1(VALU_DEP_3)
	v_and_b32_e32 v18, 0x7f800000, v16
	v_and_b32_e32 v4, 0x7fffff, v16
	v_lshrrev_b32_e32 v2, 24, v16
	v_cmpx_ne_u64_e32 0x7f800000, v[18:19]
	s_xor_b32 s74, exec_lo, s13
	s_cbranch_execz .LBB4_258
; %bb.245:                              ;   in Loop: Header=BB4_136 Depth=3
	v_and_b32_e32 v18, 0x7fffffff, v16
	v_mov_b32_e32 v19, v3
	v_and_b32_e32 v2, 0x80, v2
                                        ; implicit-def: $vgpr51
	s_mov_b32 s13, exec_lo
	s_delay_alu instid0(VALU_DEP_2)
	v_cmpx_gt_u64_e32 0x47600001, v[18:19]
	s_xor_b32 s75, exec_lo, s13
	s_cbranch_execz .LBB4_255
; %bb.246:                              ;   in Loop: Header=BB4_136 Depth=3
	v_mov_b32_e32 v51, 0
	s_mov_b32 s76, exec_lo
	v_cmpx_ne_u32_e32 0, v16
	s_cbranch_execz .LBB4_254
; %bb.247:                              ;   in Loop: Header=BB4_136 Depth=3
	v_bfe_u32 v18, v16, 23, 8
	v_or_b32_e32 v21, 0x800000, v4
	s_delay_alu instid0(VALU_DEP_2) | instskip(SKIP_1) | instid1(VALU_DEP_2)
	v_sub_nc_u32_e32 v16, 0x71, v18
	v_cmp_gt_u32_e32 vcc_lo, 0x72, v18
	v_cndmask_b32_e32 v16, 0, v16, vcc_lo
	v_cmp_eq_u32_e32 vcc_lo, 0, v18
	s_delay_alu instid0(VALU_DEP_2) | instskip(NEXT) | instid1(VALU_DEP_1)
	v_cndmask_b32_e64 v19, v16, 0x70, vcc_lo
	v_dual_cndmask_b32 v4, v21, v4, vcc_lo :: v_dual_add_nc_u32 v16, 21, v19
	v_add_nc_u32_e32 v51, 20, v19
	s_delay_alu instid0(VALU_DEP_2) | instskip(NEXT) | instid1(VALU_DEP_2)
	v_lshlrev_b64_e64 v[16:17], v16, -1
	v_lshlrev_b64_e64 v[64:65], v51, 1
	s_delay_alu instid0(VALU_DEP_2) | instskip(SKIP_1) | instid1(VALU_DEP_4)
	v_bfi_b32 v16, v16, 0, v4
	v_lshrrev_b64 v[4:5], v19, v[4:5]
	v_bfi_b32 v17, v17, 0, 0
	s_delay_alu instid0(VALU_DEP_1) | instskip(NEXT) | instid1(VALU_DEP_3)
	v_cmp_eq_u64_e64 s13, v[16:17], v[64:65]
	v_mov_b64_e32 v[16:17], v[4:5]
	s_and_saveexec_b32 s77, s13
; %bb.248:                              ;   in Loop: Header=BB4_136 Depth=3
	v_bfe_u32 v16, v4, 21, 1
	v_mov_b32_e32 v17, v3
	s_delay_alu instid0(VALU_DEP_1) | instskip(NEXT) | instid1(VALU_DEP_1)
	v_add_nc_u64_e32 v[16:17], v[4:5], v[16:17]
	v_add_nc_u64_e32 v[16:17], -1, v[16:17]
; %bb.249:                              ;   in Loop: Header=BB4_136 Depth=3
	s_or_b32 exec_lo, exec_lo, s77
	v_add_nc_u32_e32 v5, 0xffffff81, v18
	v_lshrrev_b32_e32 v17, 23, v4
	s_mov_b32 s13, exec_lo
	s_delay_alu instid0(VALU_DEP_2) | instskip(NEXT) | instid1(VALU_DEP_1)
	v_cndmask_b32_e64 v5, v5, 0xffffff82, vcc_lo
	v_add3_u32 v17, v19, v5, v17
	v_and_b32_e32 v5, 0x1fffff, v16
                                        ; implicit-def: $vgpr16
	s_delay_alu instid0(VALU_DEP_1) | instskip(SKIP_1) | instid1(VALU_DEP_2)
	v_dual_add_nc_u32 v18, 14, v17 :: v_dual_add_nc_u32 v4, v5, v4
	v_mov_b32_e32 v5, v3
	v_cmpx_ne_u32_e32 0, v18
	s_xor_b32 s13, exec_lo, s13
; %bb.250:                              ;   in Loop: Header=BB4_136 Depth=3
	s_delay_alu instid0(VALU_DEP_2) | instskip(SKIP_2) | instid1(VALU_DEP_2)
	v_cmp_lt_u64_e32 vcc_lo, 0xffffff, v[4:5]
	v_add_nc_u32_e32 v16, 15, v17
	v_cndmask_b32_e64 v17, 0, 1, vcc_lo
	v_cndmask_b32_e32 v16, v18, v16, vcc_lo
	s_delay_alu instid0(VALU_DEP_2)
	v_lshrrev_b64 v[4:5], v17, v[4:5]
; %bb.251:                              ;   in Loop: Header=BB4_136 Depth=3
	s_and_not1_saveexec_b32 s13, s13
; %bb.252:                              ;   in Loop: Header=BB4_136 Depth=3
	s_delay_alu instid0(VALU_DEP_1)
	v_bfe_u32 v16, v4, 23, 1
; %bb.253:                              ;   in Loop: Header=BB4_136 Depth=3
	s_or_b32 exec_lo, exec_lo, s13
	s_delay_alu instid0(VALU_DEP_2) | instskip(NEXT) | instid1(VALU_DEP_2)
	v_lshrrev_b64 v[4:5], 21, v[4:5]
	v_cmp_gt_i32_e32 vcc_lo, 32, v16
	v_min_i32_e32 v17, 31, v16
	v_cmp_eq_u32_e64 s13, 0, v16
	s_delay_alu instid0(VALU_DEP_4) | instskip(NEXT) | instid1(VALU_DEP_3)
	v_cndmask_b32_e32 v5, 0, v5, vcc_lo
	v_dual_cndmask_b32 v4, 3, v4 :: v_dual_lshlrev_b32 v17, 2, v17
	s_delay_alu instid0(VALU_DEP_1) | instskip(NEXT) | instid1(VALU_DEP_2)
	v_and_b32_e32 v17, 0xfc, v17
	v_cmp_eq_u64_e32 vcc_lo, 0, v[4:5]
	s_delay_alu instid0(VALU_DEP_2)
	v_and_or_b32 v4, v4, 3, v17
	s_and_b32 s13, s13, vcc_lo
	s_delay_alu instid0(VALU_DEP_1) | instid1(SALU_CYCLE_1)
	v_cndmask_b32_e64 v4, v4, 0, s13
	s_delay_alu instid0(VALU_DEP_1)
	v_or_b32_e32 v51, v4, v2
.LBB4_254:                              ;   in Loop: Header=BB4_136 Depth=3
	s_or_b32 exec_lo, exec_lo, s76
                                        ; implicit-def: $vgpr2
.LBB4_255:                              ;   in Loop: Header=BB4_136 Depth=3
	s_and_not1_saveexec_b32 s13, s75
; %bb.256:                              ;   in Loop: Header=BB4_136 Depth=3
	v_or_b32_e32 v51, 0x7b, v2
; %bb.257:                              ;   in Loop: Header=BB4_136 Depth=3
	s_or_b32 exec_lo, exec_lo, s13
                                        ; implicit-def: $vgpr16
                                        ; implicit-def: $vgpr4_vgpr5
                                        ; implicit-def: $vgpr2
.LBB4_258:                              ;   in Loop: Header=BB4_136 Depth=3
	s_and_not1_saveexec_b32 s13, s74
	s_cbranch_execz .LBB4_264
; %bb.259:                              ;   in Loop: Header=BB4_136 Depth=3
	s_mov_b32 s74, exec_lo
                                        ; implicit-def: $vgpr51
	v_cmpx_ne_u64_e32 0, v[4:5]
	s_xor_b32 s74, exec_lo, s74
; %bb.260:                              ;   in Loop: Header=BB4_136 Depth=3
	v_or_b32_e32 v51, 0x7f, v2
                                        ; implicit-def: $vgpr16
; %bb.261:                              ;   in Loop: Header=BB4_136 Depth=3
	s_and_not1_saveexec_b32 s74, s74
; %bb.262:                              ;   in Loop: Header=BB4_136 Depth=3
	v_cmp_lt_i32_e32 vcc_lo, -1, v16
	v_cndmask_b32_e32 v51, 0xfc, v49, vcc_lo
; %bb.263:                              ;   in Loop: Header=BB4_136 Depth=3
	s_or_b32 exec_lo, exec_lo, s74
.LBB4_264:                              ;   in Loop: Header=BB4_136 Depth=3
	s_delay_alu instid0(SALU_CYCLE_1) | instskip(SKIP_4) | instid1(VALU_DEP_3)
	s_or_b32 exec_lo, exec_lo, s13
	v_and_b32_e32 v16, 0xff, v9
	v_dual_mov_b32 v4, v9 :: v_dual_mov_b32 v5, v3
	v_mov_b32_e32 v2, 0
	s_mov_b32 s13, exec_lo
	v_cmpx_ne_u16_e32 0, v16
	s_cbranch_execz .LBB4_274
; %bb.265:                              ;   in Loop: Header=BB4_136 Depth=3
	v_bfrev_b32_e32 v2, 1
	s_mov_b32 s74, exec_lo
	v_cmpx_ne_u16_e32 0x80, v16
	s_cbranch_execz .LBB4_273
; %bb.266:                              ;   in Loop: Header=BB4_136 Depth=3
	v_and_b32_e32 v2, 0x7c, v9
	v_and_b32_e32 v16, 3, v9
	s_delay_alu instid0(VALU_DEP_2) | instskip(SKIP_1) | instid1(SALU_CYCLE_1)
	v_cmp_ne_u32_e32 vcc_lo, 0x7c, v2
                                        ; implicit-def: $vgpr2
	s_and_saveexec_b32 s75, vcc_lo
	s_xor_b32 s75, exec_lo, s75
	s_cbranch_execz .LBB4_270
; %bb.267:                              ;   in Loop: Header=BB4_136 Depth=3
	v_bfe_u32 v2, v9, 2, 5
	s_mov_b32 s76, exec_lo
	s_delay_alu instid0(VALU_DEP_1)
	v_cmpx_eq_u32_e32 0, v2
; %bb.268:                              ;   in Loop: Header=BB4_136 Depth=3
	v_clz_i32_u32_e32 v2, v16
	s_delay_alu instid0(VALU_DEP_1) | instskip(NEXT) | instid1(VALU_DEP_1)
	v_min_u32_e32 v2, 32, v2
	v_subrev_nc_u32_e32 v16, 29, v2
	s_delay_alu instid0(VALU_DEP_1) | instskip(NEXT) | instid1(VALU_DEP_1)
	v_lshlrev_b64_e32 v[16:17], v16, v[4:5]
	v_dual_sub_nc_u32 v2, 30, v2 :: v_dual_bitop2_b32 v16, 3, v16 bitop3:0x40
; %bb.269:                              ;   in Loop: Header=BB4_136 Depth=3
	s_or_b32 exec_lo, exec_lo, s76
	v_lshlrev_b32_e32 v5, 24, v9
	s_delay_alu instid0(VALU_DEP_1) | instskip(NEXT) | instid1(VALU_DEP_1)
	v_and_b32_e32 v5, 0x80000000, v5
	v_lshl_add_u32 v2, v2, 23, v5
	s_delay_alu instid0(VALU_DEP_1) | instskip(NEXT) | instid1(VALU_DEP_1)
	v_lshl_or_b32 v2, v16, 21, v2
                                        ; implicit-def: $vgpr16
	v_add_nc_u32_e32 v2, 0x38000000, v2
.LBB4_270:                              ;   in Loop: Header=BB4_136 Depth=3
	s_and_not1_saveexec_b32 s75, s75
; %bb.271:                              ;   in Loop: Header=BB4_136 Depth=3
	v_bfe_i32 v2, v9, 0, 8
	s_delay_alu instid0(VALU_DEP_1) | instskip(SKIP_2) | instid1(VALU_DEP_2)
	v_cmp_lt_i16_e32 vcc_lo, -1, v2
	v_cndmask_b32_e32 v2, 0xff800000, v48, vcc_lo
	v_cmp_eq_u32_e32 vcc_lo, 0, v16
	v_cndmask_b32_e32 v2, 0x7f800001, v2, vcc_lo
; %bb.272:                              ;   in Loop: Header=BB4_136 Depth=3
	s_or_b32 exec_lo, exec_lo, s75
.LBB4_273:                              ;   in Loop: Header=BB4_136 Depth=3
	s_delay_alu instid0(SALU_CYCLE_1)
	s_or_b32 exec_lo, exec_lo, s74
.LBB4_274:                              ;   in Loop: Header=BB4_136 Depth=3
	s_delay_alu instid0(SALU_CYCLE_1) | instskip(NEXT) | instid1(VALU_DEP_1)
	s_or_b32 exec_lo, exec_lo, s13
	v_dual_mul_f32 v5, s73, v2 :: v_dual_mov_b32 v19, v3
	v_mov_b32_e32 v17, v3
                                        ; implicit-def: $vgpr64
	s_mov_b32 s13, exec_lo
	s_delay_alu instid0(VALU_DEP_2) | instskip(SKIP_2) | instid1(VALU_DEP_3)
	v_and_b32_e32 v18, 0x7f800000, v5
	v_and_b32_e32 v16, 0x7fffff, v5
	v_lshrrev_b32_e32 v2, 24, v5
	v_cmpx_ne_u64_e32 0x7f800000, v[18:19]
	s_xor_b32 s74, exec_lo, s13
	s_cbranch_execz .LBB4_288
; %bb.275:                              ;   in Loop: Header=BB4_136 Depth=3
	v_and_b32_e32 v18, 0x7fffffff, v5
	v_mov_b32_e32 v19, v3
	v_and_b32_e32 v2, 0x80, v2
                                        ; implicit-def: $vgpr64
	s_mov_b32 s13, exec_lo
	s_delay_alu instid0(VALU_DEP_2)
	v_cmpx_gt_u64_e32 0x47600001, v[18:19]
	s_xor_b32 s75, exec_lo, s13
	s_cbranch_execz .LBB4_285
; %bb.276:                              ;   in Loop: Header=BB4_136 Depth=3
	v_mov_b32_e32 v64, 0
	s_mov_b32 s76, exec_lo
	v_cmpx_ne_u32_e32 0, v5
	s_cbranch_execz .LBB4_284
; %bb.277:                              ;   in Loop: Header=BB4_136 Depth=3
	v_bfe_u32 v5, v5, 23, 8
	v_or_b32_e32 v64, 0x800000, v16
	s_delay_alu instid0(VALU_DEP_2) | instskip(SKIP_1) | instid1(VALU_DEP_2)
	v_sub_nc_u32_e32 v18, 0x71, v5
	v_cmp_gt_u32_e32 vcc_lo, 0x72, v5
	v_cndmask_b32_e32 v18, 0, v18, vcc_lo
	v_cmp_eq_u32_e32 vcc_lo, 0, v5
	s_delay_alu instid0(VALU_DEP_2) | instskip(NEXT) | instid1(VALU_DEP_1)
	v_cndmask_b32_e64 v21, v18, 0x70, vcc_lo
	v_dual_cndmask_b32 v16, v64, v16, vcc_lo :: v_dual_add_nc_u32 v18, 21, v21
	v_add_nc_u32_e32 v65, 20, v21
	s_delay_alu instid0(VALU_DEP_2) | instskip(NEXT) | instid1(VALU_DEP_2)
	v_lshlrev_b64_e64 v[18:19], v18, -1
	v_lshlrev_b64_e64 v[64:65], v65, 1
	s_delay_alu instid0(VALU_DEP_2) | instskip(SKIP_1) | instid1(VALU_DEP_4)
	v_bfi_b32 v18, v18, 0, v16
	v_lshrrev_b64 v[16:17], v21, v[16:17]
	v_bfi_b32 v19, v19, 0, 0
	s_delay_alu instid0(VALU_DEP_1) | instskip(NEXT) | instid1(VALU_DEP_3)
	v_cmp_eq_u64_e64 s13, v[18:19], v[64:65]
	v_mov_b64_e32 v[18:19], v[16:17]
	s_and_saveexec_b32 s77, s13
; %bb.278:                              ;   in Loop: Header=BB4_136 Depth=3
	v_bfe_u32 v18, v16, 21, 1
	v_mov_b32_e32 v19, v3
	s_delay_alu instid0(VALU_DEP_1) | instskip(NEXT) | instid1(VALU_DEP_1)
	v_add_nc_u64_e32 v[18:19], v[16:17], v[18:19]
	v_add_nc_u64_e32 v[18:19], -1, v[18:19]
; %bb.279:                              ;   in Loop: Header=BB4_136 Depth=3
	s_or_b32 exec_lo, exec_lo, s77
	v_add_nc_u32_e32 v5, 0xffffff81, v5
	v_lshrrev_b32_e32 v17, 23, v16
	s_mov_b32 s13, exec_lo
	s_delay_alu instid0(VALU_DEP_2) | instskip(NEXT) | instid1(VALU_DEP_1)
	v_cndmask_b32_e64 v5, v5, 0xffffff82, vcc_lo
	v_add3_u32 v19, v21, v5, v17
	v_and_b32_e32 v5, 0x1fffff, v18
	s_delay_alu instid0(VALU_DEP_2) | instskip(NEXT) | instid1(VALU_DEP_2)
	v_dual_mov_b32 v17, v3 :: v_dual_add_nc_u32 v18, 14, v19
	v_add_nc_u32_e32 v16, v5, v16
                                        ; implicit-def: $vgpr5
	s_delay_alu instid0(VALU_DEP_2)
	v_cmpx_ne_u32_e32 0, v18
	s_xor_b32 s13, exec_lo, s13
; %bb.280:                              ;   in Loop: Header=BB4_136 Depth=3
	s_delay_alu instid0(VALU_DEP_2) | instskip(SKIP_1) | instid1(VALU_DEP_1)
	v_cmp_lt_u64_e32 vcc_lo, 0xffffff, v[16:17]
	v_add_nc_u32_e32 v5, 15, v19
	v_cndmask_b32_e32 v5, v18, v5, vcc_lo
	v_cndmask_b32_e64 v18, 0, 1, vcc_lo
	s_delay_alu instid0(VALU_DEP_1)
	v_lshrrev_b64 v[16:17], v18, v[16:17]
; %bb.281:                              ;   in Loop: Header=BB4_136 Depth=3
	s_and_not1_saveexec_b32 s13, s13
; %bb.282:                              ;   in Loop: Header=BB4_136 Depth=3
	s_delay_alu instid0(VALU_DEP_1)
	v_bfe_u32 v5, v16, 23, 1
; %bb.283:                              ;   in Loop: Header=BB4_136 Depth=3
	s_or_b32 exec_lo, exec_lo, s13
	s_delay_alu instid0(VALU_DEP_2) | instskip(NEXT) | instid1(VALU_DEP_2)
	v_lshrrev_b64 v[16:17], 21, v[16:17]
	v_cmp_gt_i32_e32 vcc_lo, 32, v5
	v_min_i32_e32 v18, 31, v5
	v_cmp_eq_u32_e64 s13, 0, v5
	s_delay_alu instid0(VALU_DEP_2) | instskip(SKIP_1) | instid1(VALU_DEP_2)
	v_dual_cndmask_b32 v16, 3, v16, vcc_lo :: v_dual_lshlrev_b32 v18, 2, v18
	v_cndmask_b32_e32 v17, 0, v17, vcc_lo
	v_and_b32_e32 v18, 0xfc, v18
	s_delay_alu instid0(VALU_DEP_2) | instskip(NEXT) | instid1(VALU_DEP_2)
	v_cmp_eq_u64_e32 vcc_lo, 0, v[16:17]
	v_and_or_b32 v5, v16, 3, v18
	s_and_b32 s13, s13, vcc_lo
	s_delay_alu instid0(VALU_DEP_1) | instid1(SALU_CYCLE_1)
	v_cndmask_b32_e64 v5, v5, 0, s13
	s_delay_alu instid0(VALU_DEP_1)
	v_or_b32_e32 v64, v5, v2
.LBB4_284:                              ;   in Loop: Header=BB4_136 Depth=3
	s_or_b32 exec_lo, exec_lo, s76
                                        ; implicit-def: $vgpr2
.LBB4_285:                              ;   in Loop: Header=BB4_136 Depth=3
	s_and_not1_saveexec_b32 s13, s75
; %bb.286:                              ;   in Loop: Header=BB4_136 Depth=3
	v_or_b32_e32 v64, 0x7b, v2
; %bb.287:                              ;   in Loop: Header=BB4_136 Depth=3
	s_or_b32 exec_lo, exec_lo, s13
                                        ; implicit-def: $vgpr5
                                        ; implicit-def: $vgpr16_vgpr17
                                        ; implicit-def: $vgpr2
.LBB4_288:                              ;   in Loop: Header=BB4_136 Depth=3
	s_and_not1_saveexec_b32 s13, s74
	s_cbranch_execz .LBB4_294
; %bb.289:                              ;   in Loop: Header=BB4_136 Depth=3
	s_mov_b32 s74, exec_lo
                                        ; implicit-def: $vgpr64
	v_cmpx_ne_u64_e32 0, v[16:17]
	s_xor_b32 s74, exec_lo, s74
; %bb.290:                              ;   in Loop: Header=BB4_136 Depth=3
	v_or_b32_e32 v64, 0x7f, v2
                                        ; implicit-def: $vgpr5
; %bb.291:                              ;   in Loop: Header=BB4_136 Depth=3
	s_and_not1_saveexec_b32 s74, s74
; %bb.292:                              ;   in Loop: Header=BB4_136 Depth=3
	v_cmp_lt_i32_e32 vcc_lo, -1, v5
	v_cndmask_b32_e32 v64, 0xfc, v49, vcc_lo
; %bb.293:                              ;   in Loop: Header=BB4_136 Depth=3
	s_or_b32 exec_lo, exec_lo, s74
.LBB4_294:                              ;   in Loop: Header=BB4_136 Depth=3
	s_delay_alu instid0(SALU_CYCLE_1) | instskip(SKIP_3) | instid1(VALU_DEP_2)
	s_or_b32 exec_lo, exec_lo, s13
	v_lshrrev_b16 v16, 8, v4
	v_mov_b32_e32 v17, 0
	s_mov_b32 s13, exec_lo
	v_cmpx_ne_u16_e32 0, v16
	s_cbranch_execz .LBB4_304
; %bb.295:                              ;   in Loop: Header=BB4_136 Depth=3
	v_bfrev_b32_e32 v17, 1
	s_mov_b32 s74, exec_lo
	v_cmpx_ne_u16_e32 0x80, v16
	s_cbranch_execz .LBB4_303
; %bb.296:                              ;   in Loop: Header=BB4_136 Depth=3
	v_and_b32_e32 v5, 0xffff, v16
	s_delay_alu instid0(VALU_DEP_1) | instskip(SKIP_1) | instid1(VALU_DEP_2)
	v_and_b32_e32 v17, 0x7c, v5
	v_and_b32_e32 v2, 3, v5
	v_cmp_ne_u32_e32 vcc_lo, 0x7c, v17
                                        ; implicit-def: $vgpr17
	s_and_saveexec_b32 s75, vcc_lo
	s_delay_alu instid0(SALU_CYCLE_1)
	s_xor_b32 s75, exec_lo, s75
	s_cbranch_execz .LBB4_300
; %bb.297:                              ;   in Loop: Header=BB4_136 Depth=3
	v_bfe_u32 v5, v5, 2, 5
	s_mov_b32 s76, exec_lo
	s_delay_alu instid0(VALU_DEP_1)
	v_cmpx_eq_u32_e32 0, v5
; %bb.298:                              ;   in Loop: Header=BB4_136 Depth=3
	v_clz_i32_u32_e32 v2, v2
	s_delay_alu instid0(VALU_DEP_1) | instskip(SKIP_1) | instid1(VALU_DEP_2)
	v_min_u32_e32 v2, 32, v2
	v_mov_b32_e32 v17, v3
	v_subrev_nc_u32_e32 v5, 29, v2
	s_delay_alu instid0(VALU_DEP_1) | instskip(NEXT) | instid1(VALU_DEP_1)
	v_lshlrev_b64_e32 v[16:17], v5, v[16:17]
	v_dual_sub_nc_u32 v5, 30, v2 :: v_dual_bitop2_b32 v2, 3, v16 bitop3:0x40
; %bb.299:                              ;   in Loop: Header=BB4_136 Depth=3
	s_or_b32 exec_lo, exec_lo, s76
	v_lshlrev_b32_e32 v4, 16, v4
	s_delay_alu instid0(VALU_DEP_1) | instskip(NEXT) | instid1(VALU_DEP_1)
	v_and_b32_e32 v4, 0x80000000, v4
	v_lshl_add_u32 v4, v5, 23, v4
	s_delay_alu instid0(VALU_DEP_1) | instskip(NEXT) | instid1(VALU_DEP_1)
	v_lshl_or_b32 v2, v2, 21, v4
                                        ; implicit-def: $vgpr4_vgpr5
	v_add_nc_u32_e32 v17, 0x38000000, v2
                                        ; implicit-def: $vgpr2
.LBB4_300:                              ;   in Loop: Header=BB4_136 Depth=3
	s_and_not1_saveexec_b32 s75, s75
; %bb.301:                              ;   in Loop: Header=BB4_136 Depth=3
	v_cmp_lt_i16_e32 vcc_lo, -1, v4
	v_cndmask_b32_e32 v4, 0xff800000, v48, vcc_lo
	v_cmp_eq_u32_e32 vcc_lo, 0, v2
	s_delay_alu instid0(VALU_DEP_2)
	v_cndmask_b32_e32 v17, 0x7f800001, v4, vcc_lo
; %bb.302:                              ;   in Loop: Header=BB4_136 Depth=3
	s_or_b32 exec_lo, exec_lo, s75
.LBB4_303:                              ;   in Loop: Header=BB4_136 Depth=3
	s_delay_alu instid0(SALU_CYCLE_1)
	s_or_b32 exec_lo, exec_lo, s74
.LBB4_304:                              ;   in Loop: Header=BB4_136 Depth=3
	s_delay_alu instid0(SALU_CYCLE_1) | instskip(NEXT) | instid1(VALU_DEP_1)
	s_or_b32 exec_lo, exec_lo, s13
	v_dual_mul_f32 v16, s73, v17 :: v_dual_mov_b32 v19, v3
	v_mov_b32_e32 v5, v3
                                        ; implicit-def: $vgpr65
	s_mov_b32 s13, exec_lo
	s_delay_alu instid0(VALU_DEP_2) | instskip(SKIP_2) | instid1(VALU_DEP_3)
	v_and_b32_e32 v18, 0x7f800000, v16
	v_and_b32_e32 v4, 0x7fffff, v16
	v_lshrrev_b32_e32 v2, 24, v16
	v_cmpx_ne_u64_e32 0x7f800000, v[18:19]
	s_xor_b32 s74, exec_lo, s13
	s_cbranch_execz .LBB4_318
; %bb.305:                              ;   in Loop: Header=BB4_136 Depth=3
	v_and_b32_e32 v18, 0x7fffffff, v16
	v_mov_b32_e32 v19, v3
	v_and_b32_e32 v2, 0x80, v2
                                        ; implicit-def: $vgpr65
	s_mov_b32 s13, exec_lo
	s_delay_alu instid0(VALU_DEP_2)
	v_cmpx_gt_u64_e32 0x47600001, v[18:19]
	s_xor_b32 s75, exec_lo, s13
	s_cbranch_execz .LBB4_315
; %bb.306:                              ;   in Loop: Header=BB4_136 Depth=3
	v_mov_b32_e32 v65, 0
	s_mov_b32 s76, exec_lo
	v_cmpx_ne_u32_e32 0, v16
	s_cbranch_execz .LBB4_314
; %bb.307:                              ;   in Loop: Header=BB4_136 Depth=3
	v_bfe_u32 v18, v16, 23, 8
	v_or_b32_e32 v21, 0x800000, v4
	s_delay_alu instid0(VALU_DEP_2) | instskip(SKIP_1) | instid1(VALU_DEP_2)
	v_sub_nc_u32_e32 v16, 0x71, v18
	v_cmp_gt_u32_e32 vcc_lo, 0x72, v18
	v_cndmask_b32_e32 v16, 0, v16, vcc_lo
	v_cmp_eq_u32_e32 vcc_lo, 0, v18
	s_delay_alu instid0(VALU_DEP_2) | instskip(NEXT) | instid1(VALU_DEP_1)
	v_cndmask_b32_e64 v19, v16, 0x70, vcc_lo
	v_dual_cndmask_b32 v4, v21, v4, vcc_lo :: v_dual_add_nc_u32 v16, 21, v19
	v_add_nc_u32_e32 v65, 20, v19
	s_delay_alu instid0(VALU_DEP_2) | instskip(NEXT) | instid1(VALU_DEP_2)
	v_lshlrev_b64_e64 v[16:17], v16, -1
	v_lshlrev_b64_e64 v[66:67], v65, 1
	s_delay_alu instid0(VALU_DEP_2) | instskip(SKIP_1) | instid1(VALU_DEP_4)
	v_bfi_b32 v16, v16, 0, v4
	v_lshrrev_b64 v[4:5], v19, v[4:5]
	v_bfi_b32 v17, v17, 0, 0
	s_delay_alu instid0(VALU_DEP_1) | instskip(NEXT) | instid1(VALU_DEP_3)
	v_cmp_eq_u64_e64 s13, v[16:17], v[66:67]
	v_mov_b64_e32 v[16:17], v[4:5]
	s_and_saveexec_b32 s77, s13
; %bb.308:                              ;   in Loop: Header=BB4_136 Depth=3
	v_bfe_u32 v16, v4, 21, 1
	v_mov_b32_e32 v17, v3
	s_delay_alu instid0(VALU_DEP_1) | instskip(NEXT) | instid1(VALU_DEP_1)
	v_add_nc_u64_e32 v[16:17], v[4:5], v[16:17]
	v_add_nc_u64_e32 v[16:17], -1, v[16:17]
; %bb.309:                              ;   in Loop: Header=BB4_136 Depth=3
	s_or_b32 exec_lo, exec_lo, s77
	v_add_nc_u32_e32 v5, 0xffffff81, v18
	v_lshrrev_b32_e32 v17, 23, v4
	s_mov_b32 s13, exec_lo
	s_delay_alu instid0(VALU_DEP_2) | instskip(NEXT) | instid1(VALU_DEP_1)
	v_cndmask_b32_e64 v5, v5, 0xffffff82, vcc_lo
	v_add3_u32 v17, v19, v5, v17
	v_and_b32_e32 v5, 0x1fffff, v16
                                        ; implicit-def: $vgpr16
	s_delay_alu instid0(VALU_DEP_1) | instskip(SKIP_1) | instid1(VALU_DEP_2)
	v_dual_add_nc_u32 v18, 14, v17 :: v_dual_add_nc_u32 v4, v5, v4
	v_mov_b32_e32 v5, v3
	v_cmpx_ne_u32_e32 0, v18
	s_xor_b32 s13, exec_lo, s13
; %bb.310:                              ;   in Loop: Header=BB4_136 Depth=3
	s_delay_alu instid0(VALU_DEP_2) | instskip(SKIP_2) | instid1(VALU_DEP_2)
	v_cmp_lt_u64_e32 vcc_lo, 0xffffff, v[4:5]
	v_add_nc_u32_e32 v16, 15, v17
	v_cndmask_b32_e64 v17, 0, 1, vcc_lo
	v_cndmask_b32_e32 v16, v18, v16, vcc_lo
	s_delay_alu instid0(VALU_DEP_2)
	v_lshrrev_b64 v[4:5], v17, v[4:5]
; %bb.311:                              ;   in Loop: Header=BB4_136 Depth=3
	s_and_not1_saveexec_b32 s13, s13
; %bb.312:                              ;   in Loop: Header=BB4_136 Depth=3
	s_delay_alu instid0(VALU_DEP_1)
	v_bfe_u32 v16, v4, 23, 1
; %bb.313:                              ;   in Loop: Header=BB4_136 Depth=3
	s_or_b32 exec_lo, exec_lo, s13
	s_delay_alu instid0(VALU_DEP_2) | instskip(NEXT) | instid1(VALU_DEP_2)
	v_lshrrev_b64 v[4:5], 21, v[4:5]
	v_cmp_gt_i32_e32 vcc_lo, 32, v16
	v_min_i32_e32 v17, 31, v16
	v_cmp_eq_u32_e64 s13, 0, v16
	s_delay_alu instid0(VALU_DEP_4) | instskip(NEXT) | instid1(VALU_DEP_3)
	v_cndmask_b32_e32 v5, 0, v5, vcc_lo
	v_dual_cndmask_b32 v4, 3, v4 :: v_dual_lshlrev_b32 v17, 2, v17
	s_delay_alu instid0(VALU_DEP_1) | instskip(NEXT) | instid1(VALU_DEP_2)
	v_and_b32_e32 v17, 0xfc, v17
	v_cmp_eq_u64_e32 vcc_lo, 0, v[4:5]
	s_delay_alu instid0(VALU_DEP_2)
	v_and_or_b32 v4, v4, 3, v17
	s_and_b32 s13, s13, vcc_lo
	s_delay_alu instid0(VALU_DEP_1) | instid1(SALU_CYCLE_1)
	v_cndmask_b32_e64 v4, v4, 0, s13
	s_delay_alu instid0(VALU_DEP_1)
	v_or_b32_e32 v65, v4, v2
.LBB4_314:                              ;   in Loop: Header=BB4_136 Depth=3
	s_or_b32 exec_lo, exec_lo, s76
                                        ; implicit-def: $vgpr2
.LBB4_315:                              ;   in Loop: Header=BB4_136 Depth=3
	s_and_not1_saveexec_b32 s13, s75
; %bb.316:                              ;   in Loop: Header=BB4_136 Depth=3
	v_or_b32_e32 v65, 0x7b, v2
; %bb.317:                              ;   in Loop: Header=BB4_136 Depth=3
	s_or_b32 exec_lo, exec_lo, s13
                                        ; implicit-def: $vgpr16
                                        ; implicit-def: $vgpr4_vgpr5
                                        ; implicit-def: $vgpr2
.LBB4_318:                              ;   in Loop: Header=BB4_136 Depth=3
	s_and_not1_saveexec_b32 s13, s74
	s_cbranch_execz .LBB4_324
; %bb.319:                              ;   in Loop: Header=BB4_136 Depth=3
	s_mov_b32 s74, exec_lo
                                        ; implicit-def: $vgpr65
	v_cmpx_ne_u64_e32 0, v[4:5]
	s_xor_b32 s74, exec_lo, s74
; %bb.320:                              ;   in Loop: Header=BB4_136 Depth=3
	v_or_b32_e32 v65, 0x7f, v2
                                        ; implicit-def: $vgpr16
; %bb.321:                              ;   in Loop: Header=BB4_136 Depth=3
	s_and_not1_saveexec_b32 s74, s74
; %bb.322:                              ;   in Loop: Header=BB4_136 Depth=3
	v_cmp_lt_i32_e32 vcc_lo, -1, v16
	v_cndmask_b32_e32 v65, 0xfc, v49, vcc_lo
; %bb.323:                              ;   in Loop: Header=BB4_136 Depth=3
	s_or_b32 exec_lo, exec_lo, s74
.LBB4_324:                              ;   in Loop: Header=BB4_136 Depth=3
	s_delay_alu instid0(SALU_CYCLE_1) | instskip(SKIP_2) | instid1(VALU_DEP_1)
	s_or_b32 exec_lo, exec_lo, s13
	v_dual_lshrrev_b32 v2, 16, v9 :: v_dual_mov_b32 v4, 0
	s_mov_b32 s13, exec_lo
	v_and_b32_e32 v5, 0xff, v2
	s_delay_alu instid0(VALU_DEP_1)
	v_cmpx_ne_u16_e32 0, v5
	s_cbranch_execz .LBB4_334
; %bb.325:                              ;   in Loop: Header=BB4_136 Depth=3
	v_bfrev_b32_e32 v4, 1
	s_mov_b32 s74, exec_lo
	v_cmpx_ne_u16_e32 0x80, v5
	s_cbranch_execz .LBB4_333
; %bb.326:                              ;   in Loop: Header=BB4_136 Depth=3
	v_and_b32_e32 v4, 0x7c0000, v9
	v_bfe_u32 v5, v9, 16, 2
	s_delay_alu instid0(VALU_DEP_2) | instskip(SKIP_1) | instid1(SALU_CYCLE_1)
	v_cmp_ne_u32_e32 vcc_lo, 0x7c0000, v4
                                        ; implicit-def: $vgpr4
	s_and_saveexec_b32 s75, vcc_lo
	s_xor_b32 s75, exec_lo, s75
	s_cbranch_execz .LBB4_330
; %bb.327:                              ;   in Loop: Header=BB4_136 Depth=3
	v_bfe_u32 v4, v9, 18, 5
	s_mov_b32 s76, exec_lo
	s_delay_alu instid0(VALU_DEP_1)
	v_cmpx_eq_u32_e32 0, v4
; %bb.328:                              ;   in Loop: Header=BB4_136 Depth=3
	v_clz_i32_u32_e32 v4, v5
	s_delay_alu instid0(VALU_DEP_1) | instskip(NEXT) | instid1(VALU_DEP_1)
	v_min_u32_e32 v4, 32, v4
	v_subrev_nc_u32_e32 v5, 29, v4
	v_sub_nc_u32_e32 v4, 30, v4
	s_delay_alu instid0(VALU_DEP_2) | instskip(NEXT) | instid1(VALU_DEP_1)
	v_lshlrev_b64_e32 v[16:17], v5, v[2:3]
	v_and_b32_e32 v5, 3, v16
; %bb.329:                              ;   in Loop: Header=BB4_136 Depth=3
	s_or_b32 exec_lo, exec_lo, s76
	v_lshlrev_b32_e32 v2, 24, v2
	s_delay_alu instid0(VALU_DEP_1) | instskip(NEXT) | instid1(VALU_DEP_1)
	v_and_b32_e32 v2, 0x80000000, v2
	v_lshl_add_u32 v2, v4, 23, v2
	s_delay_alu instid0(VALU_DEP_1) | instskip(NEXT) | instid1(VALU_DEP_1)
	v_lshl_or_b32 v2, v5, 21, v2
                                        ; implicit-def: $vgpr5
	v_add_nc_u32_e32 v4, 0x38000000, v2
                                        ; implicit-def: $vgpr2
.LBB4_330:                              ;   in Loop: Header=BB4_136 Depth=3
	s_and_not1_saveexec_b32 s75, s75
; %bb.331:                              ;   in Loop: Header=BB4_136 Depth=3
	v_bfe_i32 v2, v2, 0, 8
	s_delay_alu instid0(VALU_DEP_1) | instskip(SKIP_2) | instid1(VALU_DEP_2)
	v_cmp_lt_i16_e32 vcc_lo, -1, v2
	v_cndmask_b32_e32 v2, 0xff800000, v48, vcc_lo
	v_cmp_eq_u32_e32 vcc_lo, 0, v5
	v_cndmask_b32_e32 v4, 0x7f800001, v2, vcc_lo
; %bb.332:                              ;   in Loop: Header=BB4_136 Depth=3
	s_or_b32 exec_lo, exec_lo, s75
.LBB4_333:                              ;   in Loop: Header=BB4_136 Depth=3
	s_delay_alu instid0(SALU_CYCLE_1)
	s_or_b32 exec_lo, exec_lo, s74
.LBB4_334:                              ;   in Loop: Header=BB4_136 Depth=3
	s_delay_alu instid0(SALU_CYCLE_1) | instskip(NEXT) | instid1(VALU_DEP_1)
	s_or_b32 exec_lo, exec_lo, s13
	v_dual_mul_f32 v16, s73, v4 :: v_dual_mov_b32 v19, v3
	v_mov_b32_e32 v5, v3
                                        ; implicit-def: $vgpr100
	s_mov_b32 s13, exec_lo
	s_delay_alu instid0(VALU_DEP_2) | instskip(SKIP_2) | instid1(VALU_DEP_3)
	v_and_b32_e32 v18, 0x7f800000, v16
	v_and_b32_e32 v4, 0x7fffff, v16
	v_lshrrev_b32_e32 v2, 24, v16
	v_cmpx_ne_u64_e32 0x7f800000, v[18:19]
	s_xor_b32 s74, exec_lo, s13
	s_cbranch_execz .LBB4_348
; %bb.335:                              ;   in Loop: Header=BB4_136 Depth=3
	v_and_b32_e32 v18, 0x7fffffff, v16
	v_mov_b32_e32 v19, v3
	v_and_b32_e32 v2, 0x80, v2
                                        ; implicit-def: $vgpr100
	s_mov_b32 s13, exec_lo
	s_delay_alu instid0(VALU_DEP_2)
	v_cmpx_gt_u64_e32 0x47600001, v[18:19]
	s_xor_b32 s75, exec_lo, s13
	s_cbranch_execz .LBB4_345
; %bb.336:                              ;   in Loop: Header=BB4_136 Depth=3
	v_mov_b32_e32 v100, 0
	s_mov_b32 s76, exec_lo
	v_cmpx_ne_u32_e32 0, v16
	s_cbranch_execz .LBB4_344
; %bb.337:                              ;   in Loop: Header=BB4_136 Depth=3
	v_bfe_u32 v18, v16, 23, 8
	v_or_b32_e32 v21, 0x800000, v4
	s_delay_alu instid0(VALU_DEP_2) | instskip(SKIP_1) | instid1(VALU_DEP_2)
	v_sub_nc_u32_e32 v16, 0x71, v18
	v_cmp_gt_u32_e32 vcc_lo, 0x72, v18
	v_cndmask_b32_e32 v16, 0, v16, vcc_lo
	v_cmp_eq_u32_e32 vcc_lo, 0, v18
	s_delay_alu instid0(VALU_DEP_2) | instskip(NEXT) | instid1(VALU_DEP_1)
	v_cndmask_b32_e64 v19, v16, 0x70, vcc_lo
	v_dual_cndmask_b32 v4, v21, v4, vcc_lo :: v_dual_add_nc_u32 v16, 21, v19
	v_add_nc_u32_e32 v66, 20, v19
	s_delay_alu instid0(VALU_DEP_2) | instskip(NEXT) | instid1(VALU_DEP_2)
	v_lshlrev_b64_e64 v[16:17], v16, -1
	v_lshlrev_b64_e64 v[66:67], v66, 1
	s_delay_alu instid0(VALU_DEP_2) | instskip(SKIP_1) | instid1(VALU_DEP_4)
	v_bfi_b32 v16, v16, 0, v4
	v_lshrrev_b64 v[4:5], v19, v[4:5]
	v_bfi_b32 v17, v17, 0, 0
	s_delay_alu instid0(VALU_DEP_1) | instskip(NEXT) | instid1(VALU_DEP_3)
	v_cmp_eq_u64_e64 s13, v[16:17], v[66:67]
	v_mov_b64_e32 v[16:17], v[4:5]
	s_and_saveexec_b32 s77, s13
; %bb.338:                              ;   in Loop: Header=BB4_136 Depth=3
	v_bfe_u32 v16, v4, 21, 1
	v_mov_b32_e32 v17, v3
	s_delay_alu instid0(VALU_DEP_1) | instskip(NEXT) | instid1(VALU_DEP_1)
	v_add_nc_u64_e32 v[16:17], v[4:5], v[16:17]
	v_add_nc_u64_e32 v[16:17], -1, v[16:17]
; %bb.339:                              ;   in Loop: Header=BB4_136 Depth=3
	s_or_b32 exec_lo, exec_lo, s77
	v_add_nc_u32_e32 v5, 0xffffff81, v18
	v_lshrrev_b32_e32 v17, 23, v4
	s_mov_b32 s13, exec_lo
	s_delay_alu instid0(VALU_DEP_2) | instskip(NEXT) | instid1(VALU_DEP_1)
	v_cndmask_b32_e64 v5, v5, 0xffffff82, vcc_lo
	v_add3_u32 v17, v19, v5, v17
	v_and_b32_e32 v5, 0x1fffff, v16
                                        ; implicit-def: $vgpr16
	s_delay_alu instid0(VALU_DEP_1) | instskip(SKIP_1) | instid1(VALU_DEP_2)
	v_dual_add_nc_u32 v18, 14, v17 :: v_dual_add_nc_u32 v4, v5, v4
	v_mov_b32_e32 v5, v3
	v_cmpx_ne_u32_e32 0, v18
	s_xor_b32 s13, exec_lo, s13
; %bb.340:                              ;   in Loop: Header=BB4_136 Depth=3
	s_delay_alu instid0(VALU_DEP_2) | instskip(SKIP_2) | instid1(VALU_DEP_2)
	v_cmp_lt_u64_e32 vcc_lo, 0xffffff, v[4:5]
	v_add_nc_u32_e32 v16, 15, v17
	v_cndmask_b32_e64 v17, 0, 1, vcc_lo
	v_cndmask_b32_e32 v16, v18, v16, vcc_lo
	s_delay_alu instid0(VALU_DEP_2)
	v_lshrrev_b64 v[4:5], v17, v[4:5]
; %bb.341:                              ;   in Loop: Header=BB4_136 Depth=3
	s_and_not1_saveexec_b32 s13, s13
; %bb.342:                              ;   in Loop: Header=BB4_136 Depth=3
	s_delay_alu instid0(VALU_DEP_1)
	v_bfe_u32 v16, v4, 23, 1
; %bb.343:                              ;   in Loop: Header=BB4_136 Depth=3
	s_or_b32 exec_lo, exec_lo, s13
	s_delay_alu instid0(VALU_DEP_2) | instskip(NEXT) | instid1(VALU_DEP_2)
	v_lshrrev_b64 v[4:5], 21, v[4:5]
	v_cmp_gt_i32_e32 vcc_lo, 32, v16
	v_min_i32_e32 v17, 31, v16
	v_cmp_eq_u32_e64 s13, 0, v16
	s_delay_alu instid0(VALU_DEP_4) | instskip(NEXT) | instid1(VALU_DEP_3)
	v_cndmask_b32_e32 v5, 0, v5, vcc_lo
	v_dual_cndmask_b32 v4, 3, v4 :: v_dual_lshlrev_b32 v17, 2, v17
	s_delay_alu instid0(VALU_DEP_1) | instskip(NEXT) | instid1(VALU_DEP_2)
	v_and_b32_e32 v17, 0xfc, v17
	v_cmp_eq_u64_e32 vcc_lo, 0, v[4:5]
	s_delay_alu instid0(VALU_DEP_2)
	v_and_or_b32 v4, v4, 3, v17
	s_and_b32 s13, s13, vcc_lo
	s_delay_alu instid0(VALU_DEP_1) | instid1(SALU_CYCLE_1)
	v_cndmask_b32_e64 v4, v4, 0, s13
	s_delay_alu instid0(VALU_DEP_1)
	v_or_b32_e32 v100, v4, v2
.LBB4_344:                              ;   in Loop: Header=BB4_136 Depth=3
	s_or_b32 exec_lo, exec_lo, s76
                                        ; implicit-def: $vgpr2
.LBB4_345:                              ;   in Loop: Header=BB4_136 Depth=3
	s_and_not1_saveexec_b32 s13, s75
; %bb.346:                              ;   in Loop: Header=BB4_136 Depth=3
	v_or_b32_e32 v100, 0x7b, v2
; %bb.347:                              ;   in Loop: Header=BB4_136 Depth=3
	s_or_b32 exec_lo, exec_lo, s13
                                        ; implicit-def: $vgpr16
                                        ; implicit-def: $vgpr4_vgpr5
                                        ; implicit-def: $vgpr2
.LBB4_348:                              ;   in Loop: Header=BB4_136 Depth=3
	s_and_not1_saveexec_b32 s13, s74
	s_cbranch_execz .LBB4_354
; %bb.349:                              ;   in Loop: Header=BB4_136 Depth=3
	s_mov_b32 s74, exec_lo
                                        ; implicit-def: $vgpr100
	v_cmpx_ne_u64_e32 0, v[4:5]
	s_xor_b32 s74, exec_lo, s74
; %bb.350:                              ;   in Loop: Header=BB4_136 Depth=3
	v_or_b32_e32 v100, 0x7f, v2
                                        ; implicit-def: $vgpr16
; %bb.351:                              ;   in Loop: Header=BB4_136 Depth=3
	s_and_not1_saveexec_b32 s74, s74
; %bb.352:                              ;   in Loop: Header=BB4_136 Depth=3
	v_cmp_lt_i32_e32 vcc_lo, -1, v16
	v_cndmask_b32_e32 v100, 0xfc, v49, vcc_lo
; %bb.353:                              ;   in Loop: Header=BB4_136 Depth=3
	s_or_b32 exec_lo, exec_lo, s74
.LBB4_354:                              ;   in Loop: Header=BB4_136 Depth=3
	s_delay_alu instid0(SALU_CYCLE_1)
	s_or_b32 exec_lo, exec_lo, s13
	v_mov_b32_e32 v4, 0
	s_mov_b32 s13, exec_lo
	v_cmpx_lt_u64_e64 s[22:23], v[8:9]
	s_cbranch_execz .LBB4_364
; %bb.355:                              ;   in Loop: Header=BB4_136 Depth=3
	v_lshrrev_b32_e32 v2, 24, v9
	v_bfrev_b32_e32 v4, 1
	s_mov_b32 s74, exec_lo
	s_delay_alu instid0(VALU_DEP_2)
	v_cmpx_ne_u32_e32 0x80, v2
	s_cbranch_execz .LBB4_363
; %bb.356:                              ;   in Loop: Header=BB4_136 Depth=3
	v_and_b32_e32 v4, 0x7c000000, v9
	v_bfe_u32 v5, v9, 24, 2
	s_delay_alu instid0(VALU_DEP_2) | instskip(SKIP_1) | instid1(SALU_CYCLE_1)
	v_cmp_ne_u32_e32 vcc_lo, 0x7c000000, v4
                                        ; implicit-def: $vgpr4
	s_and_saveexec_b32 s75, vcc_lo
	s_xor_b32 s75, exec_lo, s75
	s_cbranch_execz .LBB4_360
; %bb.357:                              ;   in Loop: Header=BB4_136 Depth=3
	v_bfe_u32 v4, v9, 26, 5
	s_mov_b32 s76, exec_lo
	s_delay_alu instid0(VALU_DEP_1)
	v_cmpx_eq_u32_e32 0, v4
; %bb.358:                              ;   in Loop: Header=BB4_136 Depth=3
	v_clz_i32_u32_e32 v4, v5
	s_delay_alu instid0(VALU_DEP_1) | instskip(NEXT) | instid1(VALU_DEP_1)
	v_min_u32_e32 v4, 32, v4
	v_subrev_nc_u32_e32 v5, 29, v4
	v_sub_nc_u32_e32 v4, 30, v4
	s_delay_alu instid0(VALU_DEP_2) | instskip(NEXT) | instid1(VALU_DEP_1)
	v_lshlrev_b64_e32 v[16:17], v5, v[2:3]
	v_and_b32_e32 v5, 3, v16
; %bb.359:                              ;   in Loop: Header=BB4_136 Depth=3
	s_or_b32 exec_lo, exec_lo, s76
	v_and_b32_e32 v2, 0x80000000, v9
	s_delay_alu instid0(VALU_DEP_1) | instskip(NEXT) | instid1(VALU_DEP_1)
	v_lshl_add_u32 v2, v4, 23, v2
	v_lshl_or_b32 v2, v5, 21, v2
                                        ; implicit-def: $vgpr5
	s_delay_alu instid0(VALU_DEP_1)
	v_add_nc_u32_e32 v4, 0x38000000, v2
.LBB4_360:                              ;   in Loop: Header=BB4_136 Depth=3
	s_and_not1_saveexec_b32 s75, s75
; %bb.361:                              ;   in Loop: Header=BB4_136 Depth=3
	v_cmp_lt_i64_e32 vcc_lo, -1, v[8:9]
	v_cndmask_b32_e32 v2, 0xff800000, v48, vcc_lo
	v_cmp_eq_u32_e32 vcc_lo, 0, v5
	s_delay_alu instid0(VALU_DEP_2)
	v_cndmask_b32_e32 v4, 0x7f800001, v2, vcc_lo
; %bb.362:                              ;   in Loop: Header=BB4_136 Depth=3
	s_or_b32 exec_lo, exec_lo, s75
.LBB4_363:                              ;   in Loop: Header=BB4_136 Depth=3
	s_delay_alu instid0(SALU_CYCLE_1)
	s_or_b32 exec_lo, exec_lo, s74
.LBB4_364:                              ;   in Loop: Header=BB4_136 Depth=3
	s_delay_alu instid0(SALU_CYCLE_1) | instskip(NEXT) | instid1(VALU_DEP_1)
	s_or_b32 exec_lo, exec_lo, s13
	v_dual_mul_f32 v8, s73, v4 :: v_dual_mov_b32 v17, v3
	v_mov_b32_e32 v5, v3
                                        ; implicit-def: $vgpr101
	s_mov_b32 s13, exec_lo
	s_delay_alu instid0(VALU_DEP_2) | instskip(SKIP_2) | instid1(VALU_DEP_3)
	v_and_b32_e32 v16, 0x7f800000, v8
	v_and_b32_e32 v4, 0x7fffff, v8
	v_lshrrev_b32_e32 v2, 24, v8
	v_cmpx_ne_u64_e32 0x7f800000, v[16:17]
	s_xor_b32 s74, exec_lo, s13
	s_cbranch_execz .LBB4_378
; %bb.365:                              ;   in Loop: Header=BB4_136 Depth=3
	v_and_b32_e32 v16, 0x7fffffff, v8
	v_mov_b32_e32 v17, v3
	v_and_b32_e32 v2, 0x80, v2
                                        ; implicit-def: $vgpr101
	s_mov_b32 s13, exec_lo
	s_delay_alu instid0(VALU_DEP_2)
	v_cmpx_gt_u64_e32 0x47600001, v[16:17]
	s_xor_b32 s75, exec_lo, s13
	s_cbranch_execz .LBB4_375
; %bb.366:                              ;   in Loop: Header=BB4_136 Depth=3
	v_mov_b32_e32 v101, 0
	s_mov_b32 s76, exec_lo
	v_cmpx_ne_u32_e32 0, v8
	s_cbranch_execz .LBB4_374
; %bb.367:                              ;   in Loop: Header=BB4_136 Depth=3
	v_bfe_u32 v16, v8, 23, 8
	v_or_b32_e32 v18, 0x800000, v4
	s_delay_alu instid0(VALU_DEP_2) | instskip(SKIP_1) | instid1(VALU_DEP_2)
	v_sub_nc_u32_e32 v8, 0x71, v16
	v_cmp_gt_u32_e32 vcc_lo, 0x72, v16
	v_cndmask_b32_e32 v8, 0, v8, vcc_lo
	v_cmp_eq_u32_e32 vcc_lo, 0, v16
	s_delay_alu instid0(VALU_DEP_2) | instskip(NEXT) | instid1(VALU_DEP_1)
	v_cndmask_b32_e64 v17, v8, 0x70, vcc_lo
	v_dual_cndmask_b32 v4, v18, v4, vcc_lo :: v_dual_add_nc_u32 v8, 21, v17
	v_add_nc_u32_e32 v19, 20, v17
	s_delay_alu instid0(VALU_DEP_2) | instskip(NEXT) | instid1(VALU_DEP_2)
	v_lshlrev_b64_e64 v[8:9], v8, -1
	v_lshlrev_b64_e64 v[18:19], v19, 1
	s_delay_alu instid0(VALU_DEP_2) | instskip(SKIP_1) | instid1(VALU_DEP_4)
	v_bfi_b32 v8, v8, 0, v4
	v_lshrrev_b64 v[4:5], v17, v[4:5]
	v_bfi_b32 v9, v9, 0, 0
	s_delay_alu instid0(VALU_DEP_1) | instskip(NEXT) | instid1(VALU_DEP_3)
	v_cmp_eq_u64_e64 s13, v[8:9], v[18:19]
	v_mov_b64_e32 v[8:9], v[4:5]
	s_and_saveexec_b32 s77, s13
; %bb.368:                              ;   in Loop: Header=BB4_136 Depth=3
	v_bfe_u32 v8, v4, 21, 1
	v_mov_b32_e32 v9, v3
	s_delay_alu instid0(VALU_DEP_1) | instskip(NEXT) | instid1(VALU_DEP_1)
	v_add_nc_u64_e32 v[8:9], v[4:5], v[8:9]
	v_add_nc_u64_e32 v[8:9], -1, v[8:9]
; %bb.369:                              ;   in Loop: Header=BB4_136 Depth=3
	s_or_b32 exec_lo, exec_lo, s77
	v_add_nc_u32_e32 v5, 0xffffff81, v16
	v_lshrrev_b32_e32 v9, 23, v4
	s_mov_b32 s13, exec_lo
	s_delay_alu instid0(VALU_DEP_2) | instskip(NEXT) | instid1(VALU_DEP_1)
	v_cndmask_b32_e64 v5, v5, 0xffffff82, vcc_lo
	v_add3_u32 v9, v17, v5, v9
	v_and_b32_e32 v5, 0x1fffff, v8
                                        ; implicit-def: $vgpr8
	s_delay_alu instid0(VALU_DEP_1) | instskip(SKIP_1) | instid1(VALU_DEP_2)
	v_dual_add_nc_u32 v16, 14, v9 :: v_dual_add_nc_u32 v4, v5, v4
	v_mov_b32_e32 v5, v3
	v_cmpx_ne_u32_e32 0, v16
	s_xor_b32 s13, exec_lo, s13
; %bb.370:                              ;   in Loop: Header=BB4_136 Depth=3
	s_delay_alu instid0(VALU_DEP_2) | instskip(SKIP_2) | instid1(VALU_DEP_2)
	v_cmp_lt_u64_e32 vcc_lo, 0xffffff, v[4:5]
	v_add_nc_u32_e32 v8, 15, v9
	v_cndmask_b32_e64 v9, 0, 1, vcc_lo
	v_cndmask_b32_e32 v8, v16, v8, vcc_lo
	s_delay_alu instid0(VALU_DEP_2)
	v_lshrrev_b64 v[4:5], v9, v[4:5]
; %bb.371:                              ;   in Loop: Header=BB4_136 Depth=3
	s_and_not1_saveexec_b32 s13, s13
; %bb.372:                              ;   in Loop: Header=BB4_136 Depth=3
	s_delay_alu instid0(VALU_DEP_1)
	v_bfe_u32 v8, v4, 23, 1
; %bb.373:                              ;   in Loop: Header=BB4_136 Depth=3
	s_or_b32 exec_lo, exec_lo, s13
	s_delay_alu instid0(VALU_DEP_2) | instskip(NEXT) | instid1(VALU_DEP_2)
	v_lshrrev_b64 v[4:5], 21, v[4:5]
	v_cmp_gt_i32_e32 vcc_lo, 32, v8
	v_min_i32_e32 v9, 31, v8
	v_cmp_eq_u32_e64 s13, 0, v8
	s_delay_alu instid0(VALU_DEP_4) | instskip(NEXT) | instid1(VALU_DEP_3)
	v_cndmask_b32_e32 v5, 0, v5, vcc_lo
	v_dual_cndmask_b32 v4, 3, v4 :: v_dual_lshlrev_b32 v9, 2, v9
	s_delay_alu instid0(VALU_DEP_1) | instskip(NEXT) | instid1(VALU_DEP_2)
	v_and_b32_e32 v9, 0xfc, v9
	v_cmp_eq_u64_e32 vcc_lo, 0, v[4:5]
	s_delay_alu instid0(VALU_DEP_2)
	v_and_or_b32 v4, v4, 3, v9
	s_and_b32 s13, s13, vcc_lo
	s_delay_alu instid0(VALU_DEP_1) | instid1(SALU_CYCLE_1)
	v_cndmask_b32_e64 v4, v4, 0, s13
	s_delay_alu instid0(VALU_DEP_1)
	v_or_b32_e32 v101, v4, v2
.LBB4_374:                              ;   in Loop: Header=BB4_136 Depth=3
	s_or_b32 exec_lo, exec_lo, s76
                                        ; implicit-def: $vgpr2
.LBB4_375:                              ;   in Loop: Header=BB4_136 Depth=3
	s_and_not1_saveexec_b32 s13, s75
; %bb.376:                              ;   in Loop: Header=BB4_136 Depth=3
	v_or_b32_e32 v101, 0x7b, v2
; %bb.377:                              ;   in Loop: Header=BB4_136 Depth=3
	s_or_b32 exec_lo, exec_lo, s13
                                        ; implicit-def: $vgpr8
                                        ; implicit-def: $vgpr4_vgpr5
                                        ; implicit-def: $vgpr2
.LBB4_378:                              ;   in Loop: Header=BB4_136 Depth=3
	s_and_not1_saveexec_b32 s13, s74
	s_cbranch_execz .LBB4_384
; %bb.379:                              ;   in Loop: Header=BB4_136 Depth=3
	s_mov_b32 s74, exec_lo
                                        ; implicit-def: $vgpr101
	v_cmpx_ne_u64_e32 0, v[4:5]
	s_xor_b32 s74, exec_lo, s74
; %bb.380:                              ;   in Loop: Header=BB4_136 Depth=3
	v_or_b32_e32 v101, 0x7f, v2
                                        ; implicit-def: $vgpr8
; %bb.381:                              ;   in Loop: Header=BB4_136 Depth=3
	s_and_not1_saveexec_b32 s74, s74
; %bb.382:                              ;   in Loop: Header=BB4_136 Depth=3
	v_cmp_lt_i32_e32 vcc_lo, -1, v8
	v_cndmask_b32_e32 v101, 0xfc, v49, vcc_lo
; %bb.383:                              ;   in Loop: Header=BB4_136 Depth=3
	s_or_b32 exec_lo, exec_lo, s74
.LBB4_384:                              ;   in Loop: Header=BB4_136 Depth=3
	s_delay_alu instid0(SALU_CYCLE_1) | instskip(SKIP_1) | instid1(VALU_DEP_1)
	s_or_b32 exec_lo, exec_lo, s13
	v_and_b32_e32 v2, 0xff, v10
	v_cmp_ne_u16_e32 vcc_lo, 0, v2
	v_mov_b32_e32 v2, 0
	s_and_saveexec_b32 s13, vcc_lo
	s_cbranch_execz .LBB4_394
; %bb.385:                              ;   in Loop: Header=BB4_136 Depth=3
	v_bfe_i32 v5, v10, 0, 8
	v_bfrev_b32_e32 v2, 1
	s_mov_b32 s74, exec_lo
	s_delay_alu instid0(VALU_DEP_2)
	v_cmpx_ne_u16_e32 0xff80, v5
	s_cbranch_execz .LBB4_393
; %bb.386:                              ;   in Loop: Header=BB4_136 Depth=3
	v_and_b32_e32 v2, 0x7c, v10
	v_and_b32_e32 v4, 3, v10
	s_delay_alu instid0(VALU_DEP_2) | instskip(SKIP_1) | instid1(SALU_CYCLE_1)
	v_cmp_ne_u32_e32 vcc_lo, 0x7c, v2
                                        ; implicit-def: $vgpr2
	s_and_saveexec_b32 s75, vcc_lo
	s_xor_b32 s75, exec_lo, s75
	s_cbranch_execz .LBB4_390
; %bb.387:                              ;   in Loop: Header=BB4_136 Depth=3
	v_bfe_u32 v2, v10, 2, 5
	s_mov_b32 s76, exec_lo
	s_delay_alu instid0(VALU_DEP_1)
	v_cmpx_eq_u32_e32 0, v2
; %bb.388:                              ;   in Loop: Header=BB4_136 Depth=3
	v_clz_i32_u32_e32 v2, v4
	s_delay_alu instid0(VALU_DEP_1) | instskip(NEXT) | instid1(VALU_DEP_1)
	v_min_u32_e32 v2, 32, v2
	v_subrev_nc_u32_e32 v4, 29, v2
	s_delay_alu instid0(VALU_DEP_1) | instskip(NEXT) | instid1(VALU_DEP_1)
	v_lshlrev_b64_e32 v[4:5], v4, v[10:11]
	v_dual_sub_nc_u32 v2, 30, v2 :: v_dual_bitop2_b32 v4, 3, v4 bitop3:0x40
; %bb.389:                              ;   in Loop: Header=BB4_136 Depth=3
	s_or_b32 exec_lo, exec_lo, s76
	v_lshlrev_b32_e32 v5, 24, v10
	s_delay_alu instid0(VALU_DEP_1) | instskip(NEXT) | instid1(VALU_DEP_1)
	v_and_b32_e32 v5, 0x80000000, v5
	v_lshl_add_u32 v2, v2, 23, v5
                                        ; implicit-def: $vgpr5
	s_delay_alu instid0(VALU_DEP_1) | instskip(NEXT) | instid1(VALU_DEP_1)
	v_lshl_or_b32 v2, v4, 21, v2
                                        ; implicit-def: $vgpr4
	v_add_nc_u32_e32 v2, 0x38000000, v2
.LBB4_390:                              ;   in Loop: Header=BB4_136 Depth=3
	s_and_not1_saveexec_b32 s75, s75
; %bb.391:                              ;   in Loop: Header=BB4_136 Depth=3
	v_cmp_lt_i16_e32 vcc_lo, -1, v5
	v_cndmask_b32_e32 v2, 0xff800000, v48, vcc_lo
	v_cmp_eq_u32_e32 vcc_lo, 0, v4
	s_delay_alu instid0(VALU_DEP_2)
	v_cndmask_b32_e32 v2, 0x7f800001, v2, vcc_lo
; %bb.392:                              ;   in Loop: Header=BB4_136 Depth=3
	s_or_b32 exec_lo, exec_lo, s75
.LBB4_393:                              ;   in Loop: Header=BB4_136 Depth=3
	s_delay_alu instid0(SALU_CYCLE_1)
	s_or_b32 exec_lo, exec_lo, s74
.LBB4_394:                              ;   in Loop: Header=BB4_136 Depth=3
	s_delay_alu instid0(SALU_CYCLE_1) | instskip(NEXT) | instid1(VALU_DEP_1)
	s_or_b32 exec_lo, exec_lo, s13
	v_dual_mul_f32 v8, s73, v2 :: v_dual_mov_b32 v17, v3
	v_mov_b32_e32 v5, v3
                                        ; implicit-def: $vgpr102
	s_mov_b32 s13, exec_lo
	s_delay_alu instid0(VALU_DEP_2) | instskip(SKIP_2) | instid1(VALU_DEP_3)
	v_and_b32_e32 v16, 0x7f800000, v8
	v_and_b32_e32 v4, 0x7fffff, v8
	v_lshrrev_b32_e32 v2, 24, v8
	v_cmpx_ne_u64_e32 0x7f800000, v[16:17]
	s_xor_b32 s74, exec_lo, s13
	s_cbranch_execz .LBB4_408
; %bb.395:                              ;   in Loop: Header=BB4_136 Depth=3
	v_and_b32_e32 v16, 0x7fffffff, v8
	v_mov_b32_e32 v17, v3
	v_and_b32_e32 v2, 0x80, v2
                                        ; implicit-def: $vgpr102
	s_mov_b32 s13, exec_lo
	s_delay_alu instid0(VALU_DEP_2)
	v_cmpx_gt_u64_e32 0x47600001, v[16:17]
	s_xor_b32 s75, exec_lo, s13
	s_cbranch_execz .LBB4_405
; %bb.396:                              ;   in Loop: Header=BB4_136 Depth=3
	v_mov_b32_e32 v102, 0
	s_mov_b32 s76, exec_lo
	v_cmpx_ne_u32_e32 0, v8
	s_cbranch_execz .LBB4_404
; %bb.397:                              ;   in Loop: Header=BB4_136 Depth=3
	v_bfe_u32 v16, v8, 23, 8
	v_or_b32_e32 v18, 0x800000, v4
	s_delay_alu instid0(VALU_DEP_2) | instskip(SKIP_1) | instid1(VALU_DEP_2)
	v_sub_nc_u32_e32 v8, 0x71, v16
	v_cmp_gt_u32_e32 vcc_lo, 0x72, v16
	v_cndmask_b32_e32 v8, 0, v8, vcc_lo
	v_cmp_eq_u32_e32 vcc_lo, 0, v16
	s_delay_alu instid0(VALU_DEP_2) | instskip(NEXT) | instid1(VALU_DEP_1)
	v_cndmask_b32_e64 v17, v8, 0x70, vcc_lo
	v_dual_cndmask_b32 v4, v18, v4, vcc_lo :: v_dual_add_nc_u32 v8, 21, v17
	v_add_nc_u32_e32 v19, 20, v17
	s_delay_alu instid0(VALU_DEP_2) | instskip(NEXT) | instid1(VALU_DEP_2)
	v_lshlrev_b64_e64 v[8:9], v8, -1
	v_lshlrev_b64_e64 v[18:19], v19, 1
	s_delay_alu instid0(VALU_DEP_2) | instskip(SKIP_1) | instid1(VALU_DEP_4)
	v_bfi_b32 v8, v8, 0, v4
	v_lshrrev_b64 v[4:5], v17, v[4:5]
	v_bfi_b32 v9, v9, 0, 0
	s_delay_alu instid0(VALU_DEP_1) | instskip(NEXT) | instid1(VALU_DEP_3)
	v_cmp_eq_u64_e64 s13, v[8:9], v[18:19]
	v_mov_b64_e32 v[8:9], v[4:5]
	s_and_saveexec_b32 s77, s13
; %bb.398:                              ;   in Loop: Header=BB4_136 Depth=3
	v_bfe_u32 v8, v4, 21, 1
	v_mov_b32_e32 v9, v3
	s_delay_alu instid0(VALU_DEP_1) | instskip(NEXT) | instid1(VALU_DEP_1)
	v_add_nc_u64_e32 v[8:9], v[4:5], v[8:9]
	v_add_nc_u64_e32 v[8:9], -1, v[8:9]
; %bb.399:                              ;   in Loop: Header=BB4_136 Depth=3
	s_or_b32 exec_lo, exec_lo, s77
	v_add_nc_u32_e32 v5, 0xffffff81, v16
	v_lshrrev_b32_e32 v9, 23, v4
	s_mov_b32 s13, exec_lo
	s_delay_alu instid0(VALU_DEP_2) | instskip(NEXT) | instid1(VALU_DEP_1)
	v_cndmask_b32_e64 v5, v5, 0xffffff82, vcc_lo
	v_add3_u32 v9, v17, v5, v9
	v_and_b32_e32 v5, 0x1fffff, v8
                                        ; implicit-def: $vgpr8
	s_delay_alu instid0(VALU_DEP_1) | instskip(SKIP_1) | instid1(VALU_DEP_2)
	v_dual_add_nc_u32 v16, 14, v9 :: v_dual_add_nc_u32 v4, v5, v4
	v_mov_b32_e32 v5, v3
	v_cmpx_ne_u32_e32 0, v16
	s_xor_b32 s13, exec_lo, s13
; %bb.400:                              ;   in Loop: Header=BB4_136 Depth=3
	s_delay_alu instid0(VALU_DEP_2) | instskip(SKIP_2) | instid1(VALU_DEP_2)
	v_cmp_lt_u64_e32 vcc_lo, 0xffffff, v[4:5]
	v_add_nc_u32_e32 v8, 15, v9
	v_cndmask_b32_e64 v9, 0, 1, vcc_lo
	v_cndmask_b32_e32 v8, v16, v8, vcc_lo
	s_delay_alu instid0(VALU_DEP_2)
	v_lshrrev_b64 v[4:5], v9, v[4:5]
; %bb.401:                              ;   in Loop: Header=BB4_136 Depth=3
	s_and_not1_saveexec_b32 s13, s13
; %bb.402:                              ;   in Loop: Header=BB4_136 Depth=3
	s_delay_alu instid0(VALU_DEP_1)
	v_bfe_u32 v8, v4, 23, 1
; %bb.403:                              ;   in Loop: Header=BB4_136 Depth=3
	s_or_b32 exec_lo, exec_lo, s13
	s_delay_alu instid0(VALU_DEP_2) | instskip(NEXT) | instid1(VALU_DEP_2)
	v_lshrrev_b64 v[4:5], 21, v[4:5]
	v_cmp_gt_i32_e32 vcc_lo, 32, v8
	v_min_i32_e32 v9, 31, v8
	v_cmp_eq_u32_e64 s13, 0, v8
	s_delay_alu instid0(VALU_DEP_4) | instskip(NEXT) | instid1(VALU_DEP_3)
	v_cndmask_b32_e32 v5, 0, v5, vcc_lo
	v_dual_cndmask_b32 v4, 3, v4 :: v_dual_lshlrev_b32 v9, 2, v9
	s_delay_alu instid0(VALU_DEP_1) | instskip(NEXT) | instid1(VALU_DEP_2)
	v_and_b32_e32 v9, 0xfc, v9
	v_cmp_eq_u64_e32 vcc_lo, 0, v[4:5]
	s_delay_alu instid0(VALU_DEP_2)
	v_and_or_b32 v4, v4, 3, v9
	s_and_b32 s13, s13, vcc_lo
	s_delay_alu instid0(VALU_DEP_1) | instid1(SALU_CYCLE_1)
	v_cndmask_b32_e64 v4, v4, 0, s13
	s_delay_alu instid0(VALU_DEP_1)
	v_or_b32_e32 v102, v4, v2
.LBB4_404:                              ;   in Loop: Header=BB4_136 Depth=3
	s_or_b32 exec_lo, exec_lo, s76
                                        ; implicit-def: $vgpr2
.LBB4_405:                              ;   in Loop: Header=BB4_136 Depth=3
	s_and_not1_saveexec_b32 s13, s75
; %bb.406:                              ;   in Loop: Header=BB4_136 Depth=3
	v_or_b32_e32 v102, 0x7b, v2
; %bb.407:                              ;   in Loop: Header=BB4_136 Depth=3
	s_or_b32 exec_lo, exec_lo, s13
                                        ; implicit-def: $vgpr8
                                        ; implicit-def: $vgpr4_vgpr5
                                        ; implicit-def: $vgpr2
.LBB4_408:                              ;   in Loop: Header=BB4_136 Depth=3
	s_and_not1_saveexec_b32 s13, s74
	s_cbranch_execz .LBB4_414
; %bb.409:                              ;   in Loop: Header=BB4_136 Depth=3
	s_mov_b32 s74, exec_lo
                                        ; implicit-def: $vgpr102
	v_cmpx_ne_u64_e32 0, v[4:5]
	s_xor_b32 s74, exec_lo, s74
; %bb.410:                              ;   in Loop: Header=BB4_136 Depth=3
	v_or_b32_e32 v102, 0x7f, v2
                                        ; implicit-def: $vgpr8
; %bb.411:                              ;   in Loop: Header=BB4_136 Depth=3
	s_and_not1_saveexec_b32 s74, s74
; %bb.412:                              ;   in Loop: Header=BB4_136 Depth=3
	v_cmp_lt_i32_e32 vcc_lo, -1, v8
	v_cndmask_b32_e32 v102, 0xfc, v49, vcc_lo
; %bb.413:                              ;   in Loop: Header=BB4_136 Depth=3
	s_or_b32 exec_lo, exec_lo, s74
.LBB4_414:                              ;   in Loop: Header=BB4_136 Depth=3
	s_delay_alu instid0(SALU_CYCLE_1) | instskip(SKIP_3) | instid1(VALU_DEP_2)
	s_or_b32 exec_lo, exec_lo, s13
	v_lshrrev_b16 v4, 8, v10
	v_mov_b32_e32 v5, 0
	s_mov_b32 s13, exec_lo
	v_cmpx_ne_u16_e32 0, v4
	s_cbranch_execz .LBB4_424
; %bb.415:                              ;   in Loop: Header=BB4_136 Depth=3
	v_bfrev_b32_e32 v5, 1
	s_mov_b32 s74, exec_lo
	v_cmpx_ne_u16_e32 0x80, v4
	s_cbranch_execz .LBB4_423
; %bb.416:                              ;   in Loop: Header=BB4_136 Depth=3
	v_and_b32_e32 v8, 0xffff, v4
	s_delay_alu instid0(VALU_DEP_1) | instskip(SKIP_1) | instid1(VALU_DEP_2)
	v_and_b32_e32 v5, 0x7c, v8
	v_and_b32_e32 v2, 3, v8
	v_cmp_ne_u32_e32 vcc_lo, 0x7c, v5
                                        ; implicit-def: $vgpr5
	s_and_saveexec_b32 s75, vcc_lo
	s_delay_alu instid0(SALU_CYCLE_1)
	s_xor_b32 s75, exec_lo, s75
	s_cbranch_execz .LBB4_420
; %bb.417:                              ;   in Loop: Header=BB4_136 Depth=3
	v_bfe_u32 v5, v8, 2, 5
	s_mov_b32 s76, exec_lo
	s_delay_alu instid0(VALU_DEP_1)
	v_cmpx_eq_u32_e32 0, v5
; %bb.418:                              ;   in Loop: Header=BB4_136 Depth=3
	v_clz_i32_u32_e32 v2, v2
	v_mov_b32_e32 v5, v3
	s_delay_alu instid0(VALU_DEP_2) | instskip(NEXT) | instid1(VALU_DEP_1)
	v_min_u32_e32 v2, 32, v2
	v_subrev_nc_u32_e32 v8, 29, v2
	s_delay_alu instid0(VALU_DEP_1) | instskip(NEXT) | instid1(VALU_DEP_1)
	v_lshlrev_b64_e32 v[4:5], v8, v[4:5]
	v_dual_sub_nc_u32 v5, 30, v2 :: v_dual_bitop2_b32 v2, 3, v4 bitop3:0x40
; %bb.419:                              ;   in Loop: Header=BB4_136 Depth=3
	s_or_b32 exec_lo, exec_lo, s76
	v_lshlrev_b32_e32 v4, 16, v10
	s_delay_alu instid0(VALU_DEP_1) | instskip(NEXT) | instid1(VALU_DEP_1)
	v_and_b32_e32 v4, 0x80000000, v4
	v_lshl_add_u32 v4, v5, 23, v4
	s_delay_alu instid0(VALU_DEP_1) | instskip(NEXT) | instid1(VALU_DEP_1)
	v_lshl_or_b32 v2, v2, 21, v4
	v_add_nc_u32_e32 v5, 0x38000000, v2
                                        ; implicit-def: $vgpr2
.LBB4_420:                              ;   in Loop: Header=BB4_136 Depth=3
	s_and_not1_saveexec_b32 s75, s75
; %bb.421:                              ;   in Loop: Header=BB4_136 Depth=3
	v_cmp_lt_i16_e32 vcc_lo, -1, v10
	v_cndmask_b32_e32 v4, 0xff800000, v48, vcc_lo
	v_cmp_eq_u32_e32 vcc_lo, 0, v2
	s_delay_alu instid0(VALU_DEP_2)
	v_cndmask_b32_e32 v5, 0x7f800001, v4, vcc_lo
; %bb.422:                              ;   in Loop: Header=BB4_136 Depth=3
	s_or_b32 exec_lo, exec_lo, s75
.LBB4_423:                              ;   in Loop: Header=BB4_136 Depth=3
	s_delay_alu instid0(SALU_CYCLE_1)
	s_or_b32 exec_lo, exec_lo, s74
.LBB4_424:                              ;   in Loop: Header=BB4_136 Depth=3
	s_delay_alu instid0(SALU_CYCLE_1) | instskip(NEXT) | instid1(VALU_DEP_1)
	s_or_b32 exec_lo, exec_lo, s13
	v_dual_mul_f32 v8, s73, v5 :: v_dual_mov_b32 v17, v3
	v_mov_b32_e32 v5, v3
                                        ; implicit-def: $vgpr103
	s_mov_b32 s13, exec_lo
	s_delay_alu instid0(VALU_DEP_2) | instskip(SKIP_2) | instid1(VALU_DEP_3)
	v_and_b32_e32 v16, 0x7f800000, v8
	v_and_b32_e32 v4, 0x7fffff, v8
	v_lshrrev_b32_e32 v2, 24, v8
	v_cmpx_ne_u64_e32 0x7f800000, v[16:17]
	s_xor_b32 s74, exec_lo, s13
	s_cbranch_execz .LBB4_438
; %bb.425:                              ;   in Loop: Header=BB4_136 Depth=3
	v_and_b32_e32 v16, 0x7fffffff, v8
	v_mov_b32_e32 v17, v3
	v_and_b32_e32 v2, 0x80, v2
                                        ; implicit-def: $vgpr103
	s_mov_b32 s13, exec_lo
	s_delay_alu instid0(VALU_DEP_2)
	v_cmpx_gt_u64_e32 0x47600001, v[16:17]
	s_xor_b32 s75, exec_lo, s13
	s_cbranch_execz .LBB4_435
; %bb.426:                              ;   in Loop: Header=BB4_136 Depth=3
	v_mov_b32_e32 v103, 0
	s_mov_b32 s76, exec_lo
	v_cmpx_ne_u32_e32 0, v8
	s_cbranch_execz .LBB4_434
; %bb.427:                              ;   in Loop: Header=BB4_136 Depth=3
	v_bfe_u32 v16, v8, 23, 8
	v_or_b32_e32 v18, 0x800000, v4
	s_delay_alu instid0(VALU_DEP_2) | instskip(SKIP_1) | instid1(VALU_DEP_2)
	v_sub_nc_u32_e32 v8, 0x71, v16
	v_cmp_gt_u32_e32 vcc_lo, 0x72, v16
	v_cndmask_b32_e32 v8, 0, v8, vcc_lo
	v_cmp_eq_u32_e32 vcc_lo, 0, v16
	s_delay_alu instid0(VALU_DEP_2) | instskip(NEXT) | instid1(VALU_DEP_1)
	v_cndmask_b32_e64 v17, v8, 0x70, vcc_lo
	v_dual_cndmask_b32 v4, v18, v4, vcc_lo :: v_dual_add_nc_u32 v8, 21, v17
	v_add_nc_u32_e32 v19, 20, v17
	s_delay_alu instid0(VALU_DEP_2) | instskip(NEXT) | instid1(VALU_DEP_2)
	v_lshlrev_b64_e64 v[8:9], v8, -1
	v_lshlrev_b64_e64 v[18:19], v19, 1
	s_delay_alu instid0(VALU_DEP_2) | instskip(SKIP_1) | instid1(VALU_DEP_4)
	v_bfi_b32 v8, v8, 0, v4
	v_lshrrev_b64 v[4:5], v17, v[4:5]
	v_bfi_b32 v9, v9, 0, 0
	s_delay_alu instid0(VALU_DEP_1) | instskip(NEXT) | instid1(VALU_DEP_3)
	v_cmp_eq_u64_e64 s13, v[8:9], v[18:19]
	v_mov_b64_e32 v[8:9], v[4:5]
	s_and_saveexec_b32 s77, s13
; %bb.428:                              ;   in Loop: Header=BB4_136 Depth=3
	v_bfe_u32 v8, v4, 21, 1
	v_mov_b32_e32 v9, v3
	s_delay_alu instid0(VALU_DEP_1) | instskip(NEXT) | instid1(VALU_DEP_1)
	v_add_nc_u64_e32 v[8:9], v[4:5], v[8:9]
	v_add_nc_u64_e32 v[8:9], -1, v[8:9]
; %bb.429:                              ;   in Loop: Header=BB4_136 Depth=3
	s_or_b32 exec_lo, exec_lo, s77
	v_add_nc_u32_e32 v5, 0xffffff81, v16
	v_lshrrev_b32_e32 v9, 23, v4
	s_mov_b32 s13, exec_lo
	s_delay_alu instid0(VALU_DEP_2) | instskip(NEXT) | instid1(VALU_DEP_1)
	v_cndmask_b32_e64 v5, v5, 0xffffff82, vcc_lo
	v_add3_u32 v9, v17, v5, v9
	v_and_b32_e32 v5, 0x1fffff, v8
                                        ; implicit-def: $vgpr8
	s_delay_alu instid0(VALU_DEP_1) | instskip(SKIP_1) | instid1(VALU_DEP_2)
	v_dual_add_nc_u32 v16, 14, v9 :: v_dual_add_nc_u32 v4, v5, v4
	v_mov_b32_e32 v5, v3
	v_cmpx_ne_u32_e32 0, v16
	s_xor_b32 s13, exec_lo, s13
; %bb.430:                              ;   in Loop: Header=BB4_136 Depth=3
	s_delay_alu instid0(VALU_DEP_2) | instskip(SKIP_2) | instid1(VALU_DEP_2)
	v_cmp_lt_u64_e32 vcc_lo, 0xffffff, v[4:5]
	v_add_nc_u32_e32 v8, 15, v9
	v_cndmask_b32_e64 v9, 0, 1, vcc_lo
	v_cndmask_b32_e32 v8, v16, v8, vcc_lo
	s_delay_alu instid0(VALU_DEP_2)
	v_lshrrev_b64 v[4:5], v9, v[4:5]
; %bb.431:                              ;   in Loop: Header=BB4_136 Depth=3
	s_and_not1_saveexec_b32 s13, s13
; %bb.432:                              ;   in Loop: Header=BB4_136 Depth=3
	s_delay_alu instid0(VALU_DEP_1)
	v_bfe_u32 v8, v4, 23, 1
; %bb.433:                              ;   in Loop: Header=BB4_136 Depth=3
	s_or_b32 exec_lo, exec_lo, s13
	s_delay_alu instid0(VALU_DEP_2) | instskip(NEXT) | instid1(VALU_DEP_2)
	v_lshrrev_b64 v[4:5], 21, v[4:5]
	v_cmp_gt_i32_e32 vcc_lo, 32, v8
	v_min_i32_e32 v9, 31, v8
	v_cmp_eq_u32_e64 s13, 0, v8
	s_delay_alu instid0(VALU_DEP_4) | instskip(NEXT) | instid1(VALU_DEP_3)
	v_cndmask_b32_e32 v5, 0, v5, vcc_lo
	v_dual_cndmask_b32 v4, 3, v4 :: v_dual_lshlrev_b32 v9, 2, v9
	s_delay_alu instid0(VALU_DEP_1) | instskip(NEXT) | instid1(VALU_DEP_2)
	v_and_b32_e32 v9, 0xfc, v9
	v_cmp_eq_u64_e32 vcc_lo, 0, v[4:5]
	s_delay_alu instid0(VALU_DEP_2)
	v_and_or_b32 v4, v4, 3, v9
	s_and_b32 s13, s13, vcc_lo
	s_delay_alu instid0(VALU_DEP_1) | instid1(SALU_CYCLE_1)
	v_cndmask_b32_e64 v4, v4, 0, s13
	s_delay_alu instid0(VALU_DEP_1)
	v_or_b32_e32 v103, v4, v2
.LBB4_434:                              ;   in Loop: Header=BB4_136 Depth=3
	s_or_b32 exec_lo, exec_lo, s76
                                        ; implicit-def: $vgpr2
.LBB4_435:                              ;   in Loop: Header=BB4_136 Depth=3
	s_and_not1_saveexec_b32 s13, s75
; %bb.436:                              ;   in Loop: Header=BB4_136 Depth=3
	v_or_b32_e32 v103, 0x7b, v2
; %bb.437:                              ;   in Loop: Header=BB4_136 Depth=3
	s_or_b32 exec_lo, exec_lo, s13
                                        ; implicit-def: $vgpr8
                                        ; implicit-def: $vgpr4_vgpr5
                                        ; implicit-def: $vgpr2
.LBB4_438:                              ;   in Loop: Header=BB4_136 Depth=3
	s_and_not1_saveexec_b32 s13, s74
	s_cbranch_execz .LBB4_444
; %bb.439:                              ;   in Loop: Header=BB4_136 Depth=3
	s_mov_b32 s74, exec_lo
                                        ; implicit-def: $vgpr103
	v_cmpx_ne_u64_e32 0, v[4:5]
	s_xor_b32 s74, exec_lo, s74
; %bb.440:                              ;   in Loop: Header=BB4_136 Depth=3
	v_or_b32_e32 v103, 0x7f, v2
                                        ; implicit-def: $vgpr8
; %bb.441:                              ;   in Loop: Header=BB4_136 Depth=3
	s_and_not1_saveexec_b32 s74, s74
; %bb.442:                              ;   in Loop: Header=BB4_136 Depth=3
	v_cmp_lt_i32_e32 vcc_lo, -1, v8
	v_cndmask_b32_e32 v103, 0xfc, v49, vcc_lo
; %bb.443:                              ;   in Loop: Header=BB4_136 Depth=3
	s_or_b32 exec_lo, exec_lo, s74
.LBB4_444:                              ;   in Loop: Header=BB4_136 Depth=3
	s_delay_alu instid0(SALU_CYCLE_1) | instskip(SKIP_2) | instid1(VALU_DEP_1)
	s_or_b32 exec_lo, exec_lo, s13
	v_dual_lshrrev_b32 v2, 16, v10 :: v_dual_mov_b32 v4, 0
	s_mov_b32 s13, exec_lo
	v_and_b32_e32 v5, 0xff, v2
	s_delay_alu instid0(VALU_DEP_1)
	v_cmpx_ne_u16_e32 0, v5
	s_cbranch_execz .LBB4_454
; %bb.445:                              ;   in Loop: Header=BB4_136 Depth=3
	v_bfrev_b32_e32 v4, 1
	s_mov_b32 s74, exec_lo
	v_cmpx_ne_u16_e32 0x80, v5
	s_cbranch_execz .LBB4_453
; %bb.446:                              ;   in Loop: Header=BB4_136 Depth=3
	v_and_b32_e32 v4, 0x7c0000, v10
	v_bfe_u32 v5, v10, 16, 2
	s_delay_alu instid0(VALU_DEP_2) | instskip(SKIP_1) | instid1(SALU_CYCLE_1)
	v_cmp_ne_u32_e32 vcc_lo, 0x7c0000, v4
                                        ; implicit-def: $vgpr4
	s_and_saveexec_b32 s75, vcc_lo
	s_xor_b32 s75, exec_lo, s75
	s_cbranch_execz .LBB4_450
; %bb.447:                              ;   in Loop: Header=BB4_136 Depth=3
	v_bfe_u32 v4, v10, 18, 5
	s_mov_b32 s76, exec_lo
	s_delay_alu instid0(VALU_DEP_1)
	v_cmpx_eq_u32_e32 0, v4
; %bb.448:                              ;   in Loop: Header=BB4_136 Depth=3
	v_clz_i32_u32_e32 v4, v5
	s_delay_alu instid0(VALU_DEP_1) | instskip(NEXT) | instid1(VALU_DEP_1)
	v_min_u32_e32 v4, 32, v4
	v_subrev_nc_u32_e32 v5, 29, v4
	v_sub_nc_u32_e32 v4, 30, v4
	s_delay_alu instid0(VALU_DEP_2) | instskip(NEXT) | instid1(VALU_DEP_1)
	v_lshlrev_b64_e32 v[8:9], v5, v[2:3]
	v_and_b32_e32 v5, 3, v8
; %bb.449:                              ;   in Loop: Header=BB4_136 Depth=3
	s_or_b32 exec_lo, exec_lo, s76
	v_lshlrev_b32_e32 v2, 24, v2
	s_delay_alu instid0(VALU_DEP_1) | instskip(NEXT) | instid1(VALU_DEP_1)
	v_and_b32_e32 v2, 0x80000000, v2
	v_lshl_add_u32 v2, v4, 23, v2
	s_delay_alu instid0(VALU_DEP_1) | instskip(NEXT) | instid1(VALU_DEP_1)
	v_lshl_or_b32 v2, v5, 21, v2
                                        ; implicit-def: $vgpr5
	v_add_nc_u32_e32 v4, 0x38000000, v2
                                        ; implicit-def: $vgpr2
.LBB4_450:                              ;   in Loop: Header=BB4_136 Depth=3
	s_and_not1_saveexec_b32 s75, s75
; %bb.451:                              ;   in Loop: Header=BB4_136 Depth=3
	v_bfe_i32 v2, v2, 0, 8
	s_delay_alu instid0(VALU_DEP_1) | instskip(SKIP_2) | instid1(VALU_DEP_2)
	v_cmp_lt_i16_e32 vcc_lo, -1, v2
	v_cndmask_b32_e32 v2, 0xff800000, v48, vcc_lo
	v_cmp_eq_u32_e32 vcc_lo, 0, v5
	v_cndmask_b32_e32 v4, 0x7f800001, v2, vcc_lo
; %bb.452:                              ;   in Loop: Header=BB4_136 Depth=3
	s_or_b32 exec_lo, exec_lo, s75
.LBB4_453:                              ;   in Loop: Header=BB4_136 Depth=3
	s_delay_alu instid0(SALU_CYCLE_1)
	s_or_b32 exec_lo, exec_lo, s74
.LBB4_454:                              ;   in Loop: Header=BB4_136 Depth=3
	s_delay_alu instid0(SALU_CYCLE_1) | instskip(NEXT) | instid1(VALU_DEP_1)
	s_or_b32 exec_lo, exec_lo, s13
	v_dual_mul_f32 v8, s73, v4 :: v_dual_mov_b32 v17, v3
	v_mov_b32_e32 v5, v3
                                        ; implicit-def: $vgpr44
	s_mov_b32 s13, exec_lo
	s_delay_alu instid0(VALU_DEP_2) | instskip(SKIP_2) | instid1(VALU_DEP_3)
	v_and_b32_e32 v16, 0x7f800000, v8
	v_and_b32_e32 v4, 0x7fffff, v8
	v_lshrrev_b32_e32 v2, 24, v8
	v_cmpx_ne_u64_e32 0x7f800000, v[16:17]
	s_xor_b32 s74, exec_lo, s13
	s_cbranch_execz .LBB4_468
; %bb.455:                              ;   in Loop: Header=BB4_136 Depth=3
	v_and_b32_e32 v16, 0x7fffffff, v8
	v_mov_b32_e32 v17, v3
	v_and_b32_e32 v2, 0x80, v2
                                        ; implicit-def: $vgpr44
	s_mov_b32 s13, exec_lo
	s_delay_alu instid0(VALU_DEP_2)
	v_cmpx_gt_u64_e32 0x47600001, v[16:17]
	s_xor_b32 s75, exec_lo, s13
	s_cbranch_execz .LBB4_465
; %bb.456:                              ;   in Loop: Header=BB4_136 Depth=3
	v_mov_b32_e32 v44, 0
	s_mov_b32 s76, exec_lo
	v_cmpx_ne_u32_e32 0, v8
	s_cbranch_execz .LBB4_464
; %bb.457:                              ;   in Loop: Header=BB4_136 Depth=3
	v_bfe_u32 v16, v8, 23, 8
	v_or_b32_e32 v18, 0x800000, v4
	s_delay_alu instid0(VALU_DEP_2) | instskip(SKIP_1) | instid1(VALU_DEP_2)
	v_sub_nc_u32_e32 v8, 0x71, v16
	v_cmp_gt_u32_e32 vcc_lo, 0x72, v16
	v_cndmask_b32_e32 v8, 0, v8, vcc_lo
	v_cmp_eq_u32_e32 vcc_lo, 0, v16
	s_delay_alu instid0(VALU_DEP_2) | instskip(NEXT) | instid1(VALU_DEP_1)
	v_cndmask_b32_e64 v17, v8, 0x70, vcc_lo
	v_dual_cndmask_b32 v4, v18, v4, vcc_lo :: v_dual_add_nc_u32 v8, 21, v17
	v_add_nc_u32_e32 v19, 20, v17
	s_delay_alu instid0(VALU_DEP_2) | instskip(NEXT) | instid1(VALU_DEP_2)
	v_lshlrev_b64_e64 v[8:9], v8, -1
	v_lshlrev_b64_e64 v[18:19], v19, 1
	s_delay_alu instid0(VALU_DEP_2) | instskip(SKIP_1) | instid1(VALU_DEP_4)
	v_bfi_b32 v8, v8, 0, v4
	v_lshrrev_b64 v[4:5], v17, v[4:5]
	v_bfi_b32 v9, v9, 0, 0
	s_delay_alu instid0(VALU_DEP_1) | instskip(NEXT) | instid1(VALU_DEP_3)
	v_cmp_eq_u64_e64 s13, v[8:9], v[18:19]
	v_mov_b64_e32 v[8:9], v[4:5]
	s_and_saveexec_b32 s77, s13
; %bb.458:                              ;   in Loop: Header=BB4_136 Depth=3
	v_bfe_u32 v8, v4, 21, 1
	v_mov_b32_e32 v9, v3
	s_delay_alu instid0(VALU_DEP_1) | instskip(NEXT) | instid1(VALU_DEP_1)
	v_add_nc_u64_e32 v[8:9], v[4:5], v[8:9]
	v_add_nc_u64_e32 v[8:9], -1, v[8:9]
; %bb.459:                              ;   in Loop: Header=BB4_136 Depth=3
	s_or_b32 exec_lo, exec_lo, s77
	v_add_nc_u32_e32 v5, 0xffffff81, v16
	v_lshrrev_b32_e32 v9, 23, v4
	s_mov_b32 s13, exec_lo
	s_delay_alu instid0(VALU_DEP_2) | instskip(NEXT) | instid1(VALU_DEP_1)
	v_cndmask_b32_e64 v5, v5, 0xffffff82, vcc_lo
	v_add3_u32 v9, v17, v5, v9
	v_and_b32_e32 v5, 0x1fffff, v8
                                        ; implicit-def: $vgpr8
	s_delay_alu instid0(VALU_DEP_1) | instskip(SKIP_1) | instid1(VALU_DEP_2)
	v_dual_add_nc_u32 v16, 14, v9 :: v_dual_add_nc_u32 v4, v5, v4
	v_mov_b32_e32 v5, v3
	v_cmpx_ne_u32_e32 0, v16
	s_xor_b32 s13, exec_lo, s13
; %bb.460:                              ;   in Loop: Header=BB4_136 Depth=3
	s_delay_alu instid0(VALU_DEP_2) | instskip(SKIP_2) | instid1(VALU_DEP_2)
	v_cmp_lt_u64_e32 vcc_lo, 0xffffff, v[4:5]
	v_add_nc_u32_e32 v8, 15, v9
	v_cndmask_b32_e64 v9, 0, 1, vcc_lo
	v_cndmask_b32_e32 v8, v16, v8, vcc_lo
	s_delay_alu instid0(VALU_DEP_2)
	v_lshrrev_b64 v[4:5], v9, v[4:5]
; %bb.461:                              ;   in Loop: Header=BB4_136 Depth=3
	s_and_not1_saveexec_b32 s13, s13
; %bb.462:                              ;   in Loop: Header=BB4_136 Depth=3
	s_delay_alu instid0(VALU_DEP_1)
	v_bfe_u32 v8, v4, 23, 1
; %bb.463:                              ;   in Loop: Header=BB4_136 Depth=3
	s_or_b32 exec_lo, exec_lo, s13
	s_delay_alu instid0(VALU_DEP_2) | instskip(NEXT) | instid1(VALU_DEP_2)
	v_lshrrev_b64 v[4:5], 21, v[4:5]
	v_cmp_gt_i32_e32 vcc_lo, 32, v8
	v_min_i32_e32 v9, 31, v8
	v_cmp_eq_u32_e64 s13, 0, v8
	s_delay_alu instid0(VALU_DEP_4) | instskip(NEXT) | instid1(VALU_DEP_3)
	v_cndmask_b32_e32 v5, 0, v5, vcc_lo
	v_dual_cndmask_b32 v4, 3, v4 :: v_dual_lshlrev_b32 v9, 2, v9
	s_delay_alu instid0(VALU_DEP_1) | instskip(NEXT) | instid1(VALU_DEP_2)
	v_and_b32_e32 v9, 0xfc, v9
	v_cmp_eq_u64_e32 vcc_lo, 0, v[4:5]
	s_delay_alu instid0(VALU_DEP_2)
	v_and_or_b32 v4, v4, 3, v9
	s_and_b32 s13, s13, vcc_lo
	s_delay_alu instid0(VALU_DEP_1) | instid1(SALU_CYCLE_1)
	v_cndmask_b32_e64 v4, v4, 0, s13
	s_delay_alu instid0(VALU_DEP_1)
	v_or_b32_e32 v44, v4, v2
.LBB4_464:                              ;   in Loop: Header=BB4_136 Depth=3
	s_or_b32 exec_lo, exec_lo, s76
                                        ; implicit-def: $vgpr2
.LBB4_465:                              ;   in Loop: Header=BB4_136 Depth=3
	s_and_not1_saveexec_b32 s13, s75
; %bb.466:                              ;   in Loop: Header=BB4_136 Depth=3
	v_or_b32_e32 v44, 0x7b, v2
; %bb.467:                              ;   in Loop: Header=BB4_136 Depth=3
	s_or_b32 exec_lo, exec_lo, s13
                                        ; implicit-def: $vgpr8
                                        ; implicit-def: $vgpr4_vgpr5
                                        ; implicit-def: $vgpr2
.LBB4_468:                              ;   in Loop: Header=BB4_136 Depth=3
	s_and_not1_saveexec_b32 s13, s74
	s_cbranch_execz .LBB4_474
; %bb.469:                              ;   in Loop: Header=BB4_136 Depth=3
	s_mov_b32 s74, exec_lo
                                        ; implicit-def: $vgpr44
	v_cmpx_ne_u64_e32 0, v[4:5]
	s_xor_b32 s74, exec_lo, s74
; %bb.470:                              ;   in Loop: Header=BB4_136 Depth=3
	v_or_b32_e32 v44, 0x7f, v2
                                        ; implicit-def: $vgpr8
; %bb.471:                              ;   in Loop: Header=BB4_136 Depth=3
	s_and_not1_saveexec_b32 s74, s74
; %bb.472:                              ;   in Loop: Header=BB4_136 Depth=3
	v_cmp_lt_i32_e32 vcc_lo, -1, v8
	v_cndmask_b32_e32 v44, 0xfc, v49, vcc_lo
; %bb.473:                              ;   in Loop: Header=BB4_136 Depth=3
	s_or_b32 exec_lo, exec_lo, s74
.LBB4_474:                              ;   in Loop: Header=BB4_136 Depth=3
	s_delay_alu instid0(SALU_CYCLE_1)
	s_or_b32 exec_lo, exec_lo, s13
	v_mov_b32_e32 v4, 0
	s_mov_b32 s13, exec_lo
	v_cmpx_lt_u32_e32 0xffffff, v10
	s_cbranch_execz .LBB4_484
; %bb.475:                              ;   in Loop: Header=BB4_136 Depth=3
	v_lshrrev_b32_e32 v2, 24, v10
	v_bfrev_b32_e32 v4, 1
	s_mov_b32 s74, exec_lo
	s_delay_alu instid0(VALU_DEP_2)
	v_cmpx_ne_u32_e32 0x80, v2
	s_cbranch_execz .LBB4_483
; %bb.476:                              ;   in Loop: Header=BB4_136 Depth=3
	v_and_b32_e32 v4, 0x7c000000, v10
	v_bfe_u32 v5, v10, 24, 2
	s_delay_alu instid0(VALU_DEP_2) | instskip(SKIP_1) | instid1(SALU_CYCLE_1)
	v_cmp_ne_u32_e32 vcc_lo, 0x7c000000, v4
                                        ; implicit-def: $vgpr4
	s_and_saveexec_b32 s75, vcc_lo
	s_xor_b32 s75, exec_lo, s75
	s_cbranch_execz .LBB4_480
; %bb.477:                              ;   in Loop: Header=BB4_136 Depth=3
	v_bfe_u32 v4, v10, 26, 5
	s_mov_b32 s76, exec_lo
	s_delay_alu instid0(VALU_DEP_1)
	v_cmpx_eq_u32_e32 0, v4
; %bb.478:                              ;   in Loop: Header=BB4_136 Depth=3
	v_clz_i32_u32_e32 v4, v5
	s_delay_alu instid0(VALU_DEP_1) | instskip(NEXT) | instid1(VALU_DEP_1)
	v_min_u32_e32 v4, 32, v4
	v_subrev_nc_u32_e32 v5, 29, v4
	v_sub_nc_u32_e32 v4, 30, v4
	s_delay_alu instid0(VALU_DEP_2) | instskip(NEXT) | instid1(VALU_DEP_1)
	v_lshlrev_b64_e32 v[8:9], v5, v[2:3]
	v_and_b32_e32 v5, 3, v8
; %bb.479:                              ;   in Loop: Header=BB4_136 Depth=3
	s_or_b32 exec_lo, exec_lo, s76
	v_and_b32_e32 v2, 0x80000000, v10
	s_delay_alu instid0(VALU_DEP_1) | instskip(NEXT) | instid1(VALU_DEP_1)
	v_lshl_add_u32 v2, v4, 23, v2
	v_lshl_or_b32 v2, v5, 21, v2
                                        ; implicit-def: $vgpr5
	s_delay_alu instid0(VALU_DEP_1)
	v_add_nc_u32_e32 v4, 0x38000000, v2
.LBB4_480:                              ;   in Loop: Header=BB4_136 Depth=3
	s_and_not1_saveexec_b32 s75, s75
; %bb.481:                              ;   in Loop: Header=BB4_136 Depth=3
	v_cmp_lt_i32_e32 vcc_lo, -1, v10
	v_cndmask_b32_e32 v2, 0xff800000, v48, vcc_lo
	v_cmp_eq_u32_e32 vcc_lo, 0, v5
	s_delay_alu instid0(VALU_DEP_2)
	v_cndmask_b32_e32 v4, 0x7f800001, v2, vcc_lo
; %bb.482:                              ;   in Loop: Header=BB4_136 Depth=3
	s_or_b32 exec_lo, exec_lo, s75
.LBB4_483:                              ;   in Loop: Header=BB4_136 Depth=3
	s_delay_alu instid0(SALU_CYCLE_1)
	s_or_b32 exec_lo, exec_lo, s74
.LBB4_484:                              ;   in Loop: Header=BB4_136 Depth=3
	s_delay_alu instid0(SALU_CYCLE_1) | instskip(NEXT) | instid1(VALU_DEP_1)
	s_or_b32 exec_lo, exec_lo, s13
	v_dual_mul_f32 v8, s73, v4 :: v_dual_mov_b32 v17, v3
	v_mov_b32_e32 v5, v3
                                        ; implicit-def: $vgpr45
	s_mov_b32 s13, exec_lo
	s_delay_alu instid0(VALU_DEP_2) | instskip(SKIP_2) | instid1(VALU_DEP_3)
	v_and_b32_e32 v16, 0x7f800000, v8
	v_and_b32_e32 v4, 0x7fffff, v8
	v_lshrrev_b32_e32 v2, 24, v8
	v_cmpx_ne_u64_e32 0x7f800000, v[16:17]
	s_xor_b32 s74, exec_lo, s13
	s_cbranch_execz .LBB4_498
; %bb.485:                              ;   in Loop: Header=BB4_136 Depth=3
	v_and_b32_e32 v16, 0x7fffffff, v8
	v_mov_b32_e32 v17, v3
	v_and_b32_e32 v2, 0x80, v2
                                        ; implicit-def: $vgpr45
	s_mov_b32 s13, exec_lo
	s_delay_alu instid0(VALU_DEP_2)
	v_cmpx_gt_u64_e32 0x47600001, v[16:17]
	s_xor_b32 s75, exec_lo, s13
	s_cbranch_execz .LBB4_495
; %bb.486:                              ;   in Loop: Header=BB4_136 Depth=3
	v_mov_b32_e32 v45, 0
	s_mov_b32 s76, exec_lo
	v_cmpx_ne_u32_e32 0, v8
	s_cbranch_execz .LBB4_494
; %bb.487:                              ;   in Loop: Header=BB4_136 Depth=3
	v_bfe_u32 v16, v8, 23, 8
	v_or_b32_e32 v18, 0x800000, v4
	s_delay_alu instid0(VALU_DEP_2) | instskip(SKIP_1) | instid1(VALU_DEP_2)
	v_sub_nc_u32_e32 v8, 0x71, v16
	v_cmp_gt_u32_e32 vcc_lo, 0x72, v16
	v_cndmask_b32_e32 v8, 0, v8, vcc_lo
	v_cmp_eq_u32_e32 vcc_lo, 0, v16
	s_delay_alu instid0(VALU_DEP_2) | instskip(NEXT) | instid1(VALU_DEP_1)
	v_cndmask_b32_e64 v17, v8, 0x70, vcc_lo
	v_dual_cndmask_b32 v4, v18, v4, vcc_lo :: v_dual_add_nc_u32 v8, 21, v17
	v_add_nc_u32_e32 v19, 20, v17
	s_delay_alu instid0(VALU_DEP_2) | instskip(NEXT) | instid1(VALU_DEP_2)
	v_lshlrev_b64_e64 v[8:9], v8, -1
	v_lshlrev_b64_e64 v[18:19], v19, 1
	s_delay_alu instid0(VALU_DEP_2) | instskip(SKIP_1) | instid1(VALU_DEP_4)
	v_bfi_b32 v8, v8, 0, v4
	v_lshrrev_b64 v[4:5], v17, v[4:5]
	v_bfi_b32 v9, v9, 0, 0
	s_delay_alu instid0(VALU_DEP_1) | instskip(NEXT) | instid1(VALU_DEP_3)
	v_cmp_eq_u64_e64 s13, v[8:9], v[18:19]
	v_mov_b64_e32 v[8:9], v[4:5]
	s_and_saveexec_b32 s77, s13
; %bb.488:                              ;   in Loop: Header=BB4_136 Depth=3
	v_bfe_u32 v8, v4, 21, 1
	v_mov_b32_e32 v9, v3
	s_delay_alu instid0(VALU_DEP_1) | instskip(NEXT) | instid1(VALU_DEP_1)
	v_add_nc_u64_e32 v[8:9], v[4:5], v[8:9]
	v_add_nc_u64_e32 v[8:9], -1, v[8:9]
; %bb.489:                              ;   in Loop: Header=BB4_136 Depth=3
	s_or_b32 exec_lo, exec_lo, s77
	v_add_nc_u32_e32 v5, 0xffffff81, v16
	v_lshrrev_b32_e32 v9, 23, v4
	s_mov_b32 s13, exec_lo
	s_delay_alu instid0(VALU_DEP_2) | instskip(NEXT) | instid1(VALU_DEP_1)
	v_cndmask_b32_e64 v5, v5, 0xffffff82, vcc_lo
	v_add3_u32 v9, v17, v5, v9
	v_and_b32_e32 v5, 0x1fffff, v8
                                        ; implicit-def: $vgpr8
	s_delay_alu instid0(VALU_DEP_1) | instskip(SKIP_1) | instid1(VALU_DEP_2)
	v_dual_add_nc_u32 v16, 14, v9 :: v_dual_add_nc_u32 v4, v5, v4
	v_mov_b32_e32 v5, v3
	v_cmpx_ne_u32_e32 0, v16
	s_xor_b32 s13, exec_lo, s13
; %bb.490:                              ;   in Loop: Header=BB4_136 Depth=3
	s_delay_alu instid0(VALU_DEP_2) | instskip(SKIP_2) | instid1(VALU_DEP_2)
	v_cmp_lt_u64_e32 vcc_lo, 0xffffff, v[4:5]
	v_add_nc_u32_e32 v8, 15, v9
	v_cndmask_b32_e64 v9, 0, 1, vcc_lo
	v_cndmask_b32_e32 v8, v16, v8, vcc_lo
	s_delay_alu instid0(VALU_DEP_2)
	v_lshrrev_b64 v[4:5], v9, v[4:5]
; %bb.491:                              ;   in Loop: Header=BB4_136 Depth=3
	s_and_not1_saveexec_b32 s13, s13
; %bb.492:                              ;   in Loop: Header=BB4_136 Depth=3
	s_delay_alu instid0(VALU_DEP_1)
	v_bfe_u32 v8, v4, 23, 1
; %bb.493:                              ;   in Loop: Header=BB4_136 Depth=3
	s_or_b32 exec_lo, exec_lo, s13
	s_delay_alu instid0(VALU_DEP_2) | instskip(NEXT) | instid1(VALU_DEP_2)
	v_lshrrev_b64 v[4:5], 21, v[4:5]
	v_cmp_gt_i32_e32 vcc_lo, 32, v8
	v_min_i32_e32 v9, 31, v8
	v_cmp_eq_u32_e64 s13, 0, v8
	s_delay_alu instid0(VALU_DEP_4) | instskip(NEXT) | instid1(VALU_DEP_3)
	v_cndmask_b32_e32 v5, 0, v5, vcc_lo
	v_dual_cndmask_b32 v4, 3, v4 :: v_dual_lshlrev_b32 v9, 2, v9
	s_delay_alu instid0(VALU_DEP_1) | instskip(NEXT) | instid1(VALU_DEP_2)
	v_and_b32_e32 v9, 0xfc, v9
	v_cmp_eq_u64_e32 vcc_lo, 0, v[4:5]
	s_delay_alu instid0(VALU_DEP_2)
	v_and_or_b32 v4, v4, 3, v9
	s_and_b32 s13, s13, vcc_lo
	s_delay_alu instid0(VALU_DEP_1) | instid1(SALU_CYCLE_1)
	v_cndmask_b32_e64 v4, v4, 0, s13
	s_delay_alu instid0(VALU_DEP_1)
	v_or_b32_e32 v45, v4, v2
.LBB4_494:                              ;   in Loop: Header=BB4_136 Depth=3
	s_or_b32 exec_lo, exec_lo, s76
                                        ; implicit-def: $vgpr2
.LBB4_495:                              ;   in Loop: Header=BB4_136 Depth=3
	s_and_not1_saveexec_b32 s13, s75
; %bb.496:                              ;   in Loop: Header=BB4_136 Depth=3
	v_or_b32_e32 v45, 0x7b, v2
; %bb.497:                              ;   in Loop: Header=BB4_136 Depth=3
	s_or_b32 exec_lo, exec_lo, s13
                                        ; implicit-def: $vgpr8
                                        ; implicit-def: $vgpr4_vgpr5
                                        ; implicit-def: $vgpr2
.LBB4_498:                              ;   in Loop: Header=BB4_136 Depth=3
	s_and_not1_saveexec_b32 s13, s74
	s_cbranch_execz .LBB4_504
; %bb.499:                              ;   in Loop: Header=BB4_136 Depth=3
	s_mov_b32 s74, exec_lo
                                        ; implicit-def: $vgpr45
	v_cmpx_ne_u64_e32 0, v[4:5]
	s_xor_b32 s74, exec_lo, s74
; %bb.500:                              ;   in Loop: Header=BB4_136 Depth=3
	v_or_b32_e32 v45, 0x7f, v2
                                        ; implicit-def: $vgpr8
; %bb.501:                              ;   in Loop: Header=BB4_136 Depth=3
	s_and_not1_saveexec_b32 s74, s74
; %bb.502:                              ;   in Loop: Header=BB4_136 Depth=3
	v_cmp_lt_i32_e32 vcc_lo, -1, v8
	v_cndmask_b32_e32 v45, 0xfc, v49, vcc_lo
; %bb.503:                              ;   in Loop: Header=BB4_136 Depth=3
	s_or_b32 exec_lo, exec_lo, s74
.LBB4_504:                              ;   in Loop: Header=BB4_136 Depth=3
	s_delay_alu instid0(SALU_CYCLE_1) | instskip(SKIP_4) | instid1(VALU_DEP_3)
	s_or_b32 exec_lo, exec_lo, s13
	v_and_b32_e32 v8, 0xff, v11
	v_dual_mov_b32 v4, v11 :: v_dual_mov_b32 v5, v3
	v_mov_b32_e32 v2, 0
	s_mov_b32 s13, exec_lo
	v_cmpx_ne_u16_e32 0, v8
	s_cbranch_execz .LBB4_514
; %bb.505:                              ;   in Loop: Header=BB4_136 Depth=3
	v_bfrev_b32_e32 v2, 1
	s_mov_b32 s74, exec_lo
	v_cmpx_ne_u16_e32 0x80, v8
	s_cbranch_execz .LBB4_513
; %bb.506:                              ;   in Loop: Header=BB4_136 Depth=3
	v_and_b32_e32 v2, 0x7c, v11
	v_and_b32_e32 v8, 3, v11
	s_delay_alu instid0(VALU_DEP_2) | instskip(SKIP_1) | instid1(SALU_CYCLE_1)
	v_cmp_ne_u32_e32 vcc_lo, 0x7c, v2
                                        ; implicit-def: $vgpr2
	s_and_saveexec_b32 s75, vcc_lo
	s_xor_b32 s75, exec_lo, s75
	s_cbranch_execz .LBB4_510
; %bb.507:                              ;   in Loop: Header=BB4_136 Depth=3
	v_bfe_u32 v2, v11, 2, 5
	s_mov_b32 s76, exec_lo
	s_delay_alu instid0(VALU_DEP_1)
	v_cmpx_eq_u32_e32 0, v2
; %bb.508:                              ;   in Loop: Header=BB4_136 Depth=3
	v_clz_i32_u32_e32 v2, v8
	s_delay_alu instid0(VALU_DEP_1) | instskip(NEXT) | instid1(VALU_DEP_1)
	v_min_u32_e32 v2, 32, v2
	v_subrev_nc_u32_e32 v8, 29, v2
	s_delay_alu instid0(VALU_DEP_1) | instskip(NEXT) | instid1(VALU_DEP_1)
	v_lshlrev_b64_e32 v[8:9], v8, v[4:5]
	v_dual_sub_nc_u32 v2, 30, v2 :: v_dual_bitop2_b32 v8, 3, v8 bitop3:0x40
; %bb.509:                              ;   in Loop: Header=BB4_136 Depth=3
	s_or_b32 exec_lo, exec_lo, s76
	v_lshlrev_b32_e32 v5, 24, v11
	s_delay_alu instid0(VALU_DEP_1) | instskip(NEXT) | instid1(VALU_DEP_1)
	v_and_b32_e32 v5, 0x80000000, v5
	v_lshl_add_u32 v2, v2, 23, v5
	s_delay_alu instid0(VALU_DEP_1) | instskip(NEXT) | instid1(VALU_DEP_1)
	v_lshl_or_b32 v2, v8, 21, v2
                                        ; implicit-def: $vgpr8
	v_add_nc_u32_e32 v2, 0x38000000, v2
.LBB4_510:                              ;   in Loop: Header=BB4_136 Depth=3
	s_and_not1_saveexec_b32 s75, s75
; %bb.511:                              ;   in Loop: Header=BB4_136 Depth=3
	v_bfe_i32 v2, v11, 0, 8
	s_delay_alu instid0(VALU_DEP_1) | instskip(SKIP_2) | instid1(VALU_DEP_2)
	v_cmp_lt_i16_e32 vcc_lo, -1, v2
	v_cndmask_b32_e32 v2, 0xff800000, v48, vcc_lo
	v_cmp_eq_u32_e32 vcc_lo, 0, v8
	v_cndmask_b32_e32 v2, 0x7f800001, v2, vcc_lo
; %bb.512:                              ;   in Loop: Header=BB4_136 Depth=3
	s_or_b32 exec_lo, exec_lo, s75
.LBB4_513:                              ;   in Loop: Header=BB4_136 Depth=3
	s_delay_alu instid0(SALU_CYCLE_1)
	s_or_b32 exec_lo, exec_lo, s74
.LBB4_514:                              ;   in Loop: Header=BB4_136 Depth=3
	s_delay_alu instid0(SALU_CYCLE_1) | instskip(NEXT) | instid1(VALU_DEP_1)
	s_or_b32 exec_lo, exec_lo, s13
	v_dual_mul_f32 v5, s73, v2 :: v_dual_mov_b32 v17, v3
	v_mov_b32_e32 v9, v3
                                        ; implicit-def: $vgpr46
	s_mov_b32 s13, exec_lo
	s_delay_alu instid0(VALU_DEP_2) | instskip(SKIP_2) | instid1(VALU_DEP_3)
	v_and_b32_e32 v16, 0x7f800000, v5
	v_and_b32_e32 v8, 0x7fffff, v5
	v_lshrrev_b32_e32 v2, 24, v5
	v_cmpx_ne_u64_e32 0x7f800000, v[16:17]
	s_xor_b32 s74, exec_lo, s13
	s_cbranch_execz .LBB4_528
; %bb.515:                              ;   in Loop: Header=BB4_136 Depth=3
	v_and_b32_e32 v16, 0x7fffffff, v5
	v_mov_b32_e32 v17, v3
	v_and_b32_e32 v2, 0x80, v2
                                        ; implicit-def: $vgpr46
	s_mov_b32 s13, exec_lo
	s_delay_alu instid0(VALU_DEP_2)
	v_cmpx_gt_u64_e32 0x47600001, v[16:17]
	s_xor_b32 s75, exec_lo, s13
	s_cbranch_execz .LBB4_525
; %bb.516:                              ;   in Loop: Header=BB4_136 Depth=3
	v_mov_b32_e32 v46, 0
	s_mov_b32 s76, exec_lo
	v_cmpx_ne_u32_e32 0, v5
	s_cbranch_execz .LBB4_524
; %bb.517:                              ;   in Loop: Header=BB4_136 Depth=3
	v_bfe_u32 v5, v5, 23, 8
	v_or_b32_e32 v19, 0x800000, v8
	s_delay_alu instid0(VALU_DEP_2) | instskip(SKIP_1) | instid1(VALU_DEP_2)
	v_sub_nc_u32_e32 v16, 0x71, v5
	v_cmp_gt_u32_e32 vcc_lo, 0x72, v5
	v_cndmask_b32_e32 v16, 0, v16, vcc_lo
	v_cmp_eq_u32_e32 vcc_lo, 0, v5
	s_delay_alu instid0(VALU_DEP_2) | instskip(NEXT) | instid1(VALU_DEP_1)
	v_cndmask_b32_e64 v18, v16, 0x70, vcc_lo
	v_dual_cndmask_b32 v8, v19, v8, vcc_lo :: v_dual_add_nc_u32 v16, 21, v18
	v_add_nc_u32_e32 v21, 20, v18
	s_delay_alu instid0(VALU_DEP_2) | instskip(NEXT) | instid1(VALU_DEP_2)
	v_lshlrev_b64_e64 v[16:17], v16, -1
	v_lshlrev_b64_e64 v[66:67], v21, 1
	s_delay_alu instid0(VALU_DEP_2) | instskip(SKIP_1) | instid1(VALU_DEP_4)
	v_bfi_b32 v16, v16, 0, v8
	v_lshrrev_b64 v[8:9], v18, v[8:9]
	v_bfi_b32 v17, v17, 0, 0
	s_delay_alu instid0(VALU_DEP_1) | instskip(NEXT) | instid1(VALU_DEP_3)
	v_cmp_eq_u64_e64 s13, v[16:17], v[66:67]
	v_mov_b64_e32 v[16:17], v[8:9]
	s_and_saveexec_b32 s77, s13
; %bb.518:                              ;   in Loop: Header=BB4_136 Depth=3
	v_bfe_u32 v16, v8, 21, 1
	v_mov_b32_e32 v17, v3
	s_delay_alu instid0(VALU_DEP_1) | instskip(NEXT) | instid1(VALU_DEP_1)
	v_add_nc_u64_e32 v[16:17], v[8:9], v[16:17]
	v_add_nc_u64_e32 v[16:17], -1, v[16:17]
; %bb.519:                              ;   in Loop: Header=BB4_136 Depth=3
	s_or_b32 exec_lo, exec_lo, s77
	v_add_nc_u32_e32 v5, 0xffffff81, v5
	v_lshrrev_b32_e32 v9, 23, v8
	s_mov_b32 s13, exec_lo
	s_delay_alu instid0(VALU_DEP_2) | instskip(NEXT) | instid1(VALU_DEP_1)
	v_cndmask_b32_e64 v5, v5, 0xffffff82, vcc_lo
	v_add3_u32 v17, v18, v5, v9
	v_and_b32_e32 v5, 0x1fffff, v16
	s_delay_alu instid0(VALU_DEP_2) | instskip(NEXT) | instid1(VALU_DEP_2)
	v_dual_mov_b32 v9, v3 :: v_dual_add_nc_u32 v16, 14, v17
	v_add_nc_u32_e32 v8, v5, v8
                                        ; implicit-def: $vgpr5
	s_delay_alu instid0(VALU_DEP_2)
	v_cmpx_ne_u32_e32 0, v16
	s_xor_b32 s13, exec_lo, s13
; %bb.520:                              ;   in Loop: Header=BB4_136 Depth=3
	s_delay_alu instid0(VALU_DEP_2) | instskip(SKIP_1) | instid1(VALU_DEP_1)
	v_cmp_lt_u64_e32 vcc_lo, 0xffffff, v[8:9]
	v_add_nc_u32_e32 v5, 15, v17
	v_cndmask_b32_e32 v5, v16, v5, vcc_lo
	v_cndmask_b32_e64 v16, 0, 1, vcc_lo
	s_delay_alu instid0(VALU_DEP_1)
	v_lshrrev_b64 v[8:9], v16, v[8:9]
; %bb.521:                              ;   in Loop: Header=BB4_136 Depth=3
	s_and_not1_saveexec_b32 s13, s13
; %bb.522:                              ;   in Loop: Header=BB4_136 Depth=3
	s_delay_alu instid0(VALU_DEP_1)
	v_bfe_u32 v5, v8, 23, 1
; %bb.523:                              ;   in Loop: Header=BB4_136 Depth=3
	s_or_b32 exec_lo, exec_lo, s13
	s_delay_alu instid0(VALU_DEP_2) | instskip(NEXT) | instid1(VALU_DEP_2)
	v_lshrrev_b64 v[8:9], 21, v[8:9]
	v_cmp_gt_i32_e32 vcc_lo, 32, v5
	v_min_i32_e32 v16, 31, v5
	v_cmp_eq_u32_e64 s13, 0, v5
	s_delay_alu instid0(VALU_DEP_4) | instskip(NEXT) | instid1(VALU_DEP_3)
	v_cndmask_b32_e32 v8, 3, v8, vcc_lo
	v_dual_cndmask_b32 v9, 0, v9 :: v_dual_lshlrev_b32 v16, 2, v16
	s_delay_alu instid0(VALU_DEP_1) | instskip(NEXT) | instid1(VALU_DEP_2)
	v_and_b32_e32 v16, 0xfc, v16
	v_cmp_eq_u64_e32 vcc_lo, 0, v[8:9]
	s_delay_alu instid0(VALU_DEP_2)
	v_and_or_b32 v5, v8, 3, v16
	s_and_b32 s13, s13, vcc_lo
	s_delay_alu instid0(VALU_DEP_1) | instid1(SALU_CYCLE_1)
	v_cndmask_b32_e64 v5, v5, 0, s13
	s_delay_alu instid0(VALU_DEP_1)
	v_or_b32_e32 v46, v5, v2
.LBB4_524:                              ;   in Loop: Header=BB4_136 Depth=3
	s_or_b32 exec_lo, exec_lo, s76
                                        ; implicit-def: $vgpr2
.LBB4_525:                              ;   in Loop: Header=BB4_136 Depth=3
	s_and_not1_saveexec_b32 s13, s75
; %bb.526:                              ;   in Loop: Header=BB4_136 Depth=3
	v_or_b32_e32 v46, 0x7b, v2
; %bb.527:                              ;   in Loop: Header=BB4_136 Depth=3
	s_or_b32 exec_lo, exec_lo, s13
                                        ; implicit-def: $vgpr5
                                        ; implicit-def: $vgpr8_vgpr9
                                        ; implicit-def: $vgpr2
.LBB4_528:                              ;   in Loop: Header=BB4_136 Depth=3
	s_and_not1_saveexec_b32 s13, s74
	s_cbranch_execz .LBB4_534
; %bb.529:                              ;   in Loop: Header=BB4_136 Depth=3
	s_mov_b32 s74, exec_lo
                                        ; implicit-def: $vgpr46
	v_cmpx_ne_u64_e32 0, v[8:9]
	s_xor_b32 s74, exec_lo, s74
; %bb.530:                              ;   in Loop: Header=BB4_136 Depth=3
	v_or_b32_e32 v46, 0x7f, v2
                                        ; implicit-def: $vgpr5
; %bb.531:                              ;   in Loop: Header=BB4_136 Depth=3
	s_and_not1_saveexec_b32 s74, s74
; %bb.532:                              ;   in Loop: Header=BB4_136 Depth=3
	v_cmp_lt_i32_e32 vcc_lo, -1, v5
	v_cndmask_b32_e32 v46, 0xfc, v49, vcc_lo
; %bb.533:                              ;   in Loop: Header=BB4_136 Depth=3
	s_or_b32 exec_lo, exec_lo, s74
.LBB4_534:                              ;   in Loop: Header=BB4_136 Depth=3
	s_delay_alu instid0(SALU_CYCLE_1) | instskip(SKIP_3) | instid1(VALU_DEP_2)
	s_or_b32 exec_lo, exec_lo, s13
	v_lshrrev_b16 v8, 8, v4
	v_mov_b32_e32 v9, 0
	s_mov_b32 s13, exec_lo
	v_cmpx_ne_u16_e32 0, v8
	s_cbranch_execz .LBB4_544
; %bb.535:                              ;   in Loop: Header=BB4_136 Depth=3
	v_bfrev_b32_e32 v9, 1
	s_mov_b32 s74, exec_lo
	v_cmpx_ne_u16_e32 0x80, v8
	s_cbranch_execz .LBB4_543
; %bb.536:                              ;   in Loop: Header=BB4_136 Depth=3
	v_and_b32_e32 v5, 0xffff, v8
	s_delay_alu instid0(VALU_DEP_1) | instskip(SKIP_1) | instid1(VALU_DEP_2)
	v_and_b32_e32 v9, 0x7c, v5
	v_and_b32_e32 v2, 3, v5
	v_cmp_ne_u32_e32 vcc_lo, 0x7c, v9
                                        ; implicit-def: $vgpr9
	s_and_saveexec_b32 s75, vcc_lo
	s_delay_alu instid0(SALU_CYCLE_1)
	s_xor_b32 s75, exec_lo, s75
	s_cbranch_execz .LBB4_540
; %bb.537:                              ;   in Loop: Header=BB4_136 Depth=3
	v_bfe_u32 v5, v5, 2, 5
	s_mov_b32 s76, exec_lo
	s_delay_alu instid0(VALU_DEP_1)
	v_cmpx_eq_u32_e32 0, v5
; %bb.538:                              ;   in Loop: Header=BB4_136 Depth=3
	v_clz_i32_u32_e32 v2, v2
	s_delay_alu instid0(VALU_DEP_1) | instskip(SKIP_1) | instid1(VALU_DEP_2)
	v_min_u32_e32 v2, 32, v2
	v_mov_b32_e32 v9, v3
	v_subrev_nc_u32_e32 v5, 29, v2
	s_delay_alu instid0(VALU_DEP_1) | instskip(NEXT) | instid1(VALU_DEP_1)
	v_lshlrev_b64_e32 v[8:9], v5, v[8:9]
	v_dual_sub_nc_u32 v5, 30, v2 :: v_dual_bitop2_b32 v2, 3, v8 bitop3:0x40
; %bb.539:                              ;   in Loop: Header=BB4_136 Depth=3
	s_or_b32 exec_lo, exec_lo, s76
	v_lshlrev_b32_e32 v4, 16, v4
	s_delay_alu instid0(VALU_DEP_1) | instskip(NEXT) | instid1(VALU_DEP_1)
	v_and_b32_e32 v4, 0x80000000, v4
	v_lshl_add_u32 v4, v5, 23, v4
	s_delay_alu instid0(VALU_DEP_1) | instskip(NEXT) | instid1(VALU_DEP_1)
	v_lshl_or_b32 v2, v2, 21, v4
                                        ; implicit-def: $vgpr4_vgpr5
	v_add_nc_u32_e32 v9, 0x38000000, v2
                                        ; implicit-def: $vgpr2
.LBB4_540:                              ;   in Loop: Header=BB4_136 Depth=3
	s_and_not1_saveexec_b32 s75, s75
; %bb.541:                              ;   in Loop: Header=BB4_136 Depth=3
	v_cmp_lt_i16_e32 vcc_lo, -1, v4
	v_cndmask_b32_e32 v4, 0xff800000, v48, vcc_lo
	v_cmp_eq_u32_e32 vcc_lo, 0, v2
	s_delay_alu instid0(VALU_DEP_2)
	v_cndmask_b32_e32 v9, 0x7f800001, v4, vcc_lo
; %bb.542:                              ;   in Loop: Header=BB4_136 Depth=3
	s_or_b32 exec_lo, exec_lo, s75
.LBB4_543:                              ;   in Loop: Header=BB4_136 Depth=3
	s_delay_alu instid0(SALU_CYCLE_1)
	s_or_b32 exec_lo, exec_lo, s74
.LBB4_544:                              ;   in Loop: Header=BB4_136 Depth=3
	s_delay_alu instid0(SALU_CYCLE_1) | instskip(NEXT) | instid1(VALU_DEP_1)
	s_or_b32 exec_lo, exec_lo, s13
	v_dual_mul_f32 v8, s73, v9 :: v_dual_mov_b32 v17, v3
	v_mov_b32_e32 v5, v3
                                        ; implicit-def: $vgpr47
	s_mov_b32 s13, exec_lo
	s_delay_alu instid0(VALU_DEP_2) | instskip(SKIP_2) | instid1(VALU_DEP_3)
	v_and_b32_e32 v16, 0x7f800000, v8
	v_and_b32_e32 v4, 0x7fffff, v8
	v_lshrrev_b32_e32 v2, 24, v8
	v_cmpx_ne_u64_e32 0x7f800000, v[16:17]
	s_xor_b32 s74, exec_lo, s13
	s_cbranch_execz .LBB4_558
; %bb.545:                              ;   in Loop: Header=BB4_136 Depth=3
	v_and_b32_e32 v16, 0x7fffffff, v8
	v_mov_b32_e32 v17, v3
	v_and_b32_e32 v2, 0x80, v2
                                        ; implicit-def: $vgpr47
	s_mov_b32 s13, exec_lo
	s_delay_alu instid0(VALU_DEP_2)
	v_cmpx_gt_u64_e32 0x47600001, v[16:17]
	s_xor_b32 s75, exec_lo, s13
	s_cbranch_execz .LBB4_555
; %bb.546:                              ;   in Loop: Header=BB4_136 Depth=3
	v_mov_b32_e32 v47, 0
	s_mov_b32 s76, exec_lo
	v_cmpx_ne_u32_e32 0, v8
	s_cbranch_execz .LBB4_554
; %bb.547:                              ;   in Loop: Header=BB4_136 Depth=3
	v_bfe_u32 v16, v8, 23, 8
	v_or_b32_e32 v18, 0x800000, v4
	s_delay_alu instid0(VALU_DEP_2) | instskip(SKIP_1) | instid1(VALU_DEP_2)
	v_sub_nc_u32_e32 v8, 0x71, v16
	v_cmp_gt_u32_e32 vcc_lo, 0x72, v16
	v_cndmask_b32_e32 v8, 0, v8, vcc_lo
	v_cmp_eq_u32_e32 vcc_lo, 0, v16
	s_delay_alu instid0(VALU_DEP_2) | instskip(NEXT) | instid1(VALU_DEP_1)
	v_cndmask_b32_e64 v17, v8, 0x70, vcc_lo
	v_dual_cndmask_b32 v4, v18, v4, vcc_lo :: v_dual_add_nc_u32 v8, 21, v17
	v_add_nc_u32_e32 v19, 20, v17
	s_delay_alu instid0(VALU_DEP_2) | instskip(NEXT) | instid1(VALU_DEP_2)
	v_lshlrev_b64_e64 v[8:9], v8, -1
	v_lshlrev_b64_e64 v[18:19], v19, 1
	s_delay_alu instid0(VALU_DEP_2) | instskip(SKIP_1) | instid1(VALU_DEP_4)
	v_bfi_b32 v8, v8, 0, v4
	v_lshrrev_b64 v[4:5], v17, v[4:5]
	v_bfi_b32 v9, v9, 0, 0
	s_delay_alu instid0(VALU_DEP_1) | instskip(NEXT) | instid1(VALU_DEP_3)
	v_cmp_eq_u64_e64 s13, v[8:9], v[18:19]
	v_mov_b64_e32 v[8:9], v[4:5]
	s_and_saveexec_b32 s77, s13
; %bb.548:                              ;   in Loop: Header=BB4_136 Depth=3
	v_bfe_u32 v8, v4, 21, 1
	v_mov_b32_e32 v9, v3
	s_delay_alu instid0(VALU_DEP_1) | instskip(NEXT) | instid1(VALU_DEP_1)
	v_add_nc_u64_e32 v[8:9], v[4:5], v[8:9]
	v_add_nc_u64_e32 v[8:9], -1, v[8:9]
; %bb.549:                              ;   in Loop: Header=BB4_136 Depth=3
	s_or_b32 exec_lo, exec_lo, s77
	v_add_nc_u32_e32 v5, 0xffffff81, v16
	v_lshrrev_b32_e32 v9, 23, v4
	s_mov_b32 s13, exec_lo
	s_delay_alu instid0(VALU_DEP_2) | instskip(NEXT) | instid1(VALU_DEP_1)
	v_cndmask_b32_e64 v5, v5, 0xffffff82, vcc_lo
	v_add3_u32 v9, v17, v5, v9
	v_and_b32_e32 v5, 0x1fffff, v8
                                        ; implicit-def: $vgpr8
	s_delay_alu instid0(VALU_DEP_1) | instskip(SKIP_1) | instid1(VALU_DEP_2)
	v_dual_add_nc_u32 v16, 14, v9 :: v_dual_add_nc_u32 v4, v5, v4
	v_mov_b32_e32 v5, v3
	v_cmpx_ne_u32_e32 0, v16
	s_xor_b32 s13, exec_lo, s13
; %bb.550:                              ;   in Loop: Header=BB4_136 Depth=3
	s_delay_alu instid0(VALU_DEP_2) | instskip(SKIP_2) | instid1(VALU_DEP_2)
	v_cmp_lt_u64_e32 vcc_lo, 0xffffff, v[4:5]
	v_add_nc_u32_e32 v8, 15, v9
	v_cndmask_b32_e64 v9, 0, 1, vcc_lo
	v_cndmask_b32_e32 v8, v16, v8, vcc_lo
	s_delay_alu instid0(VALU_DEP_2)
	v_lshrrev_b64 v[4:5], v9, v[4:5]
; %bb.551:                              ;   in Loop: Header=BB4_136 Depth=3
	s_and_not1_saveexec_b32 s13, s13
; %bb.552:                              ;   in Loop: Header=BB4_136 Depth=3
	s_delay_alu instid0(VALU_DEP_1)
	v_bfe_u32 v8, v4, 23, 1
; %bb.553:                              ;   in Loop: Header=BB4_136 Depth=3
	s_or_b32 exec_lo, exec_lo, s13
	s_delay_alu instid0(VALU_DEP_2) | instskip(NEXT) | instid1(VALU_DEP_2)
	v_lshrrev_b64 v[4:5], 21, v[4:5]
	v_cmp_gt_i32_e32 vcc_lo, 32, v8
	v_min_i32_e32 v9, 31, v8
	v_cmp_eq_u32_e64 s13, 0, v8
	s_delay_alu instid0(VALU_DEP_4) | instskip(NEXT) | instid1(VALU_DEP_3)
	v_cndmask_b32_e32 v5, 0, v5, vcc_lo
	v_dual_cndmask_b32 v4, 3, v4 :: v_dual_lshlrev_b32 v9, 2, v9
	s_delay_alu instid0(VALU_DEP_1) | instskip(NEXT) | instid1(VALU_DEP_2)
	v_and_b32_e32 v9, 0xfc, v9
	v_cmp_eq_u64_e32 vcc_lo, 0, v[4:5]
	s_delay_alu instid0(VALU_DEP_2)
	v_and_or_b32 v4, v4, 3, v9
	s_and_b32 s13, s13, vcc_lo
	s_delay_alu instid0(VALU_DEP_1) | instid1(SALU_CYCLE_1)
	v_cndmask_b32_e64 v4, v4, 0, s13
	s_delay_alu instid0(VALU_DEP_1)
	v_or_b32_e32 v47, v4, v2
.LBB4_554:                              ;   in Loop: Header=BB4_136 Depth=3
	s_or_b32 exec_lo, exec_lo, s76
                                        ; implicit-def: $vgpr2
.LBB4_555:                              ;   in Loop: Header=BB4_136 Depth=3
	s_and_not1_saveexec_b32 s13, s75
; %bb.556:                              ;   in Loop: Header=BB4_136 Depth=3
	v_or_b32_e32 v47, 0x7b, v2
; %bb.557:                              ;   in Loop: Header=BB4_136 Depth=3
	s_or_b32 exec_lo, exec_lo, s13
                                        ; implicit-def: $vgpr8
                                        ; implicit-def: $vgpr4_vgpr5
                                        ; implicit-def: $vgpr2
.LBB4_558:                              ;   in Loop: Header=BB4_136 Depth=3
	s_and_not1_saveexec_b32 s13, s74
	s_cbranch_execz .LBB4_564
; %bb.559:                              ;   in Loop: Header=BB4_136 Depth=3
	s_mov_b32 s74, exec_lo
                                        ; implicit-def: $vgpr47
	v_cmpx_ne_u64_e32 0, v[4:5]
	s_xor_b32 s74, exec_lo, s74
; %bb.560:                              ;   in Loop: Header=BB4_136 Depth=3
	v_or_b32_e32 v47, 0x7f, v2
                                        ; implicit-def: $vgpr8
; %bb.561:                              ;   in Loop: Header=BB4_136 Depth=3
	s_and_not1_saveexec_b32 s74, s74
; %bb.562:                              ;   in Loop: Header=BB4_136 Depth=3
	v_cmp_lt_i32_e32 vcc_lo, -1, v8
	v_cndmask_b32_e32 v47, 0xfc, v49, vcc_lo
; %bb.563:                              ;   in Loop: Header=BB4_136 Depth=3
	s_or_b32 exec_lo, exec_lo, s74
.LBB4_564:                              ;   in Loop: Header=BB4_136 Depth=3
	s_delay_alu instid0(SALU_CYCLE_1) | instskip(SKIP_2) | instid1(VALU_DEP_1)
	s_or_b32 exec_lo, exec_lo, s13
	v_dual_lshrrev_b32 v2, 16, v11 :: v_dual_mov_b32 v4, 0
	s_mov_b32 s13, exec_lo
	v_and_b32_e32 v5, 0xff, v2
	s_delay_alu instid0(VALU_DEP_1)
	v_cmpx_ne_u16_e32 0, v5
	s_cbranch_execz .LBB4_574
; %bb.565:                              ;   in Loop: Header=BB4_136 Depth=3
	v_bfrev_b32_e32 v4, 1
	s_mov_b32 s74, exec_lo
	v_cmpx_ne_u16_e32 0x80, v5
	s_cbranch_execz .LBB4_573
; %bb.566:                              ;   in Loop: Header=BB4_136 Depth=3
	v_and_b32_e32 v4, 0x7c0000, v11
	v_bfe_u32 v5, v11, 16, 2
	s_delay_alu instid0(VALU_DEP_2) | instskip(SKIP_1) | instid1(SALU_CYCLE_1)
	v_cmp_ne_u32_e32 vcc_lo, 0x7c0000, v4
                                        ; implicit-def: $vgpr4
	s_and_saveexec_b32 s75, vcc_lo
	s_xor_b32 s75, exec_lo, s75
	s_cbranch_execz .LBB4_570
; %bb.567:                              ;   in Loop: Header=BB4_136 Depth=3
	v_bfe_u32 v4, v11, 18, 5
	s_mov_b32 s76, exec_lo
	s_delay_alu instid0(VALU_DEP_1)
	v_cmpx_eq_u32_e32 0, v4
; %bb.568:                              ;   in Loop: Header=BB4_136 Depth=3
	v_clz_i32_u32_e32 v4, v5
	s_delay_alu instid0(VALU_DEP_1) | instskip(NEXT) | instid1(VALU_DEP_1)
	v_min_u32_e32 v4, 32, v4
	v_subrev_nc_u32_e32 v5, 29, v4
	v_sub_nc_u32_e32 v4, 30, v4
	s_delay_alu instid0(VALU_DEP_2) | instskip(NEXT) | instid1(VALU_DEP_1)
	v_lshlrev_b64_e32 v[8:9], v5, v[2:3]
	v_and_b32_e32 v5, 3, v8
; %bb.569:                              ;   in Loop: Header=BB4_136 Depth=3
	s_or_b32 exec_lo, exec_lo, s76
	v_lshlrev_b32_e32 v2, 24, v2
	s_delay_alu instid0(VALU_DEP_1) | instskip(NEXT) | instid1(VALU_DEP_1)
	v_and_b32_e32 v2, 0x80000000, v2
	v_lshl_add_u32 v2, v4, 23, v2
	s_delay_alu instid0(VALU_DEP_1) | instskip(NEXT) | instid1(VALU_DEP_1)
	v_lshl_or_b32 v2, v5, 21, v2
                                        ; implicit-def: $vgpr5
	v_add_nc_u32_e32 v4, 0x38000000, v2
                                        ; implicit-def: $vgpr2
.LBB4_570:                              ;   in Loop: Header=BB4_136 Depth=3
	s_and_not1_saveexec_b32 s75, s75
; %bb.571:                              ;   in Loop: Header=BB4_136 Depth=3
	v_bfe_i32 v2, v2, 0, 8
	s_delay_alu instid0(VALU_DEP_1) | instskip(SKIP_2) | instid1(VALU_DEP_2)
	v_cmp_lt_i16_e32 vcc_lo, -1, v2
	v_cndmask_b32_e32 v2, 0xff800000, v48, vcc_lo
	v_cmp_eq_u32_e32 vcc_lo, 0, v5
	v_cndmask_b32_e32 v4, 0x7f800001, v2, vcc_lo
; %bb.572:                              ;   in Loop: Header=BB4_136 Depth=3
	s_or_b32 exec_lo, exec_lo, s75
.LBB4_573:                              ;   in Loop: Header=BB4_136 Depth=3
	s_delay_alu instid0(SALU_CYCLE_1)
	s_or_b32 exec_lo, exec_lo, s74
.LBB4_574:                              ;   in Loop: Header=BB4_136 Depth=3
	s_delay_alu instid0(SALU_CYCLE_1) | instskip(NEXT) | instid1(VALU_DEP_1)
	s_or_b32 exec_lo, exec_lo, s13
	v_dual_mul_f32 v8, s73, v4 :: v_dual_mov_b32 v17, v3
	v_mov_b32_e32 v5, v3
                                        ; implicit-def: $vgpr56
	s_mov_b32 s13, exec_lo
	s_delay_alu instid0(VALU_DEP_2) | instskip(SKIP_2) | instid1(VALU_DEP_3)
	v_and_b32_e32 v16, 0x7f800000, v8
	v_and_b32_e32 v4, 0x7fffff, v8
	v_lshrrev_b32_e32 v2, 24, v8
	v_cmpx_ne_u64_e32 0x7f800000, v[16:17]
	s_xor_b32 s74, exec_lo, s13
	s_cbranch_execz .LBB4_588
; %bb.575:                              ;   in Loop: Header=BB4_136 Depth=3
	v_and_b32_e32 v16, 0x7fffffff, v8
	v_mov_b32_e32 v17, v3
	v_and_b32_e32 v2, 0x80, v2
                                        ; implicit-def: $vgpr56
	s_mov_b32 s13, exec_lo
	s_delay_alu instid0(VALU_DEP_2)
	v_cmpx_gt_u64_e32 0x47600001, v[16:17]
	s_xor_b32 s75, exec_lo, s13
	s_cbranch_execz .LBB4_585
; %bb.576:                              ;   in Loop: Header=BB4_136 Depth=3
	v_mov_b32_e32 v56, 0
	s_mov_b32 s76, exec_lo
	v_cmpx_ne_u32_e32 0, v8
	s_cbranch_execz .LBB4_584
; %bb.577:                              ;   in Loop: Header=BB4_136 Depth=3
	v_bfe_u32 v16, v8, 23, 8
	v_or_b32_e32 v18, 0x800000, v4
	s_delay_alu instid0(VALU_DEP_2) | instskip(SKIP_1) | instid1(VALU_DEP_2)
	v_sub_nc_u32_e32 v8, 0x71, v16
	v_cmp_gt_u32_e32 vcc_lo, 0x72, v16
	v_cndmask_b32_e32 v8, 0, v8, vcc_lo
	v_cmp_eq_u32_e32 vcc_lo, 0, v16
	s_delay_alu instid0(VALU_DEP_2) | instskip(NEXT) | instid1(VALU_DEP_1)
	v_cndmask_b32_e64 v17, v8, 0x70, vcc_lo
	v_dual_cndmask_b32 v4, v18, v4, vcc_lo :: v_dual_add_nc_u32 v8, 21, v17
	v_add_nc_u32_e32 v19, 20, v17
	s_delay_alu instid0(VALU_DEP_2) | instskip(NEXT) | instid1(VALU_DEP_2)
	v_lshlrev_b64_e64 v[8:9], v8, -1
	v_lshlrev_b64_e64 v[18:19], v19, 1
	s_delay_alu instid0(VALU_DEP_2) | instskip(SKIP_1) | instid1(VALU_DEP_4)
	v_bfi_b32 v8, v8, 0, v4
	v_lshrrev_b64 v[4:5], v17, v[4:5]
	v_bfi_b32 v9, v9, 0, 0
	s_delay_alu instid0(VALU_DEP_1) | instskip(NEXT) | instid1(VALU_DEP_3)
	v_cmp_eq_u64_e64 s13, v[8:9], v[18:19]
	v_mov_b64_e32 v[8:9], v[4:5]
	s_and_saveexec_b32 s77, s13
; %bb.578:                              ;   in Loop: Header=BB4_136 Depth=3
	v_bfe_u32 v8, v4, 21, 1
	v_mov_b32_e32 v9, v3
	s_delay_alu instid0(VALU_DEP_1) | instskip(NEXT) | instid1(VALU_DEP_1)
	v_add_nc_u64_e32 v[8:9], v[4:5], v[8:9]
	v_add_nc_u64_e32 v[8:9], -1, v[8:9]
; %bb.579:                              ;   in Loop: Header=BB4_136 Depth=3
	s_or_b32 exec_lo, exec_lo, s77
	v_add_nc_u32_e32 v5, 0xffffff81, v16
	v_lshrrev_b32_e32 v9, 23, v4
	s_mov_b32 s13, exec_lo
	s_delay_alu instid0(VALU_DEP_2) | instskip(NEXT) | instid1(VALU_DEP_1)
	v_cndmask_b32_e64 v5, v5, 0xffffff82, vcc_lo
	v_add3_u32 v9, v17, v5, v9
	v_and_b32_e32 v5, 0x1fffff, v8
                                        ; implicit-def: $vgpr8
	s_delay_alu instid0(VALU_DEP_1) | instskip(SKIP_1) | instid1(VALU_DEP_2)
	v_dual_add_nc_u32 v16, 14, v9 :: v_dual_add_nc_u32 v4, v5, v4
	v_mov_b32_e32 v5, v3
	v_cmpx_ne_u32_e32 0, v16
	s_xor_b32 s13, exec_lo, s13
; %bb.580:                              ;   in Loop: Header=BB4_136 Depth=3
	s_delay_alu instid0(VALU_DEP_2) | instskip(SKIP_2) | instid1(VALU_DEP_2)
	v_cmp_lt_u64_e32 vcc_lo, 0xffffff, v[4:5]
	v_add_nc_u32_e32 v8, 15, v9
	v_cndmask_b32_e64 v9, 0, 1, vcc_lo
	v_cndmask_b32_e32 v8, v16, v8, vcc_lo
	s_delay_alu instid0(VALU_DEP_2)
	v_lshrrev_b64 v[4:5], v9, v[4:5]
; %bb.581:                              ;   in Loop: Header=BB4_136 Depth=3
	s_and_not1_saveexec_b32 s13, s13
; %bb.582:                              ;   in Loop: Header=BB4_136 Depth=3
	s_delay_alu instid0(VALU_DEP_1)
	v_bfe_u32 v8, v4, 23, 1
; %bb.583:                              ;   in Loop: Header=BB4_136 Depth=3
	s_or_b32 exec_lo, exec_lo, s13
	s_delay_alu instid0(VALU_DEP_2) | instskip(NEXT) | instid1(VALU_DEP_2)
	v_lshrrev_b64 v[4:5], 21, v[4:5]
	v_cmp_gt_i32_e32 vcc_lo, 32, v8
	v_min_i32_e32 v9, 31, v8
	v_cmp_eq_u32_e64 s13, 0, v8
	s_delay_alu instid0(VALU_DEP_4) | instskip(NEXT) | instid1(VALU_DEP_3)
	v_cndmask_b32_e32 v5, 0, v5, vcc_lo
	v_dual_cndmask_b32 v4, 3, v4 :: v_dual_lshlrev_b32 v9, 2, v9
	s_delay_alu instid0(VALU_DEP_1) | instskip(NEXT) | instid1(VALU_DEP_2)
	v_and_b32_e32 v9, 0xfc, v9
	v_cmp_eq_u64_e32 vcc_lo, 0, v[4:5]
	s_delay_alu instid0(VALU_DEP_2)
	v_and_or_b32 v4, v4, 3, v9
	s_and_b32 s13, s13, vcc_lo
	s_delay_alu instid0(VALU_DEP_1) | instid1(SALU_CYCLE_1)
	v_cndmask_b32_e64 v4, v4, 0, s13
	s_delay_alu instid0(VALU_DEP_1)
	v_or_b32_e32 v56, v4, v2
.LBB4_584:                              ;   in Loop: Header=BB4_136 Depth=3
	s_or_b32 exec_lo, exec_lo, s76
                                        ; implicit-def: $vgpr2
.LBB4_585:                              ;   in Loop: Header=BB4_136 Depth=3
	s_and_not1_saveexec_b32 s13, s75
; %bb.586:                              ;   in Loop: Header=BB4_136 Depth=3
	v_or_b32_e32 v56, 0x7b, v2
; %bb.587:                              ;   in Loop: Header=BB4_136 Depth=3
	s_or_b32 exec_lo, exec_lo, s13
                                        ; implicit-def: $vgpr8
                                        ; implicit-def: $vgpr4_vgpr5
                                        ; implicit-def: $vgpr2
.LBB4_588:                              ;   in Loop: Header=BB4_136 Depth=3
	s_and_not1_saveexec_b32 s13, s74
	s_cbranch_execz .LBB4_594
; %bb.589:                              ;   in Loop: Header=BB4_136 Depth=3
	s_mov_b32 s74, exec_lo
                                        ; implicit-def: $vgpr56
	v_cmpx_ne_u64_e32 0, v[4:5]
	s_xor_b32 s74, exec_lo, s74
; %bb.590:                              ;   in Loop: Header=BB4_136 Depth=3
	v_or_b32_e32 v56, 0x7f, v2
                                        ; implicit-def: $vgpr8
; %bb.591:                              ;   in Loop: Header=BB4_136 Depth=3
	s_and_not1_saveexec_b32 s74, s74
; %bb.592:                              ;   in Loop: Header=BB4_136 Depth=3
	v_cmp_lt_i32_e32 vcc_lo, -1, v8
	v_cndmask_b32_e32 v56, 0xfc, v49, vcc_lo
; %bb.593:                              ;   in Loop: Header=BB4_136 Depth=3
	s_or_b32 exec_lo, exec_lo, s74
.LBB4_594:                              ;   in Loop: Header=BB4_136 Depth=3
	s_delay_alu instid0(SALU_CYCLE_1)
	s_or_b32 exec_lo, exec_lo, s13
	v_mov_b32_e32 v4, 0
	s_mov_b32 s13, exec_lo
	v_cmpx_lt_u64_e64 s[22:23], v[10:11]
	s_cbranch_execz .LBB4_604
; %bb.595:                              ;   in Loop: Header=BB4_136 Depth=3
	v_lshrrev_b32_e32 v2, 24, v11
	v_bfrev_b32_e32 v4, 1
	s_mov_b32 s74, exec_lo
	s_delay_alu instid0(VALU_DEP_2)
	v_cmpx_ne_u32_e32 0x80, v2
	s_cbranch_execz .LBB4_603
; %bb.596:                              ;   in Loop: Header=BB4_136 Depth=3
	v_and_b32_e32 v4, 0x7c000000, v11
	v_bfe_u32 v5, v11, 24, 2
	s_delay_alu instid0(VALU_DEP_2) | instskip(SKIP_1) | instid1(SALU_CYCLE_1)
	v_cmp_ne_u32_e32 vcc_lo, 0x7c000000, v4
                                        ; implicit-def: $vgpr4
	s_and_saveexec_b32 s75, vcc_lo
	s_xor_b32 s75, exec_lo, s75
	s_cbranch_execz .LBB4_600
; %bb.597:                              ;   in Loop: Header=BB4_136 Depth=3
	v_bfe_u32 v4, v11, 26, 5
	s_mov_b32 s76, exec_lo
	s_delay_alu instid0(VALU_DEP_1)
	v_cmpx_eq_u32_e32 0, v4
; %bb.598:                              ;   in Loop: Header=BB4_136 Depth=3
	v_clz_i32_u32_e32 v4, v5
	s_delay_alu instid0(VALU_DEP_1) | instskip(NEXT) | instid1(VALU_DEP_1)
	v_min_u32_e32 v4, 32, v4
	v_subrev_nc_u32_e32 v5, 29, v4
	v_sub_nc_u32_e32 v4, 30, v4
	s_delay_alu instid0(VALU_DEP_2) | instskip(NEXT) | instid1(VALU_DEP_1)
	v_lshlrev_b64_e32 v[8:9], v5, v[2:3]
	v_and_b32_e32 v5, 3, v8
; %bb.599:                              ;   in Loop: Header=BB4_136 Depth=3
	s_or_b32 exec_lo, exec_lo, s76
	v_and_b32_e32 v2, 0x80000000, v11
                                        ; implicit-def: $vgpr10_vgpr11
	s_delay_alu instid0(VALU_DEP_1) | instskip(NEXT) | instid1(VALU_DEP_1)
	v_lshl_add_u32 v2, v4, 23, v2
	v_lshl_or_b32 v2, v5, 21, v2
                                        ; implicit-def: $vgpr5
	s_delay_alu instid0(VALU_DEP_1)
	v_add_nc_u32_e32 v4, 0x38000000, v2
.LBB4_600:                              ;   in Loop: Header=BB4_136 Depth=3
	s_and_not1_saveexec_b32 s75, s75
; %bb.601:                              ;   in Loop: Header=BB4_136 Depth=3
	v_cmp_lt_i64_e32 vcc_lo, -1, v[10:11]
	v_cndmask_b32_e32 v2, 0xff800000, v48, vcc_lo
	v_cmp_eq_u32_e32 vcc_lo, 0, v5
	s_delay_alu instid0(VALU_DEP_2)
	v_cndmask_b32_e32 v4, 0x7f800001, v2, vcc_lo
; %bb.602:                              ;   in Loop: Header=BB4_136 Depth=3
	s_or_b32 exec_lo, exec_lo, s75
.LBB4_603:                              ;   in Loop: Header=BB4_136 Depth=3
	s_delay_alu instid0(SALU_CYCLE_1)
	s_or_b32 exec_lo, exec_lo, s74
.LBB4_604:                              ;   in Loop: Header=BB4_136 Depth=3
	s_delay_alu instid0(SALU_CYCLE_1) | instskip(NEXT) | instid1(VALU_DEP_1)
	s_or_b32 exec_lo, exec_lo, s13
	v_dual_mul_f32 v8, s73, v4 :: v_dual_mov_b32 v11, v3
	v_mov_b32_e32 v5, v3
                                        ; implicit-def: $vgpr57
	s_mov_b32 s13, exec_lo
	s_delay_alu instid0(VALU_DEP_2) | instskip(SKIP_2) | instid1(VALU_DEP_3)
	v_and_b32_e32 v10, 0x7f800000, v8
	v_and_b32_e32 v4, 0x7fffff, v8
	v_lshrrev_b32_e32 v2, 24, v8
	v_cmpx_ne_u64_e32 0x7f800000, v[10:11]
	s_xor_b32 s74, exec_lo, s13
	s_cbranch_execz .LBB4_618
; %bb.605:                              ;   in Loop: Header=BB4_136 Depth=3
	v_and_b32_e32 v10, 0x7fffffff, v8
	v_mov_b32_e32 v11, v3
	v_and_b32_e32 v2, 0x80, v2
                                        ; implicit-def: $vgpr57
	s_mov_b32 s13, exec_lo
	s_delay_alu instid0(VALU_DEP_2)
	v_cmpx_gt_u64_e32 0x47600001, v[10:11]
	s_xor_b32 s75, exec_lo, s13
	s_cbranch_execz .LBB4_615
; %bb.606:                              ;   in Loop: Header=BB4_136 Depth=3
	v_mov_b32_e32 v57, 0
	s_mov_b32 s76, exec_lo
	v_cmpx_ne_u32_e32 0, v8
	s_cbranch_execz .LBB4_614
; %bb.607:                              ;   in Loop: Header=BB4_136 Depth=3
	v_bfe_u32 v10, v8, 23, 8
	v_or_b32_e32 v16, 0x800000, v4
	s_delay_alu instid0(VALU_DEP_2) | instskip(SKIP_1) | instid1(VALU_DEP_2)
	v_sub_nc_u32_e32 v8, 0x71, v10
	v_cmp_gt_u32_e32 vcc_lo, 0x72, v10
	v_cndmask_b32_e32 v8, 0, v8, vcc_lo
	v_cmp_eq_u32_e32 vcc_lo, 0, v10
	s_delay_alu instid0(VALU_DEP_2) | instskip(NEXT) | instid1(VALU_DEP_1)
	v_cndmask_b32_e64 v11, v8, 0x70, vcc_lo
	v_dual_cndmask_b32 v4, v16, v4, vcc_lo :: v_dual_add_nc_u32 v8, 21, v11
	v_add_nc_u32_e32 v17, 20, v11
	s_delay_alu instid0(VALU_DEP_2) | instskip(NEXT) | instid1(VALU_DEP_2)
	v_lshlrev_b64_e64 v[8:9], v8, -1
	v_lshlrev_b64_e64 v[16:17], v17, 1
	s_delay_alu instid0(VALU_DEP_2) | instskip(SKIP_1) | instid1(VALU_DEP_4)
	v_bfi_b32 v8, v8, 0, v4
	v_lshrrev_b64 v[4:5], v11, v[4:5]
	v_bfi_b32 v9, v9, 0, 0
	s_delay_alu instid0(VALU_DEP_1) | instskip(NEXT) | instid1(VALU_DEP_3)
	v_cmp_eq_u64_e64 s13, v[8:9], v[16:17]
	v_mov_b64_e32 v[8:9], v[4:5]
	s_and_saveexec_b32 s77, s13
; %bb.608:                              ;   in Loop: Header=BB4_136 Depth=3
	v_bfe_u32 v8, v4, 21, 1
	v_mov_b32_e32 v9, v3
	s_delay_alu instid0(VALU_DEP_1) | instskip(NEXT) | instid1(VALU_DEP_1)
	v_add_nc_u64_e32 v[8:9], v[4:5], v[8:9]
	v_add_nc_u64_e32 v[8:9], -1, v[8:9]
; %bb.609:                              ;   in Loop: Header=BB4_136 Depth=3
	s_or_b32 exec_lo, exec_lo, s77
	v_add_nc_u32_e32 v5, 0xffffff81, v10
	v_lshrrev_b32_e32 v9, 23, v4
	s_mov_b32 s13, exec_lo
	s_delay_alu instid0(VALU_DEP_2) | instskip(NEXT) | instid1(VALU_DEP_1)
	v_cndmask_b32_e64 v5, v5, 0xffffff82, vcc_lo
	v_add3_u32 v9, v11, v5, v9
	v_and_b32_e32 v5, 0x1fffff, v8
                                        ; implicit-def: $vgpr8
	s_delay_alu instid0(VALU_DEP_1) | instskip(SKIP_1) | instid1(VALU_DEP_2)
	v_dual_add_nc_u32 v10, 14, v9 :: v_dual_add_nc_u32 v4, v5, v4
	v_mov_b32_e32 v5, v3
	v_cmpx_ne_u32_e32 0, v10
	s_xor_b32 s13, exec_lo, s13
; %bb.610:                              ;   in Loop: Header=BB4_136 Depth=3
	s_delay_alu instid0(VALU_DEP_2) | instskip(SKIP_2) | instid1(VALU_DEP_2)
	v_cmp_lt_u64_e32 vcc_lo, 0xffffff, v[4:5]
	v_add_nc_u32_e32 v8, 15, v9
	v_cndmask_b32_e64 v9, 0, 1, vcc_lo
	v_cndmask_b32_e32 v8, v10, v8, vcc_lo
	s_delay_alu instid0(VALU_DEP_2)
	v_lshrrev_b64 v[4:5], v9, v[4:5]
; %bb.611:                              ;   in Loop: Header=BB4_136 Depth=3
	s_and_not1_saveexec_b32 s13, s13
; %bb.612:                              ;   in Loop: Header=BB4_136 Depth=3
	s_delay_alu instid0(VALU_DEP_1)
	v_bfe_u32 v8, v4, 23, 1
; %bb.613:                              ;   in Loop: Header=BB4_136 Depth=3
	s_or_b32 exec_lo, exec_lo, s13
	s_delay_alu instid0(VALU_DEP_2) | instskip(NEXT) | instid1(VALU_DEP_2)
	v_lshrrev_b64 v[4:5], 21, v[4:5]
	v_cmp_gt_i32_e32 vcc_lo, 32, v8
	v_min_i32_e32 v9, 31, v8
	v_cmp_eq_u32_e64 s13, 0, v8
	s_delay_alu instid0(VALU_DEP_4) | instskip(NEXT) | instid1(VALU_DEP_3)
	v_cndmask_b32_e32 v5, 0, v5, vcc_lo
	v_dual_cndmask_b32 v4, 3, v4 :: v_dual_lshlrev_b32 v9, 2, v9
	s_delay_alu instid0(VALU_DEP_1) | instskip(NEXT) | instid1(VALU_DEP_2)
	v_and_b32_e32 v9, 0xfc, v9
	v_cmp_eq_u64_e32 vcc_lo, 0, v[4:5]
	s_delay_alu instid0(VALU_DEP_2)
	v_and_or_b32 v4, v4, 3, v9
	s_and_b32 s13, s13, vcc_lo
	s_delay_alu instid0(VALU_DEP_1) | instid1(SALU_CYCLE_1)
	v_cndmask_b32_e64 v4, v4, 0, s13
	s_delay_alu instid0(VALU_DEP_1)
	v_or_b32_e32 v57, v4, v2
.LBB4_614:                              ;   in Loop: Header=BB4_136 Depth=3
	s_or_b32 exec_lo, exec_lo, s76
                                        ; implicit-def: $vgpr2
.LBB4_615:                              ;   in Loop: Header=BB4_136 Depth=3
	s_and_not1_saveexec_b32 s13, s75
; %bb.616:                              ;   in Loop: Header=BB4_136 Depth=3
	v_or_b32_e32 v57, 0x7b, v2
; %bb.617:                              ;   in Loop: Header=BB4_136 Depth=3
	s_or_b32 exec_lo, exec_lo, s13
                                        ; implicit-def: $vgpr8
                                        ; implicit-def: $vgpr4_vgpr5
                                        ; implicit-def: $vgpr2
.LBB4_618:                              ;   in Loop: Header=BB4_136 Depth=3
	s_and_not1_saveexec_b32 s13, s74
	s_cbranch_execz .LBB4_624
; %bb.619:                              ;   in Loop: Header=BB4_136 Depth=3
	s_mov_b32 s74, exec_lo
                                        ; implicit-def: $vgpr57
	v_cmpx_ne_u64_e32 0, v[4:5]
	s_xor_b32 s74, exec_lo, s74
; %bb.620:                              ;   in Loop: Header=BB4_136 Depth=3
	v_or_b32_e32 v57, 0x7f, v2
                                        ; implicit-def: $vgpr8
; %bb.621:                              ;   in Loop: Header=BB4_136 Depth=3
	s_and_not1_saveexec_b32 s74, s74
; %bb.622:                              ;   in Loop: Header=BB4_136 Depth=3
	v_cmp_lt_i32_e32 vcc_lo, -1, v8
	v_cndmask_b32_e32 v57, 0xfc, v49, vcc_lo
; %bb.623:                              ;   in Loop: Header=BB4_136 Depth=3
	s_or_b32 exec_lo, exec_lo, s74
.LBB4_624:                              ;   in Loop: Header=BB4_136 Depth=3
	s_delay_alu instid0(SALU_CYCLE_1) | instskip(SKIP_3) | instid1(VALU_DEP_1)
	s_or_b32 exec_lo, exec_lo, s13
	global_load_b128 v[8:11], v[42:43], off offset:512 th:TH_LOAD_NT
	s_wait_loadcnt 0x0
	v_and_b32_e32 v2, 0xff, v8
	v_cmp_ne_u16_e32 vcc_lo, 0, v2
	v_mov_b32_e32 v2, 0
	s_wait_xcnt 0x0
	s_and_saveexec_b32 s13, vcc_lo
	s_cbranch_execz .LBB4_634
; %bb.625:                              ;   in Loop: Header=BB4_136 Depth=3
	v_bfe_i32 v5, v8, 0, 8
	v_bfrev_b32_e32 v2, 1
	s_mov_b32 s74, exec_lo
	s_delay_alu instid0(VALU_DEP_2)
	v_cmpx_ne_u16_e32 0xff80, v5
	s_cbranch_execz .LBB4_633
; %bb.626:                              ;   in Loop: Header=BB4_136 Depth=3
	v_and_b32_e32 v2, 0x7c, v8
	v_and_b32_e32 v4, 3, v8
	s_delay_alu instid0(VALU_DEP_2) | instskip(SKIP_1) | instid1(SALU_CYCLE_1)
	v_cmp_ne_u32_e32 vcc_lo, 0x7c, v2
                                        ; implicit-def: $vgpr2
	s_and_saveexec_b32 s75, vcc_lo
	s_xor_b32 s75, exec_lo, s75
	s_cbranch_execz .LBB4_630
; %bb.627:                              ;   in Loop: Header=BB4_136 Depth=3
	v_bfe_u32 v2, v8, 2, 5
	s_mov_b32 s76, exec_lo
	s_delay_alu instid0(VALU_DEP_1)
	v_cmpx_eq_u32_e32 0, v2
; %bb.628:                              ;   in Loop: Header=BB4_136 Depth=3
	v_clz_i32_u32_e32 v2, v4
	s_delay_alu instid0(VALU_DEP_1) | instskip(NEXT) | instid1(VALU_DEP_1)
	v_min_u32_e32 v2, 32, v2
	v_subrev_nc_u32_e32 v4, 29, v2
	s_delay_alu instid0(VALU_DEP_1) | instskip(NEXT) | instid1(VALU_DEP_1)
	v_lshlrev_b64_e32 v[4:5], v4, v[8:9]
	v_dual_sub_nc_u32 v2, 30, v2 :: v_dual_bitop2_b32 v4, 3, v4 bitop3:0x40
; %bb.629:                              ;   in Loop: Header=BB4_136 Depth=3
	s_or_b32 exec_lo, exec_lo, s76
	v_lshlrev_b32_e32 v5, 24, v8
	s_delay_alu instid0(VALU_DEP_1) | instskip(NEXT) | instid1(VALU_DEP_1)
	v_and_b32_e32 v5, 0x80000000, v5
	v_lshl_add_u32 v2, v2, 23, v5
                                        ; implicit-def: $vgpr5
	s_delay_alu instid0(VALU_DEP_1) | instskip(NEXT) | instid1(VALU_DEP_1)
	v_lshl_or_b32 v2, v4, 21, v2
                                        ; implicit-def: $vgpr4
	v_add_nc_u32_e32 v2, 0x38000000, v2
.LBB4_630:                              ;   in Loop: Header=BB4_136 Depth=3
	s_and_not1_saveexec_b32 s75, s75
; %bb.631:                              ;   in Loop: Header=BB4_136 Depth=3
	v_cmp_lt_i16_e32 vcc_lo, -1, v5
	v_cndmask_b32_e32 v2, 0xff800000, v48, vcc_lo
	v_cmp_eq_u32_e32 vcc_lo, 0, v4
	s_delay_alu instid0(VALU_DEP_2)
	v_cndmask_b32_e32 v2, 0x7f800001, v2, vcc_lo
; %bb.632:                              ;   in Loop: Header=BB4_136 Depth=3
	s_or_b32 exec_lo, exec_lo, s75
.LBB4_633:                              ;   in Loop: Header=BB4_136 Depth=3
	s_delay_alu instid0(SALU_CYCLE_1)
	s_or_b32 exec_lo, exec_lo, s74
.LBB4_634:                              ;   in Loop: Header=BB4_136 Depth=3
	s_delay_alu instid0(SALU_CYCLE_1) | instskip(NEXT) | instid1(VALU_DEP_1)
	s_or_b32 exec_lo, exec_lo, s13
	v_dual_mul_f32 v16, s73, v2 :: v_dual_mov_b32 v19, v3
	v_mov_b32_e32 v5, v3
                                        ; implicit-def: $vgpr58
	s_mov_b32 s13, exec_lo
	s_delay_alu instid0(VALU_DEP_2) | instskip(SKIP_2) | instid1(VALU_DEP_3)
	v_and_b32_e32 v18, 0x7f800000, v16
	v_and_b32_e32 v4, 0x7fffff, v16
	v_lshrrev_b32_e32 v2, 24, v16
	v_cmpx_ne_u64_e32 0x7f800000, v[18:19]
	s_xor_b32 s74, exec_lo, s13
	s_cbranch_execz .LBB4_648
; %bb.635:                              ;   in Loop: Header=BB4_136 Depth=3
	v_and_b32_e32 v18, 0x7fffffff, v16
	v_mov_b32_e32 v19, v3
	v_and_b32_e32 v2, 0x80, v2
                                        ; implicit-def: $vgpr58
	s_mov_b32 s13, exec_lo
	s_delay_alu instid0(VALU_DEP_2)
	v_cmpx_gt_u64_e32 0x47600001, v[18:19]
	s_xor_b32 s75, exec_lo, s13
	s_cbranch_execz .LBB4_645
; %bb.636:                              ;   in Loop: Header=BB4_136 Depth=3
	v_mov_b32_e32 v58, 0
	s_mov_b32 s76, exec_lo
	v_cmpx_ne_u32_e32 0, v16
	s_cbranch_execz .LBB4_644
; %bb.637:                              ;   in Loop: Header=BB4_136 Depth=3
	v_bfe_u32 v18, v16, 23, 8
	v_or_b32_e32 v21, 0x800000, v4
	s_delay_alu instid0(VALU_DEP_2) | instskip(SKIP_1) | instid1(VALU_DEP_2)
	v_sub_nc_u32_e32 v16, 0x71, v18
	v_cmp_gt_u32_e32 vcc_lo, 0x72, v18
	v_cndmask_b32_e32 v16, 0, v16, vcc_lo
	v_cmp_eq_u32_e32 vcc_lo, 0, v18
	s_delay_alu instid0(VALU_DEP_2) | instskip(NEXT) | instid1(VALU_DEP_1)
	v_cndmask_b32_e64 v19, v16, 0x70, vcc_lo
	v_dual_cndmask_b32 v4, v21, v4, vcc_lo :: v_dual_add_nc_u32 v16, 21, v19
	v_add_nc_u32_e32 v66, 20, v19
	s_delay_alu instid0(VALU_DEP_2) | instskip(NEXT) | instid1(VALU_DEP_2)
	v_lshlrev_b64_e64 v[16:17], v16, -1
	v_lshlrev_b64_e64 v[66:67], v66, 1
	s_delay_alu instid0(VALU_DEP_2) | instskip(SKIP_1) | instid1(VALU_DEP_4)
	v_bfi_b32 v16, v16, 0, v4
	v_lshrrev_b64 v[4:5], v19, v[4:5]
	v_bfi_b32 v17, v17, 0, 0
	s_delay_alu instid0(VALU_DEP_1) | instskip(NEXT) | instid1(VALU_DEP_3)
	v_cmp_eq_u64_e64 s13, v[16:17], v[66:67]
	v_mov_b64_e32 v[16:17], v[4:5]
	s_and_saveexec_b32 s77, s13
; %bb.638:                              ;   in Loop: Header=BB4_136 Depth=3
	v_bfe_u32 v16, v4, 21, 1
	v_mov_b32_e32 v17, v3
	s_delay_alu instid0(VALU_DEP_1) | instskip(NEXT) | instid1(VALU_DEP_1)
	v_add_nc_u64_e32 v[16:17], v[4:5], v[16:17]
	v_add_nc_u64_e32 v[16:17], -1, v[16:17]
; %bb.639:                              ;   in Loop: Header=BB4_136 Depth=3
	s_or_b32 exec_lo, exec_lo, s77
	v_add_nc_u32_e32 v5, 0xffffff81, v18
	v_lshrrev_b32_e32 v17, 23, v4
	s_mov_b32 s13, exec_lo
	s_delay_alu instid0(VALU_DEP_2) | instskip(NEXT) | instid1(VALU_DEP_1)
	v_cndmask_b32_e64 v5, v5, 0xffffff82, vcc_lo
	v_add3_u32 v17, v19, v5, v17
	v_and_b32_e32 v5, 0x1fffff, v16
                                        ; implicit-def: $vgpr16
	s_delay_alu instid0(VALU_DEP_1) | instskip(SKIP_1) | instid1(VALU_DEP_2)
	v_dual_add_nc_u32 v18, 14, v17 :: v_dual_add_nc_u32 v4, v5, v4
	v_mov_b32_e32 v5, v3
	v_cmpx_ne_u32_e32 0, v18
	s_xor_b32 s13, exec_lo, s13
; %bb.640:                              ;   in Loop: Header=BB4_136 Depth=3
	s_delay_alu instid0(VALU_DEP_2) | instskip(SKIP_2) | instid1(VALU_DEP_2)
	v_cmp_lt_u64_e32 vcc_lo, 0xffffff, v[4:5]
	v_add_nc_u32_e32 v16, 15, v17
	v_cndmask_b32_e64 v17, 0, 1, vcc_lo
	v_cndmask_b32_e32 v16, v18, v16, vcc_lo
	s_delay_alu instid0(VALU_DEP_2)
	v_lshrrev_b64 v[4:5], v17, v[4:5]
; %bb.641:                              ;   in Loop: Header=BB4_136 Depth=3
	s_and_not1_saveexec_b32 s13, s13
; %bb.642:                              ;   in Loop: Header=BB4_136 Depth=3
	s_delay_alu instid0(VALU_DEP_1)
	v_bfe_u32 v16, v4, 23, 1
; %bb.643:                              ;   in Loop: Header=BB4_136 Depth=3
	s_or_b32 exec_lo, exec_lo, s13
	s_delay_alu instid0(VALU_DEP_2) | instskip(NEXT) | instid1(VALU_DEP_2)
	v_lshrrev_b64 v[4:5], 21, v[4:5]
	v_cmp_gt_i32_e32 vcc_lo, 32, v16
	v_min_i32_e32 v17, 31, v16
	v_cmp_eq_u32_e64 s13, 0, v16
	s_delay_alu instid0(VALU_DEP_4) | instskip(NEXT) | instid1(VALU_DEP_3)
	v_cndmask_b32_e32 v5, 0, v5, vcc_lo
	v_dual_cndmask_b32 v4, 3, v4 :: v_dual_lshlrev_b32 v17, 2, v17
	s_delay_alu instid0(VALU_DEP_1) | instskip(NEXT) | instid1(VALU_DEP_2)
	v_and_b32_e32 v17, 0xfc, v17
	v_cmp_eq_u64_e32 vcc_lo, 0, v[4:5]
	s_delay_alu instid0(VALU_DEP_2)
	v_and_or_b32 v4, v4, 3, v17
	s_and_b32 s13, s13, vcc_lo
	s_delay_alu instid0(VALU_DEP_1) | instid1(SALU_CYCLE_1)
	v_cndmask_b32_e64 v4, v4, 0, s13
	s_delay_alu instid0(VALU_DEP_1)
	v_or_b32_e32 v58, v4, v2
.LBB4_644:                              ;   in Loop: Header=BB4_136 Depth=3
	s_or_b32 exec_lo, exec_lo, s76
                                        ; implicit-def: $vgpr2
.LBB4_645:                              ;   in Loop: Header=BB4_136 Depth=3
	s_and_not1_saveexec_b32 s13, s75
; %bb.646:                              ;   in Loop: Header=BB4_136 Depth=3
	v_or_b32_e32 v58, 0x7b, v2
; %bb.647:                              ;   in Loop: Header=BB4_136 Depth=3
	s_or_b32 exec_lo, exec_lo, s13
                                        ; implicit-def: $vgpr16
                                        ; implicit-def: $vgpr4_vgpr5
                                        ; implicit-def: $vgpr2
.LBB4_648:                              ;   in Loop: Header=BB4_136 Depth=3
	s_and_not1_saveexec_b32 s13, s74
	s_cbranch_execz .LBB4_654
; %bb.649:                              ;   in Loop: Header=BB4_136 Depth=3
	s_mov_b32 s74, exec_lo
                                        ; implicit-def: $vgpr58
	v_cmpx_ne_u64_e32 0, v[4:5]
	s_xor_b32 s74, exec_lo, s74
; %bb.650:                              ;   in Loop: Header=BB4_136 Depth=3
	v_or_b32_e32 v58, 0x7f, v2
                                        ; implicit-def: $vgpr16
; %bb.651:                              ;   in Loop: Header=BB4_136 Depth=3
	s_and_not1_saveexec_b32 s74, s74
; %bb.652:                              ;   in Loop: Header=BB4_136 Depth=3
	v_cmp_lt_i32_e32 vcc_lo, -1, v16
	v_cndmask_b32_e32 v58, 0xfc, v49, vcc_lo
; %bb.653:                              ;   in Loop: Header=BB4_136 Depth=3
	s_or_b32 exec_lo, exec_lo, s74
.LBB4_654:                              ;   in Loop: Header=BB4_136 Depth=3
	s_delay_alu instid0(SALU_CYCLE_1) | instskip(SKIP_3) | instid1(VALU_DEP_2)
	s_or_b32 exec_lo, exec_lo, s13
	v_lshrrev_b16 v4, 8, v8
	v_mov_b32_e32 v5, 0
	s_mov_b32 s13, exec_lo
	v_cmpx_ne_u16_e32 0, v4
	s_cbranch_execz .LBB4_664
; %bb.655:                              ;   in Loop: Header=BB4_136 Depth=3
	v_bfrev_b32_e32 v5, 1
	s_mov_b32 s74, exec_lo
	v_cmpx_ne_u16_e32 0x80, v4
	s_cbranch_execz .LBB4_663
; %bb.656:                              ;   in Loop: Header=BB4_136 Depth=3
	v_and_b32_e32 v16, 0xffff, v4
	s_delay_alu instid0(VALU_DEP_1) | instskip(SKIP_1) | instid1(VALU_DEP_2)
	v_and_b32_e32 v5, 0x7c, v16
	v_and_b32_e32 v2, 3, v16
	v_cmp_ne_u32_e32 vcc_lo, 0x7c, v5
                                        ; implicit-def: $vgpr5
	s_and_saveexec_b32 s75, vcc_lo
	s_delay_alu instid0(SALU_CYCLE_1)
	s_xor_b32 s75, exec_lo, s75
	s_cbranch_execz .LBB4_660
; %bb.657:                              ;   in Loop: Header=BB4_136 Depth=3
	v_bfe_u32 v5, v16, 2, 5
	s_mov_b32 s76, exec_lo
	s_delay_alu instid0(VALU_DEP_1)
	v_cmpx_eq_u32_e32 0, v5
; %bb.658:                              ;   in Loop: Header=BB4_136 Depth=3
	v_clz_i32_u32_e32 v2, v2
	v_mov_b32_e32 v5, v3
	s_delay_alu instid0(VALU_DEP_2) | instskip(NEXT) | instid1(VALU_DEP_1)
	v_min_u32_e32 v2, 32, v2
	v_subrev_nc_u32_e32 v16, 29, v2
	s_delay_alu instid0(VALU_DEP_1) | instskip(NEXT) | instid1(VALU_DEP_1)
	v_lshlrev_b64_e32 v[4:5], v16, v[4:5]
	v_dual_sub_nc_u32 v5, 30, v2 :: v_dual_bitop2_b32 v2, 3, v4 bitop3:0x40
; %bb.659:                              ;   in Loop: Header=BB4_136 Depth=3
	s_or_b32 exec_lo, exec_lo, s76
	v_lshlrev_b32_e32 v4, 16, v8
	s_delay_alu instid0(VALU_DEP_1) | instskip(NEXT) | instid1(VALU_DEP_1)
	v_and_b32_e32 v4, 0x80000000, v4
	v_lshl_add_u32 v4, v5, 23, v4
	s_delay_alu instid0(VALU_DEP_1) | instskip(NEXT) | instid1(VALU_DEP_1)
	v_lshl_or_b32 v2, v2, 21, v4
	v_add_nc_u32_e32 v5, 0x38000000, v2
                                        ; implicit-def: $vgpr2
.LBB4_660:                              ;   in Loop: Header=BB4_136 Depth=3
	s_and_not1_saveexec_b32 s75, s75
; %bb.661:                              ;   in Loop: Header=BB4_136 Depth=3
	v_cmp_lt_i16_e32 vcc_lo, -1, v8
	v_cndmask_b32_e32 v4, 0xff800000, v48, vcc_lo
	v_cmp_eq_u32_e32 vcc_lo, 0, v2
	s_delay_alu instid0(VALU_DEP_2)
	v_cndmask_b32_e32 v5, 0x7f800001, v4, vcc_lo
; %bb.662:                              ;   in Loop: Header=BB4_136 Depth=3
	s_or_b32 exec_lo, exec_lo, s75
.LBB4_663:                              ;   in Loop: Header=BB4_136 Depth=3
	s_delay_alu instid0(SALU_CYCLE_1)
	s_or_b32 exec_lo, exec_lo, s74
.LBB4_664:                              ;   in Loop: Header=BB4_136 Depth=3
	s_delay_alu instid0(SALU_CYCLE_1) | instskip(NEXT) | instid1(VALU_DEP_1)
	s_or_b32 exec_lo, exec_lo, s13
	v_dual_mul_f32 v16, s73, v5 :: v_dual_mov_b32 v19, v3
	v_mov_b32_e32 v5, v3
                                        ; implicit-def: $vgpr59
	s_mov_b32 s13, exec_lo
	s_delay_alu instid0(VALU_DEP_2) | instskip(SKIP_2) | instid1(VALU_DEP_3)
	v_and_b32_e32 v18, 0x7f800000, v16
	v_and_b32_e32 v4, 0x7fffff, v16
	v_lshrrev_b32_e32 v2, 24, v16
	v_cmpx_ne_u64_e32 0x7f800000, v[18:19]
	s_xor_b32 s74, exec_lo, s13
	s_cbranch_execz .LBB4_678
; %bb.665:                              ;   in Loop: Header=BB4_136 Depth=3
	v_and_b32_e32 v18, 0x7fffffff, v16
	v_mov_b32_e32 v19, v3
	v_and_b32_e32 v2, 0x80, v2
                                        ; implicit-def: $vgpr59
	s_mov_b32 s13, exec_lo
	s_delay_alu instid0(VALU_DEP_2)
	v_cmpx_gt_u64_e32 0x47600001, v[18:19]
	s_xor_b32 s75, exec_lo, s13
	s_cbranch_execz .LBB4_675
; %bb.666:                              ;   in Loop: Header=BB4_136 Depth=3
	v_mov_b32_e32 v59, 0
	s_mov_b32 s76, exec_lo
	v_cmpx_ne_u32_e32 0, v16
	s_cbranch_execz .LBB4_674
; %bb.667:                              ;   in Loop: Header=BB4_136 Depth=3
	v_bfe_u32 v18, v16, 23, 8
	v_or_b32_e32 v21, 0x800000, v4
	s_delay_alu instid0(VALU_DEP_2) | instskip(SKIP_1) | instid1(VALU_DEP_2)
	v_sub_nc_u32_e32 v16, 0x71, v18
	v_cmp_gt_u32_e32 vcc_lo, 0x72, v18
	v_cndmask_b32_e32 v16, 0, v16, vcc_lo
	v_cmp_eq_u32_e32 vcc_lo, 0, v18
	s_delay_alu instid0(VALU_DEP_2) | instskip(NEXT) | instid1(VALU_DEP_1)
	v_cndmask_b32_e64 v19, v16, 0x70, vcc_lo
	v_dual_cndmask_b32 v4, v21, v4, vcc_lo :: v_dual_add_nc_u32 v16, 21, v19
	v_add_nc_u32_e32 v66, 20, v19
	s_delay_alu instid0(VALU_DEP_2) | instskip(NEXT) | instid1(VALU_DEP_2)
	v_lshlrev_b64_e64 v[16:17], v16, -1
	v_lshlrev_b64_e64 v[66:67], v66, 1
	s_delay_alu instid0(VALU_DEP_2) | instskip(SKIP_1) | instid1(VALU_DEP_4)
	v_bfi_b32 v16, v16, 0, v4
	v_lshrrev_b64 v[4:5], v19, v[4:5]
	v_bfi_b32 v17, v17, 0, 0
	s_delay_alu instid0(VALU_DEP_1) | instskip(NEXT) | instid1(VALU_DEP_3)
	v_cmp_eq_u64_e64 s13, v[16:17], v[66:67]
	v_mov_b64_e32 v[16:17], v[4:5]
	s_and_saveexec_b32 s77, s13
; %bb.668:                              ;   in Loop: Header=BB4_136 Depth=3
	v_bfe_u32 v16, v4, 21, 1
	v_mov_b32_e32 v17, v3
	s_delay_alu instid0(VALU_DEP_1) | instskip(NEXT) | instid1(VALU_DEP_1)
	v_add_nc_u64_e32 v[16:17], v[4:5], v[16:17]
	v_add_nc_u64_e32 v[16:17], -1, v[16:17]
; %bb.669:                              ;   in Loop: Header=BB4_136 Depth=3
	s_or_b32 exec_lo, exec_lo, s77
	v_add_nc_u32_e32 v5, 0xffffff81, v18
	v_lshrrev_b32_e32 v17, 23, v4
	s_mov_b32 s13, exec_lo
	s_delay_alu instid0(VALU_DEP_2) | instskip(NEXT) | instid1(VALU_DEP_1)
	v_cndmask_b32_e64 v5, v5, 0xffffff82, vcc_lo
	v_add3_u32 v17, v19, v5, v17
	v_and_b32_e32 v5, 0x1fffff, v16
                                        ; implicit-def: $vgpr16
	s_delay_alu instid0(VALU_DEP_1) | instskip(SKIP_1) | instid1(VALU_DEP_2)
	v_dual_add_nc_u32 v18, 14, v17 :: v_dual_add_nc_u32 v4, v5, v4
	v_mov_b32_e32 v5, v3
	v_cmpx_ne_u32_e32 0, v18
	s_xor_b32 s13, exec_lo, s13
; %bb.670:                              ;   in Loop: Header=BB4_136 Depth=3
	s_delay_alu instid0(VALU_DEP_2) | instskip(SKIP_2) | instid1(VALU_DEP_2)
	v_cmp_lt_u64_e32 vcc_lo, 0xffffff, v[4:5]
	v_add_nc_u32_e32 v16, 15, v17
	v_cndmask_b32_e64 v17, 0, 1, vcc_lo
	v_cndmask_b32_e32 v16, v18, v16, vcc_lo
	s_delay_alu instid0(VALU_DEP_2)
	v_lshrrev_b64 v[4:5], v17, v[4:5]
; %bb.671:                              ;   in Loop: Header=BB4_136 Depth=3
	s_and_not1_saveexec_b32 s13, s13
; %bb.672:                              ;   in Loop: Header=BB4_136 Depth=3
	s_delay_alu instid0(VALU_DEP_1)
	v_bfe_u32 v16, v4, 23, 1
; %bb.673:                              ;   in Loop: Header=BB4_136 Depth=3
	s_or_b32 exec_lo, exec_lo, s13
	s_delay_alu instid0(VALU_DEP_2) | instskip(NEXT) | instid1(VALU_DEP_2)
	v_lshrrev_b64 v[4:5], 21, v[4:5]
	v_cmp_gt_i32_e32 vcc_lo, 32, v16
	v_min_i32_e32 v17, 31, v16
	v_cmp_eq_u32_e64 s13, 0, v16
	s_delay_alu instid0(VALU_DEP_4) | instskip(NEXT) | instid1(VALU_DEP_3)
	v_cndmask_b32_e32 v5, 0, v5, vcc_lo
	v_dual_cndmask_b32 v4, 3, v4 :: v_dual_lshlrev_b32 v17, 2, v17
	s_delay_alu instid0(VALU_DEP_1) | instskip(NEXT) | instid1(VALU_DEP_2)
	v_and_b32_e32 v17, 0xfc, v17
	v_cmp_eq_u64_e32 vcc_lo, 0, v[4:5]
	s_delay_alu instid0(VALU_DEP_2)
	v_and_or_b32 v4, v4, 3, v17
	s_and_b32 s13, s13, vcc_lo
	s_delay_alu instid0(VALU_DEP_1) | instid1(SALU_CYCLE_1)
	v_cndmask_b32_e64 v4, v4, 0, s13
	s_delay_alu instid0(VALU_DEP_1)
	v_or_b32_e32 v59, v4, v2
.LBB4_674:                              ;   in Loop: Header=BB4_136 Depth=3
	s_or_b32 exec_lo, exec_lo, s76
                                        ; implicit-def: $vgpr2
.LBB4_675:                              ;   in Loop: Header=BB4_136 Depth=3
	s_and_not1_saveexec_b32 s13, s75
; %bb.676:                              ;   in Loop: Header=BB4_136 Depth=3
	v_or_b32_e32 v59, 0x7b, v2
; %bb.677:                              ;   in Loop: Header=BB4_136 Depth=3
	s_or_b32 exec_lo, exec_lo, s13
                                        ; implicit-def: $vgpr16
                                        ; implicit-def: $vgpr4_vgpr5
                                        ; implicit-def: $vgpr2
.LBB4_678:                              ;   in Loop: Header=BB4_136 Depth=3
	s_and_not1_saveexec_b32 s13, s74
	s_cbranch_execz .LBB4_684
; %bb.679:                              ;   in Loop: Header=BB4_136 Depth=3
	s_mov_b32 s74, exec_lo
                                        ; implicit-def: $vgpr59
	v_cmpx_ne_u64_e32 0, v[4:5]
	s_xor_b32 s74, exec_lo, s74
; %bb.680:                              ;   in Loop: Header=BB4_136 Depth=3
	v_or_b32_e32 v59, 0x7f, v2
                                        ; implicit-def: $vgpr16
; %bb.681:                              ;   in Loop: Header=BB4_136 Depth=3
	s_and_not1_saveexec_b32 s74, s74
; %bb.682:                              ;   in Loop: Header=BB4_136 Depth=3
	v_cmp_lt_i32_e32 vcc_lo, -1, v16
	v_cndmask_b32_e32 v59, 0xfc, v49, vcc_lo
; %bb.683:                              ;   in Loop: Header=BB4_136 Depth=3
	s_or_b32 exec_lo, exec_lo, s74
.LBB4_684:                              ;   in Loop: Header=BB4_136 Depth=3
	s_delay_alu instid0(SALU_CYCLE_1) | instskip(SKIP_2) | instid1(VALU_DEP_1)
	s_or_b32 exec_lo, exec_lo, s13
	v_dual_mov_b32 v5, 0 :: v_dual_lshrrev_b32 v2, 16, v8
	s_mov_b32 s13, exec_lo
	v_and_b32_e32 v4, 0xff, v2
	s_delay_alu instid0(VALU_DEP_1)
	v_cmpx_ne_u16_e32 0, v4
	s_cbranch_execz .LBB4_694
; %bb.685:                              ;   in Loop: Header=BB4_136 Depth=3
	v_bfrev_b32_e32 v5, 1
	s_mov_b32 s74, exec_lo
	v_cmpx_ne_u16_e32 0x80, v4
	s_cbranch_execz .LBB4_693
; %bb.686:                              ;   in Loop: Header=BB4_136 Depth=3
	v_and_b32_e32 v5, 0x7c0000, v8
	v_bfe_u32 v4, v8, 16, 2
	s_delay_alu instid0(VALU_DEP_2) | instskip(SKIP_1) | instid1(SALU_CYCLE_1)
	v_cmp_ne_u32_e32 vcc_lo, 0x7c0000, v5
                                        ; implicit-def: $vgpr5
	s_and_saveexec_b32 s75, vcc_lo
	s_xor_b32 s75, exec_lo, s75
	s_cbranch_execz .LBB4_690
; %bb.687:                              ;   in Loop: Header=BB4_136 Depth=3
	v_bfe_u32 v5, v8, 18, 5
	s_mov_b32 s76, exec_lo
	s_delay_alu instid0(VALU_DEP_1)
	v_cmpx_eq_u32_e32 0, v5
; %bb.688:                              ;   in Loop: Header=BB4_136 Depth=3
	v_clz_i32_u32_e32 v4, v4
	s_delay_alu instid0(VALU_DEP_1) | instskip(NEXT) | instid1(VALU_DEP_1)
	v_min_u32_e32 v16, 32, v4
	v_subrev_nc_u32_e32 v4, 29, v16
	s_delay_alu instid0(VALU_DEP_1) | instskip(SKIP_1) | instid1(VALU_DEP_2)
	v_lshlrev_b64_e32 v[4:5], v4, v[2:3]
	v_sub_nc_u32_e32 v5, 30, v16
	v_and_b32_e32 v4, 3, v4
; %bb.689:                              ;   in Loop: Header=BB4_136 Depth=3
	s_or_b32 exec_lo, exec_lo, s76
	v_lshlrev_b32_e32 v2, 24, v2
	s_delay_alu instid0(VALU_DEP_1) | instskip(NEXT) | instid1(VALU_DEP_1)
	v_and_b32_e32 v2, 0x80000000, v2
	v_lshl_add_u32 v2, v5, 23, v2
	s_delay_alu instid0(VALU_DEP_1) | instskip(NEXT) | instid1(VALU_DEP_1)
	v_lshl_or_b32 v2, v4, 21, v2
                                        ; implicit-def: $vgpr4
	v_add_nc_u32_e32 v5, 0x38000000, v2
                                        ; implicit-def: $vgpr2
.LBB4_690:                              ;   in Loop: Header=BB4_136 Depth=3
	s_and_not1_saveexec_b32 s75, s75
; %bb.691:                              ;   in Loop: Header=BB4_136 Depth=3
	v_bfe_i32 v2, v2, 0, 8
	s_delay_alu instid0(VALU_DEP_1) | instskip(SKIP_2) | instid1(VALU_DEP_2)
	v_cmp_lt_i16_e32 vcc_lo, -1, v2
	v_cndmask_b32_e32 v2, 0xff800000, v48, vcc_lo
	v_cmp_eq_u32_e32 vcc_lo, 0, v4
	v_cndmask_b32_e32 v5, 0x7f800001, v2, vcc_lo
; %bb.692:                              ;   in Loop: Header=BB4_136 Depth=3
	s_or_b32 exec_lo, exec_lo, s75
.LBB4_693:                              ;   in Loop: Header=BB4_136 Depth=3
	s_delay_alu instid0(SALU_CYCLE_1)
	s_or_b32 exec_lo, exec_lo, s74
.LBB4_694:                              ;   in Loop: Header=BB4_136 Depth=3
	s_delay_alu instid0(SALU_CYCLE_1) | instskip(NEXT) | instid1(VALU_DEP_1)
	s_or_b32 exec_lo, exec_lo, s13
	v_dual_mul_f32 v16, s73, v5 :: v_dual_mov_b32 v19, v3
	v_mov_b32_e32 v5, v3
                                        ; implicit-def: $vgpr60
	s_mov_b32 s13, exec_lo
	s_delay_alu instid0(VALU_DEP_2) | instskip(SKIP_2) | instid1(VALU_DEP_3)
	v_and_b32_e32 v18, 0x7f800000, v16
	v_and_b32_e32 v4, 0x7fffff, v16
	v_lshrrev_b32_e32 v2, 24, v16
	v_cmpx_ne_u64_e32 0x7f800000, v[18:19]
	s_xor_b32 s74, exec_lo, s13
	s_cbranch_execz .LBB4_708
; %bb.695:                              ;   in Loop: Header=BB4_136 Depth=3
	v_and_b32_e32 v18, 0x7fffffff, v16
	v_mov_b32_e32 v19, v3
	v_and_b32_e32 v2, 0x80, v2
                                        ; implicit-def: $vgpr60
	s_mov_b32 s13, exec_lo
	s_delay_alu instid0(VALU_DEP_2)
	v_cmpx_gt_u64_e32 0x47600001, v[18:19]
	s_xor_b32 s75, exec_lo, s13
	s_cbranch_execz .LBB4_705
; %bb.696:                              ;   in Loop: Header=BB4_136 Depth=3
	v_mov_b32_e32 v60, 0
	s_mov_b32 s76, exec_lo
	v_cmpx_ne_u32_e32 0, v16
	s_cbranch_execz .LBB4_704
; %bb.697:                              ;   in Loop: Header=BB4_136 Depth=3
	v_bfe_u32 v18, v16, 23, 8
	v_or_b32_e32 v21, 0x800000, v4
	s_delay_alu instid0(VALU_DEP_2) | instskip(SKIP_1) | instid1(VALU_DEP_2)
	v_sub_nc_u32_e32 v16, 0x71, v18
	v_cmp_gt_u32_e32 vcc_lo, 0x72, v18
	v_cndmask_b32_e32 v16, 0, v16, vcc_lo
	v_cmp_eq_u32_e32 vcc_lo, 0, v18
	s_delay_alu instid0(VALU_DEP_2) | instskip(NEXT) | instid1(VALU_DEP_1)
	v_cndmask_b32_e64 v19, v16, 0x70, vcc_lo
	v_dual_cndmask_b32 v4, v21, v4, vcc_lo :: v_dual_add_nc_u32 v16, 21, v19
	v_add_nc_u32_e32 v66, 20, v19
	s_delay_alu instid0(VALU_DEP_2) | instskip(NEXT) | instid1(VALU_DEP_2)
	v_lshlrev_b64_e64 v[16:17], v16, -1
	v_lshlrev_b64_e64 v[66:67], v66, 1
	s_delay_alu instid0(VALU_DEP_2) | instskip(SKIP_1) | instid1(VALU_DEP_4)
	v_bfi_b32 v16, v16, 0, v4
	v_lshrrev_b64 v[4:5], v19, v[4:5]
	v_bfi_b32 v17, v17, 0, 0
	s_delay_alu instid0(VALU_DEP_1) | instskip(NEXT) | instid1(VALU_DEP_3)
	v_cmp_eq_u64_e64 s13, v[16:17], v[66:67]
	v_mov_b64_e32 v[16:17], v[4:5]
	s_and_saveexec_b32 s77, s13
; %bb.698:                              ;   in Loop: Header=BB4_136 Depth=3
	v_bfe_u32 v16, v4, 21, 1
	v_mov_b32_e32 v17, v3
	s_delay_alu instid0(VALU_DEP_1) | instskip(NEXT) | instid1(VALU_DEP_1)
	v_add_nc_u64_e32 v[16:17], v[4:5], v[16:17]
	v_add_nc_u64_e32 v[16:17], -1, v[16:17]
; %bb.699:                              ;   in Loop: Header=BB4_136 Depth=3
	s_or_b32 exec_lo, exec_lo, s77
	v_add_nc_u32_e32 v5, 0xffffff81, v18
	v_lshrrev_b32_e32 v17, 23, v4
	s_mov_b32 s13, exec_lo
	s_delay_alu instid0(VALU_DEP_2) | instskip(NEXT) | instid1(VALU_DEP_1)
	v_cndmask_b32_e64 v5, v5, 0xffffff82, vcc_lo
	v_add3_u32 v17, v19, v5, v17
	v_and_b32_e32 v5, 0x1fffff, v16
                                        ; implicit-def: $vgpr16
	s_delay_alu instid0(VALU_DEP_1) | instskip(SKIP_1) | instid1(VALU_DEP_2)
	v_dual_add_nc_u32 v18, 14, v17 :: v_dual_add_nc_u32 v4, v5, v4
	v_mov_b32_e32 v5, v3
	v_cmpx_ne_u32_e32 0, v18
	s_xor_b32 s13, exec_lo, s13
; %bb.700:                              ;   in Loop: Header=BB4_136 Depth=3
	s_delay_alu instid0(VALU_DEP_2) | instskip(SKIP_2) | instid1(VALU_DEP_2)
	v_cmp_lt_u64_e32 vcc_lo, 0xffffff, v[4:5]
	v_add_nc_u32_e32 v16, 15, v17
	v_cndmask_b32_e64 v17, 0, 1, vcc_lo
	v_cndmask_b32_e32 v16, v18, v16, vcc_lo
	s_delay_alu instid0(VALU_DEP_2)
	v_lshrrev_b64 v[4:5], v17, v[4:5]
; %bb.701:                              ;   in Loop: Header=BB4_136 Depth=3
	s_and_not1_saveexec_b32 s13, s13
; %bb.702:                              ;   in Loop: Header=BB4_136 Depth=3
	s_delay_alu instid0(VALU_DEP_1)
	v_bfe_u32 v16, v4, 23, 1
; %bb.703:                              ;   in Loop: Header=BB4_136 Depth=3
	s_or_b32 exec_lo, exec_lo, s13
	s_delay_alu instid0(VALU_DEP_2) | instskip(NEXT) | instid1(VALU_DEP_2)
	v_lshrrev_b64 v[4:5], 21, v[4:5]
	v_cmp_gt_i32_e32 vcc_lo, 32, v16
	v_min_i32_e32 v17, 31, v16
	v_cmp_eq_u32_e64 s13, 0, v16
	s_delay_alu instid0(VALU_DEP_4) | instskip(NEXT) | instid1(VALU_DEP_3)
	v_cndmask_b32_e32 v5, 0, v5, vcc_lo
	v_dual_cndmask_b32 v4, 3, v4 :: v_dual_lshlrev_b32 v17, 2, v17
	s_delay_alu instid0(VALU_DEP_1) | instskip(NEXT) | instid1(VALU_DEP_2)
	v_and_b32_e32 v17, 0xfc, v17
	v_cmp_eq_u64_e32 vcc_lo, 0, v[4:5]
	s_delay_alu instid0(VALU_DEP_2)
	v_and_or_b32 v4, v4, 3, v17
	s_and_b32 s13, s13, vcc_lo
	s_delay_alu instid0(VALU_DEP_1) | instid1(SALU_CYCLE_1)
	v_cndmask_b32_e64 v4, v4, 0, s13
	s_delay_alu instid0(VALU_DEP_1)
	v_or_b32_e32 v60, v4, v2
.LBB4_704:                              ;   in Loop: Header=BB4_136 Depth=3
	s_or_b32 exec_lo, exec_lo, s76
                                        ; implicit-def: $vgpr2
.LBB4_705:                              ;   in Loop: Header=BB4_136 Depth=3
	s_and_not1_saveexec_b32 s13, s75
; %bb.706:                              ;   in Loop: Header=BB4_136 Depth=3
	v_or_b32_e32 v60, 0x7b, v2
; %bb.707:                              ;   in Loop: Header=BB4_136 Depth=3
	s_or_b32 exec_lo, exec_lo, s13
                                        ; implicit-def: $vgpr16
                                        ; implicit-def: $vgpr4_vgpr5
                                        ; implicit-def: $vgpr2
.LBB4_708:                              ;   in Loop: Header=BB4_136 Depth=3
	s_and_not1_saveexec_b32 s13, s74
	s_cbranch_execz .LBB4_714
; %bb.709:                              ;   in Loop: Header=BB4_136 Depth=3
	s_mov_b32 s74, exec_lo
                                        ; implicit-def: $vgpr60
	v_cmpx_ne_u64_e32 0, v[4:5]
	s_xor_b32 s74, exec_lo, s74
; %bb.710:                              ;   in Loop: Header=BB4_136 Depth=3
	v_or_b32_e32 v60, 0x7f, v2
                                        ; implicit-def: $vgpr16
; %bb.711:                              ;   in Loop: Header=BB4_136 Depth=3
	s_and_not1_saveexec_b32 s74, s74
; %bb.712:                              ;   in Loop: Header=BB4_136 Depth=3
	v_cmp_lt_i32_e32 vcc_lo, -1, v16
	v_cndmask_b32_e32 v60, 0xfc, v49, vcc_lo
; %bb.713:                              ;   in Loop: Header=BB4_136 Depth=3
	s_or_b32 exec_lo, exec_lo, s74
.LBB4_714:                              ;   in Loop: Header=BB4_136 Depth=3
	s_delay_alu instid0(SALU_CYCLE_1)
	s_or_b32 exec_lo, exec_lo, s13
	v_mov_b32_e32 v4, 0
	s_mov_b32 s13, exec_lo
	v_cmpx_lt_u32_e32 0xffffff, v8
	s_cbranch_execz .LBB4_724
; %bb.715:                              ;   in Loop: Header=BB4_136 Depth=3
	v_lshrrev_b32_e32 v2, 24, v8
	v_bfrev_b32_e32 v4, 1
	s_mov_b32 s74, exec_lo
	s_delay_alu instid0(VALU_DEP_2)
	v_cmpx_ne_u32_e32 0x80, v2
	s_cbranch_execz .LBB4_723
; %bb.716:                              ;   in Loop: Header=BB4_136 Depth=3
	v_and_b32_e32 v4, 0x7c000000, v8
	v_bfe_u32 v5, v8, 24, 2
	s_delay_alu instid0(VALU_DEP_2) | instskip(SKIP_1) | instid1(SALU_CYCLE_1)
	v_cmp_ne_u32_e32 vcc_lo, 0x7c000000, v4
                                        ; implicit-def: $vgpr4
	s_and_saveexec_b32 s75, vcc_lo
	s_xor_b32 s75, exec_lo, s75
	s_cbranch_execz .LBB4_720
; %bb.717:                              ;   in Loop: Header=BB4_136 Depth=3
	v_bfe_u32 v4, v8, 26, 5
	s_mov_b32 s76, exec_lo
	s_delay_alu instid0(VALU_DEP_1)
	v_cmpx_eq_u32_e32 0, v4
; %bb.718:                              ;   in Loop: Header=BB4_136 Depth=3
	v_clz_i32_u32_e32 v4, v5
	s_delay_alu instid0(VALU_DEP_1) | instskip(NEXT) | instid1(VALU_DEP_1)
	v_min_u32_e32 v4, 32, v4
	v_subrev_nc_u32_e32 v5, 29, v4
	v_sub_nc_u32_e32 v4, 30, v4
	s_delay_alu instid0(VALU_DEP_2) | instskip(NEXT) | instid1(VALU_DEP_1)
	v_lshlrev_b64_e32 v[16:17], v5, v[2:3]
	v_and_b32_e32 v5, 3, v16
; %bb.719:                              ;   in Loop: Header=BB4_136 Depth=3
	s_or_b32 exec_lo, exec_lo, s76
	v_and_b32_e32 v2, 0x80000000, v8
	s_delay_alu instid0(VALU_DEP_1) | instskip(NEXT) | instid1(VALU_DEP_1)
	v_lshl_add_u32 v2, v4, 23, v2
	v_lshl_or_b32 v2, v5, 21, v2
                                        ; implicit-def: $vgpr5
	s_delay_alu instid0(VALU_DEP_1)
	v_add_nc_u32_e32 v4, 0x38000000, v2
.LBB4_720:                              ;   in Loop: Header=BB4_136 Depth=3
	s_and_not1_saveexec_b32 s75, s75
; %bb.721:                              ;   in Loop: Header=BB4_136 Depth=3
	v_cmp_lt_i32_e32 vcc_lo, -1, v8
	v_cndmask_b32_e32 v2, 0xff800000, v48, vcc_lo
	v_cmp_eq_u32_e32 vcc_lo, 0, v5
	s_delay_alu instid0(VALU_DEP_2)
	v_cndmask_b32_e32 v4, 0x7f800001, v2, vcc_lo
; %bb.722:                              ;   in Loop: Header=BB4_136 Depth=3
	s_or_b32 exec_lo, exec_lo, s75
.LBB4_723:                              ;   in Loop: Header=BB4_136 Depth=3
	s_delay_alu instid0(SALU_CYCLE_1)
	s_or_b32 exec_lo, exec_lo, s74
.LBB4_724:                              ;   in Loop: Header=BB4_136 Depth=3
	s_delay_alu instid0(SALU_CYCLE_1) | instskip(NEXT) | instid1(VALU_DEP_1)
	s_or_b32 exec_lo, exec_lo, s13
	v_dual_mul_f32 v16, s73, v4 :: v_dual_mov_b32 v19, v3
	v_mov_b32_e32 v5, v3
                                        ; implicit-def: $vgpr61
	s_mov_b32 s13, exec_lo
	s_delay_alu instid0(VALU_DEP_2) | instskip(SKIP_2) | instid1(VALU_DEP_3)
	v_and_b32_e32 v18, 0x7f800000, v16
	v_and_b32_e32 v4, 0x7fffff, v16
	v_lshrrev_b32_e32 v2, 24, v16
	v_cmpx_ne_u64_e32 0x7f800000, v[18:19]
	s_xor_b32 s74, exec_lo, s13
	s_cbranch_execz .LBB4_738
; %bb.725:                              ;   in Loop: Header=BB4_136 Depth=3
	v_and_b32_e32 v18, 0x7fffffff, v16
	v_mov_b32_e32 v19, v3
	v_and_b32_e32 v2, 0x80, v2
                                        ; implicit-def: $vgpr61
	s_mov_b32 s13, exec_lo
	s_delay_alu instid0(VALU_DEP_2)
	v_cmpx_gt_u64_e32 0x47600001, v[18:19]
	s_xor_b32 s75, exec_lo, s13
	s_cbranch_execz .LBB4_735
; %bb.726:                              ;   in Loop: Header=BB4_136 Depth=3
	v_mov_b32_e32 v61, 0
	s_mov_b32 s76, exec_lo
	v_cmpx_ne_u32_e32 0, v16
	s_cbranch_execz .LBB4_734
; %bb.727:                              ;   in Loop: Header=BB4_136 Depth=3
	v_bfe_u32 v18, v16, 23, 8
	v_or_b32_e32 v21, 0x800000, v4
	s_delay_alu instid0(VALU_DEP_2) | instskip(SKIP_1) | instid1(VALU_DEP_2)
	v_sub_nc_u32_e32 v16, 0x71, v18
	v_cmp_gt_u32_e32 vcc_lo, 0x72, v18
	v_cndmask_b32_e32 v16, 0, v16, vcc_lo
	v_cmp_eq_u32_e32 vcc_lo, 0, v18
	s_delay_alu instid0(VALU_DEP_2) | instskip(NEXT) | instid1(VALU_DEP_1)
	v_cndmask_b32_e64 v19, v16, 0x70, vcc_lo
	v_dual_cndmask_b32 v4, v21, v4, vcc_lo :: v_dual_add_nc_u32 v16, 21, v19
	v_add_nc_u32_e32 v66, 20, v19
	s_delay_alu instid0(VALU_DEP_2) | instskip(NEXT) | instid1(VALU_DEP_2)
	v_lshlrev_b64_e64 v[16:17], v16, -1
	v_lshlrev_b64_e64 v[66:67], v66, 1
	s_delay_alu instid0(VALU_DEP_2) | instskip(SKIP_1) | instid1(VALU_DEP_4)
	v_bfi_b32 v16, v16, 0, v4
	v_lshrrev_b64 v[4:5], v19, v[4:5]
	v_bfi_b32 v17, v17, 0, 0
	s_delay_alu instid0(VALU_DEP_1) | instskip(NEXT) | instid1(VALU_DEP_3)
	v_cmp_eq_u64_e64 s13, v[16:17], v[66:67]
	v_mov_b64_e32 v[16:17], v[4:5]
	s_and_saveexec_b32 s77, s13
; %bb.728:                              ;   in Loop: Header=BB4_136 Depth=3
	v_bfe_u32 v16, v4, 21, 1
	v_mov_b32_e32 v17, v3
	s_delay_alu instid0(VALU_DEP_1) | instskip(NEXT) | instid1(VALU_DEP_1)
	v_add_nc_u64_e32 v[16:17], v[4:5], v[16:17]
	v_add_nc_u64_e32 v[16:17], -1, v[16:17]
; %bb.729:                              ;   in Loop: Header=BB4_136 Depth=3
	s_or_b32 exec_lo, exec_lo, s77
	v_add_nc_u32_e32 v5, 0xffffff81, v18
	v_lshrrev_b32_e32 v17, 23, v4
	s_mov_b32 s13, exec_lo
	s_delay_alu instid0(VALU_DEP_2) | instskip(NEXT) | instid1(VALU_DEP_1)
	v_cndmask_b32_e64 v5, v5, 0xffffff82, vcc_lo
	v_add3_u32 v17, v19, v5, v17
	v_and_b32_e32 v5, 0x1fffff, v16
                                        ; implicit-def: $vgpr16
	s_delay_alu instid0(VALU_DEP_1) | instskip(SKIP_1) | instid1(VALU_DEP_2)
	v_dual_add_nc_u32 v18, 14, v17 :: v_dual_add_nc_u32 v4, v5, v4
	v_mov_b32_e32 v5, v3
	v_cmpx_ne_u32_e32 0, v18
	s_xor_b32 s13, exec_lo, s13
; %bb.730:                              ;   in Loop: Header=BB4_136 Depth=3
	s_delay_alu instid0(VALU_DEP_2) | instskip(SKIP_2) | instid1(VALU_DEP_2)
	v_cmp_lt_u64_e32 vcc_lo, 0xffffff, v[4:5]
	v_add_nc_u32_e32 v16, 15, v17
	v_cndmask_b32_e64 v17, 0, 1, vcc_lo
	v_cndmask_b32_e32 v16, v18, v16, vcc_lo
	s_delay_alu instid0(VALU_DEP_2)
	v_lshrrev_b64 v[4:5], v17, v[4:5]
; %bb.731:                              ;   in Loop: Header=BB4_136 Depth=3
	s_and_not1_saveexec_b32 s13, s13
; %bb.732:                              ;   in Loop: Header=BB4_136 Depth=3
	s_delay_alu instid0(VALU_DEP_1)
	v_bfe_u32 v16, v4, 23, 1
; %bb.733:                              ;   in Loop: Header=BB4_136 Depth=3
	s_or_b32 exec_lo, exec_lo, s13
	s_delay_alu instid0(VALU_DEP_2) | instskip(NEXT) | instid1(VALU_DEP_2)
	v_lshrrev_b64 v[4:5], 21, v[4:5]
	v_cmp_gt_i32_e32 vcc_lo, 32, v16
	v_min_i32_e32 v17, 31, v16
	v_cmp_eq_u32_e64 s13, 0, v16
	s_delay_alu instid0(VALU_DEP_4) | instskip(NEXT) | instid1(VALU_DEP_3)
	v_cndmask_b32_e32 v5, 0, v5, vcc_lo
	v_dual_cndmask_b32 v4, 3, v4 :: v_dual_lshlrev_b32 v17, 2, v17
	s_delay_alu instid0(VALU_DEP_1) | instskip(NEXT) | instid1(VALU_DEP_2)
	v_and_b32_e32 v17, 0xfc, v17
	v_cmp_eq_u64_e32 vcc_lo, 0, v[4:5]
	s_delay_alu instid0(VALU_DEP_2)
	v_and_or_b32 v4, v4, 3, v17
	s_and_b32 s13, s13, vcc_lo
	s_delay_alu instid0(VALU_DEP_1) | instid1(SALU_CYCLE_1)
	v_cndmask_b32_e64 v4, v4, 0, s13
	s_delay_alu instid0(VALU_DEP_1)
	v_or_b32_e32 v61, v4, v2
.LBB4_734:                              ;   in Loop: Header=BB4_136 Depth=3
	s_or_b32 exec_lo, exec_lo, s76
                                        ; implicit-def: $vgpr2
.LBB4_735:                              ;   in Loop: Header=BB4_136 Depth=3
	s_and_not1_saveexec_b32 s13, s75
; %bb.736:                              ;   in Loop: Header=BB4_136 Depth=3
	v_or_b32_e32 v61, 0x7b, v2
; %bb.737:                              ;   in Loop: Header=BB4_136 Depth=3
	s_or_b32 exec_lo, exec_lo, s13
                                        ; implicit-def: $vgpr16
                                        ; implicit-def: $vgpr4_vgpr5
                                        ; implicit-def: $vgpr2
.LBB4_738:                              ;   in Loop: Header=BB4_136 Depth=3
	s_and_not1_saveexec_b32 s13, s74
	s_cbranch_execz .LBB4_744
; %bb.739:                              ;   in Loop: Header=BB4_136 Depth=3
	s_mov_b32 s74, exec_lo
                                        ; implicit-def: $vgpr61
	v_cmpx_ne_u64_e32 0, v[4:5]
	s_xor_b32 s74, exec_lo, s74
; %bb.740:                              ;   in Loop: Header=BB4_136 Depth=3
	v_or_b32_e32 v61, 0x7f, v2
                                        ; implicit-def: $vgpr16
; %bb.741:                              ;   in Loop: Header=BB4_136 Depth=3
	s_and_not1_saveexec_b32 s74, s74
; %bb.742:                              ;   in Loop: Header=BB4_136 Depth=3
	v_cmp_lt_i32_e32 vcc_lo, -1, v16
	v_cndmask_b32_e32 v61, 0xfc, v49, vcc_lo
; %bb.743:                              ;   in Loop: Header=BB4_136 Depth=3
	s_or_b32 exec_lo, exec_lo, s74
.LBB4_744:                              ;   in Loop: Header=BB4_136 Depth=3
	s_delay_alu instid0(SALU_CYCLE_1) | instskip(SKIP_4) | instid1(VALU_DEP_3)
	s_or_b32 exec_lo, exec_lo, s13
	v_and_b32_e32 v2, 0xff, v9
	v_dual_mov_b32 v4, v9 :: v_dual_mov_b32 v5, v3
	v_mov_b32_e32 v16, 0
	s_mov_b32 s13, exec_lo
	v_cmpx_ne_u16_e32 0, v2
	s_cbranch_execz .LBB4_754
; %bb.745:                              ;   in Loop: Header=BB4_136 Depth=3
	v_bfrev_b32_e32 v16, 1
	s_mov_b32 s74, exec_lo
	v_cmpx_ne_u16_e32 0x80, v2
	s_cbranch_execz .LBB4_753
; %bb.746:                              ;   in Loop: Header=BB4_136 Depth=3
	v_and_b32_e32 v16, 0x7c, v9
	v_and_b32_e32 v2, 3, v9
	s_delay_alu instid0(VALU_DEP_2) | instskip(SKIP_1) | instid1(SALU_CYCLE_1)
	v_cmp_ne_u32_e32 vcc_lo, 0x7c, v16
                                        ; implicit-def: $vgpr16
	s_and_saveexec_b32 s75, vcc_lo
	s_xor_b32 s75, exec_lo, s75
	s_cbranch_execz .LBB4_750
; %bb.747:                              ;   in Loop: Header=BB4_136 Depth=3
	v_bfe_u32 v16, v9, 2, 5
	s_mov_b32 s76, exec_lo
	s_delay_alu instid0(VALU_DEP_1)
	v_cmpx_eq_u32_e32 0, v16
; %bb.748:                              ;   in Loop: Header=BB4_136 Depth=3
	v_clz_i32_u32_e32 v2, v2
	s_delay_alu instid0(VALU_DEP_1) | instskip(NEXT) | instid1(VALU_DEP_1)
	v_min_u32_e32 v2, 32, v2
	v_subrev_nc_u32_e32 v16, 29, v2
	s_delay_alu instid0(VALU_DEP_1) | instskip(SKIP_1) | instid1(VALU_DEP_2)
	v_lshlrev_b64_e32 v[18:19], v16, v[4:5]
	v_sub_nc_u32_e32 v16, 30, v2
	v_and_b32_e32 v2, 3, v18
; %bb.749:                              ;   in Loop: Header=BB4_136 Depth=3
	s_or_b32 exec_lo, exec_lo, s76
	v_lshlrev_b32_e32 v5, 24, v9
	s_delay_alu instid0(VALU_DEP_1) | instskip(NEXT) | instid1(VALU_DEP_1)
	v_and_b32_e32 v5, 0x80000000, v5
	v_lshl_add_u32 v5, v16, 23, v5
	s_delay_alu instid0(VALU_DEP_1) | instskip(NEXT) | instid1(VALU_DEP_1)
	v_lshl_or_b32 v2, v2, 21, v5
	v_add_nc_u32_e32 v16, 0x38000000, v2
                                        ; implicit-def: $vgpr2
.LBB4_750:                              ;   in Loop: Header=BB4_136 Depth=3
	s_and_not1_saveexec_b32 s75, s75
; %bb.751:                              ;   in Loop: Header=BB4_136 Depth=3
	v_bfe_i32 v5, v9, 0, 8
	s_delay_alu instid0(VALU_DEP_1) | instskip(SKIP_2) | instid1(VALU_DEP_2)
	v_cmp_lt_i16_e32 vcc_lo, -1, v5
	v_cndmask_b32_e32 v5, 0xff800000, v48, vcc_lo
	v_cmp_eq_u32_e32 vcc_lo, 0, v2
	v_cndmask_b32_e32 v16, 0x7f800001, v5, vcc_lo
; %bb.752:                              ;   in Loop: Header=BB4_136 Depth=3
	s_or_b32 exec_lo, exec_lo, s75
.LBB4_753:                              ;   in Loop: Header=BB4_136 Depth=3
	s_delay_alu instid0(SALU_CYCLE_1)
	s_or_b32 exec_lo, exec_lo, s74
.LBB4_754:                              ;   in Loop: Header=BB4_136 Depth=3
	s_delay_alu instid0(SALU_CYCLE_1) | instskip(NEXT) | instid1(VALU_DEP_1)
	s_or_b32 exec_lo, exec_lo, s13
	v_dual_mul_f32 v5, s73, v16 :: v_dual_mov_b32 v19, v3
	v_mov_b32_e32 v17, v3
                                        ; implicit-def: $vgpr62
	s_mov_b32 s13, exec_lo
	s_delay_alu instid0(VALU_DEP_2) | instskip(SKIP_2) | instid1(VALU_DEP_3)
	v_and_b32_e32 v18, 0x7f800000, v5
	v_and_b32_e32 v16, 0x7fffff, v5
	v_lshrrev_b32_e32 v2, 24, v5
	v_cmpx_ne_u64_e32 0x7f800000, v[18:19]
	s_xor_b32 s74, exec_lo, s13
	s_cbranch_execz .LBB4_768
; %bb.755:                              ;   in Loop: Header=BB4_136 Depth=3
	v_and_b32_e32 v18, 0x7fffffff, v5
	v_mov_b32_e32 v19, v3
	v_and_b32_e32 v2, 0x80, v2
                                        ; implicit-def: $vgpr62
	s_mov_b32 s13, exec_lo
	s_delay_alu instid0(VALU_DEP_2)
	v_cmpx_gt_u64_e32 0x47600001, v[18:19]
	s_xor_b32 s75, exec_lo, s13
	s_cbranch_execz .LBB4_765
; %bb.756:                              ;   in Loop: Header=BB4_136 Depth=3
	v_mov_b32_e32 v62, 0
	s_mov_b32 s76, exec_lo
	v_cmpx_ne_u32_e32 0, v5
	s_cbranch_execz .LBB4_764
; %bb.757:                              ;   in Loop: Header=BB4_136 Depth=3
	v_bfe_u32 v5, v5, 23, 8
	v_or_b32_e32 v66, 0x800000, v16
	s_delay_alu instid0(VALU_DEP_2) | instskip(SKIP_1) | instid1(VALU_DEP_2)
	v_sub_nc_u32_e32 v18, 0x71, v5
	v_cmp_gt_u32_e32 vcc_lo, 0x72, v5
	v_cndmask_b32_e32 v18, 0, v18, vcc_lo
	v_cmp_eq_u32_e32 vcc_lo, 0, v5
	s_delay_alu instid0(VALU_DEP_2) | instskip(NEXT) | instid1(VALU_DEP_1)
	v_cndmask_b32_e64 v21, v18, 0x70, vcc_lo
	v_dual_cndmask_b32 v16, v66, v16, vcc_lo :: v_dual_add_nc_u32 v18, 21, v21
	v_add_nc_u32_e32 v67, 20, v21
	s_delay_alu instid0(VALU_DEP_2) | instskip(NEXT) | instid1(VALU_DEP_2)
	v_lshlrev_b64_e64 v[18:19], v18, -1
	v_lshlrev_b64_e64 v[66:67], v67, 1
	s_delay_alu instid0(VALU_DEP_2) | instskip(SKIP_1) | instid1(VALU_DEP_4)
	v_bfi_b32 v18, v18, 0, v16
	v_lshrrev_b64 v[16:17], v21, v[16:17]
	v_bfi_b32 v19, v19, 0, 0
	s_delay_alu instid0(VALU_DEP_1) | instskip(NEXT) | instid1(VALU_DEP_3)
	v_cmp_eq_u64_e64 s13, v[18:19], v[66:67]
	v_mov_b64_e32 v[18:19], v[16:17]
	s_and_saveexec_b32 s77, s13
; %bb.758:                              ;   in Loop: Header=BB4_136 Depth=3
	v_bfe_u32 v18, v16, 21, 1
	v_mov_b32_e32 v19, v3
	s_delay_alu instid0(VALU_DEP_1) | instskip(NEXT) | instid1(VALU_DEP_1)
	v_add_nc_u64_e32 v[18:19], v[16:17], v[18:19]
	v_add_nc_u64_e32 v[18:19], -1, v[18:19]
; %bb.759:                              ;   in Loop: Header=BB4_136 Depth=3
	s_or_b32 exec_lo, exec_lo, s77
	v_add_nc_u32_e32 v5, 0xffffff81, v5
	v_lshrrev_b32_e32 v17, 23, v16
	s_mov_b32 s13, exec_lo
	s_delay_alu instid0(VALU_DEP_2) | instskip(NEXT) | instid1(VALU_DEP_1)
	v_cndmask_b32_e64 v5, v5, 0xffffff82, vcc_lo
	v_add3_u32 v19, v21, v5, v17
	v_and_b32_e32 v5, 0x1fffff, v18
	s_delay_alu instid0(VALU_DEP_2) | instskip(NEXT) | instid1(VALU_DEP_2)
	v_dual_mov_b32 v17, v3 :: v_dual_add_nc_u32 v18, 14, v19
	v_add_nc_u32_e32 v16, v5, v16
                                        ; implicit-def: $vgpr5
	s_delay_alu instid0(VALU_DEP_2)
	v_cmpx_ne_u32_e32 0, v18
	s_xor_b32 s13, exec_lo, s13
; %bb.760:                              ;   in Loop: Header=BB4_136 Depth=3
	s_delay_alu instid0(VALU_DEP_2) | instskip(SKIP_1) | instid1(VALU_DEP_1)
	v_cmp_lt_u64_e32 vcc_lo, 0xffffff, v[16:17]
	v_add_nc_u32_e32 v5, 15, v19
	v_cndmask_b32_e32 v5, v18, v5, vcc_lo
	v_cndmask_b32_e64 v18, 0, 1, vcc_lo
	s_delay_alu instid0(VALU_DEP_1)
	v_lshrrev_b64 v[16:17], v18, v[16:17]
; %bb.761:                              ;   in Loop: Header=BB4_136 Depth=3
	s_and_not1_saveexec_b32 s13, s13
; %bb.762:                              ;   in Loop: Header=BB4_136 Depth=3
	s_delay_alu instid0(VALU_DEP_1)
	v_bfe_u32 v5, v16, 23, 1
; %bb.763:                              ;   in Loop: Header=BB4_136 Depth=3
	s_or_b32 exec_lo, exec_lo, s13
	s_delay_alu instid0(VALU_DEP_2) | instskip(NEXT) | instid1(VALU_DEP_2)
	v_lshrrev_b64 v[16:17], 21, v[16:17]
	v_cmp_gt_i32_e32 vcc_lo, 32, v5
	v_min_i32_e32 v18, 31, v5
	v_cmp_eq_u32_e64 s13, 0, v5
	s_delay_alu instid0(VALU_DEP_2) | instskip(SKIP_1) | instid1(VALU_DEP_2)
	v_dual_cndmask_b32 v16, 3, v16, vcc_lo :: v_dual_lshlrev_b32 v18, 2, v18
	v_cndmask_b32_e32 v17, 0, v17, vcc_lo
	v_and_b32_e32 v18, 0xfc, v18
	s_delay_alu instid0(VALU_DEP_2) | instskip(NEXT) | instid1(VALU_DEP_2)
	v_cmp_eq_u64_e32 vcc_lo, 0, v[16:17]
	v_and_or_b32 v5, v16, 3, v18
	s_and_b32 s13, s13, vcc_lo
	s_delay_alu instid0(VALU_DEP_1) | instid1(SALU_CYCLE_1)
	v_cndmask_b32_e64 v5, v5, 0, s13
	s_delay_alu instid0(VALU_DEP_1)
	v_or_b32_e32 v62, v5, v2
.LBB4_764:                              ;   in Loop: Header=BB4_136 Depth=3
	s_or_b32 exec_lo, exec_lo, s76
                                        ; implicit-def: $vgpr2
.LBB4_765:                              ;   in Loop: Header=BB4_136 Depth=3
	s_and_not1_saveexec_b32 s13, s75
; %bb.766:                              ;   in Loop: Header=BB4_136 Depth=3
	v_or_b32_e32 v62, 0x7b, v2
; %bb.767:                              ;   in Loop: Header=BB4_136 Depth=3
	s_or_b32 exec_lo, exec_lo, s13
                                        ; implicit-def: $vgpr5
                                        ; implicit-def: $vgpr16_vgpr17
                                        ; implicit-def: $vgpr2
.LBB4_768:                              ;   in Loop: Header=BB4_136 Depth=3
	s_and_not1_saveexec_b32 s13, s74
	s_cbranch_execz .LBB4_774
; %bb.769:                              ;   in Loop: Header=BB4_136 Depth=3
	s_mov_b32 s74, exec_lo
                                        ; implicit-def: $vgpr62
	v_cmpx_ne_u64_e32 0, v[16:17]
	s_xor_b32 s74, exec_lo, s74
; %bb.770:                              ;   in Loop: Header=BB4_136 Depth=3
	v_or_b32_e32 v62, 0x7f, v2
                                        ; implicit-def: $vgpr5
; %bb.771:                              ;   in Loop: Header=BB4_136 Depth=3
	s_and_not1_saveexec_b32 s74, s74
; %bb.772:                              ;   in Loop: Header=BB4_136 Depth=3
	v_cmp_lt_i32_e32 vcc_lo, -1, v5
	v_cndmask_b32_e32 v62, 0xfc, v49, vcc_lo
; %bb.773:                              ;   in Loop: Header=BB4_136 Depth=3
	s_or_b32 exec_lo, exec_lo, s74
.LBB4_774:                              ;   in Loop: Header=BB4_136 Depth=3
	s_delay_alu instid0(SALU_CYCLE_1) | instskip(SKIP_3) | instid1(VALU_DEP_2)
	s_or_b32 exec_lo, exec_lo, s13
	v_lshrrev_b16 v16, 8, v4
	v_mov_b32_e32 v17, 0
	s_mov_b32 s13, exec_lo
	v_cmpx_ne_u16_e32 0, v16
	s_cbranch_execz .LBB4_784
; %bb.775:                              ;   in Loop: Header=BB4_136 Depth=3
	v_bfrev_b32_e32 v17, 1
	s_mov_b32 s74, exec_lo
	v_cmpx_ne_u16_e32 0x80, v16
	s_cbranch_execz .LBB4_783
; %bb.776:                              ;   in Loop: Header=BB4_136 Depth=3
	v_and_b32_e32 v5, 0xffff, v16
	s_delay_alu instid0(VALU_DEP_1) | instskip(SKIP_1) | instid1(VALU_DEP_2)
	v_and_b32_e32 v17, 0x7c, v5
	v_and_b32_e32 v2, 3, v5
	v_cmp_ne_u32_e32 vcc_lo, 0x7c, v17
                                        ; implicit-def: $vgpr17
	s_and_saveexec_b32 s75, vcc_lo
	s_delay_alu instid0(SALU_CYCLE_1)
	s_xor_b32 s75, exec_lo, s75
	s_cbranch_execz .LBB4_780
; %bb.777:                              ;   in Loop: Header=BB4_136 Depth=3
	v_bfe_u32 v5, v5, 2, 5
	s_mov_b32 s76, exec_lo
	s_delay_alu instid0(VALU_DEP_1)
	v_cmpx_eq_u32_e32 0, v5
; %bb.778:                              ;   in Loop: Header=BB4_136 Depth=3
	v_clz_i32_u32_e32 v2, v2
	s_delay_alu instid0(VALU_DEP_1) | instskip(SKIP_1) | instid1(VALU_DEP_2)
	v_min_u32_e32 v2, 32, v2
	v_mov_b32_e32 v17, v3
	v_subrev_nc_u32_e32 v5, 29, v2
	s_delay_alu instid0(VALU_DEP_1) | instskip(NEXT) | instid1(VALU_DEP_1)
	v_lshlrev_b64_e32 v[16:17], v5, v[16:17]
	v_dual_sub_nc_u32 v5, 30, v2 :: v_dual_bitop2_b32 v2, 3, v16 bitop3:0x40
; %bb.779:                              ;   in Loop: Header=BB4_136 Depth=3
	s_or_b32 exec_lo, exec_lo, s76
	v_lshlrev_b32_e32 v4, 16, v4
	s_delay_alu instid0(VALU_DEP_1) | instskip(NEXT) | instid1(VALU_DEP_1)
	v_and_b32_e32 v4, 0x80000000, v4
	v_lshl_add_u32 v4, v5, 23, v4
	s_delay_alu instid0(VALU_DEP_1) | instskip(NEXT) | instid1(VALU_DEP_1)
	v_lshl_or_b32 v2, v2, 21, v4
                                        ; implicit-def: $vgpr4_vgpr5
	v_add_nc_u32_e32 v17, 0x38000000, v2
                                        ; implicit-def: $vgpr2
.LBB4_780:                              ;   in Loop: Header=BB4_136 Depth=3
	s_and_not1_saveexec_b32 s75, s75
; %bb.781:                              ;   in Loop: Header=BB4_136 Depth=3
	v_cmp_lt_i16_e32 vcc_lo, -1, v4
	v_cndmask_b32_e32 v4, 0xff800000, v48, vcc_lo
	v_cmp_eq_u32_e32 vcc_lo, 0, v2
	s_delay_alu instid0(VALU_DEP_2)
	v_cndmask_b32_e32 v17, 0x7f800001, v4, vcc_lo
; %bb.782:                              ;   in Loop: Header=BB4_136 Depth=3
	s_or_b32 exec_lo, exec_lo, s75
.LBB4_783:                              ;   in Loop: Header=BB4_136 Depth=3
	s_delay_alu instid0(SALU_CYCLE_1)
	s_or_b32 exec_lo, exec_lo, s74
.LBB4_784:                              ;   in Loop: Header=BB4_136 Depth=3
	s_delay_alu instid0(SALU_CYCLE_1) | instskip(NEXT) | instid1(VALU_DEP_1)
	s_or_b32 exec_lo, exec_lo, s13
	v_dual_mul_f32 v16, s73, v17 :: v_dual_mov_b32 v19, v3
	v_mov_b32_e32 v5, v3
                                        ; implicit-def: $vgpr63
	s_mov_b32 s13, exec_lo
	s_delay_alu instid0(VALU_DEP_2) | instskip(SKIP_2) | instid1(VALU_DEP_3)
	v_and_b32_e32 v18, 0x7f800000, v16
	v_and_b32_e32 v4, 0x7fffff, v16
	v_lshrrev_b32_e32 v2, 24, v16
	v_cmpx_ne_u64_e32 0x7f800000, v[18:19]
	s_xor_b32 s74, exec_lo, s13
	s_cbranch_execz .LBB4_798
; %bb.785:                              ;   in Loop: Header=BB4_136 Depth=3
	v_and_b32_e32 v18, 0x7fffffff, v16
	v_mov_b32_e32 v19, v3
	v_and_b32_e32 v2, 0x80, v2
                                        ; implicit-def: $vgpr63
	s_mov_b32 s13, exec_lo
	s_delay_alu instid0(VALU_DEP_2)
	v_cmpx_gt_u64_e32 0x47600001, v[18:19]
	s_xor_b32 s75, exec_lo, s13
	s_cbranch_execz .LBB4_795
; %bb.786:                              ;   in Loop: Header=BB4_136 Depth=3
	v_mov_b32_e32 v63, 0
	s_mov_b32 s76, exec_lo
	v_cmpx_ne_u32_e32 0, v16
	s_cbranch_execz .LBB4_794
; %bb.787:                              ;   in Loop: Header=BB4_136 Depth=3
	v_bfe_u32 v18, v16, 23, 8
	v_or_b32_e32 v21, 0x800000, v4
	s_delay_alu instid0(VALU_DEP_2) | instskip(SKIP_1) | instid1(VALU_DEP_2)
	v_sub_nc_u32_e32 v16, 0x71, v18
	v_cmp_gt_u32_e32 vcc_lo, 0x72, v18
	v_cndmask_b32_e32 v16, 0, v16, vcc_lo
	v_cmp_eq_u32_e32 vcc_lo, 0, v18
	s_delay_alu instid0(VALU_DEP_2) | instskip(NEXT) | instid1(VALU_DEP_1)
	v_cndmask_b32_e64 v19, v16, 0x70, vcc_lo
	v_dual_cndmask_b32 v4, v21, v4, vcc_lo :: v_dual_add_nc_u32 v16, 21, v19
	v_add_nc_u32_e32 v66, 20, v19
	s_delay_alu instid0(VALU_DEP_2) | instskip(NEXT) | instid1(VALU_DEP_2)
	v_lshlrev_b64_e64 v[16:17], v16, -1
	v_lshlrev_b64_e64 v[66:67], v66, 1
	s_delay_alu instid0(VALU_DEP_2) | instskip(SKIP_1) | instid1(VALU_DEP_4)
	v_bfi_b32 v16, v16, 0, v4
	v_lshrrev_b64 v[4:5], v19, v[4:5]
	v_bfi_b32 v17, v17, 0, 0
	s_delay_alu instid0(VALU_DEP_1) | instskip(NEXT) | instid1(VALU_DEP_3)
	v_cmp_eq_u64_e64 s13, v[16:17], v[66:67]
	v_mov_b64_e32 v[16:17], v[4:5]
	s_and_saveexec_b32 s77, s13
; %bb.788:                              ;   in Loop: Header=BB4_136 Depth=3
	v_bfe_u32 v16, v4, 21, 1
	v_mov_b32_e32 v17, v3
	s_delay_alu instid0(VALU_DEP_1) | instskip(NEXT) | instid1(VALU_DEP_1)
	v_add_nc_u64_e32 v[16:17], v[4:5], v[16:17]
	v_add_nc_u64_e32 v[16:17], -1, v[16:17]
; %bb.789:                              ;   in Loop: Header=BB4_136 Depth=3
	s_or_b32 exec_lo, exec_lo, s77
	v_add_nc_u32_e32 v5, 0xffffff81, v18
	v_lshrrev_b32_e32 v17, 23, v4
	s_mov_b32 s13, exec_lo
	s_delay_alu instid0(VALU_DEP_2) | instskip(NEXT) | instid1(VALU_DEP_1)
	v_cndmask_b32_e64 v5, v5, 0xffffff82, vcc_lo
	v_add3_u32 v17, v19, v5, v17
	v_and_b32_e32 v5, 0x1fffff, v16
                                        ; implicit-def: $vgpr16
	s_delay_alu instid0(VALU_DEP_1) | instskip(SKIP_1) | instid1(VALU_DEP_2)
	v_dual_add_nc_u32 v18, 14, v17 :: v_dual_add_nc_u32 v4, v5, v4
	v_mov_b32_e32 v5, v3
	v_cmpx_ne_u32_e32 0, v18
	s_xor_b32 s13, exec_lo, s13
; %bb.790:                              ;   in Loop: Header=BB4_136 Depth=3
	s_delay_alu instid0(VALU_DEP_2) | instskip(SKIP_2) | instid1(VALU_DEP_2)
	v_cmp_lt_u64_e32 vcc_lo, 0xffffff, v[4:5]
	v_add_nc_u32_e32 v16, 15, v17
	v_cndmask_b32_e64 v17, 0, 1, vcc_lo
	v_cndmask_b32_e32 v16, v18, v16, vcc_lo
	s_delay_alu instid0(VALU_DEP_2)
	v_lshrrev_b64 v[4:5], v17, v[4:5]
; %bb.791:                              ;   in Loop: Header=BB4_136 Depth=3
	s_and_not1_saveexec_b32 s13, s13
; %bb.792:                              ;   in Loop: Header=BB4_136 Depth=3
	s_delay_alu instid0(VALU_DEP_1)
	v_bfe_u32 v16, v4, 23, 1
; %bb.793:                              ;   in Loop: Header=BB4_136 Depth=3
	s_or_b32 exec_lo, exec_lo, s13
	s_delay_alu instid0(VALU_DEP_2) | instskip(NEXT) | instid1(VALU_DEP_2)
	v_lshrrev_b64 v[4:5], 21, v[4:5]
	v_cmp_gt_i32_e32 vcc_lo, 32, v16
	v_min_i32_e32 v17, 31, v16
	v_cmp_eq_u32_e64 s13, 0, v16
	s_delay_alu instid0(VALU_DEP_4) | instskip(NEXT) | instid1(VALU_DEP_3)
	v_cndmask_b32_e32 v5, 0, v5, vcc_lo
	v_dual_cndmask_b32 v4, 3, v4 :: v_dual_lshlrev_b32 v17, 2, v17
	s_delay_alu instid0(VALU_DEP_1) | instskip(NEXT) | instid1(VALU_DEP_2)
	v_and_b32_e32 v17, 0xfc, v17
	v_cmp_eq_u64_e32 vcc_lo, 0, v[4:5]
	s_delay_alu instid0(VALU_DEP_2)
	v_and_or_b32 v4, v4, 3, v17
	s_and_b32 s13, s13, vcc_lo
	s_delay_alu instid0(VALU_DEP_1) | instid1(SALU_CYCLE_1)
	v_cndmask_b32_e64 v4, v4, 0, s13
	s_delay_alu instid0(VALU_DEP_1)
	v_or_b32_e32 v63, v4, v2
.LBB4_794:                              ;   in Loop: Header=BB4_136 Depth=3
	s_or_b32 exec_lo, exec_lo, s76
                                        ; implicit-def: $vgpr2
.LBB4_795:                              ;   in Loop: Header=BB4_136 Depth=3
	s_and_not1_saveexec_b32 s13, s75
; %bb.796:                              ;   in Loop: Header=BB4_136 Depth=3
	v_or_b32_e32 v63, 0x7b, v2
; %bb.797:                              ;   in Loop: Header=BB4_136 Depth=3
	s_or_b32 exec_lo, exec_lo, s13
                                        ; implicit-def: $vgpr16
                                        ; implicit-def: $vgpr4_vgpr5
                                        ; implicit-def: $vgpr2
.LBB4_798:                              ;   in Loop: Header=BB4_136 Depth=3
	s_and_not1_saveexec_b32 s13, s74
	s_cbranch_execz .LBB4_804
; %bb.799:                              ;   in Loop: Header=BB4_136 Depth=3
	s_mov_b32 s74, exec_lo
                                        ; implicit-def: $vgpr63
	v_cmpx_ne_u64_e32 0, v[4:5]
	s_xor_b32 s74, exec_lo, s74
; %bb.800:                              ;   in Loop: Header=BB4_136 Depth=3
	v_or_b32_e32 v63, 0x7f, v2
                                        ; implicit-def: $vgpr16
; %bb.801:                              ;   in Loop: Header=BB4_136 Depth=3
	s_and_not1_saveexec_b32 s74, s74
; %bb.802:                              ;   in Loop: Header=BB4_136 Depth=3
	v_cmp_lt_i32_e32 vcc_lo, -1, v16
	v_cndmask_b32_e32 v63, 0xfc, v49, vcc_lo
; %bb.803:                              ;   in Loop: Header=BB4_136 Depth=3
	s_or_b32 exec_lo, exec_lo, s74
.LBB4_804:                              ;   in Loop: Header=BB4_136 Depth=3
	s_delay_alu instid0(SALU_CYCLE_1) | instskip(SKIP_2) | instid1(VALU_DEP_1)
	s_or_b32 exec_lo, exec_lo, s13
	v_dual_mov_b32 v5, 0 :: v_dual_lshrrev_b32 v2, 16, v9
	s_mov_b32 s13, exec_lo
	v_and_b32_e32 v4, 0xff, v2
	s_delay_alu instid0(VALU_DEP_1)
	v_cmpx_ne_u16_e32 0, v4
	s_cbranch_execz .LBB4_814
; %bb.805:                              ;   in Loop: Header=BB4_136 Depth=3
	v_bfrev_b32_e32 v5, 1
	s_mov_b32 s74, exec_lo
	v_cmpx_ne_u16_e32 0x80, v4
	s_cbranch_execz .LBB4_813
; %bb.806:                              ;   in Loop: Header=BB4_136 Depth=3
	v_and_b32_e32 v5, 0x7c0000, v9
	v_bfe_u32 v4, v9, 16, 2
	s_delay_alu instid0(VALU_DEP_2) | instskip(SKIP_1) | instid1(SALU_CYCLE_1)
	v_cmp_ne_u32_e32 vcc_lo, 0x7c0000, v5
                                        ; implicit-def: $vgpr5
	s_and_saveexec_b32 s75, vcc_lo
	s_xor_b32 s75, exec_lo, s75
	s_cbranch_execz .LBB4_810
; %bb.807:                              ;   in Loop: Header=BB4_136 Depth=3
	v_bfe_u32 v5, v9, 18, 5
	s_mov_b32 s76, exec_lo
	s_delay_alu instid0(VALU_DEP_1)
	v_cmpx_eq_u32_e32 0, v5
; %bb.808:                              ;   in Loop: Header=BB4_136 Depth=3
	v_clz_i32_u32_e32 v4, v4
	s_delay_alu instid0(VALU_DEP_1) | instskip(NEXT) | instid1(VALU_DEP_1)
	v_min_u32_e32 v16, 32, v4
	v_subrev_nc_u32_e32 v4, 29, v16
	s_delay_alu instid0(VALU_DEP_1) | instskip(SKIP_1) | instid1(VALU_DEP_2)
	v_lshlrev_b64_e32 v[4:5], v4, v[2:3]
	v_sub_nc_u32_e32 v5, 30, v16
	v_and_b32_e32 v4, 3, v4
; %bb.809:                              ;   in Loop: Header=BB4_136 Depth=3
	s_or_b32 exec_lo, exec_lo, s76
	v_lshlrev_b32_e32 v2, 24, v2
	s_delay_alu instid0(VALU_DEP_1) | instskip(NEXT) | instid1(VALU_DEP_1)
	v_and_b32_e32 v2, 0x80000000, v2
	v_lshl_add_u32 v2, v5, 23, v2
	s_delay_alu instid0(VALU_DEP_1) | instskip(NEXT) | instid1(VALU_DEP_1)
	v_lshl_or_b32 v2, v4, 21, v2
                                        ; implicit-def: $vgpr4
	v_add_nc_u32_e32 v5, 0x38000000, v2
                                        ; implicit-def: $vgpr2
.LBB4_810:                              ;   in Loop: Header=BB4_136 Depth=3
	s_and_not1_saveexec_b32 s75, s75
; %bb.811:                              ;   in Loop: Header=BB4_136 Depth=3
	v_bfe_i32 v2, v2, 0, 8
	s_delay_alu instid0(VALU_DEP_1) | instskip(SKIP_2) | instid1(VALU_DEP_2)
	v_cmp_lt_i16_e32 vcc_lo, -1, v2
	v_cndmask_b32_e32 v2, 0xff800000, v48, vcc_lo
	v_cmp_eq_u32_e32 vcc_lo, 0, v4
	v_cndmask_b32_e32 v5, 0x7f800001, v2, vcc_lo
; %bb.812:                              ;   in Loop: Header=BB4_136 Depth=3
	s_or_b32 exec_lo, exec_lo, s75
.LBB4_813:                              ;   in Loop: Header=BB4_136 Depth=3
	s_delay_alu instid0(SALU_CYCLE_1)
	s_or_b32 exec_lo, exec_lo, s74
.LBB4_814:                              ;   in Loop: Header=BB4_136 Depth=3
	s_delay_alu instid0(SALU_CYCLE_1) | instskip(NEXT) | instid1(VALU_DEP_1)
	s_or_b32 exec_lo, exec_lo, s13
	v_dual_mul_f32 v16, s73, v5 :: v_dual_mov_b32 v19, v3
	v_mov_b32_e32 v5, v3
                                        ; implicit-def: $vgpr72
	s_mov_b32 s13, exec_lo
	s_delay_alu instid0(VALU_DEP_2) | instskip(SKIP_2) | instid1(VALU_DEP_3)
	v_and_b32_e32 v18, 0x7f800000, v16
	v_and_b32_e32 v4, 0x7fffff, v16
	v_lshrrev_b32_e32 v2, 24, v16
	v_cmpx_ne_u64_e32 0x7f800000, v[18:19]
	s_xor_b32 s74, exec_lo, s13
	s_cbranch_execz .LBB4_828
; %bb.815:                              ;   in Loop: Header=BB4_136 Depth=3
	v_and_b32_e32 v18, 0x7fffffff, v16
	v_mov_b32_e32 v19, v3
	v_and_b32_e32 v2, 0x80, v2
                                        ; implicit-def: $vgpr72
	s_mov_b32 s13, exec_lo
	s_delay_alu instid0(VALU_DEP_2)
	v_cmpx_gt_u64_e32 0x47600001, v[18:19]
	s_xor_b32 s75, exec_lo, s13
	s_cbranch_execz .LBB4_825
; %bb.816:                              ;   in Loop: Header=BB4_136 Depth=3
	v_mov_b32_e32 v72, 0
	s_mov_b32 s76, exec_lo
	v_cmpx_ne_u32_e32 0, v16
	s_cbranch_execz .LBB4_824
; %bb.817:                              ;   in Loop: Header=BB4_136 Depth=3
	v_bfe_u32 v18, v16, 23, 8
	v_or_b32_e32 v21, 0x800000, v4
	s_delay_alu instid0(VALU_DEP_2) | instskip(SKIP_1) | instid1(VALU_DEP_2)
	v_sub_nc_u32_e32 v16, 0x71, v18
	v_cmp_gt_u32_e32 vcc_lo, 0x72, v18
	v_cndmask_b32_e32 v16, 0, v16, vcc_lo
	v_cmp_eq_u32_e32 vcc_lo, 0, v18
	s_delay_alu instid0(VALU_DEP_2) | instskip(NEXT) | instid1(VALU_DEP_1)
	v_cndmask_b32_e64 v19, v16, 0x70, vcc_lo
	v_dual_cndmask_b32 v4, v21, v4, vcc_lo :: v_dual_add_nc_u32 v16, 21, v19
	v_add_nc_u32_e32 v66, 20, v19
	s_delay_alu instid0(VALU_DEP_2) | instskip(NEXT) | instid1(VALU_DEP_2)
	v_lshlrev_b64_e64 v[16:17], v16, -1
	v_lshlrev_b64_e64 v[66:67], v66, 1
	s_delay_alu instid0(VALU_DEP_2) | instskip(SKIP_1) | instid1(VALU_DEP_4)
	v_bfi_b32 v16, v16, 0, v4
	v_lshrrev_b64 v[4:5], v19, v[4:5]
	v_bfi_b32 v17, v17, 0, 0
	s_delay_alu instid0(VALU_DEP_1) | instskip(NEXT) | instid1(VALU_DEP_3)
	v_cmp_eq_u64_e64 s13, v[16:17], v[66:67]
	v_mov_b64_e32 v[16:17], v[4:5]
	s_and_saveexec_b32 s77, s13
; %bb.818:                              ;   in Loop: Header=BB4_136 Depth=3
	v_bfe_u32 v16, v4, 21, 1
	v_mov_b32_e32 v17, v3
	s_delay_alu instid0(VALU_DEP_1) | instskip(NEXT) | instid1(VALU_DEP_1)
	v_add_nc_u64_e32 v[16:17], v[4:5], v[16:17]
	v_add_nc_u64_e32 v[16:17], -1, v[16:17]
; %bb.819:                              ;   in Loop: Header=BB4_136 Depth=3
	s_or_b32 exec_lo, exec_lo, s77
	v_add_nc_u32_e32 v5, 0xffffff81, v18
	v_lshrrev_b32_e32 v17, 23, v4
	s_mov_b32 s13, exec_lo
	s_delay_alu instid0(VALU_DEP_2) | instskip(NEXT) | instid1(VALU_DEP_1)
	v_cndmask_b32_e64 v5, v5, 0xffffff82, vcc_lo
	v_add3_u32 v17, v19, v5, v17
	v_and_b32_e32 v5, 0x1fffff, v16
                                        ; implicit-def: $vgpr16
	s_delay_alu instid0(VALU_DEP_1) | instskip(SKIP_1) | instid1(VALU_DEP_2)
	v_dual_add_nc_u32 v18, 14, v17 :: v_dual_add_nc_u32 v4, v5, v4
	v_mov_b32_e32 v5, v3
	v_cmpx_ne_u32_e32 0, v18
	s_xor_b32 s13, exec_lo, s13
; %bb.820:                              ;   in Loop: Header=BB4_136 Depth=3
	s_delay_alu instid0(VALU_DEP_2) | instskip(SKIP_2) | instid1(VALU_DEP_2)
	v_cmp_lt_u64_e32 vcc_lo, 0xffffff, v[4:5]
	v_add_nc_u32_e32 v16, 15, v17
	v_cndmask_b32_e64 v17, 0, 1, vcc_lo
	v_cndmask_b32_e32 v16, v18, v16, vcc_lo
	s_delay_alu instid0(VALU_DEP_2)
	v_lshrrev_b64 v[4:5], v17, v[4:5]
; %bb.821:                              ;   in Loop: Header=BB4_136 Depth=3
	s_and_not1_saveexec_b32 s13, s13
; %bb.822:                              ;   in Loop: Header=BB4_136 Depth=3
	s_delay_alu instid0(VALU_DEP_1)
	v_bfe_u32 v16, v4, 23, 1
; %bb.823:                              ;   in Loop: Header=BB4_136 Depth=3
	s_or_b32 exec_lo, exec_lo, s13
	s_delay_alu instid0(VALU_DEP_2) | instskip(NEXT) | instid1(VALU_DEP_2)
	v_lshrrev_b64 v[4:5], 21, v[4:5]
	v_cmp_gt_i32_e32 vcc_lo, 32, v16
	v_min_i32_e32 v17, 31, v16
	v_cmp_eq_u32_e64 s13, 0, v16
	s_delay_alu instid0(VALU_DEP_4) | instskip(NEXT) | instid1(VALU_DEP_3)
	v_cndmask_b32_e32 v5, 0, v5, vcc_lo
	v_dual_cndmask_b32 v4, 3, v4 :: v_dual_lshlrev_b32 v17, 2, v17
	s_delay_alu instid0(VALU_DEP_1) | instskip(NEXT) | instid1(VALU_DEP_2)
	v_and_b32_e32 v17, 0xfc, v17
	v_cmp_eq_u64_e32 vcc_lo, 0, v[4:5]
	s_delay_alu instid0(VALU_DEP_2)
	v_and_or_b32 v4, v4, 3, v17
	s_and_b32 s13, s13, vcc_lo
	s_delay_alu instid0(VALU_DEP_1) | instid1(SALU_CYCLE_1)
	v_cndmask_b32_e64 v4, v4, 0, s13
	s_delay_alu instid0(VALU_DEP_1)
	v_or_b32_e32 v72, v4, v2
.LBB4_824:                              ;   in Loop: Header=BB4_136 Depth=3
	s_or_b32 exec_lo, exec_lo, s76
                                        ; implicit-def: $vgpr2
.LBB4_825:                              ;   in Loop: Header=BB4_136 Depth=3
	s_and_not1_saveexec_b32 s13, s75
; %bb.826:                              ;   in Loop: Header=BB4_136 Depth=3
	v_or_b32_e32 v72, 0x7b, v2
; %bb.827:                              ;   in Loop: Header=BB4_136 Depth=3
	s_or_b32 exec_lo, exec_lo, s13
                                        ; implicit-def: $vgpr16
                                        ; implicit-def: $vgpr4_vgpr5
                                        ; implicit-def: $vgpr2
.LBB4_828:                              ;   in Loop: Header=BB4_136 Depth=3
	s_and_not1_saveexec_b32 s13, s74
	s_cbranch_execz .LBB4_834
; %bb.829:                              ;   in Loop: Header=BB4_136 Depth=3
	s_mov_b32 s74, exec_lo
                                        ; implicit-def: $vgpr72
	v_cmpx_ne_u64_e32 0, v[4:5]
	s_xor_b32 s74, exec_lo, s74
; %bb.830:                              ;   in Loop: Header=BB4_136 Depth=3
	v_or_b32_e32 v72, 0x7f, v2
                                        ; implicit-def: $vgpr16
; %bb.831:                              ;   in Loop: Header=BB4_136 Depth=3
	s_and_not1_saveexec_b32 s74, s74
; %bb.832:                              ;   in Loop: Header=BB4_136 Depth=3
	v_cmp_lt_i32_e32 vcc_lo, -1, v16
	v_cndmask_b32_e32 v72, 0xfc, v49, vcc_lo
; %bb.833:                              ;   in Loop: Header=BB4_136 Depth=3
	s_or_b32 exec_lo, exec_lo, s74
.LBB4_834:                              ;   in Loop: Header=BB4_136 Depth=3
	s_delay_alu instid0(SALU_CYCLE_1)
	s_or_b32 exec_lo, exec_lo, s13
	v_mov_b32_e32 v4, 0
	s_mov_b32 s13, exec_lo
	v_cmpx_lt_u64_e64 s[22:23], v[8:9]
	s_cbranch_execz .LBB4_844
; %bb.835:                              ;   in Loop: Header=BB4_136 Depth=3
	v_lshrrev_b32_e32 v2, 24, v9
	v_bfrev_b32_e32 v4, 1
	s_mov_b32 s74, exec_lo
	s_delay_alu instid0(VALU_DEP_2)
	v_cmpx_ne_u32_e32 0x80, v2
	s_cbranch_execz .LBB4_843
; %bb.836:                              ;   in Loop: Header=BB4_136 Depth=3
	v_and_b32_e32 v4, 0x7c000000, v9
	v_bfe_u32 v5, v9, 24, 2
	s_delay_alu instid0(VALU_DEP_2) | instskip(SKIP_1) | instid1(SALU_CYCLE_1)
	v_cmp_ne_u32_e32 vcc_lo, 0x7c000000, v4
                                        ; implicit-def: $vgpr4
	s_and_saveexec_b32 s75, vcc_lo
	s_xor_b32 s75, exec_lo, s75
	s_cbranch_execz .LBB4_840
; %bb.837:                              ;   in Loop: Header=BB4_136 Depth=3
	v_bfe_u32 v4, v9, 26, 5
	s_mov_b32 s76, exec_lo
	s_delay_alu instid0(VALU_DEP_1)
	v_cmpx_eq_u32_e32 0, v4
; %bb.838:                              ;   in Loop: Header=BB4_136 Depth=3
	v_clz_i32_u32_e32 v4, v5
	s_delay_alu instid0(VALU_DEP_1) | instskip(NEXT) | instid1(VALU_DEP_1)
	v_min_u32_e32 v4, 32, v4
	v_subrev_nc_u32_e32 v5, 29, v4
	v_sub_nc_u32_e32 v4, 30, v4
	s_delay_alu instid0(VALU_DEP_2) | instskip(NEXT) | instid1(VALU_DEP_1)
	v_lshlrev_b64_e32 v[16:17], v5, v[2:3]
	v_and_b32_e32 v5, 3, v16
; %bb.839:                              ;   in Loop: Header=BB4_136 Depth=3
	s_or_b32 exec_lo, exec_lo, s76
	v_and_b32_e32 v2, 0x80000000, v9
	s_delay_alu instid0(VALU_DEP_1) | instskip(NEXT) | instid1(VALU_DEP_1)
	v_lshl_add_u32 v2, v4, 23, v2
	v_lshl_or_b32 v2, v5, 21, v2
                                        ; implicit-def: $vgpr5
	s_delay_alu instid0(VALU_DEP_1)
	v_add_nc_u32_e32 v4, 0x38000000, v2
.LBB4_840:                              ;   in Loop: Header=BB4_136 Depth=3
	s_and_not1_saveexec_b32 s75, s75
; %bb.841:                              ;   in Loop: Header=BB4_136 Depth=3
	v_cmp_lt_i64_e32 vcc_lo, -1, v[8:9]
	v_cndmask_b32_e32 v2, 0xff800000, v48, vcc_lo
	v_cmp_eq_u32_e32 vcc_lo, 0, v5
	s_delay_alu instid0(VALU_DEP_2)
	v_cndmask_b32_e32 v4, 0x7f800001, v2, vcc_lo
; %bb.842:                              ;   in Loop: Header=BB4_136 Depth=3
	s_or_b32 exec_lo, exec_lo, s75
.LBB4_843:                              ;   in Loop: Header=BB4_136 Depth=3
	s_delay_alu instid0(SALU_CYCLE_1)
	s_or_b32 exec_lo, exec_lo, s74
.LBB4_844:                              ;   in Loop: Header=BB4_136 Depth=3
	s_delay_alu instid0(SALU_CYCLE_1) | instskip(NEXT) | instid1(VALU_DEP_1)
	s_or_b32 exec_lo, exec_lo, s13
	v_dual_mul_f32 v8, s73, v4 :: v_dual_mov_b32 v17, v3
	v_mov_b32_e32 v5, v3
                                        ; implicit-def: $vgpr73
	s_mov_b32 s13, exec_lo
	s_delay_alu instid0(VALU_DEP_2) | instskip(SKIP_2) | instid1(VALU_DEP_3)
	v_and_b32_e32 v16, 0x7f800000, v8
	v_and_b32_e32 v4, 0x7fffff, v8
	v_lshrrev_b32_e32 v2, 24, v8
	v_cmpx_ne_u64_e32 0x7f800000, v[16:17]
	s_xor_b32 s74, exec_lo, s13
	s_cbranch_execz .LBB4_858
; %bb.845:                              ;   in Loop: Header=BB4_136 Depth=3
	v_and_b32_e32 v16, 0x7fffffff, v8
	v_mov_b32_e32 v17, v3
	v_and_b32_e32 v2, 0x80, v2
                                        ; implicit-def: $vgpr73
	s_mov_b32 s13, exec_lo
	s_delay_alu instid0(VALU_DEP_2)
	v_cmpx_gt_u64_e32 0x47600001, v[16:17]
	s_xor_b32 s75, exec_lo, s13
	s_cbranch_execz .LBB4_855
; %bb.846:                              ;   in Loop: Header=BB4_136 Depth=3
	v_mov_b32_e32 v73, 0
	s_mov_b32 s76, exec_lo
	v_cmpx_ne_u32_e32 0, v8
	s_cbranch_execz .LBB4_854
; %bb.847:                              ;   in Loop: Header=BB4_136 Depth=3
	v_bfe_u32 v16, v8, 23, 8
	v_or_b32_e32 v18, 0x800000, v4
	s_delay_alu instid0(VALU_DEP_2) | instskip(SKIP_1) | instid1(VALU_DEP_2)
	v_sub_nc_u32_e32 v8, 0x71, v16
	v_cmp_gt_u32_e32 vcc_lo, 0x72, v16
	v_cndmask_b32_e32 v8, 0, v8, vcc_lo
	v_cmp_eq_u32_e32 vcc_lo, 0, v16
	s_delay_alu instid0(VALU_DEP_2) | instskip(NEXT) | instid1(VALU_DEP_1)
	v_cndmask_b32_e64 v17, v8, 0x70, vcc_lo
	v_dual_cndmask_b32 v4, v18, v4, vcc_lo :: v_dual_add_nc_u32 v8, 21, v17
	v_add_nc_u32_e32 v19, 20, v17
	s_delay_alu instid0(VALU_DEP_2) | instskip(NEXT) | instid1(VALU_DEP_2)
	v_lshlrev_b64_e64 v[8:9], v8, -1
	v_lshlrev_b64_e64 v[18:19], v19, 1
	s_delay_alu instid0(VALU_DEP_2) | instskip(SKIP_1) | instid1(VALU_DEP_4)
	v_bfi_b32 v8, v8, 0, v4
	v_lshrrev_b64 v[4:5], v17, v[4:5]
	v_bfi_b32 v9, v9, 0, 0
	s_delay_alu instid0(VALU_DEP_1) | instskip(NEXT) | instid1(VALU_DEP_3)
	v_cmp_eq_u64_e64 s13, v[8:9], v[18:19]
	v_mov_b64_e32 v[8:9], v[4:5]
	s_and_saveexec_b32 s77, s13
; %bb.848:                              ;   in Loop: Header=BB4_136 Depth=3
	v_bfe_u32 v8, v4, 21, 1
	v_mov_b32_e32 v9, v3
	s_delay_alu instid0(VALU_DEP_1) | instskip(NEXT) | instid1(VALU_DEP_1)
	v_add_nc_u64_e32 v[8:9], v[4:5], v[8:9]
	v_add_nc_u64_e32 v[8:9], -1, v[8:9]
; %bb.849:                              ;   in Loop: Header=BB4_136 Depth=3
	s_or_b32 exec_lo, exec_lo, s77
	v_add_nc_u32_e32 v5, 0xffffff81, v16
	v_lshrrev_b32_e32 v9, 23, v4
	s_mov_b32 s13, exec_lo
	s_delay_alu instid0(VALU_DEP_2) | instskip(NEXT) | instid1(VALU_DEP_1)
	v_cndmask_b32_e64 v5, v5, 0xffffff82, vcc_lo
	v_add3_u32 v9, v17, v5, v9
	v_and_b32_e32 v5, 0x1fffff, v8
                                        ; implicit-def: $vgpr8
	s_delay_alu instid0(VALU_DEP_1) | instskip(SKIP_1) | instid1(VALU_DEP_2)
	v_dual_add_nc_u32 v16, 14, v9 :: v_dual_add_nc_u32 v4, v5, v4
	v_mov_b32_e32 v5, v3
	v_cmpx_ne_u32_e32 0, v16
	s_xor_b32 s13, exec_lo, s13
; %bb.850:                              ;   in Loop: Header=BB4_136 Depth=3
	s_delay_alu instid0(VALU_DEP_2) | instskip(SKIP_2) | instid1(VALU_DEP_2)
	v_cmp_lt_u64_e32 vcc_lo, 0xffffff, v[4:5]
	v_add_nc_u32_e32 v8, 15, v9
	v_cndmask_b32_e64 v9, 0, 1, vcc_lo
	v_cndmask_b32_e32 v8, v16, v8, vcc_lo
	s_delay_alu instid0(VALU_DEP_2)
	v_lshrrev_b64 v[4:5], v9, v[4:5]
; %bb.851:                              ;   in Loop: Header=BB4_136 Depth=3
	s_and_not1_saveexec_b32 s13, s13
; %bb.852:                              ;   in Loop: Header=BB4_136 Depth=3
	s_delay_alu instid0(VALU_DEP_1)
	v_bfe_u32 v8, v4, 23, 1
; %bb.853:                              ;   in Loop: Header=BB4_136 Depth=3
	s_or_b32 exec_lo, exec_lo, s13
	s_delay_alu instid0(VALU_DEP_2) | instskip(NEXT) | instid1(VALU_DEP_2)
	v_lshrrev_b64 v[4:5], 21, v[4:5]
	v_cmp_gt_i32_e32 vcc_lo, 32, v8
	v_min_i32_e32 v9, 31, v8
	v_cmp_eq_u32_e64 s13, 0, v8
	s_delay_alu instid0(VALU_DEP_4) | instskip(NEXT) | instid1(VALU_DEP_3)
	v_cndmask_b32_e32 v5, 0, v5, vcc_lo
	v_dual_cndmask_b32 v4, 3, v4 :: v_dual_lshlrev_b32 v9, 2, v9
	s_delay_alu instid0(VALU_DEP_1) | instskip(NEXT) | instid1(VALU_DEP_2)
	v_and_b32_e32 v9, 0xfc, v9
	v_cmp_eq_u64_e32 vcc_lo, 0, v[4:5]
	s_delay_alu instid0(VALU_DEP_2)
	v_and_or_b32 v4, v4, 3, v9
	s_and_b32 s13, s13, vcc_lo
	s_delay_alu instid0(VALU_DEP_1) | instid1(SALU_CYCLE_1)
	v_cndmask_b32_e64 v4, v4, 0, s13
	s_delay_alu instid0(VALU_DEP_1)
	v_or_b32_e32 v73, v4, v2
.LBB4_854:                              ;   in Loop: Header=BB4_136 Depth=3
	s_or_b32 exec_lo, exec_lo, s76
                                        ; implicit-def: $vgpr2
.LBB4_855:                              ;   in Loop: Header=BB4_136 Depth=3
	s_and_not1_saveexec_b32 s13, s75
; %bb.856:                              ;   in Loop: Header=BB4_136 Depth=3
	v_or_b32_e32 v73, 0x7b, v2
; %bb.857:                              ;   in Loop: Header=BB4_136 Depth=3
	s_or_b32 exec_lo, exec_lo, s13
                                        ; implicit-def: $vgpr8
                                        ; implicit-def: $vgpr4_vgpr5
                                        ; implicit-def: $vgpr2
.LBB4_858:                              ;   in Loop: Header=BB4_136 Depth=3
	s_and_not1_saveexec_b32 s13, s74
	s_cbranch_execz .LBB4_864
; %bb.859:                              ;   in Loop: Header=BB4_136 Depth=3
	s_mov_b32 s74, exec_lo
                                        ; implicit-def: $vgpr73
	v_cmpx_ne_u64_e32 0, v[4:5]
	s_xor_b32 s74, exec_lo, s74
; %bb.860:                              ;   in Loop: Header=BB4_136 Depth=3
	v_or_b32_e32 v73, 0x7f, v2
                                        ; implicit-def: $vgpr8
; %bb.861:                              ;   in Loop: Header=BB4_136 Depth=3
	s_and_not1_saveexec_b32 s74, s74
; %bb.862:                              ;   in Loop: Header=BB4_136 Depth=3
	v_cmp_lt_i32_e32 vcc_lo, -1, v8
	v_cndmask_b32_e32 v73, 0xfc, v49, vcc_lo
; %bb.863:                              ;   in Loop: Header=BB4_136 Depth=3
	s_or_b32 exec_lo, exec_lo, s74
.LBB4_864:                              ;   in Loop: Header=BB4_136 Depth=3
	s_delay_alu instid0(SALU_CYCLE_1) | instskip(SKIP_1) | instid1(VALU_DEP_1)
	s_or_b32 exec_lo, exec_lo, s13
	v_and_b32_e32 v2, 0xff, v10
	v_cmp_ne_u16_e32 vcc_lo, 0, v2
	v_mov_b32_e32 v2, 0
	s_and_saveexec_b32 s13, vcc_lo
	s_cbranch_execz .LBB4_874
; %bb.865:                              ;   in Loop: Header=BB4_136 Depth=3
	v_bfe_i32 v5, v10, 0, 8
	v_bfrev_b32_e32 v2, 1
	s_mov_b32 s74, exec_lo
	s_delay_alu instid0(VALU_DEP_2)
	v_cmpx_ne_u16_e32 0xff80, v5
	s_cbranch_execz .LBB4_873
; %bb.866:                              ;   in Loop: Header=BB4_136 Depth=3
	v_and_b32_e32 v2, 0x7c, v10
	v_and_b32_e32 v4, 3, v10
	s_delay_alu instid0(VALU_DEP_2) | instskip(SKIP_1) | instid1(SALU_CYCLE_1)
	v_cmp_ne_u32_e32 vcc_lo, 0x7c, v2
                                        ; implicit-def: $vgpr2
	s_and_saveexec_b32 s75, vcc_lo
	s_xor_b32 s75, exec_lo, s75
	s_cbranch_execz .LBB4_870
; %bb.867:                              ;   in Loop: Header=BB4_136 Depth=3
	v_bfe_u32 v2, v10, 2, 5
	s_mov_b32 s76, exec_lo
	s_delay_alu instid0(VALU_DEP_1)
	v_cmpx_eq_u32_e32 0, v2
; %bb.868:                              ;   in Loop: Header=BB4_136 Depth=3
	v_clz_i32_u32_e32 v2, v4
	s_delay_alu instid0(VALU_DEP_1) | instskip(NEXT) | instid1(VALU_DEP_1)
	v_min_u32_e32 v2, 32, v2
	v_subrev_nc_u32_e32 v4, 29, v2
	s_delay_alu instid0(VALU_DEP_1) | instskip(NEXT) | instid1(VALU_DEP_1)
	v_lshlrev_b64_e32 v[4:5], v4, v[10:11]
	v_dual_sub_nc_u32 v2, 30, v2 :: v_dual_bitop2_b32 v4, 3, v4 bitop3:0x40
; %bb.869:                              ;   in Loop: Header=BB4_136 Depth=3
	s_or_b32 exec_lo, exec_lo, s76
	v_lshlrev_b32_e32 v5, 24, v10
	s_delay_alu instid0(VALU_DEP_1) | instskip(NEXT) | instid1(VALU_DEP_1)
	v_and_b32_e32 v5, 0x80000000, v5
	v_lshl_add_u32 v2, v2, 23, v5
                                        ; implicit-def: $vgpr5
	s_delay_alu instid0(VALU_DEP_1) | instskip(NEXT) | instid1(VALU_DEP_1)
	v_lshl_or_b32 v2, v4, 21, v2
                                        ; implicit-def: $vgpr4
	v_add_nc_u32_e32 v2, 0x38000000, v2
.LBB4_870:                              ;   in Loop: Header=BB4_136 Depth=3
	s_and_not1_saveexec_b32 s75, s75
; %bb.871:                              ;   in Loop: Header=BB4_136 Depth=3
	v_cmp_lt_i16_e32 vcc_lo, -1, v5
	v_cndmask_b32_e32 v2, 0xff800000, v48, vcc_lo
	v_cmp_eq_u32_e32 vcc_lo, 0, v4
	s_delay_alu instid0(VALU_DEP_2)
	v_cndmask_b32_e32 v2, 0x7f800001, v2, vcc_lo
; %bb.872:                              ;   in Loop: Header=BB4_136 Depth=3
	s_or_b32 exec_lo, exec_lo, s75
.LBB4_873:                              ;   in Loop: Header=BB4_136 Depth=3
	s_delay_alu instid0(SALU_CYCLE_1)
	s_or_b32 exec_lo, exec_lo, s74
.LBB4_874:                              ;   in Loop: Header=BB4_136 Depth=3
	s_delay_alu instid0(SALU_CYCLE_1) | instskip(NEXT) | instid1(VALU_DEP_1)
	s_or_b32 exec_lo, exec_lo, s13
	v_dual_mul_f32 v8, s73, v2 :: v_dual_mov_b32 v17, v3
	v_mov_b32_e32 v5, v3
                                        ; implicit-def: $vgpr74
	s_mov_b32 s13, exec_lo
	s_delay_alu instid0(VALU_DEP_2) | instskip(SKIP_2) | instid1(VALU_DEP_3)
	v_and_b32_e32 v16, 0x7f800000, v8
	v_and_b32_e32 v4, 0x7fffff, v8
	v_lshrrev_b32_e32 v2, 24, v8
	v_cmpx_ne_u64_e32 0x7f800000, v[16:17]
	s_xor_b32 s74, exec_lo, s13
	s_cbranch_execz .LBB4_888
; %bb.875:                              ;   in Loop: Header=BB4_136 Depth=3
	v_and_b32_e32 v16, 0x7fffffff, v8
	v_mov_b32_e32 v17, v3
	v_and_b32_e32 v2, 0x80, v2
                                        ; implicit-def: $vgpr74
	s_mov_b32 s13, exec_lo
	s_delay_alu instid0(VALU_DEP_2)
	v_cmpx_gt_u64_e32 0x47600001, v[16:17]
	s_xor_b32 s75, exec_lo, s13
	s_cbranch_execz .LBB4_885
; %bb.876:                              ;   in Loop: Header=BB4_136 Depth=3
	v_mov_b32_e32 v74, 0
	s_mov_b32 s76, exec_lo
	v_cmpx_ne_u32_e32 0, v8
	s_cbranch_execz .LBB4_884
; %bb.877:                              ;   in Loop: Header=BB4_136 Depth=3
	v_bfe_u32 v16, v8, 23, 8
	v_or_b32_e32 v18, 0x800000, v4
	s_delay_alu instid0(VALU_DEP_2) | instskip(SKIP_1) | instid1(VALU_DEP_2)
	v_sub_nc_u32_e32 v8, 0x71, v16
	v_cmp_gt_u32_e32 vcc_lo, 0x72, v16
	v_cndmask_b32_e32 v8, 0, v8, vcc_lo
	v_cmp_eq_u32_e32 vcc_lo, 0, v16
	s_delay_alu instid0(VALU_DEP_2) | instskip(NEXT) | instid1(VALU_DEP_1)
	v_cndmask_b32_e64 v17, v8, 0x70, vcc_lo
	v_dual_cndmask_b32 v4, v18, v4, vcc_lo :: v_dual_add_nc_u32 v8, 21, v17
	v_add_nc_u32_e32 v19, 20, v17
	s_delay_alu instid0(VALU_DEP_2) | instskip(NEXT) | instid1(VALU_DEP_2)
	v_lshlrev_b64_e64 v[8:9], v8, -1
	v_lshlrev_b64_e64 v[18:19], v19, 1
	s_delay_alu instid0(VALU_DEP_2) | instskip(SKIP_1) | instid1(VALU_DEP_4)
	v_bfi_b32 v8, v8, 0, v4
	v_lshrrev_b64 v[4:5], v17, v[4:5]
	v_bfi_b32 v9, v9, 0, 0
	s_delay_alu instid0(VALU_DEP_1) | instskip(NEXT) | instid1(VALU_DEP_3)
	v_cmp_eq_u64_e64 s13, v[8:9], v[18:19]
	v_mov_b64_e32 v[8:9], v[4:5]
	s_and_saveexec_b32 s77, s13
; %bb.878:                              ;   in Loop: Header=BB4_136 Depth=3
	v_bfe_u32 v8, v4, 21, 1
	v_mov_b32_e32 v9, v3
	s_delay_alu instid0(VALU_DEP_1) | instskip(NEXT) | instid1(VALU_DEP_1)
	v_add_nc_u64_e32 v[8:9], v[4:5], v[8:9]
	v_add_nc_u64_e32 v[8:9], -1, v[8:9]
; %bb.879:                              ;   in Loop: Header=BB4_136 Depth=3
	s_or_b32 exec_lo, exec_lo, s77
	v_add_nc_u32_e32 v5, 0xffffff81, v16
	v_lshrrev_b32_e32 v9, 23, v4
	s_mov_b32 s13, exec_lo
	s_delay_alu instid0(VALU_DEP_2) | instskip(NEXT) | instid1(VALU_DEP_1)
	v_cndmask_b32_e64 v5, v5, 0xffffff82, vcc_lo
	v_add3_u32 v9, v17, v5, v9
	v_and_b32_e32 v5, 0x1fffff, v8
                                        ; implicit-def: $vgpr8
	s_delay_alu instid0(VALU_DEP_1) | instskip(SKIP_1) | instid1(VALU_DEP_2)
	v_dual_add_nc_u32 v16, 14, v9 :: v_dual_add_nc_u32 v4, v5, v4
	v_mov_b32_e32 v5, v3
	v_cmpx_ne_u32_e32 0, v16
	s_xor_b32 s13, exec_lo, s13
; %bb.880:                              ;   in Loop: Header=BB4_136 Depth=3
	s_delay_alu instid0(VALU_DEP_2) | instskip(SKIP_2) | instid1(VALU_DEP_2)
	v_cmp_lt_u64_e32 vcc_lo, 0xffffff, v[4:5]
	v_add_nc_u32_e32 v8, 15, v9
	v_cndmask_b32_e64 v9, 0, 1, vcc_lo
	v_cndmask_b32_e32 v8, v16, v8, vcc_lo
	s_delay_alu instid0(VALU_DEP_2)
	v_lshrrev_b64 v[4:5], v9, v[4:5]
; %bb.881:                              ;   in Loop: Header=BB4_136 Depth=3
	s_and_not1_saveexec_b32 s13, s13
; %bb.882:                              ;   in Loop: Header=BB4_136 Depth=3
	s_delay_alu instid0(VALU_DEP_1)
	v_bfe_u32 v8, v4, 23, 1
; %bb.883:                              ;   in Loop: Header=BB4_136 Depth=3
	s_or_b32 exec_lo, exec_lo, s13
	s_delay_alu instid0(VALU_DEP_2) | instskip(NEXT) | instid1(VALU_DEP_2)
	v_lshrrev_b64 v[4:5], 21, v[4:5]
	v_cmp_gt_i32_e32 vcc_lo, 32, v8
	v_min_i32_e32 v9, 31, v8
	v_cmp_eq_u32_e64 s13, 0, v8
	s_delay_alu instid0(VALU_DEP_4) | instskip(NEXT) | instid1(VALU_DEP_3)
	v_cndmask_b32_e32 v5, 0, v5, vcc_lo
	v_dual_cndmask_b32 v4, 3, v4 :: v_dual_lshlrev_b32 v9, 2, v9
	s_delay_alu instid0(VALU_DEP_1) | instskip(NEXT) | instid1(VALU_DEP_2)
	v_and_b32_e32 v9, 0xfc, v9
	v_cmp_eq_u64_e32 vcc_lo, 0, v[4:5]
	s_delay_alu instid0(VALU_DEP_2)
	v_and_or_b32 v4, v4, 3, v9
	s_and_b32 s13, s13, vcc_lo
	s_delay_alu instid0(VALU_DEP_1) | instid1(SALU_CYCLE_1)
	v_cndmask_b32_e64 v4, v4, 0, s13
	s_delay_alu instid0(VALU_DEP_1)
	v_or_b32_e32 v74, v4, v2
.LBB4_884:                              ;   in Loop: Header=BB4_136 Depth=3
	s_or_b32 exec_lo, exec_lo, s76
                                        ; implicit-def: $vgpr2
.LBB4_885:                              ;   in Loop: Header=BB4_136 Depth=3
	s_and_not1_saveexec_b32 s13, s75
; %bb.886:                              ;   in Loop: Header=BB4_136 Depth=3
	v_or_b32_e32 v74, 0x7b, v2
; %bb.887:                              ;   in Loop: Header=BB4_136 Depth=3
	s_or_b32 exec_lo, exec_lo, s13
                                        ; implicit-def: $vgpr8
                                        ; implicit-def: $vgpr4_vgpr5
                                        ; implicit-def: $vgpr2
.LBB4_888:                              ;   in Loop: Header=BB4_136 Depth=3
	s_and_not1_saveexec_b32 s13, s74
	s_cbranch_execz .LBB4_894
; %bb.889:                              ;   in Loop: Header=BB4_136 Depth=3
	s_mov_b32 s74, exec_lo
                                        ; implicit-def: $vgpr74
	v_cmpx_ne_u64_e32 0, v[4:5]
	s_xor_b32 s74, exec_lo, s74
; %bb.890:                              ;   in Loop: Header=BB4_136 Depth=3
	v_or_b32_e32 v74, 0x7f, v2
                                        ; implicit-def: $vgpr8
; %bb.891:                              ;   in Loop: Header=BB4_136 Depth=3
	s_and_not1_saveexec_b32 s74, s74
; %bb.892:                              ;   in Loop: Header=BB4_136 Depth=3
	v_cmp_lt_i32_e32 vcc_lo, -1, v8
	v_cndmask_b32_e32 v74, 0xfc, v49, vcc_lo
; %bb.893:                              ;   in Loop: Header=BB4_136 Depth=3
	s_or_b32 exec_lo, exec_lo, s74
.LBB4_894:                              ;   in Loop: Header=BB4_136 Depth=3
	s_delay_alu instid0(SALU_CYCLE_1) | instskip(SKIP_3) | instid1(VALU_DEP_2)
	s_or_b32 exec_lo, exec_lo, s13
	v_lshrrev_b16 v4, 8, v10
	v_mov_b32_e32 v5, 0
	s_mov_b32 s13, exec_lo
	v_cmpx_ne_u16_e32 0, v4
	s_cbranch_execz .LBB4_904
; %bb.895:                              ;   in Loop: Header=BB4_136 Depth=3
	v_bfrev_b32_e32 v5, 1
	s_mov_b32 s74, exec_lo
	v_cmpx_ne_u16_e32 0x80, v4
	s_cbranch_execz .LBB4_903
; %bb.896:                              ;   in Loop: Header=BB4_136 Depth=3
	v_and_b32_e32 v8, 0xffff, v4
	s_delay_alu instid0(VALU_DEP_1) | instskip(SKIP_1) | instid1(VALU_DEP_2)
	v_and_b32_e32 v5, 0x7c, v8
	v_and_b32_e32 v2, 3, v8
	v_cmp_ne_u32_e32 vcc_lo, 0x7c, v5
                                        ; implicit-def: $vgpr5
	s_and_saveexec_b32 s75, vcc_lo
	s_delay_alu instid0(SALU_CYCLE_1)
	s_xor_b32 s75, exec_lo, s75
	s_cbranch_execz .LBB4_900
; %bb.897:                              ;   in Loop: Header=BB4_136 Depth=3
	v_bfe_u32 v5, v8, 2, 5
	s_mov_b32 s76, exec_lo
	s_delay_alu instid0(VALU_DEP_1)
	v_cmpx_eq_u32_e32 0, v5
; %bb.898:                              ;   in Loop: Header=BB4_136 Depth=3
	v_clz_i32_u32_e32 v2, v2
	v_mov_b32_e32 v5, v3
	s_delay_alu instid0(VALU_DEP_2) | instskip(NEXT) | instid1(VALU_DEP_1)
	v_min_u32_e32 v2, 32, v2
	v_subrev_nc_u32_e32 v8, 29, v2
	s_delay_alu instid0(VALU_DEP_1) | instskip(NEXT) | instid1(VALU_DEP_1)
	v_lshlrev_b64_e32 v[4:5], v8, v[4:5]
	v_dual_sub_nc_u32 v5, 30, v2 :: v_dual_bitop2_b32 v2, 3, v4 bitop3:0x40
; %bb.899:                              ;   in Loop: Header=BB4_136 Depth=3
	s_or_b32 exec_lo, exec_lo, s76
	v_lshlrev_b32_e32 v4, 16, v10
	s_delay_alu instid0(VALU_DEP_1) | instskip(NEXT) | instid1(VALU_DEP_1)
	v_and_b32_e32 v4, 0x80000000, v4
	v_lshl_add_u32 v4, v5, 23, v4
	s_delay_alu instid0(VALU_DEP_1) | instskip(NEXT) | instid1(VALU_DEP_1)
	v_lshl_or_b32 v2, v2, 21, v4
	v_add_nc_u32_e32 v5, 0x38000000, v2
                                        ; implicit-def: $vgpr2
.LBB4_900:                              ;   in Loop: Header=BB4_136 Depth=3
	s_and_not1_saveexec_b32 s75, s75
; %bb.901:                              ;   in Loop: Header=BB4_136 Depth=3
	v_cmp_lt_i16_e32 vcc_lo, -1, v10
	v_cndmask_b32_e32 v4, 0xff800000, v48, vcc_lo
	v_cmp_eq_u32_e32 vcc_lo, 0, v2
	s_delay_alu instid0(VALU_DEP_2)
	v_cndmask_b32_e32 v5, 0x7f800001, v4, vcc_lo
; %bb.902:                              ;   in Loop: Header=BB4_136 Depth=3
	s_or_b32 exec_lo, exec_lo, s75
.LBB4_903:                              ;   in Loop: Header=BB4_136 Depth=3
	s_delay_alu instid0(SALU_CYCLE_1)
	s_or_b32 exec_lo, exec_lo, s74
.LBB4_904:                              ;   in Loop: Header=BB4_136 Depth=3
	s_delay_alu instid0(SALU_CYCLE_1) | instskip(NEXT) | instid1(VALU_DEP_1)
	s_or_b32 exec_lo, exec_lo, s13
	v_dual_mul_f32 v8, s73, v5 :: v_dual_mov_b32 v17, v3
	v_mov_b32_e32 v5, v3
                                        ; implicit-def: $vgpr75
	s_mov_b32 s13, exec_lo
	s_delay_alu instid0(VALU_DEP_2) | instskip(SKIP_2) | instid1(VALU_DEP_3)
	v_and_b32_e32 v16, 0x7f800000, v8
	v_and_b32_e32 v4, 0x7fffff, v8
	v_lshrrev_b32_e32 v2, 24, v8
	v_cmpx_ne_u64_e32 0x7f800000, v[16:17]
	s_xor_b32 s74, exec_lo, s13
	s_cbranch_execz .LBB4_918
; %bb.905:                              ;   in Loop: Header=BB4_136 Depth=3
	v_and_b32_e32 v16, 0x7fffffff, v8
	v_mov_b32_e32 v17, v3
	v_and_b32_e32 v2, 0x80, v2
                                        ; implicit-def: $vgpr75
	s_mov_b32 s13, exec_lo
	s_delay_alu instid0(VALU_DEP_2)
	v_cmpx_gt_u64_e32 0x47600001, v[16:17]
	s_xor_b32 s75, exec_lo, s13
	s_cbranch_execz .LBB4_915
; %bb.906:                              ;   in Loop: Header=BB4_136 Depth=3
	v_mov_b32_e32 v75, 0
	s_mov_b32 s76, exec_lo
	v_cmpx_ne_u32_e32 0, v8
	s_cbranch_execz .LBB4_914
; %bb.907:                              ;   in Loop: Header=BB4_136 Depth=3
	v_bfe_u32 v16, v8, 23, 8
	v_or_b32_e32 v18, 0x800000, v4
	s_delay_alu instid0(VALU_DEP_2) | instskip(SKIP_1) | instid1(VALU_DEP_2)
	v_sub_nc_u32_e32 v8, 0x71, v16
	v_cmp_gt_u32_e32 vcc_lo, 0x72, v16
	v_cndmask_b32_e32 v8, 0, v8, vcc_lo
	v_cmp_eq_u32_e32 vcc_lo, 0, v16
	s_delay_alu instid0(VALU_DEP_2) | instskip(NEXT) | instid1(VALU_DEP_1)
	v_cndmask_b32_e64 v17, v8, 0x70, vcc_lo
	v_dual_cndmask_b32 v4, v18, v4, vcc_lo :: v_dual_add_nc_u32 v8, 21, v17
	v_add_nc_u32_e32 v19, 20, v17
	s_delay_alu instid0(VALU_DEP_2) | instskip(NEXT) | instid1(VALU_DEP_2)
	v_lshlrev_b64_e64 v[8:9], v8, -1
	v_lshlrev_b64_e64 v[18:19], v19, 1
	s_delay_alu instid0(VALU_DEP_2) | instskip(SKIP_1) | instid1(VALU_DEP_4)
	v_bfi_b32 v8, v8, 0, v4
	v_lshrrev_b64 v[4:5], v17, v[4:5]
	v_bfi_b32 v9, v9, 0, 0
	s_delay_alu instid0(VALU_DEP_1) | instskip(NEXT) | instid1(VALU_DEP_3)
	v_cmp_eq_u64_e64 s13, v[8:9], v[18:19]
	v_mov_b64_e32 v[8:9], v[4:5]
	s_and_saveexec_b32 s77, s13
; %bb.908:                              ;   in Loop: Header=BB4_136 Depth=3
	v_bfe_u32 v8, v4, 21, 1
	v_mov_b32_e32 v9, v3
	s_delay_alu instid0(VALU_DEP_1) | instskip(NEXT) | instid1(VALU_DEP_1)
	v_add_nc_u64_e32 v[8:9], v[4:5], v[8:9]
	v_add_nc_u64_e32 v[8:9], -1, v[8:9]
; %bb.909:                              ;   in Loop: Header=BB4_136 Depth=3
	s_or_b32 exec_lo, exec_lo, s77
	v_add_nc_u32_e32 v5, 0xffffff81, v16
	v_lshrrev_b32_e32 v9, 23, v4
	s_mov_b32 s13, exec_lo
	s_delay_alu instid0(VALU_DEP_2) | instskip(NEXT) | instid1(VALU_DEP_1)
	v_cndmask_b32_e64 v5, v5, 0xffffff82, vcc_lo
	v_add3_u32 v9, v17, v5, v9
	v_and_b32_e32 v5, 0x1fffff, v8
                                        ; implicit-def: $vgpr8
	s_delay_alu instid0(VALU_DEP_1) | instskip(SKIP_1) | instid1(VALU_DEP_2)
	v_dual_add_nc_u32 v16, 14, v9 :: v_dual_add_nc_u32 v4, v5, v4
	v_mov_b32_e32 v5, v3
	v_cmpx_ne_u32_e32 0, v16
	s_xor_b32 s13, exec_lo, s13
; %bb.910:                              ;   in Loop: Header=BB4_136 Depth=3
	s_delay_alu instid0(VALU_DEP_2) | instskip(SKIP_2) | instid1(VALU_DEP_2)
	v_cmp_lt_u64_e32 vcc_lo, 0xffffff, v[4:5]
	v_add_nc_u32_e32 v8, 15, v9
	v_cndmask_b32_e64 v9, 0, 1, vcc_lo
	v_cndmask_b32_e32 v8, v16, v8, vcc_lo
	s_delay_alu instid0(VALU_DEP_2)
	v_lshrrev_b64 v[4:5], v9, v[4:5]
; %bb.911:                              ;   in Loop: Header=BB4_136 Depth=3
	s_and_not1_saveexec_b32 s13, s13
; %bb.912:                              ;   in Loop: Header=BB4_136 Depth=3
	s_delay_alu instid0(VALU_DEP_1)
	v_bfe_u32 v8, v4, 23, 1
; %bb.913:                              ;   in Loop: Header=BB4_136 Depth=3
	s_or_b32 exec_lo, exec_lo, s13
	s_delay_alu instid0(VALU_DEP_2) | instskip(NEXT) | instid1(VALU_DEP_2)
	v_lshrrev_b64 v[4:5], 21, v[4:5]
	v_cmp_gt_i32_e32 vcc_lo, 32, v8
	v_min_i32_e32 v9, 31, v8
	v_cmp_eq_u32_e64 s13, 0, v8
	s_delay_alu instid0(VALU_DEP_4) | instskip(NEXT) | instid1(VALU_DEP_3)
	v_cndmask_b32_e32 v5, 0, v5, vcc_lo
	v_dual_cndmask_b32 v4, 3, v4 :: v_dual_lshlrev_b32 v9, 2, v9
	s_delay_alu instid0(VALU_DEP_1) | instskip(NEXT) | instid1(VALU_DEP_2)
	v_and_b32_e32 v9, 0xfc, v9
	v_cmp_eq_u64_e32 vcc_lo, 0, v[4:5]
	s_delay_alu instid0(VALU_DEP_2)
	v_and_or_b32 v4, v4, 3, v9
	s_and_b32 s13, s13, vcc_lo
	s_delay_alu instid0(VALU_DEP_1) | instid1(SALU_CYCLE_1)
	v_cndmask_b32_e64 v4, v4, 0, s13
	s_delay_alu instid0(VALU_DEP_1)
	v_or_b32_e32 v75, v4, v2
.LBB4_914:                              ;   in Loop: Header=BB4_136 Depth=3
	s_or_b32 exec_lo, exec_lo, s76
                                        ; implicit-def: $vgpr2
.LBB4_915:                              ;   in Loop: Header=BB4_136 Depth=3
	s_and_not1_saveexec_b32 s13, s75
; %bb.916:                              ;   in Loop: Header=BB4_136 Depth=3
	v_or_b32_e32 v75, 0x7b, v2
; %bb.917:                              ;   in Loop: Header=BB4_136 Depth=3
	s_or_b32 exec_lo, exec_lo, s13
                                        ; implicit-def: $vgpr8
                                        ; implicit-def: $vgpr4_vgpr5
                                        ; implicit-def: $vgpr2
.LBB4_918:                              ;   in Loop: Header=BB4_136 Depth=3
	s_and_not1_saveexec_b32 s13, s74
	s_cbranch_execz .LBB4_924
; %bb.919:                              ;   in Loop: Header=BB4_136 Depth=3
	s_mov_b32 s74, exec_lo
                                        ; implicit-def: $vgpr75
	v_cmpx_ne_u64_e32 0, v[4:5]
	s_xor_b32 s74, exec_lo, s74
; %bb.920:                              ;   in Loop: Header=BB4_136 Depth=3
	v_or_b32_e32 v75, 0x7f, v2
                                        ; implicit-def: $vgpr8
; %bb.921:                              ;   in Loop: Header=BB4_136 Depth=3
	s_and_not1_saveexec_b32 s74, s74
; %bb.922:                              ;   in Loop: Header=BB4_136 Depth=3
	v_cmp_lt_i32_e32 vcc_lo, -1, v8
	v_cndmask_b32_e32 v75, 0xfc, v49, vcc_lo
; %bb.923:                              ;   in Loop: Header=BB4_136 Depth=3
	s_or_b32 exec_lo, exec_lo, s74
.LBB4_924:                              ;   in Loop: Header=BB4_136 Depth=3
	s_delay_alu instid0(SALU_CYCLE_1) | instskip(SKIP_2) | instid1(VALU_DEP_1)
	s_or_b32 exec_lo, exec_lo, s13
	v_dual_mov_b32 v5, 0 :: v_dual_lshrrev_b32 v2, 16, v10
	s_mov_b32 s13, exec_lo
	v_and_b32_e32 v4, 0xff, v2
	s_delay_alu instid0(VALU_DEP_1)
	v_cmpx_ne_u16_e32 0, v4
	s_cbranch_execz .LBB4_934
; %bb.925:                              ;   in Loop: Header=BB4_136 Depth=3
	v_bfrev_b32_e32 v5, 1
	s_mov_b32 s74, exec_lo
	v_cmpx_ne_u16_e32 0x80, v4
	s_cbranch_execz .LBB4_933
; %bb.926:                              ;   in Loop: Header=BB4_136 Depth=3
	v_and_b32_e32 v5, 0x7c0000, v10
	v_bfe_u32 v4, v10, 16, 2
	s_delay_alu instid0(VALU_DEP_2) | instskip(SKIP_1) | instid1(SALU_CYCLE_1)
	v_cmp_ne_u32_e32 vcc_lo, 0x7c0000, v5
                                        ; implicit-def: $vgpr5
	s_and_saveexec_b32 s75, vcc_lo
	s_xor_b32 s75, exec_lo, s75
	s_cbranch_execz .LBB4_930
; %bb.927:                              ;   in Loop: Header=BB4_136 Depth=3
	v_bfe_u32 v5, v10, 18, 5
	s_mov_b32 s76, exec_lo
	s_delay_alu instid0(VALU_DEP_1)
	v_cmpx_eq_u32_e32 0, v5
; %bb.928:                              ;   in Loop: Header=BB4_136 Depth=3
	v_clz_i32_u32_e32 v4, v4
	s_delay_alu instid0(VALU_DEP_1) | instskip(NEXT) | instid1(VALU_DEP_1)
	v_min_u32_e32 v8, 32, v4
	v_subrev_nc_u32_e32 v4, 29, v8
	s_delay_alu instid0(VALU_DEP_1) | instskip(SKIP_1) | instid1(VALU_DEP_2)
	v_lshlrev_b64_e32 v[4:5], v4, v[2:3]
	v_sub_nc_u32_e32 v5, 30, v8
	v_and_b32_e32 v4, 3, v4
; %bb.929:                              ;   in Loop: Header=BB4_136 Depth=3
	s_or_b32 exec_lo, exec_lo, s76
	v_lshlrev_b32_e32 v2, 24, v2
	s_delay_alu instid0(VALU_DEP_1) | instskip(NEXT) | instid1(VALU_DEP_1)
	v_and_b32_e32 v2, 0x80000000, v2
	v_lshl_add_u32 v2, v5, 23, v2
	s_delay_alu instid0(VALU_DEP_1) | instskip(NEXT) | instid1(VALU_DEP_1)
	v_lshl_or_b32 v2, v4, 21, v2
                                        ; implicit-def: $vgpr4
	v_add_nc_u32_e32 v5, 0x38000000, v2
                                        ; implicit-def: $vgpr2
.LBB4_930:                              ;   in Loop: Header=BB4_136 Depth=3
	s_and_not1_saveexec_b32 s75, s75
; %bb.931:                              ;   in Loop: Header=BB4_136 Depth=3
	v_bfe_i32 v2, v2, 0, 8
	s_delay_alu instid0(VALU_DEP_1) | instskip(SKIP_2) | instid1(VALU_DEP_2)
	v_cmp_lt_i16_e32 vcc_lo, -1, v2
	v_cndmask_b32_e32 v2, 0xff800000, v48, vcc_lo
	v_cmp_eq_u32_e32 vcc_lo, 0, v4
	v_cndmask_b32_e32 v5, 0x7f800001, v2, vcc_lo
; %bb.932:                              ;   in Loop: Header=BB4_136 Depth=3
	s_or_b32 exec_lo, exec_lo, s75
.LBB4_933:                              ;   in Loop: Header=BB4_136 Depth=3
	s_delay_alu instid0(SALU_CYCLE_1)
	s_or_b32 exec_lo, exec_lo, s74
.LBB4_934:                              ;   in Loop: Header=BB4_136 Depth=3
	s_delay_alu instid0(SALU_CYCLE_1) | instskip(NEXT) | instid1(VALU_DEP_1)
	s_or_b32 exec_lo, exec_lo, s13
	v_dual_mul_f32 v8, s73, v5 :: v_dual_mov_b32 v17, v3
	v_mov_b32_e32 v5, v3
                                        ; implicit-def: $vgpr76
	s_mov_b32 s13, exec_lo
	s_delay_alu instid0(VALU_DEP_2) | instskip(SKIP_2) | instid1(VALU_DEP_3)
	v_and_b32_e32 v16, 0x7f800000, v8
	v_and_b32_e32 v4, 0x7fffff, v8
	v_lshrrev_b32_e32 v2, 24, v8
	v_cmpx_ne_u64_e32 0x7f800000, v[16:17]
	s_xor_b32 s74, exec_lo, s13
	s_cbranch_execz .LBB4_948
; %bb.935:                              ;   in Loop: Header=BB4_136 Depth=3
	v_and_b32_e32 v16, 0x7fffffff, v8
	v_mov_b32_e32 v17, v3
	v_and_b32_e32 v2, 0x80, v2
                                        ; implicit-def: $vgpr76
	s_mov_b32 s13, exec_lo
	s_delay_alu instid0(VALU_DEP_2)
	v_cmpx_gt_u64_e32 0x47600001, v[16:17]
	s_xor_b32 s75, exec_lo, s13
	s_cbranch_execz .LBB4_945
; %bb.936:                              ;   in Loop: Header=BB4_136 Depth=3
	v_mov_b32_e32 v76, 0
	s_mov_b32 s76, exec_lo
	v_cmpx_ne_u32_e32 0, v8
	s_cbranch_execz .LBB4_944
; %bb.937:                              ;   in Loop: Header=BB4_136 Depth=3
	v_bfe_u32 v16, v8, 23, 8
	v_or_b32_e32 v18, 0x800000, v4
	s_delay_alu instid0(VALU_DEP_2) | instskip(SKIP_1) | instid1(VALU_DEP_2)
	v_sub_nc_u32_e32 v8, 0x71, v16
	v_cmp_gt_u32_e32 vcc_lo, 0x72, v16
	v_cndmask_b32_e32 v8, 0, v8, vcc_lo
	v_cmp_eq_u32_e32 vcc_lo, 0, v16
	s_delay_alu instid0(VALU_DEP_2) | instskip(NEXT) | instid1(VALU_DEP_1)
	v_cndmask_b32_e64 v17, v8, 0x70, vcc_lo
	v_dual_cndmask_b32 v4, v18, v4, vcc_lo :: v_dual_add_nc_u32 v8, 21, v17
	v_add_nc_u32_e32 v19, 20, v17
	s_delay_alu instid0(VALU_DEP_2) | instskip(NEXT) | instid1(VALU_DEP_2)
	v_lshlrev_b64_e64 v[8:9], v8, -1
	v_lshlrev_b64_e64 v[18:19], v19, 1
	s_delay_alu instid0(VALU_DEP_2) | instskip(SKIP_1) | instid1(VALU_DEP_4)
	v_bfi_b32 v8, v8, 0, v4
	v_lshrrev_b64 v[4:5], v17, v[4:5]
	v_bfi_b32 v9, v9, 0, 0
	s_delay_alu instid0(VALU_DEP_1) | instskip(NEXT) | instid1(VALU_DEP_3)
	v_cmp_eq_u64_e64 s13, v[8:9], v[18:19]
	v_mov_b64_e32 v[8:9], v[4:5]
	s_and_saveexec_b32 s77, s13
; %bb.938:                              ;   in Loop: Header=BB4_136 Depth=3
	v_bfe_u32 v8, v4, 21, 1
	v_mov_b32_e32 v9, v3
	s_delay_alu instid0(VALU_DEP_1) | instskip(NEXT) | instid1(VALU_DEP_1)
	v_add_nc_u64_e32 v[8:9], v[4:5], v[8:9]
	v_add_nc_u64_e32 v[8:9], -1, v[8:9]
; %bb.939:                              ;   in Loop: Header=BB4_136 Depth=3
	s_or_b32 exec_lo, exec_lo, s77
	v_add_nc_u32_e32 v5, 0xffffff81, v16
	v_lshrrev_b32_e32 v9, 23, v4
	s_mov_b32 s13, exec_lo
	s_delay_alu instid0(VALU_DEP_2) | instskip(NEXT) | instid1(VALU_DEP_1)
	v_cndmask_b32_e64 v5, v5, 0xffffff82, vcc_lo
	v_add3_u32 v9, v17, v5, v9
	v_and_b32_e32 v5, 0x1fffff, v8
                                        ; implicit-def: $vgpr8
	s_delay_alu instid0(VALU_DEP_1) | instskip(SKIP_1) | instid1(VALU_DEP_2)
	v_dual_add_nc_u32 v16, 14, v9 :: v_dual_add_nc_u32 v4, v5, v4
	v_mov_b32_e32 v5, v3
	v_cmpx_ne_u32_e32 0, v16
	s_xor_b32 s13, exec_lo, s13
; %bb.940:                              ;   in Loop: Header=BB4_136 Depth=3
	s_delay_alu instid0(VALU_DEP_2) | instskip(SKIP_2) | instid1(VALU_DEP_2)
	v_cmp_lt_u64_e32 vcc_lo, 0xffffff, v[4:5]
	v_add_nc_u32_e32 v8, 15, v9
	v_cndmask_b32_e64 v9, 0, 1, vcc_lo
	v_cndmask_b32_e32 v8, v16, v8, vcc_lo
	s_delay_alu instid0(VALU_DEP_2)
	v_lshrrev_b64 v[4:5], v9, v[4:5]
; %bb.941:                              ;   in Loop: Header=BB4_136 Depth=3
	s_and_not1_saveexec_b32 s13, s13
; %bb.942:                              ;   in Loop: Header=BB4_136 Depth=3
	s_delay_alu instid0(VALU_DEP_1)
	v_bfe_u32 v8, v4, 23, 1
; %bb.943:                              ;   in Loop: Header=BB4_136 Depth=3
	s_or_b32 exec_lo, exec_lo, s13
	s_delay_alu instid0(VALU_DEP_2) | instskip(NEXT) | instid1(VALU_DEP_2)
	v_lshrrev_b64 v[4:5], 21, v[4:5]
	v_cmp_gt_i32_e32 vcc_lo, 32, v8
	v_min_i32_e32 v9, 31, v8
	v_cmp_eq_u32_e64 s13, 0, v8
	s_delay_alu instid0(VALU_DEP_4) | instskip(NEXT) | instid1(VALU_DEP_3)
	v_cndmask_b32_e32 v5, 0, v5, vcc_lo
	v_dual_cndmask_b32 v4, 3, v4 :: v_dual_lshlrev_b32 v9, 2, v9
	s_delay_alu instid0(VALU_DEP_1) | instskip(NEXT) | instid1(VALU_DEP_2)
	v_and_b32_e32 v9, 0xfc, v9
	v_cmp_eq_u64_e32 vcc_lo, 0, v[4:5]
	s_delay_alu instid0(VALU_DEP_2)
	v_and_or_b32 v4, v4, 3, v9
	s_and_b32 s13, s13, vcc_lo
	s_delay_alu instid0(VALU_DEP_1) | instid1(SALU_CYCLE_1)
	v_cndmask_b32_e64 v4, v4, 0, s13
	s_delay_alu instid0(VALU_DEP_1)
	v_or_b32_e32 v76, v4, v2
.LBB4_944:                              ;   in Loop: Header=BB4_136 Depth=3
	s_or_b32 exec_lo, exec_lo, s76
                                        ; implicit-def: $vgpr2
.LBB4_945:                              ;   in Loop: Header=BB4_136 Depth=3
	s_and_not1_saveexec_b32 s13, s75
; %bb.946:                              ;   in Loop: Header=BB4_136 Depth=3
	v_or_b32_e32 v76, 0x7b, v2
; %bb.947:                              ;   in Loop: Header=BB4_136 Depth=3
	s_or_b32 exec_lo, exec_lo, s13
                                        ; implicit-def: $vgpr8
                                        ; implicit-def: $vgpr4_vgpr5
                                        ; implicit-def: $vgpr2
.LBB4_948:                              ;   in Loop: Header=BB4_136 Depth=3
	s_and_not1_saveexec_b32 s13, s74
	s_cbranch_execz .LBB4_954
; %bb.949:                              ;   in Loop: Header=BB4_136 Depth=3
	s_mov_b32 s74, exec_lo
                                        ; implicit-def: $vgpr76
	v_cmpx_ne_u64_e32 0, v[4:5]
	s_xor_b32 s74, exec_lo, s74
; %bb.950:                              ;   in Loop: Header=BB4_136 Depth=3
	v_or_b32_e32 v76, 0x7f, v2
                                        ; implicit-def: $vgpr8
; %bb.951:                              ;   in Loop: Header=BB4_136 Depth=3
	s_and_not1_saveexec_b32 s74, s74
; %bb.952:                              ;   in Loop: Header=BB4_136 Depth=3
	v_cmp_lt_i32_e32 vcc_lo, -1, v8
	v_cndmask_b32_e32 v76, 0xfc, v49, vcc_lo
; %bb.953:                              ;   in Loop: Header=BB4_136 Depth=3
	s_or_b32 exec_lo, exec_lo, s74
.LBB4_954:                              ;   in Loop: Header=BB4_136 Depth=3
	s_delay_alu instid0(SALU_CYCLE_1)
	s_or_b32 exec_lo, exec_lo, s13
	v_mov_b32_e32 v4, 0
	s_mov_b32 s13, exec_lo
	v_cmpx_lt_u32_e32 0xffffff, v10
	s_cbranch_execz .LBB4_964
; %bb.955:                              ;   in Loop: Header=BB4_136 Depth=3
	v_lshrrev_b32_e32 v2, 24, v10
	v_bfrev_b32_e32 v4, 1
	s_mov_b32 s74, exec_lo
	s_delay_alu instid0(VALU_DEP_2)
	v_cmpx_ne_u32_e32 0x80, v2
	s_cbranch_execz .LBB4_963
; %bb.956:                              ;   in Loop: Header=BB4_136 Depth=3
	v_and_b32_e32 v4, 0x7c000000, v10
	v_bfe_u32 v5, v10, 24, 2
	s_delay_alu instid0(VALU_DEP_2) | instskip(SKIP_1) | instid1(SALU_CYCLE_1)
	v_cmp_ne_u32_e32 vcc_lo, 0x7c000000, v4
                                        ; implicit-def: $vgpr4
	s_and_saveexec_b32 s75, vcc_lo
	s_xor_b32 s75, exec_lo, s75
	s_cbranch_execz .LBB4_960
; %bb.957:                              ;   in Loop: Header=BB4_136 Depth=3
	v_bfe_u32 v4, v10, 26, 5
	s_mov_b32 s76, exec_lo
	s_delay_alu instid0(VALU_DEP_1)
	v_cmpx_eq_u32_e32 0, v4
; %bb.958:                              ;   in Loop: Header=BB4_136 Depth=3
	v_clz_i32_u32_e32 v4, v5
	s_delay_alu instid0(VALU_DEP_1) | instskip(NEXT) | instid1(VALU_DEP_1)
	v_min_u32_e32 v4, 32, v4
	v_subrev_nc_u32_e32 v5, 29, v4
	v_sub_nc_u32_e32 v4, 30, v4
	s_delay_alu instid0(VALU_DEP_2) | instskip(NEXT) | instid1(VALU_DEP_1)
	v_lshlrev_b64_e32 v[8:9], v5, v[2:3]
	v_and_b32_e32 v5, 3, v8
; %bb.959:                              ;   in Loop: Header=BB4_136 Depth=3
	s_or_b32 exec_lo, exec_lo, s76
	v_and_b32_e32 v2, 0x80000000, v10
	s_delay_alu instid0(VALU_DEP_1) | instskip(NEXT) | instid1(VALU_DEP_1)
	v_lshl_add_u32 v2, v4, 23, v2
	v_lshl_or_b32 v2, v5, 21, v2
                                        ; implicit-def: $vgpr5
	s_delay_alu instid0(VALU_DEP_1)
	v_add_nc_u32_e32 v4, 0x38000000, v2
.LBB4_960:                              ;   in Loop: Header=BB4_136 Depth=3
	s_and_not1_saveexec_b32 s75, s75
; %bb.961:                              ;   in Loop: Header=BB4_136 Depth=3
	v_cmp_lt_i32_e32 vcc_lo, -1, v10
	v_cndmask_b32_e32 v2, 0xff800000, v48, vcc_lo
	v_cmp_eq_u32_e32 vcc_lo, 0, v5
	s_delay_alu instid0(VALU_DEP_2)
	v_cndmask_b32_e32 v4, 0x7f800001, v2, vcc_lo
; %bb.962:                              ;   in Loop: Header=BB4_136 Depth=3
	s_or_b32 exec_lo, exec_lo, s75
.LBB4_963:                              ;   in Loop: Header=BB4_136 Depth=3
	s_delay_alu instid0(SALU_CYCLE_1)
	s_or_b32 exec_lo, exec_lo, s74
.LBB4_964:                              ;   in Loop: Header=BB4_136 Depth=3
	s_delay_alu instid0(SALU_CYCLE_1) | instskip(NEXT) | instid1(VALU_DEP_1)
	s_or_b32 exec_lo, exec_lo, s13
	v_dual_mul_f32 v8, s73, v4 :: v_dual_mov_b32 v17, v3
	v_mov_b32_e32 v5, v3
                                        ; implicit-def: $vgpr77
	s_mov_b32 s13, exec_lo
	s_delay_alu instid0(VALU_DEP_2) | instskip(SKIP_2) | instid1(VALU_DEP_3)
	v_and_b32_e32 v16, 0x7f800000, v8
	v_and_b32_e32 v4, 0x7fffff, v8
	v_lshrrev_b32_e32 v2, 24, v8
	v_cmpx_ne_u64_e32 0x7f800000, v[16:17]
	s_xor_b32 s74, exec_lo, s13
	s_cbranch_execz .LBB4_978
; %bb.965:                              ;   in Loop: Header=BB4_136 Depth=3
	v_and_b32_e32 v16, 0x7fffffff, v8
	v_mov_b32_e32 v17, v3
	v_and_b32_e32 v2, 0x80, v2
                                        ; implicit-def: $vgpr77
	s_mov_b32 s13, exec_lo
	s_delay_alu instid0(VALU_DEP_2)
	v_cmpx_gt_u64_e32 0x47600001, v[16:17]
	s_xor_b32 s75, exec_lo, s13
	s_cbranch_execz .LBB4_975
; %bb.966:                              ;   in Loop: Header=BB4_136 Depth=3
	v_mov_b32_e32 v77, 0
	s_mov_b32 s76, exec_lo
	v_cmpx_ne_u32_e32 0, v8
	s_cbranch_execz .LBB4_974
; %bb.967:                              ;   in Loop: Header=BB4_136 Depth=3
	v_bfe_u32 v16, v8, 23, 8
	v_or_b32_e32 v9, 0x800000, v4
	s_delay_alu instid0(VALU_DEP_2) | instskip(SKIP_2) | instid1(VALU_DEP_2)
	v_cmp_gt_u32_e64 s13, 0x72, v16
	v_sub_nc_u32_e32 v8, 0x71, v16
	v_cmp_eq_u32_e32 vcc_lo, 0, v16
	v_cndmask_b32_e64 v8, 0, v8, s13
	s_delay_alu instid0(VALU_DEP_1) | instskip(NEXT) | instid1(VALU_DEP_1)
	v_cndmask_b32_e64 v17, v8, 0x70, vcc_lo
	v_dual_cndmask_b32 v4, v9, v4, vcc_lo :: v_dual_add_nc_u32 v8, 21, v17
	v_add_nc_u32_e32 v18, 20, v17
	s_delay_alu instid0(VALU_DEP_2) | instskip(NEXT) | instid1(VALU_DEP_2)
	v_lshlrev_b64_e64 v[8:9], v8, -1
	v_lshlrev_b64_e64 v[18:19], v18, 1
	s_delay_alu instid0(VALU_DEP_2) | instskip(SKIP_1) | instid1(VALU_DEP_4)
	v_bfi_b32 v8, v8, 0, v4
	v_lshrrev_b64 v[4:5], v17, v[4:5]
	v_bfi_b32 v9, v9, 0, 0
	s_delay_alu instid0(VALU_DEP_1) | instskip(NEXT) | instid1(VALU_DEP_3)
	v_cmp_eq_u64_e64 s13, v[8:9], v[18:19]
	v_mov_b64_e32 v[8:9], v[4:5]
	s_and_saveexec_b32 s77, s13
; %bb.968:                              ;   in Loop: Header=BB4_136 Depth=3
	v_bfe_u32 v8, v4, 21, 1
	v_mov_b32_e32 v9, v3
	s_delay_alu instid0(VALU_DEP_1) | instskip(NEXT) | instid1(VALU_DEP_1)
	v_add_nc_u64_e32 v[8:9], v[4:5], v[8:9]
	v_add_nc_u64_e32 v[8:9], -1, v[8:9]
; %bb.969:                              ;   in Loop: Header=BB4_136 Depth=3
	s_or_b32 exec_lo, exec_lo, s77
	v_add_nc_u32_e32 v5, 0xffffff81, v16
	v_lshrrev_b32_e32 v9, 23, v4
	s_mov_b32 s13, exec_lo
	s_delay_alu instid0(VALU_DEP_2) | instskip(NEXT) | instid1(VALU_DEP_1)
	v_cndmask_b32_e64 v5, v5, 0xffffff82, vcc_lo
	v_add3_u32 v9, v17, v5, v9
	v_and_b32_e32 v5, 0x1fffff, v8
                                        ; implicit-def: $vgpr8
	s_delay_alu instid0(VALU_DEP_1) | instskip(SKIP_1) | instid1(VALU_DEP_2)
	v_dual_add_nc_u32 v16, 14, v9 :: v_dual_add_nc_u32 v4, v5, v4
	v_mov_b32_e32 v5, v3
	v_cmpx_ne_u32_e32 0, v16
	s_xor_b32 s13, exec_lo, s13
; %bb.970:                              ;   in Loop: Header=BB4_136 Depth=3
	s_delay_alu instid0(VALU_DEP_2) | instskip(SKIP_2) | instid1(VALU_DEP_2)
	v_cmp_lt_u64_e32 vcc_lo, 0xffffff, v[4:5]
	v_add_nc_u32_e32 v8, 15, v9
	v_cndmask_b32_e64 v9, 0, 1, vcc_lo
	v_cndmask_b32_e32 v8, v16, v8, vcc_lo
	s_delay_alu instid0(VALU_DEP_2)
	v_lshrrev_b64 v[4:5], v9, v[4:5]
; %bb.971:                              ;   in Loop: Header=BB4_136 Depth=3
	s_and_not1_saveexec_b32 s13, s13
; %bb.972:                              ;   in Loop: Header=BB4_136 Depth=3
	s_delay_alu instid0(VALU_DEP_1)
	v_bfe_u32 v8, v4, 23, 1
; %bb.973:                              ;   in Loop: Header=BB4_136 Depth=3
	s_or_b32 exec_lo, exec_lo, s13
	s_delay_alu instid0(VALU_DEP_2) | instskip(NEXT) | instid1(VALU_DEP_2)
	v_lshrrev_b64 v[4:5], 21, v[4:5]
	v_cmp_gt_i32_e32 vcc_lo, 32, v8
	v_min_i32_e32 v9, 31, v8
	v_cmp_eq_u32_e64 s13, 0, v8
	s_delay_alu instid0(VALU_DEP_4) | instskip(NEXT) | instid1(VALU_DEP_3)
	v_cndmask_b32_e32 v5, 0, v5, vcc_lo
	v_dual_cndmask_b32 v4, 3, v4 :: v_dual_lshlrev_b32 v9, 2, v9
	s_delay_alu instid0(VALU_DEP_1) | instskip(NEXT) | instid1(VALU_DEP_2)
	v_and_b32_e32 v9, 0xfc, v9
	v_cmp_eq_u64_e32 vcc_lo, 0, v[4:5]
	s_delay_alu instid0(VALU_DEP_2)
	v_and_or_b32 v4, v4, 3, v9
	s_and_b32 s13, s13, vcc_lo
	s_delay_alu instid0(VALU_DEP_1) | instid1(SALU_CYCLE_1)
	v_cndmask_b32_e64 v4, v4, 0, s13
	s_delay_alu instid0(VALU_DEP_1)
	v_or_b32_e32 v77, v4, v2
.LBB4_974:                              ;   in Loop: Header=BB4_136 Depth=3
	s_or_b32 exec_lo, exec_lo, s76
                                        ; implicit-def: $vgpr2
.LBB4_975:                              ;   in Loop: Header=BB4_136 Depth=3
	s_and_not1_saveexec_b32 s13, s75
; %bb.976:                              ;   in Loop: Header=BB4_136 Depth=3
	v_or_b32_e32 v77, 0x7b, v2
; %bb.977:                              ;   in Loop: Header=BB4_136 Depth=3
	s_or_b32 exec_lo, exec_lo, s13
                                        ; implicit-def: $vgpr8
                                        ; implicit-def: $vgpr4_vgpr5
                                        ; implicit-def: $vgpr2
.LBB4_978:                              ;   in Loop: Header=BB4_136 Depth=3
	s_and_not1_saveexec_b32 s13, s74
	s_cbranch_execz .LBB4_984
; %bb.979:                              ;   in Loop: Header=BB4_136 Depth=3
	s_mov_b32 s74, exec_lo
                                        ; implicit-def: $vgpr77
	v_cmpx_ne_u64_e32 0, v[4:5]
	s_xor_b32 s74, exec_lo, s74
; %bb.980:                              ;   in Loop: Header=BB4_136 Depth=3
	v_or_b32_e32 v77, 0x7f, v2
                                        ; implicit-def: $vgpr8
; %bb.981:                              ;   in Loop: Header=BB4_136 Depth=3
	s_and_not1_saveexec_b32 s74, s74
; %bb.982:                              ;   in Loop: Header=BB4_136 Depth=3
	v_cmp_lt_i32_e32 vcc_lo, -1, v8
	v_cndmask_b32_e32 v77, 0xfc, v49, vcc_lo
; %bb.983:                              ;   in Loop: Header=BB4_136 Depth=3
	s_or_b32 exec_lo, exec_lo, s74
.LBB4_984:                              ;   in Loop: Header=BB4_136 Depth=3
	s_delay_alu instid0(SALU_CYCLE_1) | instskip(SKIP_4) | instid1(VALU_DEP_3)
	s_or_b32 exec_lo, exec_lo, s13
	v_and_b32_e32 v2, 0xff, v11
	v_dual_mov_b32 v4, v11 :: v_dual_mov_b32 v5, v3
	v_mov_b32_e32 v8, 0
	s_mov_b32 s13, exec_lo
	v_cmpx_ne_u16_e32 0, v2
	s_cbranch_execz .LBB4_994
; %bb.985:                              ;   in Loop: Header=BB4_136 Depth=3
	v_bfrev_b32_e32 v8, 1
	s_mov_b32 s74, exec_lo
	v_cmpx_ne_u16_e32 0x80, v2
	s_cbranch_execz .LBB4_993
; %bb.986:                              ;   in Loop: Header=BB4_136 Depth=3
	v_and_b32_e32 v8, 0x7c, v11
	v_and_b32_e32 v2, 3, v11
	s_delay_alu instid0(VALU_DEP_2) | instskip(SKIP_1) | instid1(SALU_CYCLE_1)
	v_cmp_ne_u32_e32 vcc_lo, 0x7c, v8
                                        ; implicit-def: $vgpr8
	s_and_saveexec_b32 s75, vcc_lo
	s_xor_b32 s75, exec_lo, s75
	s_cbranch_execz .LBB4_990
; %bb.987:                              ;   in Loop: Header=BB4_136 Depth=3
	v_bfe_u32 v8, v11, 2, 5
	s_mov_b32 s76, exec_lo
	s_delay_alu instid0(VALU_DEP_1)
	v_cmpx_eq_u32_e32 0, v8
; %bb.988:                              ;   in Loop: Header=BB4_136 Depth=3
	v_clz_i32_u32_e32 v2, v2
	s_delay_alu instid0(VALU_DEP_1) | instskip(NEXT) | instid1(VALU_DEP_1)
	v_min_u32_e32 v2, 32, v2
	v_subrev_nc_u32_e32 v8, 29, v2
	s_delay_alu instid0(VALU_DEP_1) | instskip(NEXT) | instid1(VALU_DEP_1)
	v_lshlrev_b64_e32 v[16:17], v8, v[4:5]
	v_dual_sub_nc_u32 v8, 30, v2 :: v_dual_bitop2_b32 v2, 3, v16 bitop3:0x40
; %bb.989:                              ;   in Loop: Header=BB4_136 Depth=3
	s_or_b32 exec_lo, exec_lo, s76
	v_lshlrev_b32_e32 v5, 24, v11
	s_delay_alu instid0(VALU_DEP_1) | instskip(NEXT) | instid1(VALU_DEP_1)
	v_and_b32_e32 v5, 0x80000000, v5
	v_lshl_add_u32 v5, v8, 23, v5
	s_delay_alu instid0(VALU_DEP_1) | instskip(NEXT) | instid1(VALU_DEP_1)
	v_lshl_or_b32 v2, v2, 21, v5
	v_add_nc_u32_e32 v8, 0x38000000, v2
                                        ; implicit-def: $vgpr2
.LBB4_990:                              ;   in Loop: Header=BB4_136 Depth=3
	s_and_not1_saveexec_b32 s75, s75
; %bb.991:                              ;   in Loop: Header=BB4_136 Depth=3
	v_bfe_i32 v5, v11, 0, 8
	s_delay_alu instid0(VALU_DEP_1) | instskip(SKIP_2) | instid1(VALU_DEP_2)
	v_cmp_lt_i16_e32 vcc_lo, -1, v5
	v_cndmask_b32_e32 v5, 0xff800000, v48, vcc_lo
	v_cmp_eq_u32_e32 vcc_lo, 0, v2
	v_cndmask_b32_e32 v8, 0x7f800001, v5, vcc_lo
; %bb.992:                              ;   in Loop: Header=BB4_136 Depth=3
	s_or_b32 exec_lo, exec_lo, s75
.LBB4_993:                              ;   in Loop: Header=BB4_136 Depth=3
	s_delay_alu instid0(SALU_CYCLE_1)
	s_or_b32 exec_lo, exec_lo, s74
.LBB4_994:                              ;   in Loop: Header=BB4_136 Depth=3
	s_delay_alu instid0(SALU_CYCLE_1) | instskip(NEXT) | instid1(VALU_DEP_1)
	s_or_b32 exec_lo, exec_lo, s13
	v_dual_mul_f32 v5, s73, v8 :: v_dual_mov_b32 v17, v3
	v_mov_b32_e32 v9, v3
                                        ; implicit-def: $vgpr78
	s_mov_b32 s13, exec_lo
	s_delay_alu instid0(VALU_DEP_2) | instskip(SKIP_2) | instid1(VALU_DEP_3)
	v_and_b32_e32 v16, 0x7f800000, v5
	v_and_b32_e32 v8, 0x7fffff, v5
	v_lshrrev_b32_e32 v2, 24, v5
	v_cmpx_ne_u64_e32 0x7f800000, v[16:17]
	s_xor_b32 s74, exec_lo, s13
	s_cbranch_execz .LBB4_1008
; %bb.995:                              ;   in Loop: Header=BB4_136 Depth=3
	v_and_b32_e32 v16, 0x7fffffff, v5
	v_mov_b32_e32 v17, v3
	v_and_b32_e32 v2, 0x80, v2
                                        ; implicit-def: $vgpr78
	s_mov_b32 s13, exec_lo
	s_delay_alu instid0(VALU_DEP_2)
	v_cmpx_gt_u64_e32 0x47600001, v[16:17]
	s_xor_b32 s75, exec_lo, s13
	s_cbranch_execz .LBB4_1005
; %bb.996:                              ;   in Loop: Header=BB4_136 Depth=3
	v_mov_b32_e32 v78, 0
	s_mov_b32 s76, exec_lo
	v_cmpx_ne_u32_e32 0, v5
	s_cbranch_execz .LBB4_1004
; %bb.997:                              ;   in Loop: Header=BB4_136 Depth=3
	v_bfe_u32 v5, v5, 23, 8
	v_or_b32_e32 v17, 0x800000, v8
	s_delay_alu instid0(VALU_DEP_2) | instskip(SKIP_2) | instid1(VALU_DEP_2)
	v_cmp_gt_u32_e64 s13, 0x72, v5
	v_sub_nc_u32_e32 v16, 0x71, v5
	v_cmp_eq_u32_e32 vcc_lo, 0, v5
	v_cndmask_b32_e64 v16, 0, v16, s13
	s_delay_alu instid0(VALU_DEP_1) | instskip(NEXT) | instid1(VALU_DEP_1)
	v_cndmask_b32_e64 v18, v16, 0x70, vcc_lo
	v_dual_cndmask_b32 v8, v17, v8, vcc_lo :: v_dual_add_nc_u32 v16, 21, v18
	v_add_nc_u32_e32 v19, 20, v18
	s_delay_alu instid0(VALU_DEP_2) | instskip(NEXT) | instid1(VALU_DEP_2)
	v_lshlrev_b64_e64 v[16:17], v16, -1
	v_lshlrev_b64_e64 v[66:67], v19, 1
	s_delay_alu instid0(VALU_DEP_2) | instskip(SKIP_1) | instid1(VALU_DEP_4)
	v_bfi_b32 v16, v16, 0, v8
	v_lshrrev_b64 v[8:9], v18, v[8:9]
	v_bfi_b32 v17, v17, 0, 0
	s_delay_alu instid0(VALU_DEP_1) | instskip(NEXT) | instid1(VALU_DEP_3)
	v_cmp_eq_u64_e64 s13, v[16:17], v[66:67]
	v_mov_b64_e32 v[16:17], v[8:9]
	s_and_saveexec_b32 s77, s13
; %bb.998:                              ;   in Loop: Header=BB4_136 Depth=3
	v_bfe_u32 v16, v8, 21, 1
	v_mov_b32_e32 v17, v3
	s_delay_alu instid0(VALU_DEP_1) | instskip(NEXT) | instid1(VALU_DEP_1)
	v_add_nc_u64_e32 v[16:17], v[8:9], v[16:17]
	v_add_nc_u64_e32 v[16:17], -1, v[16:17]
; %bb.999:                              ;   in Loop: Header=BB4_136 Depth=3
	s_or_b32 exec_lo, exec_lo, s77
	v_add_nc_u32_e32 v5, 0xffffff81, v5
	v_lshrrev_b32_e32 v9, 23, v8
	s_mov_b32 s13, exec_lo
	s_delay_alu instid0(VALU_DEP_2) | instskip(NEXT) | instid1(VALU_DEP_1)
	v_cndmask_b32_e64 v5, v5, 0xffffff82, vcc_lo
	v_add3_u32 v17, v18, v5, v9
	v_and_b32_e32 v5, 0x1fffff, v16
	s_delay_alu instid0(VALU_DEP_2) | instskip(NEXT) | instid1(VALU_DEP_2)
	v_dual_mov_b32 v9, v3 :: v_dual_add_nc_u32 v16, 14, v17
	v_add_nc_u32_e32 v8, v5, v8
                                        ; implicit-def: $vgpr5
	s_delay_alu instid0(VALU_DEP_2)
	v_cmpx_ne_u32_e32 0, v16
	s_xor_b32 s13, exec_lo, s13
; %bb.1000:                             ;   in Loop: Header=BB4_136 Depth=3
	s_delay_alu instid0(VALU_DEP_2) | instskip(SKIP_1) | instid1(VALU_DEP_1)
	v_cmp_lt_u64_e32 vcc_lo, 0xffffff, v[8:9]
	v_add_nc_u32_e32 v5, 15, v17
	v_cndmask_b32_e32 v5, v16, v5, vcc_lo
	v_cndmask_b32_e64 v16, 0, 1, vcc_lo
	s_delay_alu instid0(VALU_DEP_1)
	v_lshrrev_b64 v[8:9], v16, v[8:9]
; %bb.1001:                             ;   in Loop: Header=BB4_136 Depth=3
	s_and_not1_saveexec_b32 s13, s13
; %bb.1002:                             ;   in Loop: Header=BB4_136 Depth=3
	s_delay_alu instid0(VALU_DEP_1)
	v_bfe_u32 v5, v8, 23, 1
; %bb.1003:                             ;   in Loop: Header=BB4_136 Depth=3
	s_or_b32 exec_lo, exec_lo, s13
	s_delay_alu instid0(VALU_DEP_2) | instskip(NEXT) | instid1(VALU_DEP_2)
	v_lshrrev_b64 v[8:9], 21, v[8:9]
	v_cmp_gt_i32_e32 vcc_lo, 32, v5
	v_min_i32_e32 v16, 31, v5
	v_cmp_eq_u32_e64 s13, 0, v5
	s_delay_alu instid0(VALU_DEP_4) | instskip(NEXT) | instid1(VALU_DEP_3)
	v_cndmask_b32_e32 v8, 3, v8, vcc_lo
	v_dual_cndmask_b32 v9, 0, v9 :: v_dual_lshlrev_b32 v16, 2, v16
	s_delay_alu instid0(VALU_DEP_1) | instskip(NEXT) | instid1(VALU_DEP_2)
	v_and_b32_e32 v16, 0xfc, v16
	v_cmp_eq_u64_e32 vcc_lo, 0, v[8:9]
	s_delay_alu instid0(VALU_DEP_2)
	v_and_or_b32 v5, v8, 3, v16
	s_and_b32 s13, s13, vcc_lo
	s_delay_alu instid0(VALU_DEP_1) | instid1(SALU_CYCLE_1)
	v_cndmask_b32_e64 v5, v5, 0, s13
	s_delay_alu instid0(VALU_DEP_1)
	v_or_b32_e32 v78, v5, v2
.LBB4_1004:                             ;   in Loop: Header=BB4_136 Depth=3
	s_or_b32 exec_lo, exec_lo, s76
                                        ; implicit-def: $vgpr2
.LBB4_1005:                             ;   in Loop: Header=BB4_136 Depth=3
	s_and_not1_saveexec_b32 s13, s75
; %bb.1006:                             ;   in Loop: Header=BB4_136 Depth=3
	v_or_b32_e32 v78, 0x7b, v2
; %bb.1007:                             ;   in Loop: Header=BB4_136 Depth=3
	s_or_b32 exec_lo, exec_lo, s13
                                        ; implicit-def: $vgpr5
                                        ; implicit-def: $vgpr8_vgpr9
                                        ; implicit-def: $vgpr2
.LBB4_1008:                             ;   in Loop: Header=BB4_136 Depth=3
	s_and_not1_saveexec_b32 s13, s74
	s_cbranch_execz .LBB4_1014
; %bb.1009:                             ;   in Loop: Header=BB4_136 Depth=3
	s_mov_b32 s74, exec_lo
                                        ; implicit-def: $vgpr78
	v_cmpx_ne_u64_e32 0, v[8:9]
	s_xor_b32 s74, exec_lo, s74
; %bb.1010:                             ;   in Loop: Header=BB4_136 Depth=3
	v_or_b32_e32 v78, 0x7f, v2
                                        ; implicit-def: $vgpr5
; %bb.1011:                             ;   in Loop: Header=BB4_136 Depth=3
	s_and_not1_saveexec_b32 s74, s74
; %bb.1012:                             ;   in Loop: Header=BB4_136 Depth=3
	v_cmp_lt_i32_e32 vcc_lo, -1, v5
	v_cndmask_b32_e32 v78, 0xfc, v49, vcc_lo
; %bb.1013:                             ;   in Loop: Header=BB4_136 Depth=3
	s_or_b32 exec_lo, exec_lo, s74
.LBB4_1014:                             ;   in Loop: Header=BB4_136 Depth=3
	s_delay_alu instid0(SALU_CYCLE_1) | instskip(SKIP_3) | instid1(VALU_DEP_2)
	s_or_b32 exec_lo, exec_lo, s13
	v_lshrrev_b16 v8, 8, v4
	v_mov_b32_e32 v9, 0
	s_mov_b32 s13, exec_lo
	v_cmpx_ne_u16_e32 0, v8
	s_cbranch_execz .LBB4_1024
; %bb.1015:                             ;   in Loop: Header=BB4_136 Depth=3
	v_bfrev_b32_e32 v9, 1
	s_mov_b32 s74, exec_lo
	v_cmpx_ne_u16_e32 0x80, v8
	s_cbranch_execz .LBB4_1023
; %bb.1016:                             ;   in Loop: Header=BB4_136 Depth=3
	v_and_b32_e32 v5, 0xffff, v8
	s_delay_alu instid0(VALU_DEP_1) | instskip(SKIP_1) | instid1(VALU_DEP_2)
	v_and_b32_e32 v9, 0x7c, v5
	v_and_b32_e32 v2, 3, v5
	v_cmp_ne_u32_e32 vcc_lo, 0x7c, v9
                                        ; implicit-def: $vgpr9
	s_and_saveexec_b32 s75, vcc_lo
	s_delay_alu instid0(SALU_CYCLE_1)
	s_xor_b32 s75, exec_lo, s75
	s_cbranch_execz .LBB4_1020
; %bb.1017:                             ;   in Loop: Header=BB4_136 Depth=3
	v_bfe_u32 v5, v5, 2, 5
	s_mov_b32 s76, exec_lo
	s_delay_alu instid0(VALU_DEP_1)
	v_cmpx_eq_u32_e32 0, v5
; %bb.1018:                             ;   in Loop: Header=BB4_136 Depth=3
	v_clz_i32_u32_e32 v2, v2
	s_delay_alu instid0(VALU_DEP_1) | instskip(SKIP_1) | instid1(VALU_DEP_2)
	v_min_u32_e32 v2, 32, v2
	v_mov_b32_e32 v9, v3
	v_subrev_nc_u32_e32 v5, 29, v2
	s_delay_alu instid0(VALU_DEP_1) | instskip(NEXT) | instid1(VALU_DEP_1)
	v_lshlrev_b64_e32 v[8:9], v5, v[8:9]
	v_dual_sub_nc_u32 v5, 30, v2 :: v_dual_bitop2_b32 v2, 3, v8 bitop3:0x40
; %bb.1019:                             ;   in Loop: Header=BB4_136 Depth=3
	s_or_b32 exec_lo, exec_lo, s76
	v_lshlrev_b32_e32 v4, 16, v4
	s_delay_alu instid0(VALU_DEP_1) | instskip(NEXT) | instid1(VALU_DEP_1)
	v_and_b32_e32 v4, 0x80000000, v4
	v_lshl_add_u32 v4, v5, 23, v4
	s_delay_alu instid0(VALU_DEP_1) | instskip(NEXT) | instid1(VALU_DEP_1)
	v_lshl_or_b32 v2, v2, 21, v4
                                        ; implicit-def: $vgpr4_vgpr5
	v_add_nc_u32_e32 v9, 0x38000000, v2
                                        ; implicit-def: $vgpr2
.LBB4_1020:                             ;   in Loop: Header=BB4_136 Depth=3
	s_and_not1_saveexec_b32 s75, s75
; %bb.1021:                             ;   in Loop: Header=BB4_136 Depth=3
	v_cmp_lt_i16_e32 vcc_lo, -1, v4
	v_cndmask_b32_e32 v4, 0xff800000, v48, vcc_lo
	v_cmp_eq_u32_e32 vcc_lo, 0, v2
	s_delay_alu instid0(VALU_DEP_2)
	v_cndmask_b32_e32 v9, 0x7f800001, v4, vcc_lo
; %bb.1022:                             ;   in Loop: Header=BB4_136 Depth=3
	s_or_b32 exec_lo, exec_lo, s75
.LBB4_1023:                             ;   in Loop: Header=BB4_136 Depth=3
	s_delay_alu instid0(SALU_CYCLE_1)
	s_or_b32 exec_lo, exec_lo, s74
.LBB4_1024:                             ;   in Loop: Header=BB4_136 Depth=3
	s_delay_alu instid0(SALU_CYCLE_1) | instskip(NEXT) | instid1(VALU_DEP_1)
	s_or_b32 exec_lo, exec_lo, s13
	v_dual_mul_f32 v8, s73, v9 :: v_dual_mov_b32 v17, v3
	v_mov_b32_e32 v5, v3
                                        ; implicit-def: $vgpr66
	s_mov_b32 s13, exec_lo
	s_delay_alu instid0(VALU_DEP_2) | instskip(SKIP_2) | instid1(VALU_DEP_3)
	v_and_b32_e32 v16, 0x7f800000, v8
	v_and_b32_e32 v4, 0x7fffff, v8
	v_lshrrev_b32_e32 v2, 24, v8
	v_cmpx_ne_u64_e32 0x7f800000, v[16:17]
	s_xor_b32 s74, exec_lo, s13
	s_cbranch_execz .LBB4_1038
; %bb.1025:                             ;   in Loop: Header=BB4_136 Depth=3
	v_and_b32_e32 v16, 0x7fffffff, v8
	v_mov_b32_e32 v17, v3
	v_and_b32_e32 v2, 0x80, v2
                                        ; implicit-def: $vgpr66
	s_mov_b32 s13, exec_lo
	s_delay_alu instid0(VALU_DEP_2)
	v_cmpx_gt_u64_e32 0x47600001, v[16:17]
	s_xor_b32 s75, exec_lo, s13
	s_cbranch_execz .LBB4_1035
; %bb.1026:                             ;   in Loop: Header=BB4_136 Depth=3
	v_mov_b32_e32 v66, 0
	s_mov_b32 s76, exec_lo
	v_cmpx_ne_u32_e32 0, v8
	s_cbranch_execz .LBB4_1034
; %bb.1027:                             ;   in Loop: Header=BB4_136 Depth=3
	v_bfe_u32 v16, v8, 23, 8
	v_or_b32_e32 v9, 0x800000, v4
	s_delay_alu instid0(VALU_DEP_2) | instskip(SKIP_2) | instid1(VALU_DEP_2)
	v_cmp_gt_u32_e64 s13, 0x72, v16
	v_sub_nc_u32_e32 v8, 0x71, v16
	v_cmp_eq_u32_e32 vcc_lo, 0, v16
	v_cndmask_b32_e64 v8, 0, v8, s13
	s_delay_alu instid0(VALU_DEP_1) | instskip(NEXT) | instid1(VALU_DEP_1)
	v_cndmask_b32_e64 v17, v8, 0x70, vcc_lo
	v_dual_cndmask_b32 v4, v9, v4, vcc_lo :: v_dual_add_nc_u32 v8, 21, v17
	v_add_nc_u32_e32 v18, 20, v17
	s_delay_alu instid0(VALU_DEP_2) | instskip(NEXT) | instid1(VALU_DEP_2)
	v_lshlrev_b64_e64 v[8:9], v8, -1
	v_lshlrev_b64_e64 v[18:19], v18, 1
	s_delay_alu instid0(VALU_DEP_2) | instskip(SKIP_1) | instid1(VALU_DEP_4)
	v_bfi_b32 v8, v8, 0, v4
	v_lshrrev_b64 v[4:5], v17, v[4:5]
	v_bfi_b32 v9, v9, 0, 0
	s_delay_alu instid0(VALU_DEP_1) | instskip(NEXT) | instid1(VALU_DEP_3)
	v_cmp_eq_u64_e64 s13, v[8:9], v[18:19]
	v_mov_b64_e32 v[8:9], v[4:5]
	s_and_saveexec_b32 s77, s13
; %bb.1028:                             ;   in Loop: Header=BB4_136 Depth=3
	v_bfe_u32 v8, v4, 21, 1
	v_mov_b32_e32 v9, v3
	s_delay_alu instid0(VALU_DEP_1) | instskip(NEXT) | instid1(VALU_DEP_1)
	v_add_nc_u64_e32 v[8:9], v[4:5], v[8:9]
	v_add_nc_u64_e32 v[8:9], -1, v[8:9]
; %bb.1029:                             ;   in Loop: Header=BB4_136 Depth=3
	s_or_b32 exec_lo, exec_lo, s77
	v_add_nc_u32_e32 v5, 0xffffff81, v16
	v_lshrrev_b32_e32 v9, 23, v4
	s_mov_b32 s13, exec_lo
	s_delay_alu instid0(VALU_DEP_2) | instskip(NEXT) | instid1(VALU_DEP_1)
	v_cndmask_b32_e64 v5, v5, 0xffffff82, vcc_lo
	v_add3_u32 v9, v17, v5, v9
	v_and_b32_e32 v5, 0x1fffff, v8
                                        ; implicit-def: $vgpr8
	s_delay_alu instid0(VALU_DEP_1) | instskip(SKIP_1) | instid1(VALU_DEP_2)
	v_dual_add_nc_u32 v16, 14, v9 :: v_dual_add_nc_u32 v4, v5, v4
	v_mov_b32_e32 v5, v3
	v_cmpx_ne_u32_e32 0, v16
	s_xor_b32 s13, exec_lo, s13
; %bb.1030:                             ;   in Loop: Header=BB4_136 Depth=3
	s_delay_alu instid0(VALU_DEP_2) | instskip(SKIP_2) | instid1(VALU_DEP_2)
	v_cmp_lt_u64_e32 vcc_lo, 0xffffff, v[4:5]
	v_add_nc_u32_e32 v8, 15, v9
	v_cndmask_b32_e64 v9, 0, 1, vcc_lo
	v_cndmask_b32_e32 v8, v16, v8, vcc_lo
	s_delay_alu instid0(VALU_DEP_2)
	v_lshrrev_b64 v[4:5], v9, v[4:5]
; %bb.1031:                             ;   in Loop: Header=BB4_136 Depth=3
	s_and_not1_saveexec_b32 s13, s13
; %bb.1032:                             ;   in Loop: Header=BB4_136 Depth=3
	s_delay_alu instid0(VALU_DEP_1)
	v_bfe_u32 v8, v4, 23, 1
; %bb.1033:                             ;   in Loop: Header=BB4_136 Depth=3
	s_or_b32 exec_lo, exec_lo, s13
	s_delay_alu instid0(VALU_DEP_2) | instskip(NEXT) | instid1(VALU_DEP_2)
	v_lshrrev_b64 v[4:5], 21, v[4:5]
	v_cmp_gt_i32_e32 vcc_lo, 32, v8
	v_min_i32_e32 v9, 31, v8
	v_cmp_eq_u32_e64 s13, 0, v8
	s_delay_alu instid0(VALU_DEP_4) | instskip(NEXT) | instid1(VALU_DEP_3)
	v_cndmask_b32_e32 v5, 0, v5, vcc_lo
	v_dual_cndmask_b32 v4, 3, v4 :: v_dual_lshlrev_b32 v9, 2, v9
	s_delay_alu instid0(VALU_DEP_1) | instskip(NEXT) | instid1(VALU_DEP_2)
	v_and_b32_e32 v9, 0xfc, v9
	v_cmp_eq_u64_e32 vcc_lo, 0, v[4:5]
	s_delay_alu instid0(VALU_DEP_2)
	v_and_or_b32 v4, v4, 3, v9
	s_and_b32 s13, s13, vcc_lo
	s_delay_alu instid0(VALU_DEP_1) | instid1(SALU_CYCLE_1)
	v_cndmask_b32_e64 v4, v4, 0, s13
	s_delay_alu instid0(VALU_DEP_1)
	v_or_b32_e32 v66, v4, v2
.LBB4_1034:                             ;   in Loop: Header=BB4_136 Depth=3
	s_or_b32 exec_lo, exec_lo, s76
                                        ; implicit-def: $vgpr2
.LBB4_1035:                             ;   in Loop: Header=BB4_136 Depth=3
	s_and_not1_saveexec_b32 s13, s75
; %bb.1036:                             ;   in Loop: Header=BB4_136 Depth=3
	v_or_b32_e32 v66, 0x7b, v2
; %bb.1037:                             ;   in Loop: Header=BB4_136 Depth=3
	s_or_b32 exec_lo, exec_lo, s13
                                        ; implicit-def: $vgpr8
                                        ; implicit-def: $vgpr4_vgpr5
                                        ; implicit-def: $vgpr2
.LBB4_1038:                             ;   in Loop: Header=BB4_136 Depth=3
	s_and_not1_saveexec_b32 s13, s74
	s_cbranch_execz .LBB4_1044
; %bb.1039:                             ;   in Loop: Header=BB4_136 Depth=3
	s_mov_b32 s74, exec_lo
                                        ; implicit-def: $vgpr66
	v_cmpx_ne_u64_e32 0, v[4:5]
	s_xor_b32 s74, exec_lo, s74
; %bb.1040:                             ;   in Loop: Header=BB4_136 Depth=3
	v_or_b32_e32 v66, 0x7f, v2
                                        ; implicit-def: $vgpr8
; %bb.1041:                             ;   in Loop: Header=BB4_136 Depth=3
	s_and_not1_saveexec_b32 s74, s74
; %bb.1042:                             ;   in Loop: Header=BB4_136 Depth=3
	v_cmp_lt_i32_e32 vcc_lo, -1, v8
	v_cndmask_b32_e32 v66, 0xfc, v49, vcc_lo
; %bb.1043:                             ;   in Loop: Header=BB4_136 Depth=3
	s_or_b32 exec_lo, exec_lo, s74
.LBB4_1044:                             ;   in Loop: Header=BB4_136 Depth=3
	s_delay_alu instid0(SALU_CYCLE_1) | instskip(SKIP_2) | instid1(VALU_DEP_1)
	s_or_b32 exec_lo, exec_lo, s13
	v_dual_mov_b32 v5, 0 :: v_dual_lshrrev_b32 v2, 16, v11
	s_mov_b32 s13, exec_lo
	v_and_b32_e32 v4, 0xff, v2
	s_delay_alu instid0(VALU_DEP_1)
	v_cmpx_ne_u16_e32 0, v4
	s_cbranch_execz .LBB4_1054
; %bb.1045:                             ;   in Loop: Header=BB4_136 Depth=3
	v_bfrev_b32_e32 v5, 1
	s_mov_b32 s74, exec_lo
	v_cmpx_ne_u16_e32 0x80, v4
	s_cbranch_execz .LBB4_1053
; %bb.1046:                             ;   in Loop: Header=BB4_136 Depth=3
	v_and_b32_e32 v5, 0x7c0000, v11
	v_bfe_u32 v4, v11, 16, 2
	s_delay_alu instid0(VALU_DEP_2) | instskip(SKIP_1) | instid1(SALU_CYCLE_1)
	v_cmp_ne_u32_e32 vcc_lo, 0x7c0000, v5
                                        ; implicit-def: $vgpr5
	s_and_saveexec_b32 s75, vcc_lo
	s_xor_b32 s75, exec_lo, s75
	s_cbranch_execz .LBB4_1050
; %bb.1047:                             ;   in Loop: Header=BB4_136 Depth=3
	v_bfe_u32 v5, v11, 18, 5
	s_mov_b32 s76, exec_lo
	s_delay_alu instid0(VALU_DEP_1)
	v_cmpx_eq_u32_e32 0, v5
; %bb.1048:                             ;   in Loop: Header=BB4_136 Depth=3
	v_clz_i32_u32_e32 v4, v4
	s_delay_alu instid0(VALU_DEP_1) | instskip(NEXT) | instid1(VALU_DEP_1)
	v_min_u32_e32 v8, 32, v4
	v_subrev_nc_u32_e32 v4, 29, v8
	s_delay_alu instid0(VALU_DEP_1) | instskip(SKIP_1) | instid1(VALU_DEP_2)
	v_lshlrev_b64_e32 v[4:5], v4, v[2:3]
	v_sub_nc_u32_e32 v5, 30, v8
	v_and_b32_e32 v4, 3, v4
; %bb.1049:                             ;   in Loop: Header=BB4_136 Depth=3
	s_or_b32 exec_lo, exec_lo, s76
	v_lshlrev_b32_e32 v2, 24, v2
	s_delay_alu instid0(VALU_DEP_1) | instskip(NEXT) | instid1(VALU_DEP_1)
	v_and_b32_e32 v2, 0x80000000, v2
	v_lshl_add_u32 v2, v5, 23, v2
	s_delay_alu instid0(VALU_DEP_1) | instskip(NEXT) | instid1(VALU_DEP_1)
	v_lshl_or_b32 v2, v4, 21, v2
                                        ; implicit-def: $vgpr4
	v_add_nc_u32_e32 v5, 0x38000000, v2
                                        ; implicit-def: $vgpr2
.LBB4_1050:                             ;   in Loop: Header=BB4_136 Depth=3
	s_and_not1_saveexec_b32 s75, s75
; %bb.1051:                             ;   in Loop: Header=BB4_136 Depth=3
	v_bfe_i32 v2, v2, 0, 8
	s_delay_alu instid0(VALU_DEP_1) | instskip(SKIP_2) | instid1(VALU_DEP_2)
	v_cmp_lt_i16_e32 vcc_lo, -1, v2
	v_cndmask_b32_e32 v2, 0xff800000, v48, vcc_lo
	v_cmp_eq_u32_e32 vcc_lo, 0, v4
	v_cndmask_b32_e32 v5, 0x7f800001, v2, vcc_lo
; %bb.1052:                             ;   in Loop: Header=BB4_136 Depth=3
	s_or_b32 exec_lo, exec_lo, s75
.LBB4_1053:                             ;   in Loop: Header=BB4_136 Depth=3
	s_delay_alu instid0(SALU_CYCLE_1)
	s_or_b32 exec_lo, exec_lo, s74
.LBB4_1054:                             ;   in Loop: Header=BB4_136 Depth=3
	s_delay_alu instid0(SALU_CYCLE_1) | instskip(NEXT) | instid1(VALU_DEP_1)
	s_or_b32 exec_lo, exec_lo, s13
	v_dual_mul_f32 v8, s73, v5 :: v_dual_mov_b32 v17, v3
	v_mov_b32_e32 v5, v3
                                        ; implicit-def: $vgpr67
	s_mov_b32 s13, exec_lo
	s_delay_alu instid0(VALU_DEP_2) | instskip(SKIP_2) | instid1(VALU_DEP_3)
	v_and_b32_e32 v16, 0x7f800000, v8
	v_and_b32_e32 v4, 0x7fffff, v8
	v_lshrrev_b32_e32 v2, 24, v8
	v_cmpx_ne_u64_e32 0x7f800000, v[16:17]
	s_xor_b32 s74, exec_lo, s13
	s_cbranch_execz .LBB4_1068
; %bb.1055:                             ;   in Loop: Header=BB4_136 Depth=3
	v_and_b32_e32 v16, 0x7fffffff, v8
	v_mov_b32_e32 v17, v3
	v_and_b32_e32 v2, 0x80, v2
                                        ; implicit-def: $vgpr67
	s_mov_b32 s13, exec_lo
	s_delay_alu instid0(VALU_DEP_2)
	v_cmpx_gt_u64_e32 0x47600001, v[16:17]
	s_xor_b32 s75, exec_lo, s13
	s_cbranch_execz .LBB4_1065
; %bb.1056:                             ;   in Loop: Header=BB4_136 Depth=3
	v_mov_b32_e32 v67, 0
	s_mov_b32 s76, exec_lo
	v_cmpx_ne_u32_e32 0, v8
	s_cbranch_execz .LBB4_1064
; %bb.1057:                             ;   in Loop: Header=BB4_136 Depth=3
	v_bfe_u32 v16, v8, 23, 8
	v_or_b32_e32 v9, 0x800000, v4
	s_delay_alu instid0(VALU_DEP_2) | instskip(SKIP_2) | instid1(VALU_DEP_2)
	v_cmp_gt_u32_e64 s13, 0x72, v16
	v_sub_nc_u32_e32 v8, 0x71, v16
	v_cmp_eq_u32_e32 vcc_lo, 0, v16
	v_cndmask_b32_e64 v8, 0, v8, s13
	s_delay_alu instid0(VALU_DEP_1) | instskip(NEXT) | instid1(VALU_DEP_1)
	v_cndmask_b32_e64 v17, v8, 0x70, vcc_lo
	v_dual_cndmask_b32 v4, v9, v4, vcc_lo :: v_dual_add_nc_u32 v8, 21, v17
	v_add_nc_u32_e32 v18, 20, v17
	s_delay_alu instid0(VALU_DEP_2) | instskip(NEXT) | instid1(VALU_DEP_2)
	v_lshlrev_b64_e64 v[8:9], v8, -1
	v_lshlrev_b64_e64 v[18:19], v18, 1
	s_delay_alu instid0(VALU_DEP_2) | instskip(SKIP_1) | instid1(VALU_DEP_4)
	v_bfi_b32 v8, v8, 0, v4
	v_lshrrev_b64 v[4:5], v17, v[4:5]
	v_bfi_b32 v9, v9, 0, 0
	s_delay_alu instid0(VALU_DEP_1) | instskip(NEXT) | instid1(VALU_DEP_3)
	v_cmp_eq_u64_e64 s13, v[8:9], v[18:19]
	v_mov_b64_e32 v[8:9], v[4:5]
	s_and_saveexec_b32 s77, s13
; %bb.1058:                             ;   in Loop: Header=BB4_136 Depth=3
	v_bfe_u32 v8, v4, 21, 1
	v_mov_b32_e32 v9, v3
	s_delay_alu instid0(VALU_DEP_1) | instskip(NEXT) | instid1(VALU_DEP_1)
	v_add_nc_u64_e32 v[8:9], v[4:5], v[8:9]
	v_add_nc_u64_e32 v[8:9], -1, v[8:9]
; %bb.1059:                             ;   in Loop: Header=BB4_136 Depth=3
	s_or_b32 exec_lo, exec_lo, s77
	v_add_nc_u32_e32 v5, 0xffffff81, v16
	v_lshrrev_b32_e32 v9, 23, v4
	s_mov_b32 s13, exec_lo
	s_delay_alu instid0(VALU_DEP_2) | instskip(NEXT) | instid1(VALU_DEP_1)
	v_cndmask_b32_e64 v5, v5, 0xffffff82, vcc_lo
	v_add3_u32 v9, v17, v5, v9
	v_and_b32_e32 v5, 0x1fffff, v8
                                        ; implicit-def: $vgpr8
	s_delay_alu instid0(VALU_DEP_1) | instskip(SKIP_1) | instid1(VALU_DEP_2)
	v_dual_add_nc_u32 v16, 14, v9 :: v_dual_add_nc_u32 v4, v5, v4
	v_mov_b32_e32 v5, v3
	v_cmpx_ne_u32_e32 0, v16
	s_xor_b32 s13, exec_lo, s13
; %bb.1060:                             ;   in Loop: Header=BB4_136 Depth=3
	s_delay_alu instid0(VALU_DEP_2) | instskip(SKIP_2) | instid1(VALU_DEP_2)
	v_cmp_lt_u64_e32 vcc_lo, 0xffffff, v[4:5]
	v_add_nc_u32_e32 v8, 15, v9
	v_cndmask_b32_e64 v9, 0, 1, vcc_lo
	v_cndmask_b32_e32 v8, v16, v8, vcc_lo
	s_delay_alu instid0(VALU_DEP_2)
	v_lshrrev_b64 v[4:5], v9, v[4:5]
; %bb.1061:                             ;   in Loop: Header=BB4_136 Depth=3
	s_and_not1_saveexec_b32 s13, s13
; %bb.1062:                             ;   in Loop: Header=BB4_136 Depth=3
	s_delay_alu instid0(VALU_DEP_1)
	v_bfe_u32 v8, v4, 23, 1
; %bb.1063:                             ;   in Loop: Header=BB4_136 Depth=3
	s_or_b32 exec_lo, exec_lo, s13
	s_delay_alu instid0(VALU_DEP_2) | instskip(NEXT) | instid1(VALU_DEP_2)
	v_lshrrev_b64 v[4:5], 21, v[4:5]
	v_cmp_gt_i32_e32 vcc_lo, 32, v8
	v_min_i32_e32 v9, 31, v8
	v_cmp_eq_u32_e64 s13, 0, v8
	s_delay_alu instid0(VALU_DEP_4) | instskip(NEXT) | instid1(VALU_DEP_3)
	v_cndmask_b32_e32 v5, 0, v5, vcc_lo
	v_dual_cndmask_b32 v4, 3, v4 :: v_dual_lshlrev_b32 v9, 2, v9
	s_delay_alu instid0(VALU_DEP_1) | instskip(NEXT) | instid1(VALU_DEP_2)
	v_and_b32_e32 v9, 0xfc, v9
	v_cmp_eq_u64_e32 vcc_lo, 0, v[4:5]
	s_delay_alu instid0(VALU_DEP_2)
	v_and_or_b32 v4, v4, 3, v9
	s_and_b32 s13, s13, vcc_lo
	s_delay_alu instid0(VALU_DEP_1) | instid1(SALU_CYCLE_1)
	v_cndmask_b32_e64 v4, v4, 0, s13
	s_delay_alu instid0(VALU_DEP_1)
	v_or_b32_e32 v67, v4, v2
.LBB4_1064:                             ;   in Loop: Header=BB4_136 Depth=3
	s_or_b32 exec_lo, exec_lo, s76
                                        ; implicit-def: $vgpr2
.LBB4_1065:                             ;   in Loop: Header=BB4_136 Depth=3
	s_and_not1_saveexec_b32 s13, s75
; %bb.1066:                             ;   in Loop: Header=BB4_136 Depth=3
	v_or_b32_e32 v67, 0x7b, v2
; %bb.1067:                             ;   in Loop: Header=BB4_136 Depth=3
	s_or_b32 exec_lo, exec_lo, s13
                                        ; implicit-def: $vgpr8
                                        ; implicit-def: $vgpr4_vgpr5
                                        ; implicit-def: $vgpr2
.LBB4_1068:                             ;   in Loop: Header=BB4_136 Depth=3
	s_and_not1_saveexec_b32 s13, s74
	s_cbranch_execz .LBB4_1074
; %bb.1069:                             ;   in Loop: Header=BB4_136 Depth=3
	s_mov_b32 s74, exec_lo
                                        ; implicit-def: $vgpr67
	v_cmpx_ne_u64_e32 0, v[4:5]
	s_xor_b32 s74, exec_lo, s74
; %bb.1070:                             ;   in Loop: Header=BB4_136 Depth=3
	v_or_b32_e32 v67, 0x7f, v2
                                        ; implicit-def: $vgpr8
; %bb.1071:                             ;   in Loop: Header=BB4_136 Depth=3
	s_and_not1_saveexec_b32 s74, s74
; %bb.1072:                             ;   in Loop: Header=BB4_136 Depth=3
	v_cmp_lt_i32_e32 vcc_lo, -1, v8
	v_cndmask_b32_e32 v67, 0xfc, v49, vcc_lo
; %bb.1073:                             ;   in Loop: Header=BB4_136 Depth=3
	s_or_b32 exec_lo, exec_lo, s74
.LBB4_1074:                             ;   in Loop: Header=BB4_136 Depth=3
	s_delay_alu instid0(SALU_CYCLE_1)
	s_or_b32 exec_lo, exec_lo, s13
	v_mov_b32_e32 v4, 0
	s_mov_b32 s13, exec_lo
	v_cmpx_lt_u64_e64 s[22:23], v[10:11]
	s_cbranch_execz .LBB4_1084
; %bb.1075:                             ;   in Loop: Header=BB4_136 Depth=3
	v_lshrrev_b32_e32 v2, 24, v11
	v_bfrev_b32_e32 v4, 1
	s_mov_b32 s74, exec_lo
	s_delay_alu instid0(VALU_DEP_2)
	v_cmpx_ne_u32_e32 0x80, v2
	s_cbranch_execz .LBB4_1083
; %bb.1076:                             ;   in Loop: Header=BB4_136 Depth=3
	v_and_b32_e32 v4, 0x7c000000, v11
	v_bfe_u32 v5, v11, 24, 2
	s_delay_alu instid0(VALU_DEP_2) | instskip(SKIP_1) | instid1(SALU_CYCLE_1)
	v_cmp_ne_u32_e32 vcc_lo, 0x7c000000, v4
                                        ; implicit-def: $vgpr4
	s_and_saveexec_b32 s75, vcc_lo
	s_xor_b32 s75, exec_lo, s75
	s_cbranch_execz .LBB4_1080
; %bb.1077:                             ;   in Loop: Header=BB4_136 Depth=3
	v_bfe_u32 v4, v11, 26, 5
	s_mov_b32 s76, exec_lo
	s_delay_alu instid0(VALU_DEP_1)
	v_cmpx_eq_u32_e32 0, v4
; %bb.1078:                             ;   in Loop: Header=BB4_136 Depth=3
	v_clz_i32_u32_e32 v4, v5
	s_delay_alu instid0(VALU_DEP_1) | instskip(NEXT) | instid1(VALU_DEP_1)
	v_min_u32_e32 v4, 32, v4
	v_subrev_nc_u32_e32 v5, 29, v4
	v_sub_nc_u32_e32 v4, 30, v4
	s_delay_alu instid0(VALU_DEP_2) | instskip(NEXT) | instid1(VALU_DEP_1)
	v_lshlrev_b64_e32 v[8:9], v5, v[2:3]
	v_and_b32_e32 v5, 3, v8
; %bb.1079:                             ;   in Loop: Header=BB4_136 Depth=3
	s_or_b32 exec_lo, exec_lo, s76
	v_and_b32_e32 v2, 0x80000000, v11
                                        ; implicit-def: $vgpr10_vgpr11
	s_delay_alu instid0(VALU_DEP_1) | instskip(NEXT) | instid1(VALU_DEP_1)
	v_lshl_add_u32 v2, v4, 23, v2
	v_lshl_or_b32 v2, v5, 21, v2
                                        ; implicit-def: $vgpr5
	s_delay_alu instid0(VALU_DEP_1)
	v_add_nc_u32_e32 v4, 0x38000000, v2
.LBB4_1080:                             ;   in Loop: Header=BB4_136 Depth=3
	s_and_not1_saveexec_b32 s75, s75
; %bb.1081:                             ;   in Loop: Header=BB4_136 Depth=3
	v_cmp_lt_i64_e32 vcc_lo, -1, v[10:11]
	v_cndmask_b32_e32 v2, 0xff800000, v48, vcc_lo
	v_cmp_eq_u32_e32 vcc_lo, 0, v5
	s_delay_alu instid0(VALU_DEP_2)
	v_cndmask_b32_e32 v4, 0x7f800001, v2, vcc_lo
; %bb.1082:                             ;   in Loop: Header=BB4_136 Depth=3
	s_or_b32 exec_lo, exec_lo, s75
.LBB4_1083:                             ;   in Loop: Header=BB4_136 Depth=3
	s_delay_alu instid0(SALU_CYCLE_1)
	s_or_b32 exec_lo, exec_lo, s74
.LBB4_1084:                             ;   in Loop: Header=BB4_136 Depth=3
	s_delay_alu instid0(SALU_CYCLE_1) | instskip(NEXT) | instid1(VALU_DEP_1)
	s_or_b32 exec_lo, exec_lo, s13
	v_dual_mul_f32 v8, s73, v4 :: v_dual_mov_b32 v11, v3
	v_mov_b32_e32 v5, v3
                                        ; implicit-def: $vgpr79
	s_mov_b32 s13, exec_lo
	s_delay_alu instid0(VALU_DEP_2) | instskip(SKIP_2) | instid1(VALU_DEP_3)
	v_and_b32_e32 v10, 0x7f800000, v8
	v_and_b32_e32 v4, 0x7fffff, v8
	v_lshrrev_b32_e32 v2, 24, v8
	v_cmpx_ne_u64_e32 0x7f800000, v[10:11]
	s_xor_b32 s74, exec_lo, s13
	s_cbranch_execz .LBB4_1098
; %bb.1085:                             ;   in Loop: Header=BB4_136 Depth=3
	v_and_b32_e32 v10, 0x7fffffff, v8
	v_mov_b32_e32 v11, v3
	v_and_b32_e32 v2, 0x80, v2
                                        ; implicit-def: $vgpr79
	s_mov_b32 s13, exec_lo
	s_delay_alu instid0(VALU_DEP_2)
	v_cmpx_gt_u64_e32 0x47600001, v[10:11]
	s_xor_b32 s75, exec_lo, s13
	s_cbranch_execz .LBB4_1095
; %bb.1086:                             ;   in Loop: Header=BB4_136 Depth=3
	v_mov_b32_e32 v79, 0
	s_mov_b32 s76, exec_lo
	v_cmpx_ne_u32_e32 0, v8
	s_cbranch_execz .LBB4_1094
; %bb.1087:                             ;   in Loop: Header=BB4_136 Depth=3
	v_bfe_u32 v10, v8, 23, 8
	v_or_b32_e32 v9, 0x800000, v4
	s_delay_alu instid0(VALU_DEP_2) | instskip(SKIP_2) | instid1(VALU_DEP_2)
	v_cmp_gt_u32_e64 s13, 0x72, v10
	v_sub_nc_u32_e32 v8, 0x71, v10
	v_cmp_eq_u32_e32 vcc_lo, 0, v10
	v_cndmask_b32_e64 v8, 0, v8, s13
	s_delay_alu instid0(VALU_DEP_1) | instskip(NEXT) | instid1(VALU_DEP_1)
	v_cndmask_b32_e64 v11, v8, 0x70, vcc_lo
	v_dual_cndmask_b32 v4, v9, v4, vcc_lo :: v_dual_add_nc_u32 v8, 21, v11
	v_add_nc_u32_e32 v16, 20, v11
	s_delay_alu instid0(VALU_DEP_2) | instskip(NEXT) | instid1(VALU_DEP_2)
	v_lshlrev_b64_e64 v[8:9], v8, -1
	v_lshlrev_b64_e64 v[16:17], v16, 1
	s_delay_alu instid0(VALU_DEP_2) | instskip(SKIP_1) | instid1(VALU_DEP_4)
	v_bfi_b32 v8, v8, 0, v4
	v_lshrrev_b64 v[4:5], v11, v[4:5]
	v_bfi_b32 v9, v9, 0, 0
	s_delay_alu instid0(VALU_DEP_1) | instskip(NEXT) | instid1(VALU_DEP_3)
	v_cmp_eq_u64_e64 s13, v[8:9], v[16:17]
	v_mov_b64_e32 v[8:9], v[4:5]
	s_and_saveexec_b32 s77, s13
; %bb.1088:                             ;   in Loop: Header=BB4_136 Depth=3
	v_bfe_u32 v8, v4, 21, 1
	v_mov_b32_e32 v9, v3
	s_delay_alu instid0(VALU_DEP_1) | instskip(NEXT) | instid1(VALU_DEP_1)
	v_add_nc_u64_e32 v[8:9], v[4:5], v[8:9]
	v_add_nc_u64_e32 v[8:9], -1, v[8:9]
; %bb.1089:                             ;   in Loop: Header=BB4_136 Depth=3
	s_or_b32 exec_lo, exec_lo, s77
	v_add_nc_u32_e32 v5, 0xffffff81, v10
	v_lshrrev_b32_e32 v9, 23, v4
	s_mov_b32 s13, exec_lo
	s_delay_alu instid0(VALU_DEP_2) | instskip(NEXT) | instid1(VALU_DEP_1)
	v_cndmask_b32_e64 v5, v5, 0xffffff82, vcc_lo
	v_add3_u32 v9, v11, v5, v9
	v_and_b32_e32 v5, 0x1fffff, v8
                                        ; implicit-def: $vgpr8
	s_delay_alu instid0(VALU_DEP_1) | instskip(SKIP_1) | instid1(VALU_DEP_2)
	v_dual_add_nc_u32 v10, 14, v9 :: v_dual_add_nc_u32 v4, v5, v4
	v_mov_b32_e32 v5, v3
	v_cmpx_ne_u32_e32 0, v10
	s_xor_b32 s13, exec_lo, s13
; %bb.1090:                             ;   in Loop: Header=BB4_136 Depth=3
	s_delay_alu instid0(VALU_DEP_2) | instskip(SKIP_2) | instid1(VALU_DEP_2)
	v_cmp_lt_u64_e32 vcc_lo, 0xffffff, v[4:5]
	v_add_nc_u32_e32 v8, 15, v9
	v_cndmask_b32_e64 v9, 0, 1, vcc_lo
	v_cndmask_b32_e32 v8, v10, v8, vcc_lo
	s_delay_alu instid0(VALU_DEP_2)
	v_lshrrev_b64 v[4:5], v9, v[4:5]
; %bb.1091:                             ;   in Loop: Header=BB4_136 Depth=3
	s_and_not1_saveexec_b32 s13, s13
; %bb.1092:                             ;   in Loop: Header=BB4_136 Depth=3
	s_delay_alu instid0(VALU_DEP_1)
	v_bfe_u32 v8, v4, 23, 1
; %bb.1093:                             ;   in Loop: Header=BB4_136 Depth=3
	s_or_b32 exec_lo, exec_lo, s13
	s_delay_alu instid0(VALU_DEP_2) | instskip(NEXT) | instid1(VALU_DEP_2)
	v_lshrrev_b64 v[4:5], 21, v[4:5]
	v_cmp_gt_i32_e32 vcc_lo, 32, v8
	v_min_i32_e32 v9, 31, v8
	v_cmp_eq_u32_e64 s13, 0, v8
	s_delay_alu instid0(VALU_DEP_4) | instskip(NEXT) | instid1(VALU_DEP_3)
	v_cndmask_b32_e32 v5, 0, v5, vcc_lo
	v_dual_cndmask_b32 v4, 3, v4 :: v_dual_lshlrev_b32 v9, 2, v9
	s_delay_alu instid0(VALU_DEP_1) | instskip(NEXT) | instid1(VALU_DEP_2)
	v_and_b32_e32 v9, 0xfc, v9
	v_cmp_eq_u64_e32 vcc_lo, 0, v[4:5]
	s_delay_alu instid0(VALU_DEP_2)
	v_and_or_b32 v4, v4, 3, v9
	s_and_b32 s13, s13, vcc_lo
	s_delay_alu instid0(VALU_DEP_1) | instid1(SALU_CYCLE_1)
	v_cndmask_b32_e64 v4, v4, 0, s13
	s_delay_alu instid0(VALU_DEP_1)
	v_or_b32_e32 v79, v4, v2
.LBB4_1094:                             ;   in Loop: Header=BB4_136 Depth=3
	s_or_b32 exec_lo, exec_lo, s76
                                        ; implicit-def: $vgpr2
.LBB4_1095:                             ;   in Loop: Header=BB4_136 Depth=3
	s_and_not1_saveexec_b32 s13, s75
; %bb.1096:                             ;   in Loop: Header=BB4_136 Depth=3
	v_or_b32_e32 v79, 0x7b, v2
; %bb.1097:                             ;   in Loop: Header=BB4_136 Depth=3
	s_or_b32 exec_lo, exec_lo, s13
                                        ; implicit-def: $vgpr8
                                        ; implicit-def: $vgpr4_vgpr5
                                        ; implicit-def: $vgpr2
.LBB4_1098:                             ;   in Loop: Header=BB4_136 Depth=3
	s_and_not1_saveexec_b32 s13, s74
	s_cbranch_execz .LBB4_1104
; %bb.1099:                             ;   in Loop: Header=BB4_136 Depth=3
	s_mov_b32 s74, exec_lo
                                        ; implicit-def: $vgpr79
	v_cmpx_ne_u64_e32 0, v[4:5]
	s_xor_b32 s74, exec_lo, s74
; %bb.1100:                             ;   in Loop: Header=BB4_136 Depth=3
	v_or_b32_e32 v79, 0x7f, v2
                                        ; implicit-def: $vgpr8
; %bb.1101:                             ;   in Loop: Header=BB4_136 Depth=3
	s_and_not1_saveexec_b32 s74, s74
; %bb.1102:                             ;   in Loop: Header=BB4_136 Depth=3
	v_cmp_lt_i32_e32 vcc_lo, -1, v8
	v_cndmask_b32_e32 v79, 0xfc, v49, vcc_lo
; %bb.1103:                             ;   in Loop: Header=BB4_136 Depth=3
	s_or_b32 exec_lo, exec_lo, s74
.LBB4_1104:                             ;   in Loop: Header=BB4_136 Depth=3
	s_delay_alu instid0(SALU_CYCLE_1) | instskip(SKIP_3) | instid1(VALU_DEP_1)
	s_or_b32 exec_lo, exec_lo, s13
	global_load_b128 v[8:11], v[42:43], off offset:1024 th:TH_LOAD_NT
	s_wait_loadcnt 0x0
	v_and_b32_e32 v2, 0xff, v8
	v_cmp_ne_u16_e32 vcc_lo, 0, v2
	v_mov_b32_e32 v2, 0
	s_wait_xcnt 0x0
	s_and_saveexec_b32 s13, vcc_lo
	s_cbranch_execz .LBB4_1114
; %bb.1105:                             ;   in Loop: Header=BB4_136 Depth=3
	v_bfe_i32 v5, v8, 0, 8
	v_bfrev_b32_e32 v2, 1
	s_mov_b32 s74, exec_lo
	s_delay_alu instid0(VALU_DEP_2)
	v_cmpx_ne_u16_e32 0xff80, v5
	s_cbranch_execz .LBB4_1113
; %bb.1106:                             ;   in Loop: Header=BB4_136 Depth=3
	v_and_b32_e32 v2, 0x7c, v8
	v_and_b32_e32 v4, 3, v8
	s_delay_alu instid0(VALU_DEP_2) | instskip(SKIP_1) | instid1(SALU_CYCLE_1)
	v_cmp_ne_u32_e32 vcc_lo, 0x7c, v2
                                        ; implicit-def: $vgpr2
	s_and_saveexec_b32 s75, vcc_lo
	s_xor_b32 s75, exec_lo, s75
	s_cbranch_execz .LBB4_1110
; %bb.1107:                             ;   in Loop: Header=BB4_136 Depth=3
	v_bfe_u32 v2, v8, 2, 5
	s_mov_b32 s76, exec_lo
	s_delay_alu instid0(VALU_DEP_1)
	v_cmpx_eq_u32_e32 0, v2
; %bb.1108:                             ;   in Loop: Header=BB4_136 Depth=3
	v_clz_i32_u32_e32 v2, v4
	s_delay_alu instid0(VALU_DEP_1) | instskip(NEXT) | instid1(VALU_DEP_1)
	v_min_u32_e32 v2, 32, v2
	v_subrev_nc_u32_e32 v4, 29, v2
	s_delay_alu instid0(VALU_DEP_1) | instskip(NEXT) | instid1(VALU_DEP_1)
	v_lshlrev_b64_e32 v[4:5], v4, v[8:9]
	v_dual_sub_nc_u32 v2, 30, v2 :: v_dual_bitop2_b32 v4, 3, v4 bitop3:0x40
; %bb.1109:                             ;   in Loop: Header=BB4_136 Depth=3
	s_or_b32 exec_lo, exec_lo, s76
	v_lshlrev_b32_e32 v5, 24, v8
	s_delay_alu instid0(VALU_DEP_1) | instskip(NEXT) | instid1(VALU_DEP_1)
	v_and_b32_e32 v5, 0x80000000, v5
	v_lshl_add_u32 v2, v2, 23, v5
                                        ; implicit-def: $vgpr5
	s_delay_alu instid0(VALU_DEP_1) | instskip(NEXT) | instid1(VALU_DEP_1)
	v_lshl_or_b32 v2, v4, 21, v2
                                        ; implicit-def: $vgpr4
	v_add_nc_u32_e32 v2, 0x38000000, v2
.LBB4_1110:                             ;   in Loop: Header=BB4_136 Depth=3
	s_and_not1_saveexec_b32 s75, s75
; %bb.1111:                             ;   in Loop: Header=BB4_136 Depth=3
	v_cmp_lt_i16_e32 vcc_lo, -1, v5
	v_cndmask_b32_e32 v2, 0xff800000, v48, vcc_lo
	v_cmp_eq_u32_e32 vcc_lo, 0, v4
	s_delay_alu instid0(VALU_DEP_2)
	v_cndmask_b32_e32 v2, 0x7f800001, v2, vcc_lo
; %bb.1112:                             ;   in Loop: Header=BB4_136 Depth=3
	s_or_b32 exec_lo, exec_lo, s75
.LBB4_1113:                             ;   in Loop: Header=BB4_136 Depth=3
	s_delay_alu instid0(SALU_CYCLE_1)
	s_or_b32 exec_lo, exec_lo, s74
.LBB4_1114:                             ;   in Loop: Header=BB4_136 Depth=3
	s_delay_alu instid0(SALU_CYCLE_1) | instskip(NEXT) | instid1(VALU_DEP_1)
	s_or_b32 exec_lo, exec_lo, s13
	v_dual_mul_f32 v16, s73, v2 :: v_dual_mov_b32 v19, v3
	v_mov_b32_e32 v5, v3
                                        ; implicit-def: $vgpr88
	s_mov_b32 s13, exec_lo
	s_delay_alu instid0(VALU_DEP_2) | instskip(SKIP_2) | instid1(VALU_DEP_3)
	v_and_b32_e32 v18, 0x7f800000, v16
	v_and_b32_e32 v4, 0x7fffff, v16
	v_lshrrev_b32_e32 v2, 24, v16
	v_cmpx_ne_u64_e32 0x7f800000, v[18:19]
	s_xor_b32 s74, exec_lo, s13
	s_cbranch_execz .LBB4_1128
; %bb.1115:                             ;   in Loop: Header=BB4_136 Depth=3
	v_and_b32_e32 v18, 0x7fffffff, v16
	v_mov_b32_e32 v19, v3
	v_and_b32_e32 v2, 0x80, v2
                                        ; implicit-def: $vgpr88
	s_mov_b32 s13, exec_lo
	s_delay_alu instid0(VALU_DEP_2)
	v_cmpx_gt_u64_e32 0x47600001, v[18:19]
	s_xor_b32 s75, exec_lo, s13
	s_cbranch_execz .LBB4_1125
; %bb.1116:                             ;   in Loop: Header=BB4_136 Depth=3
	v_mov_b32_e32 v88, 0
	s_mov_b32 s76, exec_lo
	v_cmpx_ne_u32_e32 0, v16
	s_cbranch_execz .LBB4_1124
; %bb.1117:                             ;   in Loop: Header=BB4_136 Depth=3
	v_bfe_u32 v18, v16, 23, 8
	v_or_b32_e32 v17, 0x800000, v4
	s_delay_alu instid0(VALU_DEP_2) | instskip(SKIP_2) | instid1(VALU_DEP_2)
	v_cmp_gt_u32_e64 s13, 0x72, v18
	v_sub_nc_u32_e32 v16, 0x71, v18
	v_cmp_eq_u32_e32 vcc_lo, 0, v18
	v_cndmask_b32_e64 v16, 0, v16, s13
	s_delay_alu instid0(VALU_DEP_1) | instskip(NEXT) | instid1(VALU_DEP_1)
	v_cndmask_b32_e64 v19, v16, 0x70, vcc_lo
	v_dual_cndmask_b32 v4, v17, v4, vcc_lo :: v_dual_add_nc_u32 v16, 21, v19
	v_add_nc_u32_e32 v21, 20, v19
	s_delay_alu instid0(VALU_DEP_2) | instskip(NEXT) | instid1(VALU_DEP_2)
	v_lshlrev_b64_e64 v[16:17], v16, -1
	v_lshlrev_b64_e64 v[86:87], v21, 1
	s_delay_alu instid0(VALU_DEP_2) | instskip(SKIP_1) | instid1(VALU_DEP_4)
	v_bfi_b32 v16, v16, 0, v4
	v_lshrrev_b64 v[4:5], v19, v[4:5]
	v_bfi_b32 v17, v17, 0, 0
	s_delay_alu instid0(VALU_DEP_1) | instskip(NEXT) | instid1(VALU_DEP_3)
	v_cmp_eq_u64_e64 s13, v[16:17], v[86:87]
	v_mov_b64_e32 v[16:17], v[4:5]
	s_and_saveexec_b32 s77, s13
; %bb.1118:                             ;   in Loop: Header=BB4_136 Depth=3
	v_bfe_u32 v16, v4, 21, 1
	v_mov_b32_e32 v17, v3
	s_delay_alu instid0(VALU_DEP_1) | instskip(NEXT) | instid1(VALU_DEP_1)
	v_add_nc_u64_e32 v[16:17], v[4:5], v[16:17]
	v_add_nc_u64_e32 v[16:17], -1, v[16:17]
; %bb.1119:                             ;   in Loop: Header=BB4_136 Depth=3
	s_or_b32 exec_lo, exec_lo, s77
	v_add_nc_u32_e32 v5, 0xffffff81, v18
	v_lshrrev_b32_e32 v17, 23, v4
	s_mov_b32 s13, exec_lo
	s_delay_alu instid0(VALU_DEP_2) | instskip(NEXT) | instid1(VALU_DEP_1)
	v_cndmask_b32_e64 v5, v5, 0xffffff82, vcc_lo
	v_add3_u32 v18, v19, v5, v17
	v_and_b32_e32 v5, 0x1fffff, v16
                                        ; implicit-def: $vgpr16
	s_delay_alu instid0(VALU_DEP_1) | instskip(SKIP_1) | instid1(VALU_DEP_2)
	v_dual_add_nc_u32 v17, 14, v18 :: v_dual_add_nc_u32 v4, v5, v4
	v_mov_b32_e32 v5, v3
	v_cmpx_ne_u32_e32 0, v17
	s_xor_b32 s13, exec_lo, s13
; %bb.1120:                             ;   in Loop: Header=BB4_136 Depth=3
	s_delay_alu instid0(VALU_DEP_2) | instskip(SKIP_1) | instid1(VALU_DEP_1)
	v_cmp_lt_u64_e32 vcc_lo, 0xffffff, v[4:5]
	v_add_nc_u32_e32 v16, 15, v18
	v_cndmask_b32_e32 v16, v17, v16, vcc_lo
	v_cndmask_b32_e64 v17, 0, 1, vcc_lo
	s_delay_alu instid0(VALU_DEP_1)
	v_lshrrev_b64 v[4:5], v17, v[4:5]
; %bb.1121:                             ;   in Loop: Header=BB4_136 Depth=3
	s_and_not1_saveexec_b32 s13, s13
; %bb.1122:                             ;   in Loop: Header=BB4_136 Depth=3
	s_delay_alu instid0(VALU_DEP_1)
	v_bfe_u32 v16, v4, 23, 1
; %bb.1123:                             ;   in Loop: Header=BB4_136 Depth=3
	s_or_b32 exec_lo, exec_lo, s13
	s_delay_alu instid0(VALU_DEP_2) | instskip(NEXT) | instid1(VALU_DEP_2)
	v_lshrrev_b64 v[4:5], 21, v[4:5]
	v_cmp_gt_i32_e32 vcc_lo, 32, v16
	v_min_i32_e32 v17, 31, v16
	v_cmp_eq_u32_e64 s13, 0, v16
	s_delay_alu instid0(VALU_DEP_4) | instskip(NEXT) | instid1(VALU_DEP_3)
	v_cndmask_b32_e32 v5, 0, v5, vcc_lo
	v_dual_cndmask_b32 v4, 3, v4 :: v_dual_lshlrev_b32 v17, 2, v17
	s_delay_alu instid0(VALU_DEP_1) | instskip(NEXT) | instid1(VALU_DEP_2)
	v_and_b32_e32 v17, 0xfc, v17
	v_cmp_eq_u64_e32 vcc_lo, 0, v[4:5]
	s_delay_alu instid0(VALU_DEP_2)
	v_and_or_b32 v4, v4, 3, v17
	s_and_b32 s13, s13, vcc_lo
	s_delay_alu instid0(VALU_DEP_1) | instid1(SALU_CYCLE_1)
	v_cndmask_b32_e64 v4, v4, 0, s13
	s_delay_alu instid0(VALU_DEP_1)
	v_or_b32_e32 v88, v4, v2
.LBB4_1124:                             ;   in Loop: Header=BB4_136 Depth=3
	s_or_b32 exec_lo, exec_lo, s76
                                        ; implicit-def: $vgpr2
.LBB4_1125:                             ;   in Loop: Header=BB4_136 Depth=3
	s_and_not1_saveexec_b32 s13, s75
; %bb.1126:                             ;   in Loop: Header=BB4_136 Depth=3
	v_or_b32_e32 v88, 0x7b, v2
; %bb.1127:                             ;   in Loop: Header=BB4_136 Depth=3
	s_or_b32 exec_lo, exec_lo, s13
                                        ; implicit-def: $vgpr16
                                        ; implicit-def: $vgpr4_vgpr5
                                        ; implicit-def: $vgpr2
.LBB4_1128:                             ;   in Loop: Header=BB4_136 Depth=3
	s_and_not1_saveexec_b32 s13, s74
	s_cbranch_execz .LBB4_1134
; %bb.1129:                             ;   in Loop: Header=BB4_136 Depth=3
	s_mov_b32 s74, exec_lo
                                        ; implicit-def: $vgpr88
	v_cmpx_ne_u64_e32 0, v[4:5]
	s_xor_b32 s74, exec_lo, s74
; %bb.1130:                             ;   in Loop: Header=BB4_136 Depth=3
	v_or_b32_e32 v88, 0x7f, v2
                                        ; implicit-def: $vgpr16
; %bb.1131:                             ;   in Loop: Header=BB4_136 Depth=3
	s_and_not1_saveexec_b32 s74, s74
; %bb.1132:                             ;   in Loop: Header=BB4_136 Depth=3
	v_cmp_lt_i32_e32 vcc_lo, -1, v16
	v_cndmask_b32_e32 v88, 0xfc, v49, vcc_lo
; %bb.1133:                             ;   in Loop: Header=BB4_136 Depth=3
	s_or_b32 exec_lo, exec_lo, s74
.LBB4_1134:                             ;   in Loop: Header=BB4_136 Depth=3
	s_delay_alu instid0(SALU_CYCLE_1) | instskip(SKIP_3) | instid1(VALU_DEP_2)
	s_or_b32 exec_lo, exec_lo, s13
	v_lshrrev_b16 v4, 8, v8
	v_mov_b32_e32 v5, 0
	s_mov_b32 s13, exec_lo
	v_cmpx_ne_u16_e32 0, v4
	s_cbranch_execz .LBB4_1144
; %bb.1135:                             ;   in Loop: Header=BB4_136 Depth=3
	v_bfrev_b32_e32 v5, 1
	s_mov_b32 s74, exec_lo
	v_cmpx_ne_u16_e32 0x80, v4
	s_cbranch_execz .LBB4_1143
; %bb.1136:                             ;   in Loop: Header=BB4_136 Depth=3
	v_and_b32_e32 v16, 0xffff, v4
	s_delay_alu instid0(VALU_DEP_1) | instskip(SKIP_1) | instid1(VALU_DEP_2)
	v_and_b32_e32 v5, 0x7c, v16
	v_and_b32_e32 v2, 3, v16
	v_cmp_ne_u32_e32 vcc_lo, 0x7c, v5
                                        ; implicit-def: $vgpr5
	s_and_saveexec_b32 s75, vcc_lo
	s_delay_alu instid0(SALU_CYCLE_1)
	s_xor_b32 s75, exec_lo, s75
	s_cbranch_execz .LBB4_1140
; %bb.1137:                             ;   in Loop: Header=BB4_136 Depth=3
	v_bfe_u32 v5, v16, 2, 5
	s_mov_b32 s76, exec_lo
	s_delay_alu instid0(VALU_DEP_1)
	v_cmpx_eq_u32_e32 0, v5
; %bb.1138:                             ;   in Loop: Header=BB4_136 Depth=3
	v_clz_i32_u32_e32 v2, v2
	v_mov_b32_e32 v5, v3
	s_delay_alu instid0(VALU_DEP_2) | instskip(NEXT) | instid1(VALU_DEP_1)
	v_min_u32_e32 v2, 32, v2
	v_subrev_nc_u32_e32 v16, 29, v2
	s_delay_alu instid0(VALU_DEP_1) | instskip(NEXT) | instid1(VALU_DEP_1)
	v_lshlrev_b64_e32 v[4:5], v16, v[4:5]
	v_dual_sub_nc_u32 v5, 30, v2 :: v_dual_bitop2_b32 v2, 3, v4 bitop3:0x40
; %bb.1139:                             ;   in Loop: Header=BB4_136 Depth=3
	s_or_b32 exec_lo, exec_lo, s76
	v_lshlrev_b32_e32 v4, 16, v8
	s_delay_alu instid0(VALU_DEP_1) | instskip(NEXT) | instid1(VALU_DEP_1)
	v_and_b32_e32 v4, 0x80000000, v4
	v_lshl_add_u32 v4, v5, 23, v4
	s_delay_alu instid0(VALU_DEP_1) | instskip(NEXT) | instid1(VALU_DEP_1)
	v_lshl_or_b32 v2, v2, 21, v4
	v_add_nc_u32_e32 v5, 0x38000000, v2
                                        ; implicit-def: $vgpr2
.LBB4_1140:                             ;   in Loop: Header=BB4_136 Depth=3
	s_and_not1_saveexec_b32 s75, s75
; %bb.1141:                             ;   in Loop: Header=BB4_136 Depth=3
	v_cmp_lt_i16_e32 vcc_lo, -1, v8
	v_cndmask_b32_e32 v4, 0xff800000, v48, vcc_lo
	v_cmp_eq_u32_e32 vcc_lo, 0, v2
	s_delay_alu instid0(VALU_DEP_2)
	v_cndmask_b32_e32 v5, 0x7f800001, v4, vcc_lo
; %bb.1142:                             ;   in Loop: Header=BB4_136 Depth=3
	s_or_b32 exec_lo, exec_lo, s75
.LBB4_1143:                             ;   in Loop: Header=BB4_136 Depth=3
	s_delay_alu instid0(SALU_CYCLE_1)
	s_or_b32 exec_lo, exec_lo, s74
.LBB4_1144:                             ;   in Loop: Header=BB4_136 Depth=3
	s_delay_alu instid0(SALU_CYCLE_1) | instskip(NEXT) | instid1(VALU_DEP_1)
	s_or_b32 exec_lo, exec_lo, s13
	v_dual_mul_f32 v16, s73, v5 :: v_dual_mov_b32 v19, v3
	v_mov_b32_e32 v5, v3
                                        ; implicit-def: $vgpr89
	s_mov_b32 s13, exec_lo
	s_delay_alu instid0(VALU_DEP_2) | instskip(SKIP_2) | instid1(VALU_DEP_3)
	v_and_b32_e32 v18, 0x7f800000, v16
	v_and_b32_e32 v4, 0x7fffff, v16
	v_lshrrev_b32_e32 v2, 24, v16
	v_cmpx_ne_u64_e32 0x7f800000, v[18:19]
	s_xor_b32 s74, exec_lo, s13
	s_cbranch_execz .LBB4_1158
; %bb.1145:                             ;   in Loop: Header=BB4_136 Depth=3
	v_and_b32_e32 v18, 0x7fffffff, v16
	v_mov_b32_e32 v19, v3
	v_and_b32_e32 v2, 0x80, v2
                                        ; implicit-def: $vgpr89
	s_mov_b32 s13, exec_lo
	s_delay_alu instid0(VALU_DEP_2)
	v_cmpx_gt_u64_e32 0x47600001, v[18:19]
	s_xor_b32 s75, exec_lo, s13
	s_cbranch_execz .LBB4_1155
; %bb.1146:                             ;   in Loop: Header=BB4_136 Depth=3
	v_mov_b32_e32 v89, 0
	s_mov_b32 s76, exec_lo
	v_cmpx_ne_u32_e32 0, v16
	s_cbranch_execz .LBB4_1154
; %bb.1147:                             ;   in Loop: Header=BB4_136 Depth=3
	v_bfe_u32 v18, v16, 23, 8
	v_or_b32_e32 v17, 0x800000, v4
	s_delay_alu instid0(VALU_DEP_2) | instskip(SKIP_2) | instid1(VALU_DEP_2)
	v_cmp_gt_u32_e64 s13, 0x72, v18
	v_sub_nc_u32_e32 v16, 0x71, v18
	v_cmp_eq_u32_e32 vcc_lo, 0, v18
	v_cndmask_b32_e64 v16, 0, v16, s13
	s_delay_alu instid0(VALU_DEP_1) | instskip(NEXT) | instid1(VALU_DEP_1)
	v_cndmask_b32_e64 v19, v16, 0x70, vcc_lo
	v_dual_cndmask_b32 v4, v17, v4, vcc_lo :: v_dual_add_nc_u32 v16, 21, v19
	v_add_nc_u32_e32 v21, 20, v19
	s_delay_alu instid0(VALU_DEP_2) | instskip(NEXT) | instid1(VALU_DEP_2)
	v_lshlrev_b64_e64 v[16:17], v16, -1
	v_lshlrev_b64_e64 v[86:87], v21, 1
	s_delay_alu instid0(VALU_DEP_2) | instskip(SKIP_1) | instid1(VALU_DEP_4)
	v_bfi_b32 v16, v16, 0, v4
	v_lshrrev_b64 v[4:5], v19, v[4:5]
	v_bfi_b32 v17, v17, 0, 0
	s_delay_alu instid0(VALU_DEP_1) | instskip(NEXT) | instid1(VALU_DEP_3)
	v_cmp_eq_u64_e64 s13, v[16:17], v[86:87]
	v_mov_b64_e32 v[16:17], v[4:5]
	s_and_saveexec_b32 s77, s13
; %bb.1148:                             ;   in Loop: Header=BB4_136 Depth=3
	v_bfe_u32 v16, v4, 21, 1
	v_mov_b32_e32 v17, v3
	s_delay_alu instid0(VALU_DEP_1) | instskip(NEXT) | instid1(VALU_DEP_1)
	v_add_nc_u64_e32 v[16:17], v[4:5], v[16:17]
	v_add_nc_u64_e32 v[16:17], -1, v[16:17]
; %bb.1149:                             ;   in Loop: Header=BB4_136 Depth=3
	s_or_b32 exec_lo, exec_lo, s77
	v_add_nc_u32_e32 v5, 0xffffff81, v18
	v_lshrrev_b32_e32 v17, 23, v4
	s_mov_b32 s13, exec_lo
	s_delay_alu instid0(VALU_DEP_2) | instskip(NEXT) | instid1(VALU_DEP_1)
	v_cndmask_b32_e64 v5, v5, 0xffffff82, vcc_lo
	v_add3_u32 v18, v19, v5, v17
	v_and_b32_e32 v5, 0x1fffff, v16
                                        ; implicit-def: $vgpr16
	s_delay_alu instid0(VALU_DEP_1) | instskip(SKIP_1) | instid1(VALU_DEP_2)
	v_dual_add_nc_u32 v17, 14, v18 :: v_dual_add_nc_u32 v4, v5, v4
	v_mov_b32_e32 v5, v3
	v_cmpx_ne_u32_e32 0, v17
	s_xor_b32 s13, exec_lo, s13
; %bb.1150:                             ;   in Loop: Header=BB4_136 Depth=3
	s_delay_alu instid0(VALU_DEP_2) | instskip(SKIP_1) | instid1(VALU_DEP_1)
	v_cmp_lt_u64_e32 vcc_lo, 0xffffff, v[4:5]
	v_add_nc_u32_e32 v16, 15, v18
	v_cndmask_b32_e32 v16, v17, v16, vcc_lo
	v_cndmask_b32_e64 v17, 0, 1, vcc_lo
	s_delay_alu instid0(VALU_DEP_1)
	v_lshrrev_b64 v[4:5], v17, v[4:5]
; %bb.1151:                             ;   in Loop: Header=BB4_136 Depth=3
	s_and_not1_saveexec_b32 s13, s13
; %bb.1152:                             ;   in Loop: Header=BB4_136 Depth=3
	s_delay_alu instid0(VALU_DEP_1)
	v_bfe_u32 v16, v4, 23, 1
; %bb.1153:                             ;   in Loop: Header=BB4_136 Depth=3
	s_or_b32 exec_lo, exec_lo, s13
	s_delay_alu instid0(VALU_DEP_2) | instskip(NEXT) | instid1(VALU_DEP_2)
	v_lshrrev_b64 v[4:5], 21, v[4:5]
	v_cmp_gt_i32_e32 vcc_lo, 32, v16
	v_min_i32_e32 v17, 31, v16
	v_cmp_eq_u32_e64 s13, 0, v16
	s_delay_alu instid0(VALU_DEP_4) | instskip(NEXT) | instid1(VALU_DEP_3)
	v_cndmask_b32_e32 v5, 0, v5, vcc_lo
	v_dual_cndmask_b32 v4, 3, v4 :: v_dual_lshlrev_b32 v17, 2, v17
	s_delay_alu instid0(VALU_DEP_1) | instskip(NEXT) | instid1(VALU_DEP_2)
	v_and_b32_e32 v17, 0xfc, v17
	v_cmp_eq_u64_e32 vcc_lo, 0, v[4:5]
	s_delay_alu instid0(VALU_DEP_2)
	v_and_or_b32 v4, v4, 3, v17
	s_and_b32 s13, s13, vcc_lo
	s_delay_alu instid0(VALU_DEP_1) | instid1(SALU_CYCLE_1)
	v_cndmask_b32_e64 v4, v4, 0, s13
	s_delay_alu instid0(VALU_DEP_1)
	v_or_b32_e32 v89, v4, v2
.LBB4_1154:                             ;   in Loop: Header=BB4_136 Depth=3
	s_or_b32 exec_lo, exec_lo, s76
                                        ; implicit-def: $vgpr2
.LBB4_1155:                             ;   in Loop: Header=BB4_136 Depth=3
	s_and_not1_saveexec_b32 s13, s75
; %bb.1156:                             ;   in Loop: Header=BB4_136 Depth=3
	v_or_b32_e32 v89, 0x7b, v2
; %bb.1157:                             ;   in Loop: Header=BB4_136 Depth=3
	s_or_b32 exec_lo, exec_lo, s13
                                        ; implicit-def: $vgpr16
                                        ; implicit-def: $vgpr4_vgpr5
                                        ; implicit-def: $vgpr2
.LBB4_1158:                             ;   in Loop: Header=BB4_136 Depth=3
	s_and_not1_saveexec_b32 s13, s74
	s_cbranch_execz .LBB4_1164
; %bb.1159:                             ;   in Loop: Header=BB4_136 Depth=3
	s_mov_b32 s74, exec_lo
                                        ; implicit-def: $vgpr89
	v_cmpx_ne_u64_e32 0, v[4:5]
	s_xor_b32 s74, exec_lo, s74
; %bb.1160:                             ;   in Loop: Header=BB4_136 Depth=3
	v_or_b32_e32 v89, 0x7f, v2
                                        ; implicit-def: $vgpr16
; %bb.1161:                             ;   in Loop: Header=BB4_136 Depth=3
	s_and_not1_saveexec_b32 s74, s74
; %bb.1162:                             ;   in Loop: Header=BB4_136 Depth=3
	v_cmp_lt_i32_e32 vcc_lo, -1, v16
	v_cndmask_b32_e32 v89, 0xfc, v49, vcc_lo
; %bb.1163:                             ;   in Loop: Header=BB4_136 Depth=3
	s_or_b32 exec_lo, exec_lo, s74
.LBB4_1164:                             ;   in Loop: Header=BB4_136 Depth=3
	s_delay_alu instid0(SALU_CYCLE_1) | instskip(SKIP_2) | instid1(VALU_DEP_1)
	s_or_b32 exec_lo, exec_lo, s13
	v_dual_lshrrev_b32 v2, 16, v8 :: v_dual_mov_b32 v4, 0
	s_mov_b32 s74, exec_lo
	v_and_b32_e32 v5, 0xff, v2
	s_delay_alu instid0(VALU_DEP_1)
	v_cmpx_ne_u16_e32 0, v5
	s_cbranch_execz .LBB4_1174
; %bb.1165:                             ;   in Loop: Header=BB4_136 Depth=3
	v_bfrev_b32_e32 v4, 1
	s_mov_b32 s75, exec_lo
	v_cmpx_ne_u16_e32 0x80, v5
	s_cbranch_execz .LBB4_1173
; %bb.1166:                             ;   in Loop: Header=BB4_136 Depth=3
	v_and_b32_e32 v4, 0x7c0000, v8
	v_bfe_u32 v5, v8, 16, 2
	s_delay_alu instid0(VALU_DEP_2) | instskip(SKIP_1) | instid1(SALU_CYCLE_1)
	v_cmp_ne_u32_e32 vcc_lo, 0x7c0000, v4
                                        ; implicit-def: $vgpr4
	s_and_saveexec_b32 s13, vcc_lo
	s_xor_b32 s13, exec_lo, s13
	s_cbranch_execz .LBB4_1170
; %bb.1167:                             ;   in Loop: Header=BB4_136 Depth=3
	v_bfe_u32 v4, v8, 18, 5
	s_mov_b32 s76, exec_lo
	s_delay_alu instid0(VALU_DEP_1)
	v_cmpx_eq_u32_e32 0, v4
; %bb.1168:                             ;   in Loop: Header=BB4_136 Depth=3
	v_clz_i32_u32_e32 v4, v5
	s_delay_alu instid0(VALU_DEP_1) | instskip(NEXT) | instid1(VALU_DEP_1)
	v_min_u32_e32 v4, 32, v4
	v_subrev_nc_u32_e32 v5, 29, v4
	v_sub_nc_u32_e32 v4, 30, v4
	s_delay_alu instid0(VALU_DEP_2) | instskip(NEXT) | instid1(VALU_DEP_1)
	v_lshlrev_b64_e32 v[16:17], v5, v[2:3]
	v_and_b32_e32 v5, 3, v16
; %bb.1169:                             ;   in Loop: Header=BB4_136 Depth=3
	s_or_b32 exec_lo, exec_lo, s76
	v_lshlrev_b32_e32 v2, 24, v2
	s_delay_alu instid0(VALU_DEP_1) | instskip(NEXT) | instid1(VALU_DEP_1)
	v_and_b32_e32 v2, 0x80000000, v2
	v_lshl_add_u32 v2, v4, 23, v2
	s_delay_alu instid0(VALU_DEP_1) | instskip(NEXT) | instid1(VALU_DEP_1)
	v_lshl_or_b32 v2, v5, 21, v2
                                        ; implicit-def: $vgpr5
	v_add_nc_u32_e32 v4, 0x38000000, v2
                                        ; implicit-def: $vgpr2
.LBB4_1170:                             ;   in Loop: Header=BB4_136 Depth=3
	s_and_not1_saveexec_b32 s76, s13
; %bb.1171:                             ;   in Loop: Header=BB4_136 Depth=3
	v_bfe_i32 v2, v2, 0, 8
	v_cmp_eq_u32_e32 vcc_lo, 0, v5
	s_delay_alu instid0(VALU_DEP_2) | instskip(NEXT) | instid1(VALU_DEP_1)
	v_cmp_lt_i16_e64 s13, -1, v2
	v_cndmask_b32_e64 v2, 0xff800000, v48, s13
	s_delay_alu instid0(VALU_DEP_1)
	v_cndmask_b32_e32 v4, 0x7f800001, v2, vcc_lo
; %bb.1172:                             ;   in Loop: Header=BB4_136 Depth=3
	s_or_b32 exec_lo, exec_lo, s76
.LBB4_1173:                             ;   in Loop: Header=BB4_136 Depth=3
	s_delay_alu instid0(SALU_CYCLE_1)
	s_or_b32 exec_lo, exec_lo, s75
.LBB4_1174:                             ;   in Loop: Header=BB4_136 Depth=3
	s_delay_alu instid0(SALU_CYCLE_1) | instskip(NEXT) | instid1(VALU_DEP_1)
	s_or_b32 exec_lo, exec_lo, s74
	v_dual_mul_f32 v16, s73, v4 :: v_dual_mov_b32 v19, v3
	v_mov_b32_e32 v5, v3
                                        ; implicit-def: $vgpr90
	s_mov_b32 s13, exec_lo
	s_delay_alu instid0(VALU_DEP_2) | instskip(SKIP_2) | instid1(VALU_DEP_3)
	v_and_b32_e32 v18, 0x7f800000, v16
	v_and_b32_e32 v4, 0x7fffff, v16
	v_lshrrev_b32_e32 v2, 24, v16
	v_cmpx_ne_u64_e32 0x7f800000, v[18:19]
	s_xor_b32 s74, exec_lo, s13
	s_cbranch_execz .LBB4_1188
; %bb.1175:                             ;   in Loop: Header=BB4_136 Depth=3
	v_and_b32_e32 v18, 0x7fffffff, v16
	v_mov_b32_e32 v19, v3
	v_and_b32_e32 v2, 0x80, v2
                                        ; implicit-def: $vgpr90
	s_mov_b32 s13, exec_lo
	s_delay_alu instid0(VALU_DEP_2)
	v_cmpx_gt_u64_e32 0x47600001, v[18:19]
	s_xor_b32 s75, exec_lo, s13
	s_cbranch_execz .LBB4_1185
; %bb.1176:                             ;   in Loop: Header=BB4_136 Depth=3
	v_mov_b32_e32 v90, 0
	s_mov_b32 s76, exec_lo
	v_cmpx_ne_u32_e32 0, v16
	s_cbranch_execz .LBB4_1184
; %bb.1177:                             ;   in Loop: Header=BB4_136 Depth=3
	v_bfe_u32 v18, v16, 23, 8
	v_or_b32_e32 v17, 0x800000, v4
	s_delay_alu instid0(VALU_DEP_2) | instskip(SKIP_2) | instid1(VALU_DEP_2)
	v_cmp_gt_u32_e64 s13, 0x72, v18
	v_sub_nc_u32_e32 v16, 0x71, v18
	v_cmp_eq_u32_e32 vcc_lo, 0, v18
	v_cndmask_b32_e64 v16, 0, v16, s13
	s_delay_alu instid0(VALU_DEP_1) | instskip(NEXT) | instid1(VALU_DEP_1)
	v_cndmask_b32_e64 v19, v16, 0x70, vcc_lo
	v_dual_cndmask_b32 v4, v17, v4, vcc_lo :: v_dual_add_nc_u32 v16, 21, v19
	v_add_nc_u32_e32 v21, 20, v19
	s_delay_alu instid0(VALU_DEP_2) | instskip(NEXT) | instid1(VALU_DEP_2)
	v_lshlrev_b64_e64 v[16:17], v16, -1
	v_lshlrev_b64_e64 v[86:87], v21, 1
	s_delay_alu instid0(VALU_DEP_2) | instskip(SKIP_1) | instid1(VALU_DEP_4)
	v_bfi_b32 v16, v16, 0, v4
	v_lshrrev_b64 v[4:5], v19, v[4:5]
	v_bfi_b32 v17, v17, 0, 0
	s_delay_alu instid0(VALU_DEP_1) | instskip(NEXT) | instid1(VALU_DEP_3)
	v_cmp_eq_u64_e64 s13, v[16:17], v[86:87]
	v_mov_b64_e32 v[16:17], v[4:5]
	s_and_saveexec_b32 s77, s13
; %bb.1178:                             ;   in Loop: Header=BB4_136 Depth=3
	v_bfe_u32 v16, v4, 21, 1
	v_mov_b32_e32 v17, v3
	s_delay_alu instid0(VALU_DEP_1) | instskip(NEXT) | instid1(VALU_DEP_1)
	v_add_nc_u64_e32 v[16:17], v[4:5], v[16:17]
	v_add_nc_u64_e32 v[16:17], -1, v[16:17]
; %bb.1179:                             ;   in Loop: Header=BB4_136 Depth=3
	s_or_b32 exec_lo, exec_lo, s77
	v_add_nc_u32_e32 v5, 0xffffff81, v18
	v_lshrrev_b32_e32 v17, 23, v4
	s_mov_b32 s13, exec_lo
	s_delay_alu instid0(VALU_DEP_2) | instskip(NEXT) | instid1(VALU_DEP_1)
	v_cndmask_b32_e64 v5, v5, 0xffffff82, vcc_lo
	v_add3_u32 v18, v19, v5, v17
	v_and_b32_e32 v5, 0x1fffff, v16
                                        ; implicit-def: $vgpr16
	s_delay_alu instid0(VALU_DEP_1) | instskip(SKIP_1) | instid1(VALU_DEP_2)
	v_dual_add_nc_u32 v17, 14, v18 :: v_dual_add_nc_u32 v4, v5, v4
	v_mov_b32_e32 v5, v3
	v_cmpx_ne_u32_e32 0, v17
	s_xor_b32 s13, exec_lo, s13
; %bb.1180:                             ;   in Loop: Header=BB4_136 Depth=3
	s_delay_alu instid0(VALU_DEP_2) | instskip(SKIP_1) | instid1(VALU_DEP_1)
	v_cmp_lt_u64_e32 vcc_lo, 0xffffff, v[4:5]
	v_add_nc_u32_e32 v16, 15, v18
	v_cndmask_b32_e32 v16, v17, v16, vcc_lo
	v_cndmask_b32_e64 v17, 0, 1, vcc_lo
	s_delay_alu instid0(VALU_DEP_1)
	v_lshrrev_b64 v[4:5], v17, v[4:5]
; %bb.1181:                             ;   in Loop: Header=BB4_136 Depth=3
	s_and_not1_saveexec_b32 s13, s13
; %bb.1182:                             ;   in Loop: Header=BB4_136 Depth=3
	s_delay_alu instid0(VALU_DEP_1)
	v_bfe_u32 v16, v4, 23, 1
; %bb.1183:                             ;   in Loop: Header=BB4_136 Depth=3
	s_or_b32 exec_lo, exec_lo, s13
	s_delay_alu instid0(VALU_DEP_2) | instskip(NEXT) | instid1(VALU_DEP_2)
	v_lshrrev_b64 v[4:5], 21, v[4:5]
	v_cmp_gt_i32_e32 vcc_lo, 32, v16
	v_min_i32_e32 v17, 31, v16
	v_cmp_eq_u32_e64 s13, 0, v16
	s_delay_alu instid0(VALU_DEP_4) | instskip(NEXT) | instid1(VALU_DEP_3)
	v_cndmask_b32_e32 v5, 0, v5, vcc_lo
	v_dual_cndmask_b32 v4, 3, v4 :: v_dual_lshlrev_b32 v17, 2, v17
	s_delay_alu instid0(VALU_DEP_1) | instskip(NEXT) | instid1(VALU_DEP_2)
	v_and_b32_e32 v17, 0xfc, v17
	v_cmp_eq_u64_e32 vcc_lo, 0, v[4:5]
	s_delay_alu instid0(VALU_DEP_2)
	v_and_or_b32 v4, v4, 3, v17
	s_and_b32 s13, s13, vcc_lo
	s_delay_alu instid0(VALU_DEP_1) | instid1(SALU_CYCLE_1)
	v_cndmask_b32_e64 v4, v4, 0, s13
	s_delay_alu instid0(VALU_DEP_1)
	v_or_b32_e32 v90, v4, v2
.LBB4_1184:                             ;   in Loop: Header=BB4_136 Depth=3
	s_or_b32 exec_lo, exec_lo, s76
                                        ; implicit-def: $vgpr2
.LBB4_1185:                             ;   in Loop: Header=BB4_136 Depth=3
	s_and_not1_saveexec_b32 s13, s75
; %bb.1186:                             ;   in Loop: Header=BB4_136 Depth=3
	v_or_b32_e32 v90, 0x7b, v2
; %bb.1187:                             ;   in Loop: Header=BB4_136 Depth=3
	s_or_b32 exec_lo, exec_lo, s13
                                        ; implicit-def: $vgpr16
                                        ; implicit-def: $vgpr4_vgpr5
                                        ; implicit-def: $vgpr2
.LBB4_1188:                             ;   in Loop: Header=BB4_136 Depth=3
	s_and_not1_saveexec_b32 s13, s74
	s_cbranch_execz .LBB4_1194
; %bb.1189:                             ;   in Loop: Header=BB4_136 Depth=3
	s_mov_b32 s74, exec_lo
                                        ; implicit-def: $vgpr90
	v_cmpx_ne_u64_e32 0, v[4:5]
	s_xor_b32 s74, exec_lo, s74
; %bb.1190:                             ;   in Loop: Header=BB4_136 Depth=3
	v_or_b32_e32 v90, 0x7f, v2
                                        ; implicit-def: $vgpr16
; %bb.1191:                             ;   in Loop: Header=BB4_136 Depth=3
	s_and_not1_saveexec_b32 s74, s74
; %bb.1192:                             ;   in Loop: Header=BB4_136 Depth=3
	v_cmp_lt_i32_e32 vcc_lo, -1, v16
	v_cndmask_b32_e32 v90, 0xfc, v49, vcc_lo
; %bb.1193:                             ;   in Loop: Header=BB4_136 Depth=3
	s_or_b32 exec_lo, exec_lo, s74
.LBB4_1194:                             ;   in Loop: Header=BB4_136 Depth=3
	s_delay_alu instid0(SALU_CYCLE_1)
	s_or_b32 exec_lo, exec_lo, s13
	v_mov_b32_e32 v4, 0
	s_mov_b32 s74, exec_lo
	v_cmpx_lt_u32_e32 0xffffff, v8
	s_cbranch_execz .LBB4_1204
; %bb.1195:                             ;   in Loop: Header=BB4_136 Depth=3
	v_lshrrev_b32_e32 v2, 24, v8
	v_bfrev_b32_e32 v4, 1
	s_mov_b32 s75, exec_lo
	s_delay_alu instid0(VALU_DEP_2)
	v_cmpx_ne_u32_e32 0x80, v2
	s_cbranch_execz .LBB4_1203
; %bb.1196:                             ;   in Loop: Header=BB4_136 Depth=3
	v_and_b32_e32 v4, 0x7c000000, v8
	v_bfe_u32 v5, v8, 24, 2
	s_delay_alu instid0(VALU_DEP_2) | instskip(SKIP_1) | instid1(SALU_CYCLE_1)
	v_cmp_ne_u32_e32 vcc_lo, 0x7c000000, v4
                                        ; implicit-def: $vgpr4
	s_and_saveexec_b32 s13, vcc_lo
	s_xor_b32 s13, exec_lo, s13
	s_cbranch_execz .LBB4_1200
; %bb.1197:                             ;   in Loop: Header=BB4_136 Depth=3
	v_bfe_u32 v4, v8, 26, 5
	s_mov_b32 s76, exec_lo
	s_delay_alu instid0(VALU_DEP_1)
	v_cmpx_eq_u32_e32 0, v4
; %bb.1198:                             ;   in Loop: Header=BB4_136 Depth=3
	v_clz_i32_u32_e32 v4, v5
	s_delay_alu instid0(VALU_DEP_1) | instskip(NEXT) | instid1(VALU_DEP_1)
	v_min_u32_e32 v4, 32, v4
	v_subrev_nc_u32_e32 v5, 29, v4
	v_sub_nc_u32_e32 v4, 30, v4
	s_delay_alu instid0(VALU_DEP_2) | instskip(NEXT) | instid1(VALU_DEP_1)
	v_lshlrev_b64_e32 v[16:17], v5, v[2:3]
	v_and_b32_e32 v5, 3, v16
; %bb.1199:                             ;   in Loop: Header=BB4_136 Depth=3
	s_or_b32 exec_lo, exec_lo, s76
	v_and_b32_e32 v2, 0x80000000, v8
	s_delay_alu instid0(VALU_DEP_1) | instskip(NEXT) | instid1(VALU_DEP_1)
	v_lshl_add_u32 v2, v4, 23, v2
	v_lshl_or_b32 v2, v5, 21, v2
                                        ; implicit-def: $vgpr5
	s_delay_alu instid0(VALU_DEP_1)
	v_add_nc_u32_e32 v4, 0x38000000, v2
.LBB4_1200:                             ;   in Loop: Header=BB4_136 Depth=3
	s_and_not1_saveexec_b32 s76, s13
; %bb.1201:                             ;   in Loop: Header=BB4_136 Depth=3
	v_cmp_lt_i32_e64 s13, -1, v8
	v_cmp_eq_u32_e32 vcc_lo, 0, v5
	s_delay_alu instid0(VALU_DEP_2) | instskip(NEXT) | instid1(VALU_DEP_1)
	v_cndmask_b32_e64 v2, 0xff800000, v48, s13
	v_cndmask_b32_e32 v4, 0x7f800001, v2, vcc_lo
; %bb.1202:                             ;   in Loop: Header=BB4_136 Depth=3
	s_or_b32 exec_lo, exec_lo, s76
.LBB4_1203:                             ;   in Loop: Header=BB4_136 Depth=3
	s_delay_alu instid0(SALU_CYCLE_1)
	s_or_b32 exec_lo, exec_lo, s75
.LBB4_1204:                             ;   in Loop: Header=BB4_136 Depth=3
	s_delay_alu instid0(SALU_CYCLE_1) | instskip(NEXT) | instid1(VALU_DEP_1)
	s_or_b32 exec_lo, exec_lo, s74
	v_dual_mul_f32 v16, s73, v4 :: v_dual_mov_b32 v19, v3
	v_mov_b32_e32 v5, v3
                                        ; implicit-def: $vgpr91
	s_mov_b32 s13, exec_lo
	s_delay_alu instid0(VALU_DEP_2) | instskip(SKIP_2) | instid1(VALU_DEP_3)
	v_and_b32_e32 v18, 0x7f800000, v16
	v_and_b32_e32 v4, 0x7fffff, v16
	v_lshrrev_b32_e32 v2, 24, v16
	v_cmpx_ne_u64_e32 0x7f800000, v[18:19]
	s_xor_b32 s74, exec_lo, s13
	s_cbranch_execz .LBB4_1218
; %bb.1205:                             ;   in Loop: Header=BB4_136 Depth=3
	v_and_b32_e32 v18, 0x7fffffff, v16
	v_mov_b32_e32 v19, v3
	v_and_b32_e32 v2, 0x80, v2
                                        ; implicit-def: $vgpr91
	s_mov_b32 s13, exec_lo
	s_delay_alu instid0(VALU_DEP_2)
	v_cmpx_gt_u64_e32 0x47600001, v[18:19]
	s_xor_b32 s75, exec_lo, s13
	s_cbranch_execz .LBB4_1215
; %bb.1206:                             ;   in Loop: Header=BB4_136 Depth=3
	v_mov_b32_e32 v91, 0
	s_mov_b32 s76, exec_lo
	v_cmpx_ne_u32_e32 0, v16
	s_cbranch_execz .LBB4_1214
; %bb.1207:                             ;   in Loop: Header=BB4_136 Depth=3
	v_bfe_u32 v18, v16, 23, 8
	v_or_b32_e32 v17, 0x800000, v4
	s_delay_alu instid0(VALU_DEP_2) | instskip(SKIP_2) | instid1(VALU_DEP_2)
	v_cmp_gt_u32_e64 s13, 0x72, v18
	v_sub_nc_u32_e32 v16, 0x71, v18
	v_cmp_eq_u32_e32 vcc_lo, 0, v18
	v_cndmask_b32_e64 v16, 0, v16, s13
	s_delay_alu instid0(VALU_DEP_1) | instskip(NEXT) | instid1(VALU_DEP_1)
	v_cndmask_b32_e64 v19, v16, 0x70, vcc_lo
	v_dual_cndmask_b32 v4, v17, v4, vcc_lo :: v_dual_add_nc_u32 v16, 21, v19
	v_add_nc_u32_e32 v21, 20, v19
	s_delay_alu instid0(VALU_DEP_2) | instskip(NEXT) | instid1(VALU_DEP_2)
	v_lshlrev_b64_e64 v[16:17], v16, -1
	v_lshlrev_b64_e64 v[86:87], v21, 1
	s_delay_alu instid0(VALU_DEP_2) | instskip(SKIP_1) | instid1(VALU_DEP_4)
	v_bfi_b32 v16, v16, 0, v4
	v_lshrrev_b64 v[4:5], v19, v[4:5]
	v_bfi_b32 v17, v17, 0, 0
	s_delay_alu instid0(VALU_DEP_1) | instskip(NEXT) | instid1(VALU_DEP_3)
	v_cmp_eq_u64_e64 s13, v[16:17], v[86:87]
	v_mov_b64_e32 v[16:17], v[4:5]
	s_and_saveexec_b32 s77, s13
; %bb.1208:                             ;   in Loop: Header=BB4_136 Depth=3
	v_bfe_u32 v16, v4, 21, 1
	v_mov_b32_e32 v17, v3
	s_delay_alu instid0(VALU_DEP_1) | instskip(NEXT) | instid1(VALU_DEP_1)
	v_add_nc_u64_e32 v[16:17], v[4:5], v[16:17]
	v_add_nc_u64_e32 v[16:17], -1, v[16:17]
; %bb.1209:                             ;   in Loop: Header=BB4_136 Depth=3
	s_or_b32 exec_lo, exec_lo, s77
	v_add_nc_u32_e32 v5, 0xffffff81, v18
	v_lshrrev_b32_e32 v17, 23, v4
	s_mov_b32 s13, exec_lo
	s_delay_alu instid0(VALU_DEP_2) | instskip(NEXT) | instid1(VALU_DEP_1)
	v_cndmask_b32_e64 v5, v5, 0xffffff82, vcc_lo
	v_add3_u32 v18, v19, v5, v17
	v_and_b32_e32 v5, 0x1fffff, v16
                                        ; implicit-def: $vgpr16
	s_delay_alu instid0(VALU_DEP_1) | instskip(SKIP_1) | instid1(VALU_DEP_2)
	v_dual_add_nc_u32 v17, 14, v18 :: v_dual_add_nc_u32 v4, v5, v4
	v_mov_b32_e32 v5, v3
	v_cmpx_ne_u32_e32 0, v17
	s_xor_b32 s13, exec_lo, s13
; %bb.1210:                             ;   in Loop: Header=BB4_136 Depth=3
	s_delay_alu instid0(VALU_DEP_2) | instskip(SKIP_1) | instid1(VALU_DEP_1)
	v_cmp_lt_u64_e32 vcc_lo, 0xffffff, v[4:5]
	v_add_nc_u32_e32 v16, 15, v18
	v_cndmask_b32_e32 v16, v17, v16, vcc_lo
	v_cndmask_b32_e64 v17, 0, 1, vcc_lo
	s_delay_alu instid0(VALU_DEP_1)
	v_lshrrev_b64 v[4:5], v17, v[4:5]
; %bb.1211:                             ;   in Loop: Header=BB4_136 Depth=3
	s_and_not1_saveexec_b32 s13, s13
; %bb.1212:                             ;   in Loop: Header=BB4_136 Depth=3
	s_delay_alu instid0(VALU_DEP_1)
	v_bfe_u32 v16, v4, 23, 1
; %bb.1213:                             ;   in Loop: Header=BB4_136 Depth=3
	s_or_b32 exec_lo, exec_lo, s13
	s_delay_alu instid0(VALU_DEP_2) | instskip(NEXT) | instid1(VALU_DEP_2)
	v_lshrrev_b64 v[4:5], 21, v[4:5]
	v_cmp_gt_i32_e32 vcc_lo, 32, v16
	v_min_i32_e32 v17, 31, v16
	v_cmp_eq_u32_e64 s13, 0, v16
	s_delay_alu instid0(VALU_DEP_4) | instskip(NEXT) | instid1(VALU_DEP_3)
	v_cndmask_b32_e32 v5, 0, v5, vcc_lo
	v_dual_cndmask_b32 v4, 3, v4 :: v_dual_lshlrev_b32 v17, 2, v17
	s_delay_alu instid0(VALU_DEP_1) | instskip(NEXT) | instid1(VALU_DEP_2)
	v_and_b32_e32 v17, 0xfc, v17
	v_cmp_eq_u64_e32 vcc_lo, 0, v[4:5]
	s_delay_alu instid0(VALU_DEP_2)
	v_and_or_b32 v4, v4, 3, v17
	s_and_b32 s13, s13, vcc_lo
	s_delay_alu instid0(VALU_DEP_1) | instid1(SALU_CYCLE_1)
	v_cndmask_b32_e64 v4, v4, 0, s13
	s_delay_alu instid0(VALU_DEP_1)
	v_or_b32_e32 v91, v4, v2
.LBB4_1214:                             ;   in Loop: Header=BB4_136 Depth=3
	s_or_b32 exec_lo, exec_lo, s76
                                        ; implicit-def: $vgpr2
.LBB4_1215:                             ;   in Loop: Header=BB4_136 Depth=3
	s_and_not1_saveexec_b32 s13, s75
; %bb.1216:                             ;   in Loop: Header=BB4_136 Depth=3
	v_or_b32_e32 v91, 0x7b, v2
; %bb.1217:                             ;   in Loop: Header=BB4_136 Depth=3
	s_or_b32 exec_lo, exec_lo, s13
                                        ; implicit-def: $vgpr16
                                        ; implicit-def: $vgpr4_vgpr5
                                        ; implicit-def: $vgpr2
.LBB4_1218:                             ;   in Loop: Header=BB4_136 Depth=3
	s_and_not1_saveexec_b32 s13, s74
	s_cbranch_execz .LBB4_1224
; %bb.1219:                             ;   in Loop: Header=BB4_136 Depth=3
	s_mov_b32 s74, exec_lo
                                        ; implicit-def: $vgpr91
	v_cmpx_ne_u64_e32 0, v[4:5]
	s_xor_b32 s74, exec_lo, s74
; %bb.1220:                             ;   in Loop: Header=BB4_136 Depth=3
	v_or_b32_e32 v91, 0x7f, v2
                                        ; implicit-def: $vgpr16
; %bb.1221:                             ;   in Loop: Header=BB4_136 Depth=3
	s_and_not1_saveexec_b32 s74, s74
; %bb.1222:                             ;   in Loop: Header=BB4_136 Depth=3
	v_cmp_lt_i32_e32 vcc_lo, -1, v16
	v_cndmask_b32_e32 v91, 0xfc, v49, vcc_lo
; %bb.1223:                             ;   in Loop: Header=BB4_136 Depth=3
	s_or_b32 exec_lo, exec_lo, s74
.LBB4_1224:                             ;   in Loop: Header=BB4_136 Depth=3
	s_delay_alu instid0(SALU_CYCLE_1) | instskip(SKIP_4) | instid1(VALU_DEP_3)
	s_or_b32 exec_lo, exec_lo, s13
	v_and_b32_e32 v16, 0xff, v9
	v_dual_mov_b32 v4, v9 :: v_dual_mov_b32 v5, v3
	v_mov_b32_e32 v2, 0
	s_mov_b32 s74, exec_lo
	v_cmpx_ne_u16_e32 0, v16
	s_cbranch_execz .LBB4_1234
; %bb.1225:                             ;   in Loop: Header=BB4_136 Depth=3
	v_bfrev_b32_e32 v2, 1
	s_mov_b32 s75, exec_lo
	v_cmpx_ne_u16_e32 0x80, v16
	s_cbranch_execz .LBB4_1233
; %bb.1226:                             ;   in Loop: Header=BB4_136 Depth=3
	v_and_b32_e32 v2, 0x7c, v9
	v_and_b32_e32 v16, 3, v9
	s_delay_alu instid0(VALU_DEP_2) | instskip(SKIP_1) | instid1(SALU_CYCLE_1)
	v_cmp_ne_u32_e32 vcc_lo, 0x7c, v2
                                        ; implicit-def: $vgpr2
	s_and_saveexec_b32 s13, vcc_lo
	s_xor_b32 s13, exec_lo, s13
	s_cbranch_execz .LBB4_1230
; %bb.1227:                             ;   in Loop: Header=BB4_136 Depth=3
	v_bfe_u32 v2, v9, 2, 5
	s_mov_b32 s76, exec_lo
	s_delay_alu instid0(VALU_DEP_1)
	v_cmpx_eq_u32_e32 0, v2
; %bb.1228:                             ;   in Loop: Header=BB4_136 Depth=3
	v_clz_i32_u32_e32 v2, v16
	s_delay_alu instid0(VALU_DEP_1) | instskip(NEXT) | instid1(VALU_DEP_1)
	v_min_u32_e32 v2, 32, v2
	v_subrev_nc_u32_e32 v16, 29, v2
	s_delay_alu instid0(VALU_DEP_1) | instskip(NEXT) | instid1(VALU_DEP_1)
	v_lshlrev_b64_e32 v[16:17], v16, v[4:5]
	v_dual_sub_nc_u32 v2, 30, v2 :: v_dual_bitop2_b32 v16, 3, v16 bitop3:0x40
; %bb.1229:                             ;   in Loop: Header=BB4_136 Depth=3
	s_or_b32 exec_lo, exec_lo, s76
	v_lshlrev_b32_e32 v5, 24, v9
	s_delay_alu instid0(VALU_DEP_1) | instskip(NEXT) | instid1(VALU_DEP_1)
	v_and_b32_e32 v5, 0x80000000, v5
	v_lshl_add_u32 v2, v2, 23, v5
	s_delay_alu instid0(VALU_DEP_1) | instskip(NEXT) | instid1(VALU_DEP_1)
	v_lshl_or_b32 v2, v16, 21, v2
                                        ; implicit-def: $vgpr16
	v_add_nc_u32_e32 v2, 0x38000000, v2
.LBB4_1230:                             ;   in Loop: Header=BB4_136 Depth=3
	s_and_not1_saveexec_b32 s76, s13
; %bb.1231:                             ;   in Loop: Header=BB4_136 Depth=3
	v_bfe_i32 v2, v9, 0, 8
	v_cmp_eq_u32_e32 vcc_lo, 0, v16
	s_delay_alu instid0(VALU_DEP_2) | instskip(NEXT) | instid1(VALU_DEP_1)
	v_cmp_lt_i16_e64 s13, -1, v2
	v_cndmask_b32_e64 v2, 0xff800000, v48, s13
	s_delay_alu instid0(VALU_DEP_1)
	v_cndmask_b32_e32 v2, 0x7f800001, v2, vcc_lo
; %bb.1232:                             ;   in Loop: Header=BB4_136 Depth=3
	s_or_b32 exec_lo, exec_lo, s76
.LBB4_1233:                             ;   in Loop: Header=BB4_136 Depth=3
	s_delay_alu instid0(SALU_CYCLE_1)
	s_or_b32 exec_lo, exec_lo, s75
.LBB4_1234:                             ;   in Loop: Header=BB4_136 Depth=3
	s_delay_alu instid0(SALU_CYCLE_1) | instskip(NEXT) | instid1(VALU_DEP_1)
	s_or_b32 exec_lo, exec_lo, s74
	v_dual_mul_f32 v5, s73, v2 :: v_dual_mov_b32 v19, v3
	v_mov_b32_e32 v17, v3
                                        ; implicit-def: $vgpr92
	s_mov_b32 s13, exec_lo
	s_delay_alu instid0(VALU_DEP_2) | instskip(SKIP_2) | instid1(VALU_DEP_3)
	v_and_b32_e32 v18, 0x7f800000, v5
	v_and_b32_e32 v16, 0x7fffff, v5
	v_lshrrev_b32_e32 v2, 24, v5
	v_cmpx_ne_u64_e32 0x7f800000, v[18:19]
	s_xor_b32 s74, exec_lo, s13
	s_cbranch_execz .LBB4_1248
; %bb.1235:                             ;   in Loop: Header=BB4_136 Depth=3
	v_and_b32_e32 v18, 0x7fffffff, v5
	v_mov_b32_e32 v19, v3
	v_and_b32_e32 v2, 0x80, v2
                                        ; implicit-def: $vgpr92
	s_mov_b32 s13, exec_lo
	s_delay_alu instid0(VALU_DEP_2)
	v_cmpx_gt_u64_e32 0x47600001, v[18:19]
	s_xor_b32 s75, exec_lo, s13
	s_cbranch_execz .LBB4_1245
; %bb.1236:                             ;   in Loop: Header=BB4_136 Depth=3
	v_mov_b32_e32 v92, 0
	s_mov_b32 s76, exec_lo
	v_cmpx_ne_u32_e32 0, v5
	s_cbranch_execz .LBB4_1244
; %bb.1237:                             ;   in Loop: Header=BB4_136 Depth=3
	v_bfe_u32 v5, v5, 23, 8
	v_or_b32_e32 v19, 0x800000, v16
	s_delay_alu instid0(VALU_DEP_2) | instskip(SKIP_2) | instid1(VALU_DEP_2)
	v_cmp_gt_u32_e64 s13, 0x72, v5
	v_sub_nc_u32_e32 v18, 0x71, v5
	v_cmp_eq_u32_e32 vcc_lo, 0, v5
	v_dual_cndmask_b32 v18, 0, v18, s13 :: v_dual_cndmask_b32 v16, v19, v16, vcc_lo
	s_delay_alu instid0(VALU_DEP_1) | instskip(NEXT) | instid1(VALU_DEP_1)
	v_cndmask_b32_e64 v21, v18, 0x70, vcc_lo
	v_dual_add_nc_u32 v18, 21, v21 :: v_dual_add_nc_u32 v86, 20, v21
	s_delay_alu instid0(VALU_DEP_1) | instskip(NEXT) | instid1(VALU_DEP_2)
	v_lshlrev_b64_e64 v[18:19], v18, -1
	v_lshlrev_b64_e64 v[86:87], v86, 1
	s_delay_alu instid0(VALU_DEP_2) | instskip(SKIP_1) | instid1(VALU_DEP_4)
	v_bfi_b32 v18, v18, 0, v16
	v_lshrrev_b64 v[16:17], v21, v[16:17]
	v_bfi_b32 v19, v19, 0, 0
	s_delay_alu instid0(VALU_DEP_1) | instskip(NEXT) | instid1(VALU_DEP_3)
	v_cmp_eq_u64_e64 s13, v[18:19], v[86:87]
	v_mov_b64_e32 v[18:19], v[16:17]
	s_and_saveexec_b32 s77, s13
; %bb.1238:                             ;   in Loop: Header=BB4_136 Depth=3
	v_bfe_u32 v18, v16, 21, 1
	v_mov_b32_e32 v19, v3
	s_delay_alu instid0(VALU_DEP_1) | instskip(NEXT) | instid1(VALU_DEP_1)
	v_add_nc_u64_e32 v[18:19], v[16:17], v[18:19]
	v_add_nc_u64_e32 v[18:19], -1, v[18:19]
; %bb.1239:                             ;   in Loop: Header=BB4_136 Depth=3
	s_or_b32 exec_lo, exec_lo, s77
	v_add_nc_u32_e32 v5, 0xffffff81, v5
	v_lshrrev_b32_e32 v17, 23, v16
	s_mov_b32 s13, exec_lo
	s_delay_alu instid0(VALU_DEP_2) | instskip(NEXT) | instid1(VALU_DEP_1)
	v_cndmask_b32_e64 v5, v5, 0xffffff82, vcc_lo
	v_add3_u32 v19, v21, v5, v17
	v_and_b32_e32 v5, 0x1fffff, v18
	s_delay_alu instid0(VALU_DEP_2) | instskip(NEXT) | instid1(VALU_DEP_2)
	v_dual_mov_b32 v17, v3 :: v_dual_add_nc_u32 v18, 14, v19
	v_add_nc_u32_e32 v16, v5, v16
                                        ; implicit-def: $vgpr5
	s_delay_alu instid0(VALU_DEP_2)
	v_cmpx_ne_u32_e32 0, v18
	s_xor_b32 s13, exec_lo, s13
; %bb.1240:                             ;   in Loop: Header=BB4_136 Depth=3
	s_delay_alu instid0(VALU_DEP_2) | instskip(SKIP_1) | instid1(VALU_DEP_1)
	v_cmp_lt_u64_e32 vcc_lo, 0xffffff, v[16:17]
	v_add_nc_u32_e32 v5, 15, v19
	v_cndmask_b32_e32 v5, v18, v5, vcc_lo
	v_cndmask_b32_e64 v18, 0, 1, vcc_lo
	s_delay_alu instid0(VALU_DEP_1)
	v_lshrrev_b64 v[16:17], v18, v[16:17]
; %bb.1241:                             ;   in Loop: Header=BB4_136 Depth=3
	s_and_not1_saveexec_b32 s13, s13
; %bb.1242:                             ;   in Loop: Header=BB4_136 Depth=3
	s_delay_alu instid0(VALU_DEP_1)
	v_bfe_u32 v5, v16, 23, 1
; %bb.1243:                             ;   in Loop: Header=BB4_136 Depth=3
	s_or_b32 exec_lo, exec_lo, s13
	s_delay_alu instid0(VALU_DEP_2) | instskip(NEXT) | instid1(VALU_DEP_2)
	v_lshrrev_b64 v[16:17], 21, v[16:17]
	v_cmp_gt_i32_e32 vcc_lo, 32, v5
	v_min_i32_e32 v18, 31, v5
	v_cmp_eq_u32_e64 s13, 0, v5
	s_delay_alu instid0(VALU_DEP_2) | instskip(SKIP_1) | instid1(VALU_DEP_2)
	v_dual_cndmask_b32 v16, 3, v16, vcc_lo :: v_dual_lshlrev_b32 v18, 2, v18
	v_cndmask_b32_e32 v17, 0, v17, vcc_lo
	v_and_b32_e32 v18, 0xfc, v18
	s_delay_alu instid0(VALU_DEP_2) | instskip(NEXT) | instid1(VALU_DEP_2)
	v_cmp_eq_u64_e32 vcc_lo, 0, v[16:17]
	v_and_or_b32 v5, v16, 3, v18
	s_and_b32 s13, s13, vcc_lo
	s_delay_alu instid0(VALU_DEP_1) | instid1(SALU_CYCLE_1)
	v_cndmask_b32_e64 v5, v5, 0, s13
	s_delay_alu instid0(VALU_DEP_1)
	v_or_b32_e32 v92, v5, v2
.LBB4_1244:                             ;   in Loop: Header=BB4_136 Depth=3
	s_or_b32 exec_lo, exec_lo, s76
                                        ; implicit-def: $vgpr2
.LBB4_1245:                             ;   in Loop: Header=BB4_136 Depth=3
	s_and_not1_saveexec_b32 s13, s75
; %bb.1246:                             ;   in Loop: Header=BB4_136 Depth=3
	v_or_b32_e32 v92, 0x7b, v2
; %bb.1247:                             ;   in Loop: Header=BB4_136 Depth=3
	s_or_b32 exec_lo, exec_lo, s13
                                        ; implicit-def: $vgpr5
                                        ; implicit-def: $vgpr16_vgpr17
                                        ; implicit-def: $vgpr2
.LBB4_1248:                             ;   in Loop: Header=BB4_136 Depth=3
	s_and_not1_saveexec_b32 s13, s74
	s_cbranch_execz .LBB4_1254
; %bb.1249:                             ;   in Loop: Header=BB4_136 Depth=3
	s_mov_b32 s74, exec_lo
                                        ; implicit-def: $vgpr92
	v_cmpx_ne_u64_e32 0, v[16:17]
	s_xor_b32 s74, exec_lo, s74
; %bb.1250:                             ;   in Loop: Header=BB4_136 Depth=3
	v_or_b32_e32 v92, 0x7f, v2
                                        ; implicit-def: $vgpr5
; %bb.1251:                             ;   in Loop: Header=BB4_136 Depth=3
	s_and_not1_saveexec_b32 s74, s74
; %bb.1252:                             ;   in Loop: Header=BB4_136 Depth=3
	v_cmp_lt_i32_e32 vcc_lo, -1, v5
	v_cndmask_b32_e32 v92, 0xfc, v49, vcc_lo
; %bb.1253:                             ;   in Loop: Header=BB4_136 Depth=3
	s_or_b32 exec_lo, exec_lo, s74
.LBB4_1254:                             ;   in Loop: Header=BB4_136 Depth=3
	s_delay_alu instid0(SALU_CYCLE_1) | instskip(SKIP_3) | instid1(VALU_DEP_2)
	s_or_b32 exec_lo, exec_lo, s13
	v_lshrrev_b16 v16, 8, v4
	v_mov_b32_e32 v2, 0
	s_mov_b32 s74, exec_lo
	v_cmpx_ne_u16_e32 0, v16
	s_cbranch_execz .LBB4_1264
; %bb.1255:                             ;   in Loop: Header=BB4_136 Depth=3
	v_bfrev_b32_e32 v2, 1
	s_mov_b32 s75, exec_lo
	v_cmpx_ne_u16_e32 0x80, v16
	s_cbranch_execz .LBB4_1263
; %bb.1256:                             ;   in Loop: Header=BB4_136 Depth=3
	v_and_b32_e32 v5, 0xffff, v16
	s_delay_alu instid0(VALU_DEP_1) | instskip(SKIP_1) | instid1(VALU_DEP_2)
	v_and_b32_e32 v2, 0x7c, v5
	v_and_b32_e32 v17, 3, v5
	v_cmp_ne_u32_e32 vcc_lo, 0x7c, v2
                                        ; implicit-def: $vgpr2
	s_and_saveexec_b32 s13, vcc_lo
	s_delay_alu instid0(SALU_CYCLE_1)
	s_xor_b32 s13, exec_lo, s13
	s_cbranch_execz .LBB4_1260
; %bb.1257:                             ;   in Loop: Header=BB4_136 Depth=3
	v_bfe_u32 v2, v5, 2, 5
	s_mov_b32 s76, exec_lo
	s_delay_alu instid0(VALU_DEP_1)
	v_cmpx_eq_u32_e32 0, v2
	s_cbranch_execz .LBB4_1259
; %bb.1258:                             ;   in Loop: Header=BB4_136 Depth=3
	v_clz_i32_u32_e32 v2, v17
	s_delay_alu instid0(VALU_DEP_1) | instskip(SKIP_1) | instid1(VALU_DEP_2)
	v_min_u32_e32 v2, 32, v2
	v_mov_b32_e32 v17, v3
	v_subrev_nc_u32_e32 v5, 29, v2
	v_sub_nc_u32_e32 v2, 30, v2
	s_delay_alu instid0(VALU_DEP_2) | instskip(NEXT) | instid1(VALU_DEP_1)
	v_lshlrev_b64_e32 v[16:17], v5, v[16:17]
	v_and_b32_e32 v17, 3, v16
.LBB4_1259:                             ;   in Loop: Header=BB4_136 Depth=3
	s_or_b32 exec_lo, exec_lo, s76
	v_lshlrev_b32_e32 v4, 16, v4
	s_delay_alu instid0(VALU_DEP_1) | instskip(NEXT) | instid1(VALU_DEP_1)
	v_and_b32_e32 v4, 0x80000000, v4
	v_lshl_add_u32 v2, v2, 23, v4
                                        ; implicit-def: $vgpr4_vgpr5
	s_delay_alu instid0(VALU_DEP_1) | instskip(NEXT) | instid1(VALU_DEP_1)
	v_lshl_or_b32 v2, v17, 21, v2
                                        ; implicit-def: $vgpr17
	v_add_nc_u32_e32 v2, 0x38000000, v2
.LBB4_1260:                             ;   in Loop: Header=BB4_136 Depth=3
	s_and_not1_saveexec_b32 s76, s13
; %bb.1261:                             ;   in Loop: Header=BB4_136 Depth=3
	v_cmp_lt_i16_e64 s13, -1, v4
	v_cmp_eq_u32_e32 vcc_lo, 0, v17
	s_delay_alu instid0(VALU_DEP_2) | instskip(NEXT) | instid1(VALU_DEP_1)
	v_cndmask_b32_e64 v2, 0xff800000, v48, s13
	v_cndmask_b32_e32 v2, 0x7f800001, v2, vcc_lo
; %bb.1262:                             ;   in Loop: Header=BB4_136 Depth=3
	s_or_b32 exec_lo, exec_lo, s76
.LBB4_1263:                             ;   in Loop: Header=BB4_136 Depth=3
	s_delay_alu instid0(SALU_CYCLE_1)
	s_or_b32 exec_lo, exec_lo, s75
.LBB4_1264:                             ;   in Loop: Header=BB4_136 Depth=3
	s_delay_alu instid0(SALU_CYCLE_1) | instskip(NEXT) | instid1(VALU_DEP_1)
	s_or_b32 exec_lo, exec_lo, s74
	v_dual_mul_f32 v16, s73, v2 :: v_dual_mov_b32 v19, v3
	v_mov_b32_e32 v5, v3
                                        ; implicit-def: $vgpr93
	s_mov_b32 s13, exec_lo
	s_delay_alu instid0(VALU_DEP_2) | instskip(SKIP_2) | instid1(VALU_DEP_3)
	v_and_b32_e32 v18, 0x7f800000, v16
	v_and_b32_e32 v4, 0x7fffff, v16
	v_lshrrev_b32_e32 v2, 24, v16
	v_cmpx_ne_u64_e32 0x7f800000, v[18:19]
	s_xor_b32 s74, exec_lo, s13
	s_cbranch_execz .LBB4_1278
; %bb.1265:                             ;   in Loop: Header=BB4_136 Depth=3
	v_and_b32_e32 v18, 0x7fffffff, v16
	v_mov_b32_e32 v19, v3
	v_and_b32_e32 v2, 0x80, v2
                                        ; implicit-def: $vgpr93
	s_mov_b32 s13, exec_lo
	s_delay_alu instid0(VALU_DEP_2)
	v_cmpx_gt_u64_e32 0x47600001, v[18:19]
	s_xor_b32 s75, exec_lo, s13
	s_cbranch_execz .LBB4_1275
; %bb.1266:                             ;   in Loop: Header=BB4_136 Depth=3
	v_mov_b32_e32 v93, 0
	s_mov_b32 s76, exec_lo
	v_cmpx_ne_u32_e32 0, v16
	s_cbranch_execz .LBB4_1274
; %bb.1267:                             ;   in Loop: Header=BB4_136 Depth=3
	v_bfe_u32 v18, v16, 23, 8
	v_or_b32_e32 v17, 0x800000, v4
	s_delay_alu instid0(VALU_DEP_2) | instskip(SKIP_2) | instid1(VALU_DEP_2)
	v_cmp_gt_u32_e64 s13, 0x72, v18
	v_sub_nc_u32_e32 v16, 0x71, v18
	v_cmp_eq_u32_e32 vcc_lo, 0, v18
	v_cndmask_b32_e64 v16, 0, v16, s13
	s_delay_alu instid0(VALU_DEP_1) | instskip(NEXT) | instid1(VALU_DEP_1)
	v_cndmask_b32_e64 v19, v16, 0x70, vcc_lo
	v_dual_cndmask_b32 v4, v17, v4, vcc_lo :: v_dual_add_nc_u32 v16, 21, v19
	v_add_nc_u32_e32 v21, 20, v19
	s_delay_alu instid0(VALU_DEP_2) | instskip(NEXT) | instid1(VALU_DEP_2)
	v_lshlrev_b64_e64 v[16:17], v16, -1
	v_lshlrev_b64_e64 v[86:87], v21, 1
	s_delay_alu instid0(VALU_DEP_2) | instskip(SKIP_1) | instid1(VALU_DEP_4)
	v_bfi_b32 v16, v16, 0, v4
	v_lshrrev_b64 v[4:5], v19, v[4:5]
	v_bfi_b32 v17, v17, 0, 0
	s_delay_alu instid0(VALU_DEP_1) | instskip(NEXT) | instid1(VALU_DEP_3)
	v_cmp_eq_u64_e64 s13, v[16:17], v[86:87]
	v_mov_b64_e32 v[16:17], v[4:5]
	s_and_saveexec_b32 s77, s13
; %bb.1268:                             ;   in Loop: Header=BB4_136 Depth=3
	v_bfe_u32 v16, v4, 21, 1
	v_mov_b32_e32 v17, v3
	s_delay_alu instid0(VALU_DEP_1) | instskip(NEXT) | instid1(VALU_DEP_1)
	v_add_nc_u64_e32 v[16:17], v[4:5], v[16:17]
	v_add_nc_u64_e32 v[16:17], -1, v[16:17]
; %bb.1269:                             ;   in Loop: Header=BB4_136 Depth=3
	s_or_b32 exec_lo, exec_lo, s77
	v_add_nc_u32_e32 v5, 0xffffff81, v18
	v_lshrrev_b32_e32 v17, 23, v4
	s_mov_b32 s13, exec_lo
	s_delay_alu instid0(VALU_DEP_2) | instskip(NEXT) | instid1(VALU_DEP_1)
	v_cndmask_b32_e64 v5, v5, 0xffffff82, vcc_lo
	v_add3_u32 v18, v19, v5, v17
	v_and_b32_e32 v5, 0x1fffff, v16
                                        ; implicit-def: $vgpr16
	s_delay_alu instid0(VALU_DEP_1) | instskip(SKIP_1) | instid1(VALU_DEP_2)
	v_dual_add_nc_u32 v17, 14, v18 :: v_dual_add_nc_u32 v4, v5, v4
	v_mov_b32_e32 v5, v3
	v_cmpx_ne_u32_e32 0, v17
	s_xor_b32 s13, exec_lo, s13
; %bb.1270:                             ;   in Loop: Header=BB4_136 Depth=3
	s_delay_alu instid0(VALU_DEP_2) | instskip(SKIP_1) | instid1(VALU_DEP_1)
	v_cmp_lt_u64_e32 vcc_lo, 0xffffff, v[4:5]
	v_add_nc_u32_e32 v16, 15, v18
	v_cndmask_b32_e32 v16, v17, v16, vcc_lo
	v_cndmask_b32_e64 v17, 0, 1, vcc_lo
	s_delay_alu instid0(VALU_DEP_1)
	v_lshrrev_b64 v[4:5], v17, v[4:5]
; %bb.1271:                             ;   in Loop: Header=BB4_136 Depth=3
	s_and_not1_saveexec_b32 s13, s13
; %bb.1272:                             ;   in Loop: Header=BB4_136 Depth=3
	s_delay_alu instid0(VALU_DEP_1)
	v_bfe_u32 v16, v4, 23, 1
; %bb.1273:                             ;   in Loop: Header=BB4_136 Depth=3
	s_or_b32 exec_lo, exec_lo, s13
	s_delay_alu instid0(VALU_DEP_2) | instskip(NEXT) | instid1(VALU_DEP_2)
	v_lshrrev_b64 v[4:5], 21, v[4:5]
	v_cmp_gt_i32_e32 vcc_lo, 32, v16
	v_min_i32_e32 v17, 31, v16
	v_cmp_eq_u32_e64 s13, 0, v16
	s_delay_alu instid0(VALU_DEP_4) | instskip(NEXT) | instid1(VALU_DEP_3)
	v_cndmask_b32_e32 v5, 0, v5, vcc_lo
	v_dual_cndmask_b32 v4, 3, v4 :: v_dual_lshlrev_b32 v17, 2, v17
	s_delay_alu instid0(VALU_DEP_1) | instskip(NEXT) | instid1(VALU_DEP_2)
	v_and_b32_e32 v17, 0xfc, v17
	v_cmp_eq_u64_e32 vcc_lo, 0, v[4:5]
	s_delay_alu instid0(VALU_DEP_2)
	v_and_or_b32 v4, v4, 3, v17
	s_and_b32 s13, s13, vcc_lo
	s_delay_alu instid0(VALU_DEP_1) | instid1(SALU_CYCLE_1)
	v_cndmask_b32_e64 v4, v4, 0, s13
	s_delay_alu instid0(VALU_DEP_1)
	v_or_b32_e32 v93, v4, v2
.LBB4_1274:                             ;   in Loop: Header=BB4_136 Depth=3
	s_or_b32 exec_lo, exec_lo, s76
                                        ; implicit-def: $vgpr2
.LBB4_1275:                             ;   in Loop: Header=BB4_136 Depth=3
	s_and_not1_saveexec_b32 s13, s75
; %bb.1276:                             ;   in Loop: Header=BB4_136 Depth=3
	v_or_b32_e32 v93, 0x7b, v2
; %bb.1277:                             ;   in Loop: Header=BB4_136 Depth=3
	s_or_b32 exec_lo, exec_lo, s13
                                        ; implicit-def: $vgpr16
                                        ; implicit-def: $vgpr4_vgpr5
                                        ; implicit-def: $vgpr2
.LBB4_1278:                             ;   in Loop: Header=BB4_136 Depth=3
	s_and_not1_saveexec_b32 s13, s74
	s_cbranch_execz .LBB4_1284
; %bb.1279:                             ;   in Loop: Header=BB4_136 Depth=3
	s_mov_b32 s74, exec_lo
                                        ; implicit-def: $vgpr93
	v_cmpx_ne_u64_e32 0, v[4:5]
	s_xor_b32 s74, exec_lo, s74
; %bb.1280:                             ;   in Loop: Header=BB4_136 Depth=3
	v_or_b32_e32 v93, 0x7f, v2
                                        ; implicit-def: $vgpr16
; %bb.1281:                             ;   in Loop: Header=BB4_136 Depth=3
	s_and_not1_saveexec_b32 s74, s74
; %bb.1282:                             ;   in Loop: Header=BB4_136 Depth=3
	v_cmp_lt_i32_e32 vcc_lo, -1, v16
	v_cndmask_b32_e32 v93, 0xfc, v49, vcc_lo
; %bb.1283:                             ;   in Loop: Header=BB4_136 Depth=3
	s_or_b32 exec_lo, exec_lo, s74
.LBB4_1284:                             ;   in Loop: Header=BB4_136 Depth=3
	s_delay_alu instid0(SALU_CYCLE_1) | instskip(SKIP_2) | instid1(VALU_DEP_1)
	s_or_b32 exec_lo, exec_lo, s13
	v_dual_lshrrev_b32 v2, 16, v9 :: v_dual_mov_b32 v4, 0
	s_mov_b32 s74, exec_lo
	v_and_b32_e32 v5, 0xff, v2
	s_delay_alu instid0(VALU_DEP_1)
	v_cmpx_ne_u16_e32 0, v5
	s_cbranch_execz .LBB4_1294
; %bb.1285:                             ;   in Loop: Header=BB4_136 Depth=3
	v_bfrev_b32_e32 v4, 1
	s_mov_b32 s75, exec_lo
	v_cmpx_ne_u16_e32 0x80, v5
	s_cbranch_execz .LBB4_1293
; %bb.1286:                             ;   in Loop: Header=BB4_136 Depth=3
	v_and_b32_e32 v4, 0x7c0000, v9
	v_bfe_u32 v5, v9, 16, 2
	s_delay_alu instid0(VALU_DEP_2) | instskip(SKIP_1) | instid1(SALU_CYCLE_1)
	v_cmp_ne_u32_e32 vcc_lo, 0x7c0000, v4
                                        ; implicit-def: $vgpr4
	s_and_saveexec_b32 s13, vcc_lo
	s_xor_b32 s13, exec_lo, s13
	s_cbranch_execz .LBB4_1290
; %bb.1287:                             ;   in Loop: Header=BB4_136 Depth=3
	v_bfe_u32 v4, v9, 18, 5
	s_mov_b32 s76, exec_lo
	s_delay_alu instid0(VALU_DEP_1)
	v_cmpx_eq_u32_e32 0, v4
; %bb.1288:                             ;   in Loop: Header=BB4_136 Depth=3
	v_clz_i32_u32_e32 v4, v5
	s_delay_alu instid0(VALU_DEP_1) | instskip(NEXT) | instid1(VALU_DEP_1)
	v_min_u32_e32 v4, 32, v4
	v_subrev_nc_u32_e32 v5, 29, v4
	v_sub_nc_u32_e32 v4, 30, v4
	s_delay_alu instid0(VALU_DEP_2) | instskip(NEXT) | instid1(VALU_DEP_1)
	v_lshlrev_b64_e32 v[16:17], v5, v[2:3]
	v_and_b32_e32 v5, 3, v16
; %bb.1289:                             ;   in Loop: Header=BB4_136 Depth=3
	s_or_b32 exec_lo, exec_lo, s76
	v_lshlrev_b32_e32 v2, 24, v2
	s_delay_alu instid0(VALU_DEP_1) | instskip(NEXT) | instid1(VALU_DEP_1)
	v_and_b32_e32 v2, 0x80000000, v2
	v_lshl_add_u32 v2, v4, 23, v2
	s_delay_alu instid0(VALU_DEP_1) | instskip(NEXT) | instid1(VALU_DEP_1)
	v_lshl_or_b32 v2, v5, 21, v2
                                        ; implicit-def: $vgpr5
	v_add_nc_u32_e32 v4, 0x38000000, v2
                                        ; implicit-def: $vgpr2
.LBB4_1290:                             ;   in Loop: Header=BB4_136 Depth=3
	s_and_not1_saveexec_b32 s76, s13
; %bb.1291:                             ;   in Loop: Header=BB4_136 Depth=3
	v_bfe_i32 v2, v2, 0, 8
	v_cmp_eq_u32_e32 vcc_lo, 0, v5
	s_delay_alu instid0(VALU_DEP_2) | instskip(NEXT) | instid1(VALU_DEP_1)
	v_cmp_lt_i16_e64 s13, -1, v2
	v_cndmask_b32_e64 v2, 0xff800000, v48, s13
	s_delay_alu instid0(VALU_DEP_1)
	v_cndmask_b32_e32 v4, 0x7f800001, v2, vcc_lo
; %bb.1292:                             ;   in Loop: Header=BB4_136 Depth=3
	s_or_b32 exec_lo, exec_lo, s76
.LBB4_1293:                             ;   in Loop: Header=BB4_136 Depth=3
	s_delay_alu instid0(SALU_CYCLE_1)
	s_or_b32 exec_lo, exec_lo, s75
.LBB4_1294:                             ;   in Loop: Header=BB4_136 Depth=3
	s_delay_alu instid0(SALU_CYCLE_1) | instskip(NEXT) | instid1(VALU_DEP_1)
	s_or_b32 exec_lo, exec_lo, s74
	v_dual_mul_f32 v16, s73, v4 :: v_dual_mov_b32 v19, v3
	v_mov_b32_e32 v5, v3
                                        ; implicit-def: $vgpr94
	s_mov_b32 s13, exec_lo
	s_delay_alu instid0(VALU_DEP_2) | instskip(SKIP_2) | instid1(VALU_DEP_3)
	v_and_b32_e32 v18, 0x7f800000, v16
	v_and_b32_e32 v4, 0x7fffff, v16
	v_lshrrev_b32_e32 v2, 24, v16
	v_cmpx_ne_u64_e32 0x7f800000, v[18:19]
	s_xor_b32 s74, exec_lo, s13
	s_cbranch_execz .LBB4_1308
; %bb.1295:                             ;   in Loop: Header=BB4_136 Depth=3
	v_and_b32_e32 v18, 0x7fffffff, v16
	v_mov_b32_e32 v19, v3
	v_and_b32_e32 v2, 0x80, v2
                                        ; implicit-def: $vgpr94
	s_mov_b32 s13, exec_lo
	s_delay_alu instid0(VALU_DEP_2)
	v_cmpx_gt_u64_e32 0x47600001, v[18:19]
	s_xor_b32 s75, exec_lo, s13
	s_cbranch_execz .LBB4_1305
; %bb.1296:                             ;   in Loop: Header=BB4_136 Depth=3
	v_mov_b32_e32 v94, 0
	s_mov_b32 s76, exec_lo
	v_cmpx_ne_u32_e32 0, v16
	s_cbranch_execz .LBB4_1304
; %bb.1297:                             ;   in Loop: Header=BB4_136 Depth=3
	v_bfe_u32 v18, v16, 23, 8
	v_or_b32_e32 v17, 0x800000, v4
	s_delay_alu instid0(VALU_DEP_2) | instskip(SKIP_2) | instid1(VALU_DEP_2)
	v_cmp_gt_u32_e64 s13, 0x72, v18
	v_sub_nc_u32_e32 v16, 0x71, v18
	v_cmp_eq_u32_e32 vcc_lo, 0, v18
	v_cndmask_b32_e64 v16, 0, v16, s13
	s_delay_alu instid0(VALU_DEP_1) | instskip(NEXT) | instid1(VALU_DEP_1)
	v_cndmask_b32_e64 v19, v16, 0x70, vcc_lo
	v_dual_cndmask_b32 v4, v17, v4, vcc_lo :: v_dual_add_nc_u32 v16, 21, v19
	v_add_nc_u32_e32 v21, 20, v19
	s_delay_alu instid0(VALU_DEP_2) | instskip(NEXT) | instid1(VALU_DEP_2)
	v_lshlrev_b64_e64 v[16:17], v16, -1
	v_lshlrev_b64_e64 v[86:87], v21, 1
	s_delay_alu instid0(VALU_DEP_2) | instskip(SKIP_1) | instid1(VALU_DEP_4)
	v_bfi_b32 v16, v16, 0, v4
	v_lshrrev_b64 v[4:5], v19, v[4:5]
	v_bfi_b32 v17, v17, 0, 0
	s_delay_alu instid0(VALU_DEP_1) | instskip(NEXT) | instid1(VALU_DEP_3)
	v_cmp_eq_u64_e64 s13, v[16:17], v[86:87]
	v_mov_b64_e32 v[16:17], v[4:5]
	s_and_saveexec_b32 s77, s13
; %bb.1298:                             ;   in Loop: Header=BB4_136 Depth=3
	v_bfe_u32 v16, v4, 21, 1
	v_mov_b32_e32 v17, v3
	s_delay_alu instid0(VALU_DEP_1) | instskip(NEXT) | instid1(VALU_DEP_1)
	v_add_nc_u64_e32 v[16:17], v[4:5], v[16:17]
	v_add_nc_u64_e32 v[16:17], -1, v[16:17]
; %bb.1299:                             ;   in Loop: Header=BB4_136 Depth=3
	s_or_b32 exec_lo, exec_lo, s77
	v_add_nc_u32_e32 v5, 0xffffff81, v18
	v_lshrrev_b32_e32 v17, 23, v4
	s_mov_b32 s13, exec_lo
	s_delay_alu instid0(VALU_DEP_2) | instskip(NEXT) | instid1(VALU_DEP_1)
	v_cndmask_b32_e64 v5, v5, 0xffffff82, vcc_lo
	v_add3_u32 v18, v19, v5, v17
	v_and_b32_e32 v5, 0x1fffff, v16
                                        ; implicit-def: $vgpr16
	s_delay_alu instid0(VALU_DEP_1) | instskip(SKIP_1) | instid1(VALU_DEP_2)
	v_dual_add_nc_u32 v17, 14, v18 :: v_dual_add_nc_u32 v4, v5, v4
	v_mov_b32_e32 v5, v3
	v_cmpx_ne_u32_e32 0, v17
	s_xor_b32 s13, exec_lo, s13
; %bb.1300:                             ;   in Loop: Header=BB4_136 Depth=3
	s_delay_alu instid0(VALU_DEP_2) | instskip(SKIP_1) | instid1(VALU_DEP_1)
	v_cmp_lt_u64_e32 vcc_lo, 0xffffff, v[4:5]
	v_add_nc_u32_e32 v16, 15, v18
	v_cndmask_b32_e32 v16, v17, v16, vcc_lo
	v_cndmask_b32_e64 v17, 0, 1, vcc_lo
	s_delay_alu instid0(VALU_DEP_1)
	v_lshrrev_b64 v[4:5], v17, v[4:5]
; %bb.1301:                             ;   in Loop: Header=BB4_136 Depth=3
	s_and_not1_saveexec_b32 s13, s13
; %bb.1302:                             ;   in Loop: Header=BB4_136 Depth=3
	s_delay_alu instid0(VALU_DEP_1)
	v_bfe_u32 v16, v4, 23, 1
; %bb.1303:                             ;   in Loop: Header=BB4_136 Depth=3
	s_or_b32 exec_lo, exec_lo, s13
	s_delay_alu instid0(VALU_DEP_2) | instskip(NEXT) | instid1(VALU_DEP_2)
	v_lshrrev_b64 v[4:5], 21, v[4:5]
	v_cmp_gt_i32_e32 vcc_lo, 32, v16
	v_min_i32_e32 v17, 31, v16
	v_cmp_eq_u32_e64 s13, 0, v16
	s_delay_alu instid0(VALU_DEP_4) | instskip(NEXT) | instid1(VALU_DEP_3)
	v_cndmask_b32_e32 v5, 0, v5, vcc_lo
	v_dual_cndmask_b32 v4, 3, v4 :: v_dual_lshlrev_b32 v17, 2, v17
	s_delay_alu instid0(VALU_DEP_1) | instskip(NEXT) | instid1(VALU_DEP_2)
	v_and_b32_e32 v17, 0xfc, v17
	v_cmp_eq_u64_e32 vcc_lo, 0, v[4:5]
	s_delay_alu instid0(VALU_DEP_2)
	v_and_or_b32 v4, v4, 3, v17
	s_and_b32 s13, s13, vcc_lo
	s_delay_alu instid0(VALU_DEP_1) | instid1(SALU_CYCLE_1)
	v_cndmask_b32_e64 v4, v4, 0, s13
	s_delay_alu instid0(VALU_DEP_1)
	v_or_b32_e32 v94, v4, v2
.LBB4_1304:                             ;   in Loop: Header=BB4_136 Depth=3
	s_or_b32 exec_lo, exec_lo, s76
                                        ; implicit-def: $vgpr2
.LBB4_1305:                             ;   in Loop: Header=BB4_136 Depth=3
	s_and_not1_saveexec_b32 s13, s75
; %bb.1306:                             ;   in Loop: Header=BB4_136 Depth=3
	v_or_b32_e32 v94, 0x7b, v2
; %bb.1307:                             ;   in Loop: Header=BB4_136 Depth=3
	s_or_b32 exec_lo, exec_lo, s13
                                        ; implicit-def: $vgpr16
                                        ; implicit-def: $vgpr4_vgpr5
                                        ; implicit-def: $vgpr2
.LBB4_1308:                             ;   in Loop: Header=BB4_136 Depth=3
	s_and_not1_saveexec_b32 s13, s74
	s_cbranch_execz .LBB4_1314
; %bb.1309:                             ;   in Loop: Header=BB4_136 Depth=3
	s_mov_b32 s74, exec_lo
                                        ; implicit-def: $vgpr94
	v_cmpx_ne_u64_e32 0, v[4:5]
	s_xor_b32 s74, exec_lo, s74
; %bb.1310:                             ;   in Loop: Header=BB4_136 Depth=3
	v_or_b32_e32 v94, 0x7f, v2
                                        ; implicit-def: $vgpr16
; %bb.1311:                             ;   in Loop: Header=BB4_136 Depth=3
	s_and_not1_saveexec_b32 s74, s74
; %bb.1312:                             ;   in Loop: Header=BB4_136 Depth=3
	v_cmp_lt_i32_e32 vcc_lo, -1, v16
	v_cndmask_b32_e32 v94, 0xfc, v49, vcc_lo
; %bb.1313:                             ;   in Loop: Header=BB4_136 Depth=3
	s_or_b32 exec_lo, exec_lo, s74
.LBB4_1314:                             ;   in Loop: Header=BB4_136 Depth=3
	s_delay_alu instid0(SALU_CYCLE_1)
	s_or_b32 exec_lo, exec_lo, s13
	v_mov_b32_e32 v4, 0
	s_mov_b32 s74, exec_lo
	v_cmpx_lt_u64_e64 s[22:23], v[8:9]
	s_cbranch_execz .LBB4_1324
; %bb.1315:                             ;   in Loop: Header=BB4_136 Depth=3
	v_lshrrev_b32_e32 v2, 24, v9
	v_bfrev_b32_e32 v4, 1
	s_mov_b32 s75, exec_lo
	s_delay_alu instid0(VALU_DEP_2)
	v_cmpx_ne_u32_e32 0x80, v2
	s_cbranch_execz .LBB4_1323
; %bb.1316:                             ;   in Loop: Header=BB4_136 Depth=3
	v_and_b32_e32 v4, 0x7c000000, v9
	v_bfe_u32 v5, v9, 24, 2
	s_delay_alu instid0(VALU_DEP_2) | instskip(SKIP_1) | instid1(SALU_CYCLE_1)
	v_cmp_ne_u32_e32 vcc_lo, 0x7c000000, v4
                                        ; implicit-def: $vgpr4
	s_and_saveexec_b32 s13, vcc_lo
	s_xor_b32 s13, exec_lo, s13
	s_cbranch_execz .LBB4_1320
; %bb.1317:                             ;   in Loop: Header=BB4_136 Depth=3
	v_bfe_u32 v4, v9, 26, 5
	s_mov_b32 s76, exec_lo
	s_delay_alu instid0(VALU_DEP_1)
	v_cmpx_eq_u32_e32 0, v4
; %bb.1318:                             ;   in Loop: Header=BB4_136 Depth=3
	v_clz_i32_u32_e32 v4, v5
	s_delay_alu instid0(VALU_DEP_1) | instskip(NEXT) | instid1(VALU_DEP_1)
	v_min_u32_e32 v4, 32, v4
	v_subrev_nc_u32_e32 v5, 29, v4
	v_sub_nc_u32_e32 v4, 30, v4
	s_delay_alu instid0(VALU_DEP_2) | instskip(NEXT) | instid1(VALU_DEP_1)
	v_lshlrev_b64_e32 v[16:17], v5, v[2:3]
	v_and_b32_e32 v5, 3, v16
; %bb.1319:                             ;   in Loop: Header=BB4_136 Depth=3
	s_or_b32 exec_lo, exec_lo, s76
	v_and_b32_e32 v2, 0x80000000, v9
	s_delay_alu instid0(VALU_DEP_1) | instskip(NEXT) | instid1(VALU_DEP_1)
	v_lshl_add_u32 v2, v4, 23, v2
	v_lshl_or_b32 v2, v5, 21, v2
                                        ; implicit-def: $vgpr5
	s_delay_alu instid0(VALU_DEP_1)
	v_add_nc_u32_e32 v4, 0x38000000, v2
.LBB4_1320:                             ;   in Loop: Header=BB4_136 Depth=3
	s_and_not1_saveexec_b32 s76, s13
; %bb.1321:                             ;   in Loop: Header=BB4_136 Depth=3
	v_cmp_lt_i64_e64 s13, -1, v[8:9]
	v_cmp_eq_u32_e32 vcc_lo, 0, v5
	s_delay_alu instid0(VALU_DEP_2) | instskip(NEXT) | instid1(VALU_DEP_1)
	v_cndmask_b32_e64 v2, 0xff800000, v48, s13
	v_cndmask_b32_e32 v4, 0x7f800001, v2, vcc_lo
; %bb.1322:                             ;   in Loop: Header=BB4_136 Depth=3
	s_or_b32 exec_lo, exec_lo, s76
.LBB4_1323:                             ;   in Loop: Header=BB4_136 Depth=3
	s_delay_alu instid0(SALU_CYCLE_1)
	s_or_b32 exec_lo, exec_lo, s75
.LBB4_1324:                             ;   in Loop: Header=BB4_136 Depth=3
	s_delay_alu instid0(SALU_CYCLE_1) | instskip(NEXT) | instid1(VALU_DEP_1)
	s_or_b32 exec_lo, exec_lo, s74
	v_dual_mul_f32 v8, s73, v4 :: v_dual_mov_b32 v17, v3
	v_mov_b32_e32 v5, v3
                                        ; implicit-def: $vgpr95
	s_mov_b32 s13, exec_lo
	s_delay_alu instid0(VALU_DEP_2) | instskip(SKIP_2) | instid1(VALU_DEP_3)
	v_and_b32_e32 v16, 0x7f800000, v8
	v_and_b32_e32 v4, 0x7fffff, v8
	v_lshrrev_b32_e32 v2, 24, v8
	v_cmpx_ne_u64_e32 0x7f800000, v[16:17]
	s_xor_b32 s74, exec_lo, s13
	s_cbranch_execz .LBB4_1338
; %bb.1325:                             ;   in Loop: Header=BB4_136 Depth=3
	v_and_b32_e32 v16, 0x7fffffff, v8
	v_mov_b32_e32 v17, v3
	v_and_b32_e32 v2, 0x80, v2
                                        ; implicit-def: $vgpr95
	s_mov_b32 s13, exec_lo
	s_delay_alu instid0(VALU_DEP_2)
	v_cmpx_gt_u64_e32 0x47600001, v[16:17]
	s_xor_b32 s75, exec_lo, s13
	s_cbranch_execz .LBB4_1335
; %bb.1326:                             ;   in Loop: Header=BB4_136 Depth=3
	v_mov_b32_e32 v95, 0
	s_mov_b32 s76, exec_lo
	v_cmpx_ne_u32_e32 0, v8
	s_cbranch_execz .LBB4_1334
; %bb.1327:                             ;   in Loop: Header=BB4_136 Depth=3
	v_bfe_u32 v16, v8, 23, 8
	v_or_b32_e32 v9, 0x800000, v4
	s_delay_alu instid0(VALU_DEP_2) | instskip(SKIP_2) | instid1(VALU_DEP_2)
	v_cmp_gt_u32_e64 s13, 0x72, v16
	v_sub_nc_u32_e32 v8, 0x71, v16
	v_cmp_eq_u32_e32 vcc_lo, 0, v16
	v_cndmask_b32_e64 v8, 0, v8, s13
	s_delay_alu instid0(VALU_DEP_1) | instskip(NEXT) | instid1(VALU_DEP_1)
	v_cndmask_b32_e64 v17, v8, 0x70, vcc_lo
	v_dual_cndmask_b32 v4, v9, v4, vcc_lo :: v_dual_add_nc_u32 v8, 21, v17
	v_add_nc_u32_e32 v18, 20, v17
	s_delay_alu instid0(VALU_DEP_2) | instskip(NEXT) | instid1(VALU_DEP_2)
	v_lshlrev_b64_e64 v[8:9], v8, -1
	v_lshlrev_b64_e64 v[18:19], v18, 1
	s_delay_alu instid0(VALU_DEP_2) | instskip(SKIP_1) | instid1(VALU_DEP_4)
	v_bfi_b32 v8, v8, 0, v4
	v_lshrrev_b64 v[4:5], v17, v[4:5]
	v_bfi_b32 v9, v9, 0, 0
	s_delay_alu instid0(VALU_DEP_1) | instskip(NEXT) | instid1(VALU_DEP_3)
	v_cmp_eq_u64_e64 s13, v[8:9], v[18:19]
	v_mov_b64_e32 v[8:9], v[4:5]
	s_and_saveexec_b32 s77, s13
; %bb.1328:                             ;   in Loop: Header=BB4_136 Depth=3
	v_bfe_u32 v8, v4, 21, 1
	v_mov_b32_e32 v9, v3
	s_delay_alu instid0(VALU_DEP_1) | instskip(NEXT) | instid1(VALU_DEP_1)
	v_add_nc_u64_e32 v[8:9], v[4:5], v[8:9]
	v_add_nc_u64_e32 v[8:9], -1, v[8:9]
; %bb.1329:                             ;   in Loop: Header=BB4_136 Depth=3
	s_or_b32 exec_lo, exec_lo, s77
	v_add_nc_u32_e32 v5, 0xffffff81, v16
	v_lshrrev_b32_e32 v9, 23, v4
	s_mov_b32 s13, exec_lo
	s_delay_alu instid0(VALU_DEP_2) | instskip(NEXT) | instid1(VALU_DEP_1)
	v_cndmask_b32_e64 v5, v5, 0xffffff82, vcc_lo
	v_add3_u32 v16, v17, v5, v9
	v_and_b32_e32 v5, 0x1fffff, v8
                                        ; implicit-def: $vgpr8
	s_delay_alu instid0(VALU_DEP_2) | instskip(NEXT) | instid1(VALU_DEP_2)
	v_add_nc_u32_e32 v9, 14, v16
	v_dual_mov_b32 v5, v3 :: v_dual_add_nc_u32 v4, v5, v4
	s_delay_alu instid0(VALU_DEP_2)
	v_cmpx_ne_u32_e32 0, v9
	s_xor_b32 s13, exec_lo, s13
; %bb.1330:                             ;   in Loop: Header=BB4_136 Depth=3
	s_delay_alu instid0(VALU_DEP_2) | instskip(SKIP_1) | instid1(VALU_DEP_1)
	v_cmp_lt_u64_e32 vcc_lo, 0xffffff, v[4:5]
	v_add_nc_u32_e32 v8, 15, v16
	v_cndmask_b32_e32 v8, v9, v8, vcc_lo
	v_cndmask_b32_e64 v9, 0, 1, vcc_lo
	s_delay_alu instid0(VALU_DEP_1)
	v_lshrrev_b64 v[4:5], v9, v[4:5]
; %bb.1331:                             ;   in Loop: Header=BB4_136 Depth=3
	s_and_not1_saveexec_b32 s13, s13
; %bb.1332:                             ;   in Loop: Header=BB4_136 Depth=3
	s_delay_alu instid0(VALU_DEP_1)
	v_bfe_u32 v8, v4, 23, 1
; %bb.1333:                             ;   in Loop: Header=BB4_136 Depth=3
	s_or_b32 exec_lo, exec_lo, s13
	s_delay_alu instid0(VALU_DEP_2) | instskip(NEXT) | instid1(VALU_DEP_2)
	v_lshrrev_b64 v[4:5], 21, v[4:5]
	v_cmp_gt_i32_e32 vcc_lo, 32, v8
	v_min_i32_e32 v9, 31, v8
	v_cmp_eq_u32_e64 s13, 0, v8
	s_delay_alu instid0(VALU_DEP_4) | instskip(NEXT) | instid1(VALU_DEP_3)
	v_cndmask_b32_e32 v5, 0, v5, vcc_lo
	v_dual_cndmask_b32 v4, 3, v4 :: v_dual_lshlrev_b32 v9, 2, v9
	s_delay_alu instid0(VALU_DEP_1) | instskip(NEXT) | instid1(VALU_DEP_2)
	v_and_b32_e32 v9, 0xfc, v9
	v_cmp_eq_u64_e32 vcc_lo, 0, v[4:5]
	s_delay_alu instid0(VALU_DEP_2)
	v_and_or_b32 v4, v4, 3, v9
	s_and_b32 s13, s13, vcc_lo
	s_delay_alu instid0(VALU_DEP_1) | instid1(SALU_CYCLE_1)
	v_cndmask_b32_e64 v4, v4, 0, s13
	s_delay_alu instid0(VALU_DEP_1)
	v_or_b32_e32 v95, v4, v2
.LBB4_1334:                             ;   in Loop: Header=BB4_136 Depth=3
	s_or_b32 exec_lo, exec_lo, s76
                                        ; implicit-def: $vgpr2
.LBB4_1335:                             ;   in Loop: Header=BB4_136 Depth=3
	s_and_not1_saveexec_b32 s13, s75
; %bb.1336:                             ;   in Loop: Header=BB4_136 Depth=3
	v_or_b32_e32 v95, 0x7b, v2
; %bb.1337:                             ;   in Loop: Header=BB4_136 Depth=3
	s_or_b32 exec_lo, exec_lo, s13
                                        ; implicit-def: $vgpr8
                                        ; implicit-def: $vgpr4_vgpr5
                                        ; implicit-def: $vgpr2
.LBB4_1338:                             ;   in Loop: Header=BB4_136 Depth=3
	s_and_not1_saveexec_b32 s13, s74
	s_cbranch_execz .LBB4_1344
; %bb.1339:                             ;   in Loop: Header=BB4_136 Depth=3
	s_mov_b32 s74, exec_lo
                                        ; implicit-def: $vgpr95
	v_cmpx_ne_u64_e32 0, v[4:5]
	s_xor_b32 s74, exec_lo, s74
; %bb.1340:                             ;   in Loop: Header=BB4_136 Depth=3
	v_or_b32_e32 v95, 0x7f, v2
                                        ; implicit-def: $vgpr8
; %bb.1341:                             ;   in Loop: Header=BB4_136 Depth=3
	s_and_not1_saveexec_b32 s74, s74
; %bb.1342:                             ;   in Loop: Header=BB4_136 Depth=3
	v_cmp_lt_i32_e32 vcc_lo, -1, v8
	v_cndmask_b32_e32 v95, 0xfc, v49, vcc_lo
; %bb.1343:                             ;   in Loop: Header=BB4_136 Depth=3
	s_or_b32 exec_lo, exec_lo, s74
.LBB4_1344:                             ;   in Loop: Header=BB4_136 Depth=3
	s_delay_alu instid0(SALU_CYCLE_1) | instskip(SKIP_1) | instid1(VALU_DEP_1)
	s_or_b32 exec_lo, exec_lo, s13
	v_and_b32_e32 v2, 0xff, v10
	v_cmp_ne_u16_e32 vcc_lo, 0, v2
	v_mov_b32_e32 v2, 0
	s_and_saveexec_b32 s74, vcc_lo
	s_cbranch_execz .LBB4_1354
; %bb.1345:                             ;   in Loop: Header=BB4_136 Depth=3
	v_bfe_i32 v5, v10, 0, 8
	v_bfrev_b32_e32 v2, 1
	s_mov_b32 s75, exec_lo
	s_delay_alu instid0(VALU_DEP_2)
	v_cmpx_ne_u16_e32 0xff80, v5
	s_cbranch_execz .LBB4_1353
; %bb.1346:                             ;   in Loop: Header=BB4_136 Depth=3
	v_and_b32_e32 v2, 0x7c, v10
	v_and_b32_e32 v4, 3, v10
	s_delay_alu instid0(VALU_DEP_2) | instskip(SKIP_1) | instid1(SALU_CYCLE_1)
	v_cmp_ne_u32_e32 vcc_lo, 0x7c, v2
                                        ; implicit-def: $vgpr2
	s_and_saveexec_b32 s13, vcc_lo
	s_xor_b32 s13, exec_lo, s13
	s_cbranch_execz .LBB4_1350
; %bb.1347:                             ;   in Loop: Header=BB4_136 Depth=3
	v_bfe_u32 v2, v10, 2, 5
	s_mov_b32 s76, exec_lo
	s_delay_alu instid0(VALU_DEP_1)
	v_cmpx_eq_u32_e32 0, v2
; %bb.1348:                             ;   in Loop: Header=BB4_136 Depth=3
	v_clz_i32_u32_e32 v2, v4
	s_delay_alu instid0(VALU_DEP_1) | instskip(NEXT) | instid1(VALU_DEP_1)
	v_min_u32_e32 v2, 32, v2
	v_subrev_nc_u32_e32 v4, 29, v2
	s_delay_alu instid0(VALU_DEP_1) | instskip(NEXT) | instid1(VALU_DEP_1)
	v_lshlrev_b64_e32 v[4:5], v4, v[10:11]
	v_dual_sub_nc_u32 v2, 30, v2 :: v_dual_bitop2_b32 v4, 3, v4 bitop3:0x40
; %bb.1349:                             ;   in Loop: Header=BB4_136 Depth=3
	s_or_b32 exec_lo, exec_lo, s76
	v_lshlrev_b32_e32 v5, 24, v10
	s_delay_alu instid0(VALU_DEP_1) | instskip(NEXT) | instid1(VALU_DEP_1)
	v_and_b32_e32 v5, 0x80000000, v5
	v_lshl_add_u32 v2, v2, 23, v5
                                        ; implicit-def: $vgpr5
	s_delay_alu instid0(VALU_DEP_1) | instskip(NEXT) | instid1(VALU_DEP_1)
	v_lshl_or_b32 v2, v4, 21, v2
                                        ; implicit-def: $vgpr4
	v_add_nc_u32_e32 v2, 0x38000000, v2
.LBB4_1350:                             ;   in Loop: Header=BB4_136 Depth=3
	s_and_not1_saveexec_b32 s76, s13
; %bb.1351:                             ;   in Loop: Header=BB4_136 Depth=3
	v_cmp_lt_i16_e64 s13, -1, v5
	v_cmp_eq_u32_e32 vcc_lo, 0, v4
	s_delay_alu instid0(VALU_DEP_2) | instskip(NEXT) | instid1(VALU_DEP_1)
	v_cndmask_b32_e64 v2, 0xff800000, v48, s13
	v_cndmask_b32_e32 v2, 0x7f800001, v2, vcc_lo
; %bb.1352:                             ;   in Loop: Header=BB4_136 Depth=3
	s_or_b32 exec_lo, exec_lo, s76
.LBB4_1353:                             ;   in Loop: Header=BB4_136 Depth=3
	s_delay_alu instid0(SALU_CYCLE_1)
	s_or_b32 exec_lo, exec_lo, s75
.LBB4_1354:                             ;   in Loop: Header=BB4_136 Depth=3
	s_delay_alu instid0(SALU_CYCLE_1) | instskip(NEXT) | instid1(VALU_DEP_1)
	s_or_b32 exec_lo, exec_lo, s74
	v_dual_mul_f32 v8, s73, v2 :: v_dual_mov_b32 v17, v3
	v_mov_b32_e32 v5, v3
                                        ; implicit-def: $vgpr104
	s_mov_b32 s13, exec_lo
	s_delay_alu instid0(VALU_DEP_2) | instskip(SKIP_2) | instid1(VALU_DEP_3)
	v_and_b32_e32 v16, 0x7f800000, v8
	v_and_b32_e32 v4, 0x7fffff, v8
	v_lshrrev_b32_e32 v2, 24, v8
	v_cmpx_ne_u64_e32 0x7f800000, v[16:17]
	s_xor_b32 s74, exec_lo, s13
	s_cbranch_execz .LBB4_1368
; %bb.1355:                             ;   in Loop: Header=BB4_136 Depth=3
	v_and_b32_e32 v16, 0x7fffffff, v8
	v_mov_b32_e32 v17, v3
	v_and_b32_e32 v2, 0x80, v2
                                        ; implicit-def: $vgpr104
	s_mov_b32 s13, exec_lo
	s_delay_alu instid0(VALU_DEP_2)
	v_cmpx_gt_u64_e32 0x47600001, v[16:17]
	s_xor_b32 s75, exec_lo, s13
	s_cbranch_execz .LBB4_1365
; %bb.1356:                             ;   in Loop: Header=BB4_136 Depth=3
	v_mov_b32_e32 v104, 0
	s_mov_b32 s76, exec_lo
	v_cmpx_ne_u32_e32 0, v8
	s_cbranch_execz .LBB4_1364
; %bb.1357:                             ;   in Loop: Header=BB4_136 Depth=3
	v_bfe_u32 v16, v8, 23, 8
	v_or_b32_e32 v9, 0x800000, v4
	s_delay_alu instid0(VALU_DEP_2) | instskip(SKIP_2) | instid1(VALU_DEP_2)
	v_cmp_gt_u32_e64 s13, 0x72, v16
	v_sub_nc_u32_e32 v8, 0x71, v16
	v_cmp_eq_u32_e32 vcc_lo, 0, v16
	v_cndmask_b32_e64 v8, 0, v8, s13
	s_delay_alu instid0(VALU_DEP_1) | instskip(NEXT) | instid1(VALU_DEP_1)
	v_cndmask_b32_e64 v17, v8, 0x70, vcc_lo
	v_dual_cndmask_b32 v4, v9, v4, vcc_lo :: v_dual_add_nc_u32 v8, 21, v17
	v_add_nc_u32_e32 v18, 20, v17
	s_delay_alu instid0(VALU_DEP_2) | instskip(NEXT) | instid1(VALU_DEP_2)
	v_lshlrev_b64_e64 v[8:9], v8, -1
	v_lshlrev_b64_e64 v[18:19], v18, 1
	s_delay_alu instid0(VALU_DEP_2) | instskip(SKIP_1) | instid1(VALU_DEP_4)
	v_bfi_b32 v8, v8, 0, v4
	v_lshrrev_b64 v[4:5], v17, v[4:5]
	v_bfi_b32 v9, v9, 0, 0
	s_delay_alu instid0(VALU_DEP_1) | instskip(NEXT) | instid1(VALU_DEP_3)
	v_cmp_eq_u64_e64 s13, v[8:9], v[18:19]
	v_mov_b64_e32 v[8:9], v[4:5]
	s_and_saveexec_b32 s77, s13
; %bb.1358:                             ;   in Loop: Header=BB4_136 Depth=3
	v_bfe_u32 v8, v4, 21, 1
	v_mov_b32_e32 v9, v3
	s_delay_alu instid0(VALU_DEP_1) | instskip(NEXT) | instid1(VALU_DEP_1)
	v_add_nc_u64_e32 v[8:9], v[4:5], v[8:9]
	v_add_nc_u64_e32 v[8:9], -1, v[8:9]
; %bb.1359:                             ;   in Loop: Header=BB4_136 Depth=3
	s_or_b32 exec_lo, exec_lo, s77
	v_add_nc_u32_e32 v5, 0xffffff81, v16
	v_lshrrev_b32_e32 v9, 23, v4
	s_mov_b32 s13, exec_lo
	s_delay_alu instid0(VALU_DEP_2) | instskip(NEXT) | instid1(VALU_DEP_1)
	v_cndmask_b32_e64 v5, v5, 0xffffff82, vcc_lo
	v_add3_u32 v16, v17, v5, v9
	v_and_b32_e32 v5, 0x1fffff, v8
                                        ; implicit-def: $vgpr8
	s_delay_alu instid0(VALU_DEP_2) | instskip(NEXT) | instid1(VALU_DEP_2)
	v_add_nc_u32_e32 v9, 14, v16
	v_dual_mov_b32 v5, v3 :: v_dual_add_nc_u32 v4, v5, v4
	s_delay_alu instid0(VALU_DEP_2)
	v_cmpx_ne_u32_e32 0, v9
	s_xor_b32 s13, exec_lo, s13
; %bb.1360:                             ;   in Loop: Header=BB4_136 Depth=3
	s_delay_alu instid0(VALU_DEP_2) | instskip(SKIP_1) | instid1(VALU_DEP_1)
	v_cmp_lt_u64_e32 vcc_lo, 0xffffff, v[4:5]
	v_add_nc_u32_e32 v8, 15, v16
	v_cndmask_b32_e32 v8, v9, v8, vcc_lo
	v_cndmask_b32_e64 v9, 0, 1, vcc_lo
	s_delay_alu instid0(VALU_DEP_1)
	v_lshrrev_b64 v[4:5], v9, v[4:5]
; %bb.1361:                             ;   in Loop: Header=BB4_136 Depth=3
	s_and_not1_saveexec_b32 s13, s13
; %bb.1362:                             ;   in Loop: Header=BB4_136 Depth=3
	s_delay_alu instid0(VALU_DEP_1)
	v_bfe_u32 v8, v4, 23, 1
; %bb.1363:                             ;   in Loop: Header=BB4_136 Depth=3
	s_or_b32 exec_lo, exec_lo, s13
	s_delay_alu instid0(VALU_DEP_2) | instskip(NEXT) | instid1(VALU_DEP_2)
	v_lshrrev_b64 v[4:5], 21, v[4:5]
	v_cmp_gt_i32_e32 vcc_lo, 32, v8
	v_min_i32_e32 v9, 31, v8
	v_cmp_eq_u32_e64 s13, 0, v8
	s_delay_alu instid0(VALU_DEP_4) | instskip(NEXT) | instid1(VALU_DEP_3)
	v_cndmask_b32_e32 v5, 0, v5, vcc_lo
	v_dual_cndmask_b32 v4, 3, v4 :: v_dual_lshlrev_b32 v9, 2, v9
	s_delay_alu instid0(VALU_DEP_1) | instskip(NEXT) | instid1(VALU_DEP_2)
	v_and_b32_e32 v9, 0xfc, v9
	v_cmp_eq_u64_e32 vcc_lo, 0, v[4:5]
	s_delay_alu instid0(VALU_DEP_2)
	v_and_or_b32 v4, v4, 3, v9
	s_and_b32 s13, s13, vcc_lo
	s_delay_alu instid0(VALU_DEP_1) | instid1(SALU_CYCLE_1)
	v_cndmask_b32_e64 v4, v4, 0, s13
	s_delay_alu instid0(VALU_DEP_1)
	v_or_b32_e32 v104, v4, v2
.LBB4_1364:                             ;   in Loop: Header=BB4_136 Depth=3
	s_or_b32 exec_lo, exec_lo, s76
                                        ; implicit-def: $vgpr2
.LBB4_1365:                             ;   in Loop: Header=BB4_136 Depth=3
	s_and_not1_saveexec_b32 s13, s75
; %bb.1366:                             ;   in Loop: Header=BB4_136 Depth=3
	v_or_b32_e32 v104, 0x7b, v2
; %bb.1367:                             ;   in Loop: Header=BB4_136 Depth=3
	s_or_b32 exec_lo, exec_lo, s13
                                        ; implicit-def: $vgpr8
                                        ; implicit-def: $vgpr4_vgpr5
                                        ; implicit-def: $vgpr2
.LBB4_1368:                             ;   in Loop: Header=BB4_136 Depth=3
	s_and_not1_saveexec_b32 s13, s74
	s_cbranch_execz .LBB4_1374
; %bb.1369:                             ;   in Loop: Header=BB4_136 Depth=3
	s_mov_b32 s74, exec_lo
                                        ; implicit-def: $vgpr104
	v_cmpx_ne_u64_e32 0, v[4:5]
	s_xor_b32 s74, exec_lo, s74
; %bb.1370:                             ;   in Loop: Header=BB4_136 Depth=3
	v_or_b32_e32 v104, 0x7f, v2
                                        ; implicit-def: $vgpr8
; %bb.1371:                             ;   in Loop: Header=BB4_136 Depth=3
	s_and_not1_saveexec_b32 s74, s74
; %bb.1372:                             ;   in Loop: Header=BB4_136 Depth=3
	v_cmp_lt_i32_e32 vcc_lo, -1, v8
	v_cndmask_b32_e32 v104, 0xfc, v49, vcc_lo
; %bb.1373:                             ;   in Loop: Header=BB4_136 Depth=3
	s_or_b32 exec_lo, exec_lo, s74
.LBB4_1374:                             ;   in Loop: Header=BB4_136 Depth=3
	s_delay_alu instid0(SALU_CYCLE_1) | instskip(SKIP_3) | instid1(VALU_DEP_2)
	s_or_b32 exec_lo, exec_lo, s13
	v_lshrrev_b16 v4, 8, v10
	v_mov_b32_e32 v2, 0
	s_mov_b32 s74, exec_lo
	v_cmpx_ne_u16_e32 0, v4
	s_cbranch_execz .LBB4_1384
; %bb.1375:                             ;   in Loop: Header=BB4_136 Depth=3
	v_bfrev_b32_e32 v2, 1
	s_mov_b32 s75, exec_lo
	v_cmpx_ne_u16_e32 0x80, v4
	s_cbranch_execz .LBB4_1383
; %bb.1376:                             ;   in Loop: Header=BB4_136 Depth=3
	v_and_b32_e32 v8, 0xffff, v4
	s_delay_alu instid0(VALU_DEP_1) | instskip(SKIP_1) | instid1(VALU_DEP_2)
	v_and_b32_e32 v2, 0x7c, v8
	v_and_b32_e32 v5, 3, v8
	v_cmp_ne_u32_e32 vcc_lo, 0x7c, v2
                                        ; implicit-def: $vgpr2
	s_and_saveexec_b32 s13, vcc_lo
	s_delay_alu instid0(SALU_CYCLE_1)
	s_xor_b32 s13, exec_lo, s13
	s_cbranch_execz .LBB4_1380
; %bb.1377:                             ;   in Loop: Header=BB4_136 Depth=3
	v_bfe_u32 v2, v8, 2, 5
	s_mov_b32 s76, exec_lo
	s_delay_alu instid0(VALU_DEP_1)
	v_cmpx_eq_u32_e32 0, v2
	s_cbranch_execz .LBB4_1379
; %bb.1378:                             ;   in Loop: Header=BB4_136 Depth=3
	v_clz_i32_u32_e32 v2, v5
	s_delay_alu instid0(VALU_DEP_1) | instskip(SKIP_1) | instid1(VALU_DEP_2)
	v_min_u32_e32 v2, 32, v2
	v_mov_b32_e32 v5, v3
	v_subrev_nc_u32_e32 v8, 29, v2
	v_sub_nc_u32_e32 v2, 30, v2
	s_delay_alu instid0(VALU_DEP_2) | instskip(NEXT) | instid1(VALU_DEP_1)
	v_lshlrev_b64_e32 v[4:5], v8, v[4:5]
	v_and_b32_e32 v5, 3, v4
.LBB4_1379:                             ;   in Loop: Header=BB4_136 Depth=3
	s_or_b32 exec_lo, exec_lo, s76
	v_lshlrev_b32_e32 v4, 16, v10
	s_delay_alu instid0(VALU_DEP_1) | instskip(NEXT) | instid1(VALU_DEP_1)
	v_and_b32_e32 v4, 0x80000000, v4
	v_lshl_add_u32 v2, v2, 23, v4
	s_delay_alu instid0(VALU_DEP_1) | instskip(NEXT) | instid1(VALU_DEP_1)
	v_lshl_or_b32 v2, v5, 21, v2
                                        ; implicit-def: $vgpr5
	v_add_nc_u32_e32 v2, 0x38000000, v2
.LBB4_1380:                             ;   in Loop: Header=BB4_136 Depth=3
	s_and_not1_saveexec_b32 s76, s13
; %bb.1381:                             ;   in Loop: Header=BB4_136 Depth=3
	v_cmp_lt_i16_e64 s13, -1, v10
	v_cmp_eq_u32_e32 vcc_lo, 0, v5
	s_delay_alu instid0(VALU_DEP_2) | instskip(NEXT) | instid1(VALU_DEP_1)
	v_cndmask_b32_e64 v2, 0xff800000, v48, s13
	v_cndmask_b32_e32 v2, 0x7f800001, v2, vcc_lo
; %bb.1382:                             ;   in Loop: Header=BB4_136 Depth=3
	s_or_b32 exec_lo, exec_lo, s76
.LBB4_1383:                             ;   in Loop: Header=BB4_136 Depth=3
	s_delay_alu instid0(SALU_CYCLE_1)
	s_or_b32 exec_lo, exec_lo, s75
.LBB4_1384:                             ;   in Loop: Header=BB4_136 Depth=3
	s_delay_alu instid0(SALU_CYCLE_1) | instskip(NEXT) | instid1(VALU_DEP_1)
	s_or_b32 exec_lo, exec_lo, s74
	v_dual_mul_f32 v8, s73, v2 :: v_dual_mov_b32 v17, v3
	v_mov_b32_e32 v5, v3
                                        ; implicit-def: $vgpr105
	s_mov_b32 s13, exec_lo
	s_delay_alu instid0(VALU_DEP_2) | instskip(SKIP_2) | instid1(VALU_DEP_3)
	v_and_b32_e32 v16, 0x7f800000, v8
	v_and_b32_e32 v4, 0x7fffff, v8
	v_lshrrev_b32_e32 v2, 24, v8
	v_cmpx_ne_u64_e32 0x7f800000, v[16:17]
	s_xor_b32 s74, exec_lo, s13
	s_cbranch_execz .LBB4_1398
; %bb.1385:                             ;   in Loop: Header=BB4_136 Depth=3
	v_and_b32_e32 v16, 0x7fffffff, v8
	v_mov_b32_e32 v17, v3
	v_and_b32_e32 v2, 0x80, v2
                                        ; implicit-def: $vgpr105
	s_mov_b32 s13, exec_lo
	s_delay_alu instid0(VALU_DEP_2)
	v_cmpx_gt_u64_e32 0x47600001, v[16:17]
	s_xor_b32 s75, exec_lo, s13
	s_cbranch_execz .LBB4_1395
; %bb.1386:                             ;   in Loop: Header=BB4_136 Depth=3
	v_mov_b32_e32 v105, 0
	s_mov_b32 s76, exec_lo
	v_cmpx_ne_u32_e32 0, v8
	s_cbranch_execz .LBB4_1394
; %bb.1387:                             ;   in Loop: Header=BB4_136 Depth=3
	v_bfe_u32 v16, v8, 23, 8
	v_or_b32_e32 v9, 0x800000, v4
	s_delay_alu instid0(VALU_DEP_2) | instskip(SKIP_2) | instid1(VALU_DEP_2)
	v_cmp_gt_u32_e64 s13, 0x72, v16
	v_sub_nc_u32_e32 v8, 0x71, v16
	v_cmp_eq_u32_e32 vcc_lo, 0, v16
	v_cndmask_b32_e64 v8, 0, v8, s13
	s_delay_alu instid0(VALU_DEP_1) | instskip(NEXT) | instid1(VALU_DEP_1)
	v_cndmask_b32_e64 v17, v8, 0x70, vcc_lo
	v_dual_cndmask_b32 v4, v9, v4, vcc_lo :: v_dual_add_nc_u32 v8, 21, v17
	v_add_nc_u32_e32 v18, 20, v17
	s_delay_alu instid0(VALU_DEP_2) | instskip(NEXT) | instid1(VALU_DEP_2)
	v_lshlrev_b64_e64 v[8:9], v8, -1
	v_lshlrev_b64_e64 v[18:19], v18, 1
	s_delay_alu instid0(VALU_DEP_2) | instskip(SKIP_1) | instid1(VALU_DEP_4)
	v_bfi_b32 v8, v8, 0, v4
	v_lshrrev_b64 v[4:5], v17, v[4:5]
	v_bfi_b32 v9, v9, 0, 0
	s_delay_alu instid0(VALU_DEP_1) | instskip(NEXT) | instid1(VALU_DEP_3)
	v_cmp_eq_u64_e64 s13, v[8:9], v[18:19]
	v_mov_b64_e32 v[8:9], v[4:5]
	s_and_saveexec_b32 s77, s13
; %bb.1388:                             ;   in Loop: Header=BB4_136 Depth=3
	v_bfe_u32 v8, v4, 21, 1
	v_mov_b32_e32 v9, v3
	s_delay_alu instid0(VALU_DEP_1) | instskip(NEXT) | instid1(VALU_DEP_1)
	v_add_nc_u64_e32 v[8:9], v[4:5], v[8:9]
	v_add_nc_u64_e32 v[8:9], -1, v[8:9]
; %bb.1389:                             ;   in Loop: Header=BB4_136 Depth=3
	s_or_b32 exec_lo, exec_lo, s77
	v_add_nc_u32_e32 v5, 0xffffff81, v16
	v_lshrrev_b32_e32 v9, 23, v4
	s_mov_b32 s13, exec_lo
	s_delay_alu instid0(VALU_DEP_2) | instskip(NEXT) | instid1(VALU_DEP_1)
	v_cndmask_b32_e64 v5, v5, 0xffffff82, vcc_lo
	v_add3_u32 v16, v17, v5, v9
	v_and_b32_e32 v5, 0x1fffff, v8
                                        ; implicit-def: $vgpr8
	s_delay_alu instid0(VALU_DEP_2) | instskip(NEXT) | instid1(VALU_DEP_2)
	v_add_nc_u32_e32 v9, 14, v16
	v_dual_mov_b32 v5, v3 :: v_dual_add_nc_u32 v4, v5, v4
	s_delay_alu instid0(VALU_DEP_2)
	v_cmpx_ne_u32_e32 0, v9
	s_xor_b32 s13, exec_lo, s13
; %bb.1390:                             ;   in Loop: Header=BB4_136 Depth=3
	s_delay_alu instid0(VALU_DEP_2) | instskip(SKIP_1) | instid1(VALU_DEP_1)
	v_cmp_lt_u64_e32 vcc_lo, 0xffffff, v[4:5]
	v_add_nc_u32_e32 v8, 15, v16
	v_cndmask_b32_e32 v8, v9, v8, vcc_lo
	v_cndmask_b32_e64 v9, 0, 1, vcc_lo
	s_delay_alu instid0(VALU_DEP_1)
	v_lshrrev_b64 v[4:5], v9, v[4:5]
; %bb.1391:                             ;   in Loop: Header=BB4_136 Depth=3
	s_and_not1_saveexec_b32 s13, s13
; %bb.1392:                             ;   in Loop: Header=BB4_136 Depth=3
	s_delay_alu instid0(VALU_DEP_1)
	v_bfe_u32 v8, v4, 23, 1
; %bb.1393:                             ;   in Loop: Header=BB4_136 Depth=3
	s_or_b32 exec_lo, exec_lo, s13
	s_delay_alu instid0(VALU_DEP_2) | instskip(NEXT) | instid1(VALU_DEP_2)
	v_lshrrev_b64 v[4:5], 21, v[4:5]
	v_cmp_gt_i32_e32 vcc_lo, 32, v8
	v_min_i32_e32 v9, 31, v8
	v_cmp_eq_u32_e64 s13, 0, v8
	s_delay_alu instid0(VALU_DEP_4) | instskip(NEXT) | instid1(VALU_DEP_3)
	v_cndmask_b32_e32 v5, 0, v5, vcc_lo
	v_dual_cndmask_b32 v4, 3, v4 :: v_dual_lshlrev_b32 v9, 2, v9
	s_delay_alu instid0(VALU_DEP_1) | instskip(NEXT) | instid1(VALU_DEP_2)
	v_and_b32_e32 v9, 0xfc, v9
	v_cmp_eq_u64_e32 vcc_lo, 0, v[4:5]
	s_delay_alu instid0(VALU_DEP_2)
	v_and_or_b32 v4, v4, 3, v9
	s_and_b32 s13, s13, vcc_lo
	s_delay_alu instid0(VALU_DEP_1) | instid1(SALU_CYCLE_1)
	v_cndmask_b32_e64 v4, v4, 0, s13
	s_delay_alu instid0(VALU_DEP_1)
	v_or_b32_e32 v105, v4, v2
.LBB4_1394:                             ;   in Loop: Header=BB4_136 Depth=3
	s_or_b32 exec_lo, exec_lo, s76
                                        ; implicit-def: $vgpr2
.LBB4_1395:                             ;   in Loop: Header=BB4_136 Depth=3
	s_and_not1_saveexec_b32 s13, s75
; %bb.1396:                             ;   in Loop: Header=BB4_136 Depth=3
	v_or_b32_e32 v105, 0x7b, v2
; %bb.1397:                             ;   in Loop: Header=BB4_136 Depth=3
	s_or_b32 exec_lo, exec_lo, s13
                                        ; implicit-def: $vgpr8
                                        ; implicit-def: $vgpr4_vgpr5
                                        ; implicit-def: $vgpr2
.LBB4_1398:                             ;   in Loop: Header=BB4_136 Depth=3
	s_and_not1_saveexec_b32 s13, s74
	s_cbranch_execz .LBB4_1404
; %bb.1399:                             ;   in Loop: Header=BB4_136 Depth=3
	s_mov_b32 s74, exec_lo
                                        ; implicit-def: $vgpr105
	v_cmpx_ne_u64_e32 0, v[4:5]
	s_xor_b32 s74, exec_lo, s74
; %bb.1400:                             ;   in Loop: Header=BB4_136 Depth=3
	v_or_b32_e32 v105, 0x7f, v2
                                        ; implicit-def: $vgpr8
; %bb.1401:                             ;   in Loop: Header=BB4_136 Depth=3
	s_and_not1_saveexec_b32 s74, s74
; %bb.1402:                             ;   in Loop: Header=BB4_136 Depth=3
	v_cmp_lt_i32_e32 vcc_lo, -1, v8
	v_cndmask_b32_e32 v105, 0xfc, v49, vcc_lo
; %bb.1403:                             ;   in Loop: Header=BB4_136 Depth=3
	s_or_b32 exec_lo, exec_lo, s74
.LBB4_1404:                             ;   in Loop: Header=BB4_136 Depth=3
	s_delay_alu instid0(SALU_CYCLE_1) | instskip(SKIP_2) | instid1(VALU_DEP_1)
	s_or_b32 exec_lo, exec_lo, s13
	v_dual_lshrrev_b32 v2, 16, v10 :: v_dual_mov_b32 v4, 0
	s_mov_b32 s74, exec_lo
	v_and_b32_e32 v5, 0xff, v2
	s_delay_alu instid0(VALU_DEP_1)
	v_cmpx_ne_u16_e32 0, v5
	s_cbranch_execz .LBB4_1414
; %bb.1405:                             ;   in Loop: Header=BB4_136 Depth=3
	v_bfrev_b32_e32 v4, 1
	s_mov_b32 s75, exec_lo
	v_cmpx_ne_u16_e32 0x80, v5
	s_cbranch_execz .LBB4_1413
; %bb.1406:                             ;   in Loop: Header=BB4_136 Depth=3
	v_and_b32_e32 v4, 0x7c0000, v10
	v_bfe_u32 v5, v10, 16, 2
	s_delay_alu instid0(VALU_DEP_2) | instskip(SKIP_1) | instid1(SALU_CYCLE_1)
	v_cmp_ne_u32_e32 vcc_lo, 0x7c0000, v4
                                        ; implicit-def: $vgpr4
	s_and_saveexec_b32 s13, vcc_lo
	s_xor_b32 s13, exec_lo, s13
	s_cbranch_execz .LBB4_1410
; %bb.1407:                             ;   in Loop: Header=BB4_136 Depth=3
	v_bfe_u32 v4, v10, 18, 5
	s_mov_b32 s76, exec_lo
	s_delay_alu instid0(VALU_DEP_1)
	v_cmpx_eq_u32_e32 0, v4
; %bb.1408:                             ;   in Loop: Header=BB4_136 Depth=3
	v_clz_i32_u32_e32 v4, v5
	s_delay_alu instid0(VALU_DEP_1) | instskip(NEXT) | instid1(VALU_DEP_1)
	v_min_u32_e32 v4, 32, v4
	v_subrev_nc_u32_e32 v5, 29, v4
	v_sub_nc_u32_e32 v4, 30, v4
	s_delay_alu instid0(VALU_DEP_2) | instskip(NEXT) | instid1(VALU_DEP_1)
	v_lshlrev_b64_e32 v[8:9], v5, v[2:3]
	v_and_b32_e32 v5, 3, v8
; %bb.1409:                             ;   in Loop: Header=BB4_136 Depth=3
	s_or_b32 exec_lo, exec_lo, s76
	v_lshlrev_b32_e32 v2, 24, v2
	s_delay_alu instid0(VALU_DEP_1) | instskip(NEXT) | instid1(VALU_DEP_1)
	v_and_b32_e32 v2, 0x80000000, v2
	v_lshl_add_u32 v2, v4, 23, v2
	s_delay_alu instid0(VALU_DEP_1) | instskip(NEXT) | instid1(VALU_DEP_1)
	v_lshl_or_b32 v2, v5, 21, v2
                                        ; implicit-def: $vgpr5
	v_add_nc_u32_e32 v4, 0x38000000, v2
                                        ; implicit-def: $vgpr2
.LBB4_1410:                             ;   in Loop: Header=BB4_136 Depth=3
	s_and_not1_saveexec_b32 s76, s13
; %bb.1411:                             ;   in Loop: Header=BB4_136 Depth=3
	v_bfe_i32 v2, v2, 0, 8
	v_cmp_eq_u32_e32 vcc_lo, 0, v5
	s_delay_alu instid0(VALU_DEP_2) | instskip(NEXT) | instid1(VALU_DEP_1)
	v_cmp_lt_i16_e64 s13, -1, v2
	v_cndmask_b32_e64 v2, 0xff800000, v48, s13
	s_delay_alu instid0(VALU_DEP_1)
	v_cndmask_b32_e32 v4, 0x7f800001, v2, vcc_lo
; %bb.1412:                             ;   in Loop: Header=BB4_136 Depth=3
	s_or_b32 exec_lo, exec_lo, s76
.LBB4_1413:                             ;   in Loop: Header=BB4_136 Depth=3
	s_delay_alu instid0(SALU_CYCLE_1)
	s_or_b32 exec_lo, exec_lo, s75
.LBB4_1414:                             ;   in Loop: Header=BB4_136 Depth=3
	s_delay_alu instid0(SALU_CYCLE_1) | instskip(NEXT) | instid1(VALU_DEP_1)
	s_or_b32 exec_lo, exec_lo, s74
	v_dual_mul_f32 v8, s73, v4 :: v_dual_mov_b32 v17, v3
	v_mov_b32_e32 v5, v3
                                        ; implicit-def: $vgpr106
	s_mov_b32 s13, exec_lo
	s_delay_alu instid0(VALU_DEP_2) | instskip(SKIP_2) | instid1(VALU_DEP_3)
	v_and_b32_e32 v16, 0x7f800000, v8
	v_and_b32_e32 v4, 0x7fffff, v8
	v_lshrrev_b32_e32 v2, 24, v8
	v_cmpx_ne_u64_e32 0x7f800000, v[16:17]
	s_xor_b32 s74, exec_lo, s13
	s_cbranch_execz .LBB4_1428
; %bb.1415:                             ;   in Loop: Header=BB4_136 Depth=3
	v_and_b32_e32 v16, 0x7fffffff, v8
	v_mov_b32_e32 v17, v3
	v_and_b32_e32 v2, 0x80, v2
                                        ; implicit-def: $vgpr106
	s_mov_b32 s13, exec_lo
	s_delay_alu instid0(VALU_DEP_2)
	v_cmpx_gt_u64_e32 0x47600001, v[16:17]
	s_xor_b32 s75, exec_lo, s13
	s_cbranch_execz .LBB4_1425
; %bb.1416:                             ;   in Loop: Header=BB4_136 Depth=3
	v_mov_b32_e32 v106, 0
	s_mov_b32 s76, exec_lo
	v_cmpx_ne_u32_e32 0, v8
	s_cbranch_execz .LBB4_1424
; %bb.1417:                             ;   in Loop: Header=BB4_136 Depth=3
	v_bfe_u32 v16, v8, 23, 8
	v_or_b32_e32 v9, 0x800000, v4
	s_delay_alu instid0(VALU_DEP_2) | instskip(SKIP_2) | instid1(VALU_DEP_2)
	v_cmp_gt_u32_e64 s13, 0x72, v16
	v_sub_nc_u32_e32 v8, 0x71, v16
	v_cmp_eq_u32_e32 vcc_lo, 0, v16
	v_cndmask_b32_e64 v8, 0, v8, s13
	s_delay_alu instid0(VALU_DEP_1) | instskip(NEXT) | instid1(VALU_DEP_1)
	v_cndmask_b32_e64 v17, v8, 0x70, vcc_lo
	v_dual_cndmask_b32 v4, v9, v4, vcc_lo :: v_dual_add_nc_u32 v8, 21, v17
	v_add_nc_u32_e32 v18, 20, v17
	s_delay_alu instid0(VALU_DEP_2) | instskip(NEXT) | instid1(VALU_DEP_2)
	v_lshlrev_b64_e64 v[8:9], v8, -1
	v_lshlrev_b64_e64 v[18:19], v18, 1
	s_delay_alu instid0(VALU_DEP_2) | instskip(SKIP_1) | instid1(VALU_DEP_4)
	v_bfi_b32 v8, v8, 0, v4
	v_lshrrev_b64 v[4:5], v17, v[4:5]
	v_bfi_b32 v9, v9, 0, 0
	s_delay_alu instid0(VALU_DEP_1) | instskip(NEXT) | instid1(VALU_DEP_3)
	v_cmp_eq_u64_e64 s13, v[8:9], v[18:19]
	v_mov_b64_e32 v[8:9], v[4:5]
	s_and_saveexec_b32 s77, s13
; %bb.1418:                             ;   in Loop: Header=BB4_136 Depth=3
	v_bfe_u32 v8, v4, 21, 1
	v_mov_b32_e32 v9, v3
	s_delay_alu instid0(VALU_DEP_1) | instskip(NEXT) | instid1(VALU_DEP_1)
	v_add_nc_u64_e32 v[8:9], v[4:5], v[8:9]
	v_add_nc_u64_e32 v[8:9], -1, v[8:9]
; %bb.1419:                             ;   in Loop: Header=BB4_136 Depth=3
	s_or_b32 exec_lo, exec_lo, s77
	v_add_nc_u32_e32 v5, 0xffffff81, v16
	v_lshrrev_b32_e32 v9, 23, v4
	s_mov_b32 s13, exec_lo
	s_delay_alu instid0(VALU_DEP_2) | instskip(NEXT) | instid1(VALU_DEP_1)
	v_cndmask_b32_e64 v5, v5, 0xffffff82, vcc_lo
	v_add3_u32 v16, v17, v5, v9
	v_and_b32_e32 v5, 0x1fffff, v8
                                        ; implicit-def: $vgpr8
	s_delay_alu instid0(VALU_DEP_2) | instskip(NEXT) | instid1(VALU_DEP_2)
	v_add_nc_u32_e32 v9, 14, v16
	v_dual_mov_b32 v5, v3 :: v_dual_add_nc_u32 v4, v5, v4
	s_delay_alu instid0(VALU_DEP_2)
	v_cmpx_ne_u32_e32 0, v9
	s_xor_b32 s13, exec_lo, s13
; %bb.1420:                             ;   in Loop: Header=BB4_136 Depth=3
	s_delay_alu instid0(VALU_DEP_2) | instskip(SKIP_1) | instid1(VALU_DEP_1)
	v_cmp_lt_u64_e32 vcc_lo, 0xffffff, v[4:5]
	v_add_nc_u32_e32 v8, 15, v16
	v_cndmask_b32_e32 v8, v9, v8, vcc_lo
	v_cndmask_b32_e64 v9, 0, 1, vcc_lo
	s_delay_alu instid0(VALU_DEP_1)
	v_lshrrev_b64 v[4:5], v9, v[4:5]
; %bb.1421:                             ;   in Loop: Header=BB4_136 Depth=3
	s_and_not1_saveexec_b32 s13, s13
; %bb.1422:                             ;   in Loop: Header=BB4_136 Depth=3
	s_delay_alu instid0(VALU_DEP_1)
	v_bfe_u32 v8, v4, 23, 1
; %bb.1423:                             ;   in Loop: Header=BB4_136 Depth=3
	s_or_b32 exec_lo, exec_lo, s13
	s_delay_alu instid0(VALU_DEP_2) | instskip(NEXT) | instid1(VALU_DEP_2)
	v_lshrrev_b64 v[4:5], 21, v[4:5]
	v_cmp_gt_i32_e32 vcc_lo, 32, v8
	v_min_i32_e32 v9, 31, v8
	v_cmp_eq_u32_e64 s13, 0, v8
	s_delay_alu instid0(VALU_DEP_4) | instskip(NEXT) | instid1(VALU_DEP_3)
	v_cndmask_b32_e32 v5, 0, v5, vcc_lo
	v_dual_cndmask_b32 v4, 3, v4 :: v_dual_lshlrev_b32 v9, 2, v9
	s_delay_alu instid0(VALU_DEP_1) | instskip(NEXT) | instid1(VALU_DEP_2)
	v_and_b32_e32 v9, 0xfc, v9
	v_cmp_eq_u64_e32 vcc_lo, 0, v[4:5]
	s_delay_alu instid0(VALU_DEP_2)
	v_and_or_b32 v4, v4, 3, v9
	s_and_b32 s13, s13, vcc_lo
	s_delay_alu instid0(VALU_DEP_1) | instid1(SALU_CYCLE_1)
	v_cndmask_b32_e64 v4, v4, 0, s13
	s_delay_alu instid0(VALU_DEP_1)
	v_or_b32_e32 v106, v4, v2
.LBB4_1424:                             ;   in Loop: Header=BB4_136 Depth=3
	s_or_b32 exec_lo, exec_lo, s76
                                        ; implicit-def: $vgpr2
.LBB4_1425:                             ;   in Loop: Header=BB4_136 Depth=3
	s_and_not1_saveexec_b32 s13, s75
; %bb.1426:                             ;   in Loop: Header=BB4_136 Depth=3
	v_or_b32_e32 v106, 0x7b, v2
; %bb.1427:                             ;   in Loop: Header=BB4_136 Depth=3
	s_or_b32 exec_lo, exec_lo, s13
                                        ; implicit-def: $vgpr8
                                        ; implicit-def: $vgpr4_vgpr5
                                        ; implicit-def: $vgpr2
.LBB4_1428:                             ;   in Loop: Header=BB4_136 Depth=3
	s_and_not1_saveexec_b32 s13, s74
	s_cbranch_execz .LBB4_1434
; %bb.1429:                             ;   in Loop: Header=BB4_136 Depth=3
	s_mov_b32 s74, exec_lo
                                        ; implicit-def: $vgpr106
	v_cmpx_ne_u64_e32 0, v[4:5]
	s_xor_b32 s74, exec_lo, s74
; %bb.1430:                             ;   in Loop: Header=BB4_136 Depth=3
	v_or_b32_e32 v106, 0x7f, v2
                                        ; implicit-def: $vgpr8
; %bb.1431:                             ;   in Loop: Header=BB4_136 Depth=3
	s_and_not1_saveexec_b32 s74, s74
; %bb.1432:                             ;   in Loop: Header=BB4_136 Depth=3
	v_cmp_lt_i32_e32 vcc_lo, -1, v8
	v_cndmask_b32_e32 v106, 0xfc, v49, vcc_lo
; %bb.1433:                             ;   in Loop: Header=BB4_136 Depth=3
	s_or_b32 exec_lo, exec_lo, s74
.LBB4_1434:                             ;   in Loop: Header=BB4_136 Depth=3
	s_delay_alu instid0(SALU_CYCLE_1)
	s_or_b32 exec_lo, exec_lo, s13
	v_mov_b32_e32 v4, 0
	s_mov_b32 s74, exec_lo
	v_cmpx_lt_u32_e32 0xffffff, v10
	s_cbranch_execz .LBB4_1444
; %bb.1435:                             ;   in Loop: Header=BB4_136 Depth=3
	v_lshrrev_b32_e32 v2, 24, v10
	v_bfrev_b32_e32 v4, 1
	s_mov_b32 s75, exec_lo
	s_delay_alu instid0(VALU_DEP_2)
	v_cmpx_ne_u32_e32 0x80, v2
	s_cbranch_execz .LBB4_1443
; %bb.1436:                             ;   in Loop: Header=BB4_136 Depth=3
	v_and_b32_e32 v4, 0x7c000000, v10
	v_bfe_u32 v5, v10, 24, 2
	s_delay_alu instid0(VALU_DEP_2) | instskip(SKIP_1) | instid1(SALU_CYCLE_1)
	v_cmp_ne_u32_e32 vcc_lo, 0x7c000000, v4
                                        ; implicit-def: $vgpr4
	s_and_saveexec_b32 s13, vcc_lo
	s_xor_b32 s13, exec_lo, s13
	s_cbranch_execz .LBB4_1440
; %bb.1437:                             ;   in Loop: Header=BB4_136 Depth=3
	v_bfe_u32 v4, v10, 26, 5
	s_mov_b32 s76, exec_lo
	s_delay_alu instid0(VALU_DEP_1)
	v_cmpx_eq_u32_e32 0, v4
; %bb.1438:                             ;   in Loop: Header=BB4_136 Depth=3
	v_clz_i32_u32_e32 v4, v5
	s_delay_alu instid0(VALU_DEP_1) | instskip(NEXT) | instid1(VALU_DEP_1)
	v_min_u32_e32 v4, 32, v4
	v_subrev_nc_u32_e32 v5, 29, v4
	v_sub_nc_u32_e32 v4, 30, v4
	s_delay_alu instid0(VALU_DEP_2) | instskip(NEXT) | instid1(VALU_DEP_1)
	v_lshlrev_b64_e32 v[8:9], v5, v[2:3]
	v_and_b32_e32 v5, 3, v8
; %bb.1439:                             ;   in Loop: Header=BB4_136 Depth=3
	s_or_b32 exec_lo, exec_lo, s76
	v_and_b32_e32 v2, 0x80000000, v10
	s_delay_alu instid0(VALU_DEP_1) | instskip(NEXT) | instid1(VALU_DEP_1)
	v_lshl_add_u32 v2, v4, 23, v2
	v_lshl_or_b32 v2, v5, 21, v2
                                        ; implicit-def: $vgpr5
	s_delay_alu instid0(VALU_DEP_1)
	v_add_nc_u32_e32 v4, 0x38000000, v2
.LBB4_1440:                             ;   in Loop: Header=BB4_136 Depth=3
	s_and_not1_saveexec_b32 s76, s13
; %bb.1441:                             ;   in Loop: Header=BB4_136 Depth=3
	v_cmp_lt_i32_e64 s13, -1, v10
	v_cmp_eq_u32_e32 vcc_lo, 0, v5
	s_delay_alu instid0(VALU_DEP_2) | instskip(NEXT) | instid1(VALU_DEP_1)
	v_cndmask_b32_e64 v2, 0xff800000, v48, s13
	v_cndmask_b32_e32 v4, 0x7f800001, v2, vcc_lo
; %bb.1442:                             ;   in Loop: Header=BB4_136 Depth=3
	s_or_b32 exec_lo, exec_lo, s76
.LBB4_1443:                             ;   in Loop: Header=BB4_136 Depth=3
	s_delay_alu instid0(SALU_CYCLE_1)
	s_or_b32 exec_lo, exec_lo, s75
.LBB4_1444:                             ;   in Loop: Header=BB4_136 Depth=3
	s_delay_alu instid0(SALU_CYCLE_1) | instskip(NEXT) | instid1(VALU_DEP_1)
	s_or_b32 exec_lo, exec_lo, s74
	v_dual_mul_f32 v8, s73, v4 :: v_dual_mov_b32 v17, v3
	v_mov_b32_e32 v5, v3
                                        ; implicit-def: $vgpr107
	s_mov_b32 s13, exec_lo
	s_delay_alu instid0(VALU_DEP_2) | instskip(SKIP_2) | instid1(VALU_DEP_3)
	v_and_b32_e32 v16, 0x7f800000, v8
	v_and_b32_e32 v4, 0x7fffff, v8
	v_lshrrev_b32_e32 v2, 24, v8
	v_cmpx_ne_u64_e32 0x7f800000, v[16:17]
	s_xor_b32 s74, exec_lo, s13
	s_cbranch_execz .LBB4_1458
; %bb.1445:                             ;   in Loop: Header=BB4_136 Depth=3
	v_and_b32_e32 v16, 0x7fffffff, v8
	v_mov_b32_e32 v17, v3
	v_and_b32_e32 v2, 0x80, v2
                                        ; implicit-def: $vgpr107
	s_mov_b32 s13, exec_lo
	s_delay_alu instid0(VALU_DEP_2)
	v_cmpx_gt_u64_e32 0x47600001, v[16:17]
	s_xor_b32 s75, exec_lo, s13
	s_cbranch_execz .LBB4_1455
; %bb.1446:                             ;   in Loop: Header=BB4_136 Depth=3
	v_mov_b32_e32 v107, 0
	s_mov_b32 s76, exec_lo
	v_cmpx_ne_u32_e32 0, v8
	s_cbranch_execz .LBB4_1454
; %bb.1447:                             ;   in Loop: Header=BB4_136 Depth=3
	v_bfe_u32 v16, v8, 23, 8
	v_or_b32_e32 v9, 0x800000, v4
	s_delay_alu instid0(VALU_DEP_2) | instskip(SKIP_2) | instid1(VALU_DEP_2)
	v_cmp_gt_u32_e64 s13, 0x72, v16
	v_sub_nc_u32_e32 v8, 0x71, v16
	v_cmp_eq_u32_e32 vcc_lo, 0, v16
	v_cndmask_b32_e64 v8, 0, v8, s13
	s_delay_alu instid0(VALU_DEP_1) | instskip(NEXT) | instid1(VALU_DEP_1)
	v_cndmask_b32_e64 v17, v8, 0x70, vcc_lo
	v_dual_cndmask_b32 v4, v9, v4, vcc_lo :: v_dual_add_nc_u32 v8, 21, v17
	v_add_nc_u32_e32 v18, 20, v17
	s_delay_alu instid0(VALU_DEP_2) | instskip(NEXT) | instid1(VALU_DEP_2)
	v_lshlrev_b64_e64 v[8:9], v8, -1
	v_lshlrev_b64_e64 v[18:19], v18, 1
	s_delay_alu instid0(VALU_DEP_2) | instskip(SKIP_1) | instid1(VALU_DEP_4)
	v_bfi_b32 v8, v8, 0, v4
	v_lshrrev_b64 v[4:5], v17, v[4:5]
	v_bfi_b32 v9, v9, 0, 0
	s_delay_alu instid0(VALU_DEP_1) | instskip(NEXT) | instid1(VALU_DEP_3)
	v_cmp_eq_u64_e64 s13, v[8:9], v[18:19]
	v_mov_b64_e32 v[8:9], v[4:5]
	s_and_saveexec_b32 s77, s13
; %bb.1448:                             ;   in Loop: Header=BB4_136 Depth=3
	v_bfe_u32 v8, v4, 21, 1
	v_mov_b32_e32 v9, v3
	s_delay_alu instid0(VALU_DEP_1) | instskip(NEXT) | instid1(VALU_DEP_1)
	v_add_nc_u64_e32 v[8:9], v[4:5], v[8:9]
	v_add_nc_u64_e32 v[8:9], -1, v[8:9]
; %bb.1449:                             ;   in Loop: Header=BB4_136 Depth=3
	s_or_b32 exec_lo, exec_lo, s77
	v_add_nc_u32_e32 v5, 0xffffff81, v16
	v_lshrrev_b32_e32 v9, 23, v4
	s_mov_b32 s13, exec_lo
	s_delay_alu instid0(VALU_DEP_2) | instskip(NEXT) | instid1(VALU_DEP_1)
	v_cndmask_b32_e64 v5, v5, 0xffffff82, vcc_lo
	v_add3_u32 v16, v17, v5, v9
	v_and_b32_e32 v5, 0x1fffff, v8
                                        ; implicit-def: $vgpr8
	s_delay_alu instid0(VALU_DEP_2) | instskip(NEXT) | instid1(VALU_DEP_2)
	v_add_nc_u32_e32 v9, 14, v16
	v_dual_mov_b32 v5, v3 :: v_dual_add_nc_u32 v4, v5, v4
	s_delay_alu instid0(VALU_DEP_2)
	v_cmpx_ne_u32_e32 0, v9
	s_xor_b32 s13, exec_lo, s13
; %bb.1450:                             ;   in Loop: Header=BB4_136 Depth=3
	s_delay_alu instid0(VALU_DEP_2) | instskip(SKIP_1) | instid1(VALU_DEP_1)
	v_cmp_lt_u64_e32 vcc_lo, 0xffffff, v[4:5]
	v_add_nc_u32_e32 v8, 15, v16
	v_cndmask_b32_e32 v8, v9, v8, vcc_lo
	v_cndmask_b32_e64 v9, 0, 1, vcc_lo
	s_delay_alu instid0(VALU_DEP_1)
	v_lshrrev_b64 v[4:5], v9, v[4:5]
; %bb.1451:                             ;   in Loop: Header=BB4_136 Depth=3
	s_and_not1_saveexec_b32 s13, s13
; %bb.1452:                             ;   in Loop: Header=BB4_136 Depth=3
	s_delay_alu instid0(VALU_DEP_1)
	v_bfe_u32 v8, v4, 23, 1
; %bb.1453:                             ;   in Loop: Header=BB4_136 Depth=3
	s_or_b32 exec_lo, exec_lo, s13
	s_delay_alu instid0(VALU_DEP_2) | instskip(NEXT) | instid1(VALU_DEP_2)
	v_lshrrev_b64 v[4:5], 21, v[4:5]
	v_cmp_gt_i32_e32 vcc_lo, 32, v8
	v_min_i32_e32 v9, 31, v8
	v_cmp_eq_u32_e64 s13, 0, v8
	s_delay_alu instid0(VALU_DEP_4) | instskip(NEXT) | instid1(VALU_DEP_3)
	v_cndmask_b32_e32 v5, 0, v5, vcc_lo
	v_dual_cndmask_b32 v4, 3, v4 :: v_dual_lshlrev_b32 v9, 2, v9
	s_delay_alu instid0(VALU_DEP_1) | instskip(NEXT) | instid1(VALU_DEP_2)
	v_and_b32_e32 v9, 0xfc, v9
	v_cmp_eq_u64_e32 vcc_lo, 0, v[4:5]
	s_delay_alu instid0(VALU_DEP_2)
	v_and_or_b32 v4, v4, 3, v9
	s_and_b32 s13, s13, vcc_lo
	s_delay_alu instid0(VALU_DEP_1) | instid1(SALU_CYCLE_1)
	v_cndmask_b32_e64 v4, v4, 0, s13
	s_delay_alu instid0(VALU_DEP_1)
	v_or_b32_e32 v107, v4, v2
.LBB4_1454:                             ;   in Loop: Header=BB4_136 Depth=3
	s_or_b32 exec_lo, exec_lo, s76
                                        ; implicit-def: $vgpr2
.LBB4_1455:                             ;   in Loop: Header=BB4_136 Depth=3
	s_and_not1_saveexec_b32 s13, s75
; %bb.1456:                             ;   in Loop: Header=BB4_136 Depth=3
	v_or_b32_e32 v107, 0x7b, v2
; %bb.1457:                             ;   in Loop: Header=BB4_136 Depth=3
	s_or_b32 exec_lo, exec_lo, s13
                                        ; implicit-def: $vgpr8
                                        ; implicit-def: $vgpr4_vgpr5
                                        ; implicit-def: $vgpr2
.LBB4_1458:                             ;   in Loop: Header=BB4_136 Depth=3
	s_and_not1_saveexec_b32 s13, s74
	s_cbranch_execz .LBB4_1464
; %bb.1459:                             ;   in Loop: Header=BB4_136 Depth=3
	s_mov_b32 s74, exec_lo
                                        ; implicit-def: $vgpr107
	v_cmpx_ne_u64_e32 0, v[4:5]
	s_xor_b32 s74, exec_lo, s74
; %bb.1460:                             ;   in Loop: Header=BB4_136 Depth=3
	v_or_b32_e32 v107, 0x7f, v2
                                        ; implicit-def: $vgpr8
; %bb.1461:                             ;   in Loop: Header=BB4_136 Depth=3
	s_and_not1_saveexec_b32 s74, s74
; %bb.1462:                             ;   in Loop: Header=BB4_136 Depth=3
	v_cmp_lt_i32_e32 vcc_lo, -1, v8
	v_cndmask_b32_e32 v107, 0xfc, v49, vcc_lo
; %bb.1463:                             ;   in Loop: Header=BB4_136 Depth=3
	s_or_b32 exec_lo, exec_lo, s74
.LBB4_1464:                             ;   in Loop: Header=BB4_136 Depth=3
	s_delay_alu instid0(SALU_CYCLE_1) | instskip(SKIP_4) | instid1(VALU_DEP_3)
	s_or_b32 exec_lo, exec_lo, s13
	v_and_b32_e32 v8, 0xff, v11
	v_dual_mov_b32 v4, v11 :: v_dual_mov_b32 v5, v3
	v_mov_b32_e32 v2, 0
	s_mov_b32 s74, exec_lo
	v_cmpx_ne_u16_e32 0, v8
	s_cbranch_execz .LBB4_1474
; %bb.1465:                             ;   in Loop: Header=BB4_136 Depth=3
	v_bfrev_b32_e32 v2, 1
	s_mov_b32 s75, exec_lo
	v_cmpx_ne_u16_e32 0x80, v8
	s_cbranch_execz .LBB4_1473
; %bb.1466:                             ;   in Loop: Header=BB4_136 Depth=3
	v_and_b32_e32 v2, 0x7c, v11
	v_and_b32_e32 v8, 3, v11
	s_delay_alu instid0(VALU_DEP_2) | instskip(SKIP_1) | instid1(SALU_CYCLE_1)
	v_cmp_ne_u32_e32 vcc_lo, 0x7c, v2
                                        ; implicit-def: $vgpr2
	s_and_saveexec_b32 s13, vcc_lo
	s_xor_b32 s13, exec_lo, s13
	s_cbranch_execz .LBB4_1470
; %bb.1467:                             ;   in Loop: Header=BB4_136 Depth=3
	v_bfe_u32 v2, v11, 2, 5
	s_mov_b32 s76, exec_lo
	s_delay_alu instid0(VALU_DEP_1)
	v_cmpx_eq_u32_e32 0, v2
; %bb.1468:                             ;   in Loop: Header=BB4_136 Depth=3
	v_clz_i32_u32_e32 v2, v8
	s_delay_alu instid0(VALU_DEP_1) | instskip(NEXT) | instid1(VALU_DEP_1)
	v_min_u32_e32 v2, 32, v2
	v_subrev_nc_u32_e32 v8, 29, v2
	s_delay_alu instid0(VALU_DEP_1) | instskip(NEXT) | instid1(VALU_DEP_1)
	v_lshlrev_b64_e32 v[8:9], v8, v[4:5]
	v_dual_sub_nc_u32 v2, 30, v2 :: v_dual_bitop2_b32 v8, 3, v8 bitop3:0x40
; %bb.1469:                             ;   in Loop: Header=BB4_136 Depth=3
	s_or_b32 exec_lo, exec_lo, s76
	v_lshlrev_b32_e32 v5, 24, v11
	s_delay_alu instid0(VALU_DEP_1) | instskip(NEXT) | instid1(VALU_DEP_1)
	v_and_b32_e32 v5, 0x80000000, v5
	v_lshl_add_u32 v2, v2, 23, v5
	s_delay_alu instid0(VALU_DEP_1) | instskip(NEXT) | instid1(VALU_DEP_1)
	v_lshl_or_b32 v2, v8, 21, v2
                                        ; implicit-def: $vgpr8
	v_add_nc_u32_e32 v2, 0x38000000, v2
.LBB4_1470:                             ;   in Loop: Header=BB4_136 Depth=3
	s_and_not1_saveexec_b32 s76, s13
; %bb.1471:                             ;   in Loop: Header=BB4_136 Depth=3
	v_bfe_i32 v2, v11, 0, 8
	v_cmp_eq_u32_e32 vcc_lo, 0, v8
	s_delay_alu instid0(VALU_DEP_2) | instskip(NEXT) | instid1(VALU_DEP_1)
	v_cmp_lt_i16_e64 s13, -1, v2
	v_cndmask_b32_e64 v2, 0xff800000, v48, s13
	s_delay_alu instid0(VALU_DEP_1)
	v_cndmask_b32_e32 v2, 0x7f800001, v2, vcc_lo
; %bb.1472:                             ;   in Loop: Header=BB4_136 Depth=3
	s_or_b32 exec_lo, exec_lo, s76
.LBB4_1473:                             ;   in Loop: Header=BB4_136 Depth=3
	s_delay_alu instid0(SALU_CYCLE_1)
	s_or_b32 exec_lo, exec_lo, s75
.LBB4_1474:                             ;   in Loop: Header=BB4_136 Depth=3
	s_delay_alu instid0(SALU_CYCLE_1) | instskip(NEXT) | instid1(VALU_DEP_1)
	s_or_b32 exec_lo, exec_lo, s74
	v_dual_mul_f32 v5, s73, v2 :: v_dual_mov_b32 v17, v3
	v_mov_b32_e32 v9, v3
                                        ; implicit-def: $vgpr108
	s_mov_b32 s13, exec_lo
	s_delay_alu instid0(VALU_DEP_2) | instskip(SKIP_2) | instid1(VALU_DEP_3)
	v_and_b32_e32 v16, 0x7f800000, v5
	v_and_b32_e32 v8, 0x7fffff, v5
	v_lshrrev_b32_e32 v2, 24, v5
	v_cmpx_ne_u64_e32 0x7f800000, v[16:17]
	s_xor_b32 s74, exec_lo, s13
	s_cbranch_execz .LBB4_1488
; %bb.1475:                             ;   in Loop: Header=BB4_136 Depth=3
	v_and_b32_e32 v16, 0x7fffffff, v5
	v_mov_b32_e32 v17, v3
	v_and_b32_e32 v2, 0x80, v2
                                        ; implicit-def: $vgpr108
	s_mov_b32 s13, exec_lo
	s_delay_alu instid0(VALU_DEP_2)
	v_cmpx_gt_u64_e32 0x47600001, v[16:17]
	s_xor_b32 s75, exec_lo, s13
	s_cbranch_execz .LBB4_1485
; %bb.1476:                             ;   in Loop: Header=BB4_136 Depth=3
	v_mov_b32_e32 v108, 0
	s_mov_b32 s76, exec_lo
	v_cmpx_ne_u32_e32 0, v5
	s_cbranch_execz .LBB4_1484
; %bb.1477:                             ;   in Loop: Header=BB4_136 Depth=3
	v_bfe_u32 v5, v5, 23, 8
	v_or_b32_e32 v17, 0x800000, v8
	s_delay_alu instid0(VALU_DEP_2) | instskip(SKIP_2) | instid1(VALU_DEP_2)
	v_cmp_gt_u32_e64 s13, 0x72, v5
	v_sub_nc_u32_e32 v16, 0x71, v5
	v_cmp_eq_u32_e32 vcc_lo, 0, v5
	v_cndmask_b32_e64 v16, 0, v16, s13
	s_delay_alu instid0(VALU_DEP_1) | instskip(NEXT) | instid1(VALU_DEP_1)
	v_cndmask_b32_e64 v18, v16, 0x70, vcc_lo
	v_dual_cndmask_b32 v8, v17, v8, vcc_lo :: v_dual_add_nc_u32 v16, 21, v18
	v_add_nc_u32_e32 v19, 20, v18
	s_delay_alu instid0(VALU_DEP_2) | instskip(NEXT) | instid1(VALU_DEP_2)
	v_lshlrev_b64_e64 v[16:17], v16, -1
	v_lshlrev_b64_e64 v[86:87], v19, 1
	s_delay_alu instid0(VALU_DEP_2) | instskip(SKIP_1) | instid1(VALU_DEP_4)
	v_bfi_b32 v16, v16, 0, v8
	v_lshrrev_b64 v[8:9], v18, v[8:9]
	v_bfi_b32 v17, v17, 0, 0
	s_delay_alu instid0(VALU_DEP_1) | instskip(NEXT) | instid1(VALU_DEP_3)
	v_cmp_eq_u64_e64 s13, v[16:17], v[86:87]
	v_mov_b64_e32 v[16:17], v[8:9]
	s_and_saveexec_b32 s77, s13
; %bb.1478:                             ;   in Loop: Header=BB4_136 Depth=3
	v_bfe_u32 v16, v8, 21, 1
	v_mov_b32_e32 v17, v3
	s_delay_alu instid0(VALU_DEP_1) | instskip(NEXT) | instid1(VALU_DEP_1)
	v_add_nc_u64_e32 v[16:17], v[8:9], v[16:17]
	v_add_nc_u64_e32 v[16:17], -1, v[16:17]
; %bb.1479:                             ;   in Loop: Header=BB4_136 Depth=3
	s_or_b32 exec_lo, exec_lo, s77
	v_add_nc_u32_e32 v5, 0xffffff81, v5
	v_lshrrev_b32_e32 v9, 23, v8
	s_mov_b32 s13, exec_lo
	s_delay_alu instid0(VALU_DEP_2) | instskip(NEXT) | instid1(VALU_DEP_1)
	v_cndmask_b32_e64 v5, v5, 0xffffff82, vcc_lo
	v_add3_u32 v17, v18, v5, v9
	v_and_b32_e32 v5, 0x1fffff, v16
	s_delay_alu instid0(VALU_DEP_2) | instskip(NEXT) | instid1(VALU_DEP_2)
	v_dual_mov_b32 v9, v3 :: v_dual_add_nc_u32 v16, 14, v17
	v_add_nc_u32_e32 v8, v5, v8
                                        ; implicit-def: $vgpr5
	s_delay_alu instid0(VALU_DEP_2)
	v_cmpx_ne_u32_e32 0, v16
	s_xor_b32 s13, exec_lo, s13
; %bb.1480:                             ;   in Loop: Header=BB4_136 Depth=3
	s_delay_alu instid0(VALU_DEP_2) | instskip(SKIP_1) | instid1(VALU_DEP_1)
	v_cmp_lt_u64_e32 vcc_lo, 0xffffff, v[8:9]
	v_add_nc_u32_e32 v5, 15, v17
	v_cndmask_b32_e32 v5, v16, v5, vcc_lo
	v_cndmask_b32_e64 v16, 0, 1, vcc_lo
	s_delay_alu instid0(VALU_DEP_1)
	v_lshrrev_b64 v[8:9], v16, v[8:9]
; %bb.1481:                             ;   in Loop: Header=BB4_136 Depth=3
	s_and_not1_saveexec_b32 s13, s13
; %bb.1482:                             ;   in Loop: Header=BB4_136 Depth=3
	s_delay_alu instid0(VALU_DEP_1)
	v_bfe_u32 v5, v8, 23, 1
; %bb.1483:                             ;   in Loop: Header=BB4_136 Depth=3
	s_or_b32 exec_lo, exec_lo, s13
	s_delay_alu instid0(VALU_DEP_2) | instskip(NEXT) | instid1(VALU_DEP_2)
	v_lshrrev_b64 v[8:9], 21, v[8:9]
	v_cmp_gt_i32_e32 vcc_lo, 32, v5
	v_min_i32_e32 v16, 31, v5
	v_cmp_eq_u32_e64 s13, 0, v5
	s_delay_alu instid0(VALU_DEP_4) | instskip(NEXT) | instid1(VALU_DEP_3)
	v_cndmask_b32_e32 v8, 3, v8, vcc_lo
	v_dual_cndmask_b32 v9, 0, v9 :: v_dual_lshlrev_b32 v16, 2, v16
	s_delay_alu instid0(VALU_DEP_1) | instskip(NEXT) | instid1(VALU_DEP_2)
	v_and_b32_e32 v16, 0xfc, v16
	v_cmp_eq_u64_e32 vcc_lo, 0, v[8:9]
	s_delay_alu instid0(VALU_DEP_2)
	v_and_or_b32 v5, v8, 3, v16
	s_and_b32 s13, s13, vcc_lo
	s_delay_alu instid0(VALU_DEP_1) | instid1(SALU_CYCLE_1)
	v_cndmask_b32_e64 v5, v5, 0, s13
	s_delay_alu instid0(VALU_DEP_1)
	v_or_b32_e32 v108, v5, v2
.LBB4_1484:                             ;   in Loop: Header=BB4_136 Depth=3
	s_or_b32 exec_lo, exec_lo, s76
                                        ; implicit-def: $vgpr2
.LBB4_1485:                             ;   in Loop: Header=BB4_136 Depth=3
	s_and_not1_saveexec_b32 s13, s75
; %bb.1486:                             ;   in Loop: Header=BB4_136 Depth=3
	v_or_b32_e32 v108, 0x7b, v2
; %bb.1487:                             ;   in Loop: Header=BB4_136 Depth=3
	s_or_b32 exec_lo, exec_lo, s13
                                        ; implicit-def: $vgpr5
                                        ; implicit-def: $vgpr8_vgpr9
                                        ; implicit-def: $vgpr2
.LBB4_1488:                             ;   in Loop: Header=BB4_136 Depth=3
	s_and_not1_saveexec_b32 s13, s74
	s_cbranch_execz .LBB4_1494
; %bb.1489:                             ;   in Loop: Header=BB4_136 Depth=3
	s_mov_b32 s74, exec_lo
                                        ; implicit-def: $vgpr108
	v_cmpx_ne_u64_e32 0, v[8:9]
	s_xor_b32 s74, exec_lo, s74
; %bb.1490:                             ;   in Loop: Header=BB4_136 Depth=3
	v_or_b32_e32 v108, 0x7f, v2
                                        ; implicit-def: $vgpr5
; %bb.1491:                             ;   in Loop: Header=BB4_136 Depth=3
	s_and_not1_saveexec_b32 s74, s74
; %bb.1492:                             ;   in Loop: Header=BB4_136 Depth=3
	v_cmp_lt_i32_e32 vcc_lo, -1, v5
	v_cndmask_b32_e32 v108, 0xfc, v49, vcc_lo
; %bb.1493:                             ;   in Loop: Header=BB4_136 Depth=3
	s_or_b32 exec_lo, exec_lo, s74
.LBB4_1494:                             ;   in Loop: Header=BB4_136 Depth=3
	s_delay_alu instid0(SALU_CYCLE_1) | instskip(SKIP_3) | instid1(VALU_DEP_2)
	s_or_b32 exec_lo, exec_lo, s13
	v_lshrrev_b16 v8, 8, v4
	v_mov_b32_e32 v2, 0
	s_mov_b32 s74, exec_lo
	v_cmpx_ne_u16_e32 0, v8
	s_cbranch_execz .LBB4_1504
; %bb.1495:                             ;   in Loop: Header=BB4_136 Depth=3
	v_bfrev_b32_e32 v2, 1
	s_mov_b32 s75, exec_lo
	v_cmpx_ne_u16_e32 0x80, v8
	s_cbranch_execz .LBB4_1503
; %bb.1496:                             ;   in Loop: Header=BB4_136 Depth=3
	v_and_b32_e32 v5, 0xffff, v8
	s_delay_alu instid0(VALU_DEP_1) | instskip(SKIP_1) | instid1(VALU_DEP_2)
	v_and_b32_e32 v2, 0x7c, v5
	v_and_b32_e32 v9, 3, v5
	v_cmp_ne_u32_e32 vcc_lo, 0x7c, v2
                                        ; implicit-def: $vgpr2
	s_and_saveexec_b32 s13, vcc_lo
	s_delay_alu instid0(SALU_CYCLE_1)
	s_xor_b32 s13, exec_lo, s13
	s_cbranch_execz .LBB4_1500
; %bb.1497:                             ;   in Loop: Header=BB4_136 Depth=3
	v_bfe_u32 v2, v5, 2, 5
	s_mov_b32 s76, exec_lo
	s_delay_alu instid0(VALU_DEP_1)
	v_cmpx_eq_u32_e32 0, v2
	s_cbranch_execz .LBB4_1499
; %bb.1498:                             ;   in Loop: Header=BB4_136 Depth=3
	v_clz_i32_u32_e32 v2, v9
	s_delay_alu instid0(VALU_DEP_1) | instskip(SKIP_1) | instid1(VALU_DEP_2)
	v_min_u32_e32 v2, 32, v2
	v_mov_b32_e32 v9, v3
	v_subrev_nc_u32_e32 v5, 29, v2
	v_sub_nc_u32_e32 v2, 30, v2
	s_delay_alu instid0(VALU_DEP_2) | instskip(NEXT) | instid1(VALU_DEP_1)
	v_lshlrev_b64_e32 v[8:9], v5, v[8:9]
	v_and_b32_e32 v9, 3, v8
.LBB4_1499:                             ;   in Loop: Header=BB4_136 Depth=3
	s_or_b32 exec_lo, exec_lo, s76
	v_lshlrev_b32_e32 v4, 16, v4
	s_delay_alu instid0(VALU_DEP_1) | instskip(NEXT) | instid1(VALU_DEP_1)
	v_and_b32_e32 v4, 0x80000000, v4
	v_lshl_add_u32 v2, v2, 23, v4
                                        ; implicit-def: $vgpr4_vgpr5
	s_delay_alu instid0(VALU_DEP_1) | instskip(NEXT) | instid1(VALU_DEP_1)
	v_lshl_or_b32 v2, v9, 21, v2
                                        ; implicit-def: $vgpr9
	v_add_nc_u32_e32 v2, 0x38000000, v2
.LBB4_1500:                             ;   in Loop: Header=BB4_136 Depth=3
	s_and_not1_saveexec_b32 s76, s13
; %bb.1501:                             ;   in Loop: Header=BB4_136 Depth=3
	v_cmp_lt_i16_e64 s13, -1, v4
	v_cmp_eq_u32_e32 vcc_lo, 0, v9
	s_delay_alu instid0(VALU_DEP_2) | instskip(NEXT) | instid1(VALU_DEP_1)
	v_cndmask_b32_e64 v2, 0xff800000, v48, s13
	v_cndmask_b32_e32 v2, 0x7f800001, v2, vcc_lo
; %bb.1502:                             ;   in Loop: Header=BB4_136 Depth=3
	s_or_b32 exec_lo, exec_lo, s76
.LBB4_1503:                             ;   in Loop: Header=BB4_136 Depth=3
	s_delay_alu instid0(SALU_CYCLE_1)
	s_or_b32 exec_lo, exec_lo, s75
.LBB4_1504:                             ;   in Loop: Header=BB4_136 Depth=3
	s_delay_alu instid0(SALU_CYCLE_1) | instskip(NEXT) | instid1(VALU_DEP_1)
	s_or_b32 exec_lo, exec_lo, s74
	v_dual_mul_f32 v8, s73, v2 :: v_dual_mov_b32 v17, v3
	v_mov_b32_e32 v5, v3
                                        ; implicit-def: $vgpr109
	s_mov_b32 s13, exec_lo
	s_delay_alu instid0(VALU_DEP_2) | instskip(SKIP_2) | instid1(VALU_DEP_3)
	v_and_b32_e32 v16, 0x7f800000, v8
	v_and_b32_e32 v4, 0x7fffff, v8
	v_lshrrev_b32_e32 v2, 24, v8
	v_cmpx_ne_u64_e32 0x7f800000, v[16:17]
	s_xor_b32 s74, exec_lo, s13
	s_cbranch_execz .LBB4_1518
; %bb.1505:                             ;   in Loop: Header=BB4_136 Depth=3
	v_and_b32_e32 v16, 0x7fffffff, v8
	v_mov_b32_e32 v17, v3
	v_and_b32_e32 v2, 0x80, v2
                                        ; implicit-def: $vgpr109
	s_mov_b32 s13, exec_lo
	s_delay_alu instid0(VALU_DEP_2)
	v_cmpx_gt_u64_e32 0x47600001, v[16:17]
	s_xor_b32 s75, exec_lo, s13
	s_cbranch_execz .LBB4_1515
; %bb.1506:                             ;   in Loop: Header=BB4_136 Depth=3
	v_mov_b32_e32 v109, 0
	s_mov_b32 s76, exec_lo
	v_cmpx_ne_u32_e32 0, v8
	s_cbranch_execz .LBB4_1514
; %bb.1507:                             ;   in Loop: Header=BB4_136 Depth=3
	v_bfe_u32 v16, v8, 23, 8
	v_or_b32_e32 v9, 0x800000, v4
	s_delay_alu instid0(VALU_DEP_2) | instskip(SKIP_2) | instid1(VALU_DEP_2)
	v_cmp_gt_u32_e64 s13, 0x72, v16
	v_sub_nc_u32_e32 v8, 0x71, v16
	v_cmp_eq_u32_e32 vcc_lo, 0, v16
	v_cndmask_b32_e64 v8, 0, v8, s13
	s_delay_alu instid0(VALU_DEP_1) | instskip(NEXT) | instid1(VALU_DEP_1)
	v_cndmask_b32_e64 v17, v8, 0x70, vcc_lo
	v_dual_cndmask_b32 v4, v9, v4, vcc_lo :: v_dual_add_nc_u32 v8, 21, v17
	v_add_nc_u32_e32 v18, 20, v17
	s_delay_alu instid0(VALU_DEP_2) | instskip(NEXT) | instid1(VALU_DEP_2)
	v_lshlrev_b64_e64 v[8:9], v8, -1
	v_lshlrev_b64_e64 v[18:19], v18, 1
	s_delay_alu instid0(VALU_DEP_2) | instskip(SKIP_1) | instid1(VALU_DEP_4)
	v_bfi_b32 v8, v8, 0, v4
	v_lshrrev_b64 v[4:5], v17, v[4:5]
	v_bfi_b32 v9, v9, 0, 0
	s_delay_alu instid0(VALU_DEP_1) | instskip(NEXT) | instid1(VALU_DEP_3)
	v_cmp_eq_u64_e64 s13, v[8:9], v[18:19]
	v_mov_b64_e32 v[8:9], v[4:5]
	s_and_saveexec_b32 s77, s13
; %bb.1508:                             ;   in Loop: Header=BB4_136 Depth=3
	v_bfe_u32 v8, v4, 21, 1
	v_mov_b32_e32 v9, v3
	s_delay_alu instid0(VALU_DEP_1) | instskip(NEXT) | instid1(VALU_DEP_1)
	v_add_nc_u64_e32 v[8:9], v[4:5], v[8:9]
	v_add_nc_u64_e32 v[8:9], -1, v[8:9]
; %bb.1509:                             ;   in Loop: Header=BB4_136 Depth=3
	s_or_b32 exec_lo, exec_lo, s77
	v_add_nc_u32_e32 v5, 0xffffff81, v16
	v_lshrrev_b32_e32 v9, 23, v4
	s_mov_b32 s13, exec_lo
	s_delay_alu instid0(VALU_DEP_2) | instskip(NEXT) | instid1(VALU_DEP_1)
	v_cndmask_b32_e64 v5, v5, 0xffffff82, vcc_lo
	v_add3_u32 v16, v17, v5, v9
	v_and_b32_e32 v5, 0x1fffff, v8
                                        ; implicit-def: $vgpr8
	s_delay_alu instid0(VALU_DEP_2) | instskip(NEXT) | instid1(VALU_DEP_2)
	v_add_nc_u32_e32 v9, 14, v16
	v_dual_mov_b32 v5, v3 :: v_dual_add_nc_u32 v4, v5, v4
	s_delay_alu instid0(VALU_DEP_2)
	v_cmpx_ne_u32_e32 0, v9
	s_xor_b32 s13, exec_lo, s13
; %bb.1510:                             ;   in Loop: Header=BB4_136 Depth=3
	s_delay_alu instid0(VALU_DEP_2) | instskip(SKIP_1) | instid1(VALU_DEP_1)
	v_cmp_lt_u64_e32 vcc_lo, 0xffffff, v[4:5]
	v_add_nc_u32_e32 v8, 15, v16
	v_cndmask_b32_e32 v8, v9, v8, vcc_lo
	v_cndmask_b32_e64 v9, 0, 1, vcc_lo
	s_delay_alu instid0(VALU_DEP_1)
	v_lshrrev_b64 v[4:5], v9, v[4:5]
; %bb.1511:                             ;   in Loop: Header=BB4_136 Depth=3
	s_and_not1_saveexec_b32 s13, s13
; %bb.1512:                             ;   in Loop: Header=BB4_136 Depth=3
	s_delay_alu instid0(VALU_DEP_1)
	v_bfe_u32 v8, v4, 23, 1
; %bb.1513:                             ;   in Loop: Header=BB4_136 Depth=3
	s_or_b32 exec_lo, exec_lo, s13
	s_delay_alu instid0(VALU_DEP_2) | instskip(NEXT) | instid1(VALU_DEP_2)
	v_lshrrev_b64 v[4:5], 21, v[4:5]
	v_cmp_gt_i32_e32 vcc_lo, 32, v8
	v_min_i32_e32 v9, 31, v8
	v_cmp_eq_u32_e64 s13, 0, v8
	s_delay_alu instid0(VALU_DEP_4) | instskip(NEXT) | instid1(VALU_DEP_3)
	v_cndmask_b32_e32 v5, 0, v5, vcc_lo
	v_dual_cndmask_b32 v4, 3, v4 :: v_dual_lshlrev_b32 v9, 2, v9
	s_delay_alu instid0(VALU_DEP_1) | instskip(NEXT) | instid1(VALU_DEP_2)
	v_and_b32_e32 v9, 0xfc, v9
	v_cmp_eq_u64_e32 vcc_lo, 0, v[4:5]
	s_delay_alu instid0(VALU_DEP_2)
	v_and_or_b32 v4, v4, 3, v9
	s_and_b32 s13, s13, vcc_lo
	s_delay_alu instid0(VALU_DEP_1) | instid1(SALU_CYCLE_1)
	v_cndmask_b32_e64 v4, v4, 0, s13
	s_delay_alu instid0(VALU_DEP_1)
	v_or_b32_e32 v109, v4, v2
.LBB4_1514:                             ;   in Loop: Header=BB4_136 Depth=3
	s_or_b32 exec_lo, exec_lo, s76
                                        ; implicit-def: $vgpr2
.LBB4_1515:                             ;   in Loop: Header=BB4_136 Depth=3
	s_and_not1_saveexec_b32 s13, s75
; %bb.1516:                             ;   in Loop: Header=BB4_136 Depth=3
	v_or_b32_e32 v109, 0x7b, v2
; %bb.1517:                             ;   in Loop: Header=BB4_136 Depth=3
	s_or_b32 exec_lo, exec_lo, s13
                                        ; implicit-def: $vgpr8
                                        ; implicit-def: $vgpr4_vgpr5
                                        ; implicit-def: $vgpr2
.LBB4_1518:                             ;   in Loop: Header=BB4_136 Depth=3
	s_and_not1_saveexec_b32 s13, s74
	s_cbranch_execz .LBB4_1524
; %bb.1519:                             ;   in Loop: Header=BB4_136 Depth=3
	s_mov_b32 s74, exec_lo
                                        ; implicit-def: $vgpr109
	v_cmpx_ne_u64_e32 0, v[4:5]
	s_xor_b32 s74, exec_lo, s74
; %bb.1520:                             ;   in Loop: Header=BB4_136 Depth=3
	v_or_b32_e32 v109, 0x7f, v2
                                        ; implicit-def: $vgpr8
; %bb.1521:                             ;   in Loop: Header=BB4_136 Depth=3
	s_and_not1_saveexec_b32 s74, s74
; %bb.1522:                             ;   in Loop: Header=BB4_136 Depth=3
	v_cmp_lt_i32_e32 vcc_lo, -1, v8
	v_cndmask_b32_e32 v109, 0xfc, v49, vcc_lo
; %bb.1523:                             ;   in Loop: Header=BB4_136 Depth=3
	s_or_b32 exec_lo, exec_lo, s74
.LBB4_1524:                             ;   in Loop: Header=BB4_136 Depth=3
	s_delay_alu instid0(SALU_CYCLE_1) | instskip(SKIP_2) | instid1(VALU_DEP_1)
	s_or_b32 exec_lo, exec_lo, s13
	v_dual_lshrrev_b32 v2, 16, v11 :: v_dual_mov_b32 v4, 0
	s_mov_b32 s74, exec_lo
	v_and_b32_e32 v5, 0xff, v2
	s_delay_alu instid0(VALU_DEP_1)
	v_cmpx_ne_u16_e32 0, v5
	s_cbranch_execz .LBB4_1534
; %bb.1525:                             ;   in Loop: Header=BB4_136 Depth=3
	v_bfrev_b32_e32 v4, 1
	s_mov_b32 s75, exec_lo
	v_cmpx_ne_u16_e32 0x80, v5
	s_cbranch_execz .LBB4_1533
; %bb.1526:                             ;   in Loop: Header=BB4_136 Depth=3
	v_and_b32_e32 v4, 0x7c0000, v11
	v_bfe_u32 v5, v11, 16, 2
	s_delay_alu instid0(VALU_DEP_2) | instskip(SKIP_1) | instid1(SALU_CYCLE_1)
	v_cmp_ne_u32_e32 vcc_lo, 0x7c0000, v4
                                        ; implicit-def: $vgpr4
	s_and_saveexec_b32 s13, vcc_lo
	s_xor_b32 s13, exec_lo, s13
	s_cbranch_execz .LBB4_1530
; %bb.1527:                             ;   in Loop: Header=BB4_136 Depth=3
	v_bfe_u32 v4, v11, 18, 5
	s_mov_b32 s76, exec_lo
	s_delay_alu instid0(VALU_DEP_1)
	v_cmpx_eq_u32_e32 0, v4
; %bb.1528:                             ;   in Loop: Header=BB4_136 Depth=3
	v_clz_i32_u32_e32 v4, v5
	s_delay_alu instid0(VALU_DEP_1) | instskip(NEXT) | instid1(VALU_DEP_1)
	v_min_u32_e32 v4, 32, v4
	v_subrev_nc_u32_e32 v5, 29, v4
	v_sub_nc_u32_e32 v4, 30, v4
	s_delay_alu instid0(VALU_DEP_2) | instskip(NEXT) | instid1(VALU_DEP_1)
	v_lshlrev_b64_e32 v[8:9], v5, v[2:3]
	v_and_b32_e32 v5, 3, v8
; %bb.1529:                             ;   in Loop: Header=BB4_136 Depth=3
	s_or_b32 exec_lo, exec_lo, s76
	v_lshlrev_b32_e32 v2, 24, v2
	s_delay_alu instid0(VALU_DEP_1) | instskip(NEXT) | instid1(VALU_DEP_1)
	v_and_b32_e32 v2, 0x80000000, v2
	v_lshl_add_u32 v2, v4, 23, v2
	s_delay_alu instid0(VALU_DEP_1) | instskip(NEXT) | instid1(VALU_DEP_1)
	v_lshl_or_b32 v2, v5, 21, v2
                                        ; implicit-def: $vgpr5
	v_add_nc_u32_e32 v4, 0x38000000, v2
                                        ; implicit-def: $vgpr2
.LBB4_1530:                             ;   in Loop: Header=BB4_136 Depth=3
	s_and_not1_saveexec_b32 s76, s13
; %bb.1531:                             ;   in Loop: Header=BB4_136 Depth=3
	v_bfe_i32 v2, v2, 0, 8
	v_cmp_eq_u32_e32 vcc_lo, 0, v5
	s_delay_alu instid0(VALU_DEP_2) | instskip(NEXT) | instid1(VALU_DEP_1)
	v_cmp_lt_i16_e64 s13, -1, v2
	v_cndmask_b32_e64 v2, 0xff800000, v48, s13
	s_delay_alu instid0(VALU_DEP_1)
	v_cndmask_b32_e32 v4, 0x7f800001, v2, vcc_lo
; %bb.1532:                             ;   in Loop: Header=BB4_136 Depth=3
	s_or_b32 exec_lo, exec_lo, s76
.LBB4_1533:                             ;   in Loop: Header=BB4_136 Depth=3
	s_delay_alu instid0(SALU_CYCLE_1)
	s_or_b32 exec_lo, exec_lo, s75
.LBB4_1534:                             ;   in Loop: Header=BB4_136 Depth=3
	s_delay_alu instid0(SALU_CYCLE_1) | instskip(NEXT) | instid1(VALU_DEP_1)
	s_or_b32 exec_lo, exec_lo, s74
	v_dual_mul_f32 v8, s73, v4 :: v_dual_mov_b32 v17, v3
	v_mov_b32_e32 v5, v3
                                        ; implicit-def: $vgpr110
	s_mov_b32 s13, exec_lo
	s_delay_alu instid0(VALU_DEP_2) | instskip(SKIP_2) | instid1(VALU_DEP_3)
	v_and_b32_e32 v16, 0x7f800000, v8
	v_and_b32_e32 v4, 0x7fffff, v8
	v_lshrrev_b32_e32 v2, 24, v8
	v_cmpx_ne_u64_e32 0x7f800000, v[16:17]
	s_xor_b32 s74, exec_lo, s13
	s_cbranch_execz .LBB4_1548
; %bb.1535:                             ;   in Loop: Header=BB4_136 Depth=3
	v_and_b32_e32 v16, 0x7fffffff, v8
	v_mov_b32_e32 v17, v3
	v_and_b32_e32 v2, 0x80, v2
                                        ; implicit-def: $vgpr110
	s_mov_b32 s13, exec_lo
	s_delay_alu instid0(VALU_DEP_2)
	v_cmpx_gt_u64_e32 0x47600001, v[16:17]
	s_xor_b32 s75, exec_lo, s13
	s_cbranch_execz .LBB4_1545
; %bb.1536:                             ;   in Loop: Header=BB4_136 Depth=3
	v_mov_b32_e32 v110, 0
	s_mov_b32 s76, exec_lo
	v_cmpx_ne_u32_e32 0, v8
	s_cbranch_execz .LBB4_1544
; %bb.1537:                             ;   in Loop: Header=BB4_136 Depth=3
	v_bfe_u32 v16, v8, 23, 8
	v_or_b32_e32 v9, 0x800000, v4
	s_delay_alu instid0(VALU_DEP_2) | instskip(SKIP_2) | instid1(VALU_DEP_2)
	v_cmp_gt_u32_e64 s13, 0x72, v16
	v_sub_nc_u32_e32 v8, 0x71, v16
	v_cmp_eq_u32_e32 vcc_lo, 0, v16
	v_cndmask_b32_e64 v8, 0, v8, s13
	s_delay_alu instid0(VALU_DEP_1) | instskip(NEXT) | instid1(VALU_DEP_1)
	v_cndmask_b32_e64 v17, v8, 0x70, vcc_lo
	v_dual_cndmask_b32 v4, v9, v4, vcc_lo :: v_dual_add_nc_u32 v8, 21, v17
	v_add_nc_u32_e32 v18, 20, v17
	s_delay_alu instid0(VALU_DEP_2) | instskip(NEXT) | instid1(VALU_DEP_2)
	v_lshlrev_b64_e64 v[8:9], v8, -1
	v_lshlrev_b64_e64 v[18:19], v18, 1
	s_delay_alu instid0(VALU_DEP_2) | instskip(SKIP_1) | instid1(VALU_DEP_4)
	v_bfi_b32 v8, v8, 0, v4
	v_lshrrev_b64 v[4:5], v17, v[4:5]
	v_bfi_b32 v9, v9, 0, 0
	s_delay_alu instid0(VALU_DEP_1) | instskip(NEXT) | instid1(VALU_DEP_3)
	v_cmp_eq_u64_e64 s13, v[8:9], v[18:19]
	v_mov_b64_e32 v[8:9], v[4:5]
	s_and_saveexec_b32 s77, s13
; %bb.1538:                             ;   in Loop: Header=BB4_136 Depth=3
	v_bfe_u32 v8, v4, 21, 1
	v_mov_b32_e32 v9, v3
	s_delay_alu instid0(VALU_DEP_1) | instskip(NEXT) | instid1(VALU_DEP_1)
	v_add_nc_u64_e32 v[8:9], v[4:5], v[8:9]
	v_add_nc_u64_e32 v[8:9], -1, v[8:9]
; %bb.1539:                             ;   in Loop: Header=BB4_136 Depth=3
	s_or_b32 exec_lo, exec_lo, s77
	v_add_nc_u32_e32 v5, 0xffffff81, v16
	v_lshrrev_b32_e32 v9, 23, v4
	s_mov_b32 s13, exec_lo
	s_delay_alu instid0(VALU_DEP_2) | instskip(NEXT) | instid1(VALU_DEP_1)
	v_cndmask_b32_e64 v5, v5, 0xffffff82, vcc_lo
	v_add3_u32 v16, v17, v5, v9
	v_and_b32_e32 v5, 0x1fffff, v8
                                        ; implicit-def: $vgpr8
	s_delay_alu instid0(VALU_DEP_2) | instskip(NEXT) | instid1(VALU_DEP_2)
	v_add_nc_u32_e32 v9, 14, v16
	v_dual_mov_b32 v5, v3 :: v_dual_add_nc_u32 v4, v5, v4
	s_delay_alu instid0(VALU_DEP_2)
	v_cmpx_ne_u32_e32 0, v9
	s_xor_b32 s13, exec_lo, s13
; %bb.1540:                             ;   in Loop: Header=BB4_136 Depth=3
	s_delay_alu instid0(VALU_DEP_2) | instskip(SKIP_1) | instid1(VALU_DEP_1)
	v_cmp_lt_u64_e32 vcc_lo, 0xffffff, v[4:5]
	v_add_nc_u32_e32 v8, 15, v16
	v_cndmask_b32_e32 v8, v9, v8, vcc_lo
	v_cndmask_b32_e64 v9, 0, 1, vcc_lo
	s_delay_alu instid0(VALU_DEP_1)
	v_lshrrev_b64 v[4:5], v9, v[4:5]
; %bb.1541:                             ;   in Loop: Header=BB4_136 Depth=3
	s_and_not1_saveexec_b32 s13, s13
; %bb.1542:                             ;   in Loop: Header=BB4_136 Depth=3
	s_delay_alu instid0(VALU_DEP_1)
	v_bfe_u32 v8, v4, 23, 1
; %bb.1543:                             ;   in Loop: Header=BB4_136 Depth=3
	s_or_b32 exec_lo, exec_lo, s13
	s_delay_alu instid0(VALU_DEP_2) | instskip(NEXT) | instid1(VALU_DEP_2)
	v_lshrrev_b64 v[4:5], 21, v[4:5]
	v_cmp_gt_i32_e32 vcc_lo, 32, v8
	v_min_i32_e32 v9, 31, v8
	v_cmp_eq_u32_e64 s13, 0, v8
	s_delay_alu instid0(VALU_DEP_4) | instskip(NEXT) | instid1(VALU_DEP_3)
	v_cndmask_b32_e32 v5, 0, v5, vcc_lo
	v_dual_cndmask_b32 v4, 3, v4 :: v_dual_lshlrev_b32 v9, 2, v9
	s_delay_alu instid0(VALU_DEP_1) | instskip(NEXT) | instid1(VALU_DEP_2)
	v_and_b32_e32 v9, 0xfc, v9
	v_cmp_eq_u64_e32 vcc_lo, 0, v[4:5]
	s_delay_alu instid0(VALU_DEP_2)
	v_and_or_b32 v4, v4, 3, v9
	s_and_b32 s13, s13, vcc_lo
	s_delay_alu instid0(VALU_DEP_1) | instid1(SALU_CYCLE_1)
	v_cndmask_b32_e64 v4, v4, 0, s13
	s_delay_alu instid0(VALU_DEP_1)
	v_or_b32_e32 v110, v4, v2
.LBB4_1544:                             ;   in Loop: Header=BB4_136 Depth=3
	s_or_b32 exec_lo, exec_lo, s76
                                        ; implicit-def: $vgpr2
.LBB4_1545:                             ;   in Loop: Header=BB4_136 Depth=3
	s_and_not1_saveexec_b32 s13, s75
; %bb.1546:                             ;   in Loop: Header=BB4_136 Depth=3
	v_or_b32_e32 v110, 0x7b, v2
; %bb.1547:                             ;   in Loop: Header=BB4_136 Depth=3
	s_or_b32 exec_lo, exec_lo, s13
                                        ; implicit-def: $vgpr8
                                        ; implicit-def: $vgpr4_vgpr5
                                        ; implicit-def: $vgpr2
.LBB4_1548:                             ;   in Loop: Header=BB4_136 Depth=3
	s_and_not1_saveexec_b32 s13, s74
	s_cbranch_execz .LBB4_1554
; %bb.1549:                             ;   in Loop: Header=BB4_136 Depth=3
	s_mov_b32 s74, exec_lo
                                        ; implicit-def: $vgpr110
	v_cmpx_ne_u64_e32 0, v[4:5]
	s_xor_b32 s74, exec_lo, s74
; %bb.1550:                             ;   in Loop: Header=BB4_136 Depth=3
	v_or_b32_e32 v110, 0x7f, v2
                                        ; implicit-def: $vgpr8
; %bb.1551:                             ;   in Loop: Header=BB4_136 Depth=3
	s_and_not1_saveexec_b32 s74, s74
; %bb.1552:                             ;   in Loop: Header=BB4_136 Depth=3
	v_cmp_lt_i32_e32 vcc_lo, -1, v8
	v_cndmask_b32_e32 v110, 0xfc, v49, vcc_lo
; %bb.1553:                             ;   in Loop: Header=BB4_136 Depth=3
	s_or_b32 exec_lo, exec_lo, s74
.LBB4_1554:                             ;   in Loop: Header=BB4_136 Depth=3
	s_delay_alu instid0(SALU_CYCLE_1)
	s_or_b32 exec_lo, exec_lo, s13
	v_mov_b32_e32 v4, 0
	s_mov_b32 s74, exec_lo
	v_cmpx_lt_u64_e64 s[22:23], v[10:11]
	s_cbranch_execz .LBB4_1564
; %bb.1555:                             ;   in Loop: Header=BB4_136 Depth=3
	v_lshrrev_b32_e32 v2, 24, v11
	v_bfrev_b32_e32 v4, 1
	s_mov_b32 s75, exec_lo
	s_delay_alu instid0(VALU_DEP_2)
	v_cmpx_ne_u32_e32 0x80, v2
	s_cbranch_execz .LBB4_1563
; %bb.1556:                             ;   in Loop: Header=BB4_136 Depth=3
	v_and_b32_e32 v4, 0x7c000000, v11
	v_bfe_u32 v5, v11, 24, 2
	s_delay_alu instid0(VALU_DEP_2) | instskip(SKIP_1) | instid1(SALU_CYCLE_1)
	v_cmp_ne_u32_e32 vcc_lo, 0x7c000000, v4
                                        ; implicit-def: $vgpr4
	s_and_saveexec_b32 s13, vcc_lo
	s_xor_b32 s13, exec_lo, s13
	s_cbranch_execz .LBB4_1560
; %bb.1557:                             ;   in Loop: Header=BB4_136 Depth=3
	v_bfe_u32 v4, v11, 26, 5
	s_mov_b32 s76, exec_lo
	s_delay_alu instid0(VALU_DEP_1)
	v_cmpx_eq_u32_e32 0, v4
; %bb.1558:                             ;   in Loop: Header=BB4_136 Depth=3
	v_clz_i32_u32_e32 v4, v5
	s_delay_alu instid0(VALU_DEP_1) | instskip(NEXT) | instid1(VALU_DEP_1)
	v_min_u32_e32 v4, 32, v4
	v_subrev_nc_u32_e32 v5, 29, v4
	v_sub_nc_u32_e32 v4, 30, v4
	s_delay_alu instid0(VALU_DEP_2) | instskip(NEXT) | instid1(VALU_DEP_1)
	v_lshlrev_b64_e32 v[8:9], v5, v[2:3]
	v_and_b32_e32 v5, 3, v8
; %bb.1559:                             ;   in Loop: Header=BB4_136 Depth=3
	s_or_b32 exec_lo, exec_lo, s76
	v_and_b32_e32 v2, 0x80000000, v11
                                        ; implicit-def: $vgpr10_vgpr11
	s_delay_alu instid0(VALU_DEP_1) | instskip(NEXT) | instid1(VALU_DEP_1)
	v_lshl_add_u32 v2, v4, 23, v2
	v_lshl_or_b32 v2, v5, 21, v2
                                        ; implicit-def: $vgpr5
	s_delay_alu instid0(VALU_DEP_1)
	v_add_nc_u32_e32 v4, 0x38000000, v2
.LBB4_1560:                             ;   in Loop: Header=BB4_136 Depth=3
	s_and_not1_saveexec_b32 s76, s13
; %bb.1561:                             ;   in Loop: Header=BB4_136 Depth=3
	v_cmp_lt_i64_e64 s13, -1, v[10:11]
	v_cmp_eq_u32_e32 vcc_lo, 0, v5
	s_delay_alu instid0(VALU_DEP_2) | instskip(NEXT) | instid1(VALU_DEP_1)
	v_cndmask_b32_e64 v2, 0xff800000, v48, s13
	v_cndmask_b32_e32 v4, 0x7f800001, v2, vcc_lo
; %bb.1562:                             ;   in Loop: Header=BB4_136 Depth=3
	s_or_b32 exec_lo, exec_lo, s76
.LBB4_1563:                             ;   in Loop: Header=BB4_136 Depth=3
	s_delay_alu instid0(SALU_CYCLE_1)
	s_or_b32 exec_lo, exec_lo, s75
.LBB4_1564:                             ;   in Loop: Header=BB4_136 Depth=3
	s_delay_alu instid0(SALU_CYCLE_1) | instskip(NEXT) | instid1(VALU_DEP_1)
	s_or_b32 exec_lo, exec_lo, s74
	v_dual_mul_f32 v8, s73, v4 :: v_dual_mov_b32 v11, v3
	v_mov_b32_e32 v5, v3
                                        ; implicit-def: $vgpr111
	s_mov_b32 s13, exec_lo
	s_delay_alu instid0(VALU_DEP_2) | instskip(SKIP_2) | instid1(VALU_DEP_3)
	v_and_b32_e32 v10, 0x7f800000, v8
	v_and_b32_e32 v4, 0x7fffff, v8
	v_lshrrev_b32_e32 v2, 24, v8
	v_cmpx_ne_u64_e32 0x7f800000, v[10:11]
	s_xor_b32 s74, exec_lo, s13
	s_cbranch_execz .LBB4_1578
; %bb.1565:                             ;   in Loop: Header=BB4_136 Depth=3
	v_and_b32_e32 v10, 0x7fffffff, v8
	v_mov_b32_e32 v11, v3
	v_and_b32_e32 v2, 0x80, v2
                                        ; implicit-def: $vgpr111
	s_mov_b32 s13, exec_lo
	s_delay_alu instid0(VALU_DEP_2)
	v_cmpx_gt_u64_e32 0x47600001, v[10:11]
	s_xor_b32 s75, exec_lo, s13
	s_cbranch_execz .LBB4_1575
; %bb.1566:                             ;   in Loop: Header=BB4_136 Depth=3
	v_mov_b32_e32 v111, 0
	s_mov_b32 s76, exec_lo
	v_cmpx_ne_u32_e32 0, v8
	s_cbranch_execz .LBB4_1574
; %bb.1567:                             ;   in Loop: Header=BB4_136 Depth=3
	v_bfe_u32 v10, v8, 23, 8
	v_or_b32_e32 v9, 0x800000, v4
	s_delay_alu instid0(VALU_DEP_2) | instskip(SKIP_2) | instid1(VALU_DEP_2)
	v_cmp_gt_u32_e64 s13, 0x72, v10
	v_sub_nc_u32_e32 v8, 0x71, v10
	v_cmp_eq_u32_e32 vcc_lo, 0, v10
	v_cndmask_b32_e64 v8, 0, v8, s13
	s_delay_alu instid0(VALU_DEP_1) | instskip(NEXT) | instid1(VALU_DEP_1)
	v_cndmask_b32_e64 v11, v8, 0x70, vcc_lo
	v_dual_cndmask_b32 v4, v9, v4, vcc_lo :: v_dual_add_nc_u32 v8, 21, v11
	v_add_nc_u32_e32 v16, 20, v11
	s_delay_alu instid0(VALU_DEP_2) | instskip(NEXT) | instid1(VALU_DEP_2)
	v_lshlrev_b64_e64 v[8:9], v8, -1
	v_lshlrev_b64_e64 v[16:17], v16, 1
	s_delay_alu instid0(VALU_DEP_2) | instskip(SKIP_1) | instid1(VALU_DEP_4)
	v_bfi_b32 v8, v8, 0, v4
	v_lshrrev_b64 v[4:5], v11, v[4:5]
	v_bfi_b32 v9, v9, 0, 0
	s_delay_alu instid0(VALU_DEP_1) | instskip(NEXT) | instid1(VALU_DEP_3)
	v_cmp_eq_u64_e64 s13, v[8:9], v[16:17]
	v_mov_b64_e32 v[8:9], v[4:5]
	s_and_saveexec_b32 s77, s13
; %bb.1568:                             ;   in Loop: Header=BB4_136 Depth=3
	v_bfe_u32 v8, v4, 21, 1
	v_mov_b32_e32 v9, v3
	s_delay_alu instid0(VALU_DEP_1) | instskip(NEXT) | instid1(VALU_DEP_1)
	v_add_nc_u64_e32 v[8:9], v[4:5], v[8:9]
	v_add_nc_u64_e32 v[8:9], -1, v[8:9]
; %bb.1569:                             ;   in Loop: Header=BB4_136 Depth=3
	s_or_b32 exec_lo, exec_lo, s77
	v_add_nc_u32_e32 v5, 0xffffff81, v10
	v_lshrrev_b32_e32 v9, 23, v4
	s_mov_b32 s13, exec_lo
	s_delay_alu instid0(VALU_DEP_2) | instskip(NEXT) | instid1(VALU_DEP_1)
	v_cndmask_b32_e64 v5, v5, 0xffffff82, vcc_lo
	v_add3_u32 v10, v11, v5, v9
	v_and_b32_e32 v5, 0x1fffff, v8
                                        ; implicit-def: $vgpr8
	s_delay_alu instid0(VALU_DEP_1) | instskip(SKIP_1) | instid1(VALU_DEP_2)
	v_dual_add_nc_u32 v9, 14, v10 :: v_dual_add_nc_u32 v4, v5, v4
	v_mov_b32_e32 v5, v3
	v_cmpx_ne_u32_e32 0, v9
	s_xor_b32 s13, exec_lo, s13
; %bb.1570:                             ;   in Loop: Header=BB4_136 Depth=3
	s_delay_alu instid0(VALU_DEP_2) | instskip(SKIP_1) | instid1(VALU_DEP_1)
	v_cmp_lt_u64_e32 vcc_lo, 0xffffff, v[4:5]
	v_add_nc_u32_e32 v8, 15, v10
	v_cndmask_b32_e32 v8, v9, v8, vcc_lo
	v_cndmask_b32_e64 v9, 0, 1, vcc_lo
	s_delay_alu instid0(VALU_DEP_1)
	v_lshrrev_b64 v[4:5], v9, v[4:5]
; %bb.1571:                             ;   in Loop: Header=BB4_136 Depth=3
	s_and_not1_saveexec_b32 s13, s13
; %bb.1572:                             ;   in Loop: Header=BB4_136 Depth=3
	s_delay_alu instid0(VALU_DEP_1)
	v_bfe_u32 v8, v4, 23, 1
; %bb.1573:                             ;   in Loop: Header=BB4_136 Depth=3
	s_or_b32 exec_lo, exec_lo, s13
	s_delay_alu instid0(VALU_DEP_2) | instskip(NEXT) | instid1(VALU_DEP_2)
	v_lshrrev_b64 v[4:5], 21, v[4:5]
	v_cmp_gt_i32_e32 vcc_lo, 32, v8
	v_min_i32_e32 v9, 31, v8
	v_cmp_eq_u32_e64 s13, 0, v8
	s_delay_alu instid0(VALU_DEP_4) | instskip(NEXT) | instid1(VALU_DEP_3)
	v_cndmask_b32_e32 v5, 0, v5, vcc_lo
	v_dual_cndmask_b32 v4, 3, v4 :: v_dual_lshlrev_b32 v9, 2, v9
	s_delay_alu instid0(VALU_DEP_1) | instskip(NEXT) | instid1(VALU_DEP_2)
	v_and_b32_e32 v9, 0xfc, v9
	v_cmp_eq_u64_e32 vcc_lo, 0, v[4:5]
	s_delay_alu instid0(VALU_DEP_2)
	v_and_or_b32 v4, v4, 3, v9
	s_and_b32 s13, s13, vcc_lo
	s_delay_alu instid0(VALU_DEP_1) | instid1(SALU_CYCLE_1)
	v_cndmask_b32_e64 v4, v4, 0, s13
	s_delay_alu instid0(VALU_DEP_1)
	v_or_b32_e32 v111, v4, v2
.LBB4_1574:                             ;   in Loop: Header=BB4_136 Depth=3
	s_or_b32 exec_lo, exec_lo, s76
                                        ; implicit-def: $vgpr2
.LBB4_1575:                             ;   in Loop: Header=BB4_136 Depth=3
	s_and_not1_saveexec_b32 s13, s75
; %bb.1576:                             ;   in Loop: Header=BB4_136 Depth=3
	v_or_b32_e32 v111, 0x7b, v2
; %bb.1577:                             ;   in Loop: Header=BB4_136 Depth=3
	s_or_b32 exec_lo, exec_lo, s13
                                        ; implicit-def: $vgpr8
                                        ; implicit-def: $vgpr4_vgpr5
                                        ; implicit-def: $vgpr2
.LBB4_1578:                             ;   in Loop: Header=BB4_136 Depth=3
	s_and_not1_saveexec_b32 s13, s74
	s_cbranch_execz .LBB4_1584
; %bb.1579:                             ;   in Loop: Header=BB4_136 Depth=3
	s_mov_b32 s74, exec_lo
                                        ; implicit-def: $vgpr111
	v_cmpx_ne_u64_e32 0, v[4:5]
	s_xor_b32 s74, exec_lo, s74
; %bb.1580:                             ;   in Loop: Header=BB4_136 Depth=3
	v_or_b32_e32 v111, 0x7f, v2
                                        ; implicit-def: $vgpr8
; %bb.1581:                             ;   in Loop: Header=BB4_136 Depth=3
	s_and_not1_saveexec_b32 s74, s74
; %bb.1582:                             ;   in Loop: Header=BB4_136 Depth=3
	v_cmp_lt_i32_e32 vcc_lo, -1, v8
	v_cndmask_b32_e32 v111, 0xfc, v49, vcc_lo
; %bb.1583:                             ;   in Loop: Header=BB4_136 Depth=3
	s_or_b32 exec_lo, exec_lo, s74
.LBB4_1584:                             ;   in Loop: Header=BB4_136 Depth=3
	s_delay_alu instid0(SALU_CYCLE_1) | instskip(SKIP_3) | instid1(VALU_DEP_1)
	s_or_b32 exec_lo, exec_lo, s13
	global_load_b128 v[8:11], v[42:43], off offset:1536 th:TH_LOAD_NT
	s_wait_loadcnt 0x0
	v_and_b32_e32 v2, 0xff, v8
	v_cmp_ne_u16_e32 vcc_lo, 0, v2
	v_mov_b32_e32 v2, 0
	s_wait_xcnt 0x0
	s_and_saveexec_b32 s74, vcc_lo
	s_cbranch_execz .LBB4_1594
; %bb.1585:                             ;   in Loop: Header=BB4_136 Depth=3
	v_bfe_i32 v5, v8, 0, 8
	v_bfrev_b32_e32 v2, 1
	s_mov_b32 s75, exec_lo
	s_delay_alu instid0(VALU_DEP_2)
	v_cmpx_ne_u16_e32 0xff80, v5
	s_cbranch_execz .LBB4_1593
; %bb.1586:                             ;   in Loop: Header=BB4_136 Depth=3
	v_and_b32_e32 v2, 0x7c, v8
	v_and_b32_e32 v4, 3, v8
	s_delay_alu instid0(VALU_DEP_2) | instskip(SKIP_1) | instid1(SALU_CYCLE_1)
	v_cmp_ne_u32_e32 vcc_lo, 0x7c, v2
                                        ; implicit-def: $vgpr2
	s_and_saveexec_b32 s13, vcc_lo
	s_xor_b32 s13, exec_lo, s13
	s_cbranch_execz .LBB4_1590
; %bb.1587:                             ;   in Loop: Header=BB4_136 Depth=3
	v_bfe_u32 v2, v8, 2, 5
	s_mov_b32 s76, exec_lo
	s_delay_alu instid0(VALU_DEP_1)
	v_cmpx_eq_u32_e32 0, v2
; %bb.1588:                             ;   in Loop: Header=BB4_136 Depth=3
	v_clz_i32_u32_e32 v2, v4
	s_delay_alu instid0(VALU_DEP_1) | instskip(NEXT) | instid1(VALU_DEP_1)
	v_min_u32_e32 v2, 32, v2
	v_subrev_nc_u32_e32 v4, 29, v2
	s_delay_alu instid0(VALU_DEP_1) | instskip(NEXT) | instid1(VALU_DEP_1)
	v_lshlrev_b64_e32 v[4:5], v4, v[8:9]
	v_dual_sub_nc_u32 v2, 30, v2 :: v_dual_bitop2_b32 v4, 3, v4 bitop3:0x40
; %bb.1589:                             ;   in Loop: Header=BB4_136 Depth=3
	s_or_b32 exec_lo, exec_lo, s76
	v_lshlrev_b32_e32 v5, 24, v8
	s_delay_alu instid0(VALU_DEP_1) | instskip(NEXT) | instid1(VALU_DEP_1)
	v_and_b32_e32 v5, 0x80000000, v5
	v_lshl_add_u32 v2, v2, 23, v5
                                        ; implicit-def: $vgpr5
	s_delay_alu instid0(VALU_DEP_1) | instskip(NEXT) | instid1(VALU_DEP_1)
	v_lshl_or_b32 v2, v4, 21, v2
                                        ; implicit-def: $vgpr4
	v_add_nc_u32_e32 v2, 0x38000000, v2
.LBB4_1590:                             ;   in Loop: Header=BB4_136 Depth=3
	s_and_not1_saveexec_b32 s76, s13
; %bb.1591:                             ;   in Loop: Header=BB4_136 Depth=3
	v_cmp_lt_i16_e64 s13, -1, v5
	v_cmp_eq_u32_e32 vcc_lo, 0, v4
	s_delay_alu instid0(VALU_DEP_2) | instskip(NEXT) | instid1(VALU_DEP_1)
	v_cndmask_b32_e64 v2, 0xff800000, v48, s13
	v_cndmask_b32_e32 v2, 0x7f800001, v2, vcc_lo
; %bb.1592:                             ;   in Loop: Header=BB4_136 Depth=3
	s_or_b32 exec_lo, exec_lo, s76
.LBB4_1593:                             ;   in Loop: Header=BB4_136 Depth=3
	s_delay_alu instid0(SALU_CYCLE_1)
	s_or_b32 exec_lo, exec_lo, s75
.LBB4_1594:                             ;   in Loop: Header=BB4_136 Depth=3
	s_delay_alu instid0(SALU_CYCLE_1) | instskip(NEXT) | instid1(VALU_DEP_1)
	s_or_b32 exec_lo, exec_lo, s74
	v_dual_mul_f32 v16, s73, v2 :: v_dual_mov_b32 v19, v3
	v_mov_b32_e32 v5, v3
                                        ; implicit-def: $vgpr42
	s_mov_b32 s13, exec_lo
	s_delay_alu instid0(VALU_DEP_2) | instskip(SKIP_2) | instid1(VALU_DEP_3)
	v_and_b32_e32 v18, 0x7f800000, v16
	v_and_b32_e32 v4, 0x7fffff, v16
	v_lshrrev_b32_e32 v2, 24, v16
	v_cmpx_ne_u64_e32 0x7f800000, v[18:19]
	s_xor_b32 s74, exec_lo, s13
	s_cbranch_execz .LBB4_1608
; %bb.1595:                             ;   in Loop: Header=BB4_136 Depth=3
	v_and_b32_e32 v18, 0x7fffffff, v16
	v_mov_b32_e32 v19, v3
	v_and_b32_e32 v2, 0x80, v2
                                        ; implicit-def: $vgpr42
	s_mov_b32 s13, exec_lo
	s_delay_alu instid0(VALU_DEP_2)
	v_cmpx_gt_u64_e32 0x47600001, v[18:19]
	s_xor_b32 s75, exec_lo, s13
	s_cbranch_execz .LBB4_1605
; %bb.1596:                             ;   in Loop: Header=BB4_136 Depth=3
	v_mov_b32_e32 v42, 0
	s_mov_b32 s76, exec_lo
	v_cmpx_ne_u32_e32 0, v16
	s_cbranch_execz .LBB4_1604
; %bb.1597:                             ;   in Loop: Header=BB4_136 Depth=3
	v_bfe_u32 v18, v16, 23, 8
	v_or_b32_e32 v17, 0x800000, v4
	s_delay_alu instid0(VALU_DEP_2) | instskip(SKIP_2) | instid1(VALU_DEP_2)
	v_cmp_gt_u32_e64 s13, 0x72, v18
	v_sub_nc_u32_e32 v16, 0x71, v18
	v_cmp_eq_u32_e32 vcc_lo, 0, v18
	v_cndmask_b32_e64 v16, 0, v16, s13
	s_delay_alu instid0(VALU_DEP_1) | instskip(NEXT) | instid1(VALU_DEP_1)
	v_cndmask_b32_e64 v19, v16, 0x70, vcc_lo
	v_dual_cndmask_b32 v4, v17, v4, vcc_lo :: v_dual_add_nc_u32 v16, 21, v19
	v_add_nc_u32_e32 v21, 20, v19
	s_delay_alu instid0(VALU_DEP_2) | instskip(NEXT) | instid1(VALU_DEP_2)
	v_lshlrev_b64_e64 v[16:17], v16, -1
	v_lshlrev_b64_e64 v[86:87], v21, 1
	s_delay_alu instid0(VALU_DEP_2) | instskip(SKIP_1) | instid1(VALU_DEP_4)
	v_bfi_b32 v16, v16, 0, v4
	v_lshrrev_b64 v[4:5], v19, v[4:5]
	v_bfi_b32 v17, v17, 0, 0
	s_delay_alu instid0(VALU_DEP_1) | instskip(NEXT) | instid1(VALU_DEP_3)
	v_cmp_eq_u64_e64 s13, v[16:17], v[86:87]
	v_mov_b64_e32 v[16:17], v[4:5]
	s_and_saveexec_b32 s77, s13
; %bb.1598:                             ;   in Loop: Header=BB4_136 Depth=3
	v_bfe_u32 v16, v4, 21, 1
	v_mov_b32_e32 v17, v3
	s_delay_alu instid0(VALU_DEP_1) | instskip(NEXT) | instid1(VALU_DEP_1)
	v_add_nc_u64_e32 v[16:17], v[4:5], v[16:17]
	v_add_nc_u64_e32 v[16:17], -1, v[16:17]
; %bb.1599:                             ;   in Loop: Header=BB4_136 Depth=3
	s_or_b32 exec_lo, exec_lo, s77
	v_add_nc_u32_e32 v5, 0xffffff81, v18
	v_lshrrev_b32_e32 v17, 23, v4
	s_mov_b32 s13, exec_lo
	s_delay_alu instid0(VALU_DEP_2) | instskip(NEXT) | instid1(VALU_DEP_1)
	v_cndmask_b32_e64 v5, v5, 0xffffff82, vcc_lo
	v_add3_u32 v18, v19, v5, v17
	v_and_b32_e32 v5, 0x1fffff, v16
                                        ; implicit-def: $vgpr16
	s_delay_alu instid0(VALU_DEP_1) | instskip(SKIP_1) | instid1(VALU_DEP_2)
	v_dual_add_nc_u32 v17, 14, v18 :: v_dual_add_nc_u32 v4, v5, v4
	v_mov_b32_e32 v5, v3
	v_cmpx_ne_u32_e32 0, v17
	s_xor_b32 s13, exec_lo, s13
; %bb.1600:                             ;   in Loop: Header=BB4_136 Depth=3
	s_delay_alu instid0(VALU_DEP_2) | instskip(SKIP_1) | instid1(VALU_DEP_1)
	v_cmp_lt_u64_e32 vcc_lo, 0xffffff, v[4:5]
	v_add_nc_u32_e32 v16, 15, v18
	v_cndmask_b32_e32 v16, v17, v16, vcc_lo
	v_cndmask_b32_e64 v17, 0, 1, vcc_lo
	s_delay_alu instid0(VALU_DEP_1)
	v_lshrrev_b64 v[4:5], v17, v[4:5]
; %bb.1601:                             ;   in Loop: Header=BB4_136 Depth=3
	s_and_not1_saveexec_b32 s13, s13
; %bb.1602:                             ;   in Loop: Header=BB4_136 Depth=3
	s_delay_alu instid0(VALU_DEP_1)
	v_bfe_u32 v16, v4, 23, 1
; %bb.1603:                             ;   in Loop: Header=BB4_136 Depth=3
	s_or_b32 exec_lo, exec_lo, s13
	s_delay_alu instid0(VALU_DEP_2) | instskip(NEXT) | instid1(VALU_DEP_2)
	v_lshrrev_b64 v[4:5], 21, v[4:5]
	v_cmp_gt_i32_e32 vcc_lo, 32, v16
	v_min_i32_e32 v17, 31, v16
	v_cmp_eq_u32_e64 s13, 0, v16
	s_delay_alu instid0(VALU_DEP_4) | instskip(NEXT) | instid1(VALU_DEP_3)
	v_cndmask_b32_e32 v5, 0, v5, vcc_lo
	v_dual_cndmask_b32 v4, 3, v4 :: v_dual_lshlrev_b32 v17, 2, v17
	s_delay_alu instid0(VALU_DEP_1) | instskip(NEXT) | instid1(VALU_DEP_2)
	v_and_b32_e32 v17, 0xfc, v17
	v_cmp_eq_u64_e32 vcc_lo, 0, v[4:5]
	s_delay_alu instid0(VALU_DEP_2)
	v_and_or_b32 v4, v4, 3, v17
	s_and_b32 s13, s13, vcc_lo
	s_delay_alu instid0(VALU_DEP_1) | instid1(SALU_CYCLE_1)
	v_cndmask_b32_e64 v4, v4, 0, s13
	s_delay_alu instid0(VALU_DEP_1)
	v_or_b32_e32 v42, v4, v2
.LBB4_1604:                             ;   in Loop: Header=BB4_136 Depth=3
	s_or_b32 exec_lo, exec_lo, s76
                                        ; implicit-def: $vgpr2
.LBB4_1605:                             ;   in Loop: Header=BB4_136 Depth=3
	s_and_not1_saveexec_b32 s13, s75
; %bb.1606:                             ;   in Loop: Header=BB4_136 Depth=3
	v_or_b32_e32 v42, 0x7b, v2
; %bb.1607:                             ;   in Loop: Header=BB4_136 Depth=3
	s_or_b32 exec_lo, exec_lo, s13
                                        ; implicit-def: $vgpr16
                                        ; implicit-def: $vgpr4_vgpr5
                                        ; implicit-def: $vgpr2
.LBB4_1608:                             ;   in Loop: Header=BB4_136 Depth=3
	s_and_not1_saveexec_b32 s13, s74
	s_cbranch_execz .LBB4_1614
; %bb.1609:                             ;   in Loop: Header=BB4_136 Depth=3
	s_mov_b32 s74, exec_lo
                                        ; implicit-def: $vgpr42
	v_cmpx_ne_u64_e32 0, v[4:5]
	s_xor_b32 s74, exec_lo, s74
; %bb.1610:                             ;   in Loop: Header=BB4_136 Depth=3
	v_or_b32_e32 v42, 0x7f, v2
                                        ; implicit-def: $vgpr16
; %bb.1611:                             ;   in Loop: Header=BB4_136 Depth=3
	s_and_not1_saveexec_b32 s74, s74
; %bb.1612:                             ;   in Loop: Header=BB4_136 Depth=3
	v_cmp_lt_i32_e32 vcc_lo, -1, v16
	v_cndmask_b32_e32 v42, 0xfc, v49, vcc_lo
; %bb.1613:                             ;   in Loop: Header=BB4_136 Depth=3
	s_or_b32 exec_lo, exec_lo, s74
.LBB4_1614:                             ;   in Loop: Header=BB4_136 Depth=3
	s_delay_alu instid0(SALU_CYCLE_1) | instskip(SKIP_3) | instid1(VALU_DEP_2)
	s_or_b32 exec_lo, exec_lo, s13
	v_lshrrev_b16 v4, 8, v8
	v_mov_b32_e32 v2, 0
	s_mov_b32 s74, exec_lo
	v_cmpx_ne_u16_e32 0, v4
	s_cbranch_execz .LBB4_1624
; %bb.1615:                             ;   in Loop: Header=BB4_136 Depth=3
	v_bfrev_b32_e32 v2, 1
	s_mov_b32 s75, exec_lo
	v_cmpx_ne_u16_e32 0x80, v4
	s_cbranch_execz .LBB4_1623
; %bb.1616:                             ;   in Loop: Header=BB4_136 Depth=3
	v_and_b32_e32 v16, 0xffff, v4
	s_delay_alu instid0(VALU_DEP_1) | instskip(SKIP_1) | instid1(VALU_DEP_2)
	v_and_b32_e32 v2, 0x7c, v16
	v_and_b32_e32 v5, 3, v16
	v_cmp_ne_u32_e32 vcc_lo, 0x7c, v2
                                        ; implicit-def: $vgpr2
	s_and_saveexec_b32 s13, vcc_lo
	s_delay_alu instid0(SALU_CYCLE_1)
	s_xor_b32 s13, exec_lo, s13
	s_cbranch_execz .LBB4_1620
; %bb.1617:                             ;   in Loop: Header=BB4_136 Depth=3
	v_bfe_u32 v2, v16, 2, 5
	s_mov_b32 s76, exec_lo
	s_delay_alu instid0(VALU_DEP_1)
	v_cmpx_eq_u32_e32 0, v2
	s_cbranch_execz .LBB4_1619
; %bb.1618:                             ;   in Loop: Header=BB4_136 Depth=3
	v_clz_i32_u32_e32 v2, v5
	s_delay_alu instid0(VALU_DEP_1) | instskip(SKIP_1) | instid1(VALU_DEP_2)
	v_min_u32_e32 v2, 32, v2
	v_mov_b32_e32 v5, v3
	v_subrev_nc_u32_e32 v16, 29, v2
	v_sub_nc_u32_e32 v2, 30, v2
	s_delay_alu instid0(VALU_DEP_2) | instskip(NEXT) | instid1(VALU_DEP_1)
	v_lshlrev_b64_e32 v[4:5], v16, v[4:5]
	v_and_b32_e32 v5, 3, v4
.LBB4_1619:                             ;   in Loop: Header=BB4_136 Depth=3
	s_or_b32 exec_lo, exec_lo, s76
	v_lshlrev_b32_e32 v4, 16, v8
	s_delay_alu instid0(VALU_DEP_1) | instskip(NEXT) | instid1(VALU_DEP_1)
	v_and_b32_e32 v4, 0x80000000, v4
	v_lshl_add_u32 v2, v2, 23, v4
	s_delay_alu instid0(VALU_DEP_1) | instskip(NEXT) | instid1(VALU_DEP_1)
	v_lshl_or_b32 v2, v5, 21, v2
                                        ; implicit-def: $vgpr5
	v_add_nc_u32_e32 v2, 0x38000000, v2
.LBB4_1620:                             ;   in Loop: Header=BB4_136 Depth=3
	s_and_not1_saveexec_b32 s76, s13
; %bb.1621:                             ;   in Loop: Header=BB4_136 Depth=3
	v_cmp_lt_i16_e64 s13, -1, v8
	v_cmp_eq_u32_e32 vcc_lo, 0, v5
	s_delay_alu instid0(VALU_DEP_2) | instskip(NEXT) | instid1(VALU_DEP_1)
	v_cndmask_b32_e64 v2, 0xff800000, v48, s13
	v_cndmask_b32_e32 v2, 0x7f800001, v2, vcc_lo
; %bb.1622:                             ;   in Loop: Header=BB4_136 Depth=3
	s_or_b32 exec_lo, exec_lo, s76
.LBB4_1623:                             ;   in Loop: Header=BB4_136 Depth=3
	s_delay_alu instid0(SALU_CYCLE_1)
	s_or_b32 exec_lo, exec_lo, s75
.LBB4_1624:                             ;   in Loop: Header=BB4_136 Depth=3
	s_delay_alu instid0(SALU_CYCLE_1) | instskip(NEXT) | instid1(VALU_DEP_1)
	s_or_b32 exec_lo, exec_lo, s74
	v_dual_mul_f32 v16, s73, v2 :: v_dual_mov_b32 v19, v3
	v_mov_b32_e32 v5, v3
                                        ; implicit-def: $vgpr43
	s_mov_b32 s13, exec_lo
	s_delay_alu instid0(VALU_DEP_2) | instskip(SKIP_2) | instid1(VALU_DEP_3)
	v_and_b32_e32 v18, 0x7f800000, v16
	v_and_b32_e32 v4, 0x7fffff, v16
	v_lshrrev_b32_e32 v2, 24, v16
	v_cmpx_ne_u64_e32 0x7f800000, v[18:19]
	s_xor_b32 s74, exec_lo, s13
	s_cbranch_execz .LBB4_1638
; %bb.1625:                             ;   in Loop: Header=BB4_136 Depth=3
	v_and_b32_e32 v18, 0x7fffffff, v16
	v_mov_b32_e32 v19, v3
	v_and_b32_e32 v2, 0x80, v2
                                        ; implicit-def: $vgpr43
	s_mov_b32 s13, exec_lo
	s_delay_alu instid0(VALU_DEP_2)
	v_cmpx_gt_u64_e32 0x47600001, v[18:19]
	s_xor_b32 s75, exec_lo, s13
	s_cbranch_execz .LBB4_1635
; %bb.1626:                             ;   in Loop: Header=BB4_136 Depth=3
	v_mov_b32_e32 v43, 0
	s_mov_b32 s76, exec_lo
	v_cmpx_ne_u32_e32 0, v16
	s_cbranch_execz .LBB4_1634
; %bb.1627:                             ;   in Loop: Header=BB4_136 Depth=3
	v_bfe_u32 v18, v16, 23, 8
	v_or_b32_e32 v17, 0x800000, v4
	s_delay_alu instid0(VALU_DEP_2) | instskip(SKIP_2) | instid1(VALU_DEP_2)
	v_cmp_gt_u32_e64 s13, 0x72, v18
	v_sub_nc_u32_e32 v16, 0x71, v18
	v_cmp_eq_u32_e32 vcc_lo, 0, v18
	v_cndmask_b32_e64 v16, 0, v16, s13
	s_delay_alu instid0(VALU_DEP_1) | instskip(NEXT) | instid1(VALU_DEP_1)
	v_cndmask_b32_e64 v19, v16, 0x70, vcc_lo
	v_dual_cndmask_b32 v4, v17, v4, vcc_lo :: v_dual_add_nc_u32 v16, 21, v19
	v_add_nc_u32_e32 v21, 20, v19
	s_delay_alu instid0(VALU_DEP_2) | instskip(NEXT) | instid1(VALU_DEP_2)
	v_lshlrev_b64_e64 v[16:17], v16, -1
	v_lshlrev_b64_e64 v[86:87], v21, 1
	s_delay_alu instid0(VALU_DEP_2) | instskip(SKIP_1) | instid1(VALU_DEP_4)
	v_bfi_b32 v16, v16, 0, v4
	v_lshrrev_b64 v[4:5], v19, v[4:5]
	v_bfi_b32 v17, v17, 0, 0
	s_delay_alu instid0(VALU_DEP_1) | instskip(NEXT) | instid1(VALU_DEP_3)
	v_cmp_eq_u64_e64 s13, v[16:17], v[86:87]
	v_mov_b64_e32 v[16:17], v[4:5]
	s_and_saveexec_b32 s77, s13
; %bb.1628:                             ;   in Loop: Header=BB4_136 Depth=3
	v_bfe_u32 v16, v4, 21, 1
	v_mov_b32_e32 v17, v3
	s_delay_alu instid0(VALU_DEP_1) | instskip(NEXT) | instid1(VALU_DEP_1)
	v_add_nc_u64_e32 v[16:17], v[4:5], v[16:17]
	v_add_nc_u64_e32 v[16:17], -1, v[16:17]
; %bb.1629:                             ;   in Loop: Header=BB4_136 Depth=3
	s_or_b32 exec_lo, exec_lo, s77
	v_add_nc_u32_e32 v5, 0xffffff81, v18
	v_lshrrev_b32_e32 v17, 23, v4
	s_mov_b32 s13, exec_lo
	s_delay_alu instid0(VALU_DEP_2) | instskip(NEXT) | instid1(VALU_DEP_1)
	v_cndmask_b32_e64 v5, v5, 0xffffff82, vcc_lo
	v_add3_u32 v18, v19, v5, v17
	v_and_b32_e32 v5, 0x1fffff, v16
                                        ; implicit-def: $vgpr16
	s_delay_alu instid0(VALU_DEP_1) | instskip(SKIP_1) | instid1(VALU_DEP_2)
	v_dual_add_nc_u32 v17, 14, v18 :: v_dual_add_nc_u32 v4, v5, v4
	v_mov_b32_e32 v5, v3
	v_cmpx_ne_u32_e32 0, v17
	s_xor_b32 s13, exec_lo, s13
; %bb.1630:                             ;   in Loop: Header=BB4_136 Depth=3
	s_delay_alu instid0(VALU_DEP_2) | instskip(SKIP_1) | instid1(VALU_DEP_1)
	v_cmp_lt_u64_e32 vcc_lo, 0xffffff, v[4:5]
	v_add_nc_u32_e32 v16, 15, v18
	v_cndmask_b32_e32 v16, v17, v16, vcc_lo
	v_cndmask_b32_e64 v17, 0, 1, vcc_lo
	s_delay_alu instid0(VALU_DEP_1)
	v_lshrrev_b64 v[4:5], v17, v[4:5]
; %bb.1631:                             ;   in Loop: Header=BB4_136 Depth=3
	s_and_not1_saveexec_b32 s13, s13
; %bb.1632:                             ;   in Loop: Header=BB4_136 Depth=3
	s_delay_alu instid0(VALU_DEP_1)
	v_bfe_u32 v16, v4, 23, 1
; %bb.1633:                             ;   in Loop: Header=BB4_136 Depth=3
	s_or_b32 exec_lo, exec_lo, s13
	s_delay_alu instid0(VALU_DEP_2) | instskip(NEXT) | instid1(VALU_DEP_2)
	v_lshrrev_b64 v[4:5], 21, v[4:5]
	v_cmp_gt_i32_e32 vcc_lo, 32, v16
	v_min_i32_e32 v17, 31, v16
	v_cmp_eq_u32_e64 s13, 0, v16
	s_delay_alu instid0(VALU_DEP_4) | instskip(NEXT) | instid1(VALU_DEP_3)
	v_cndmask_b32_e32 v5, 0, v5, vcc_lo
	v_dual_cndmask_b32 v4, 3, v4 :: v_dual_lshlrev_b32 v17, 2, v17
	s_delay_alu instid0(VALU_DEP_1) | instskip(NEXT) | instid1(VALU_DEP_2)
	v_and_b32_e32 v17, 0xfc, v17
	v_cmp_eq_u64_e32 vcc_lo, 0, v[4:5]
	s_delay_alu instid0(VALU_DEP_2)
	v_and_or_b32 v4, v4, 3, v17
	s_and_b32 s13, s13, vcc_lo
	s_delay_alu instid0(VALU_DEP_1) | instid1(SALU_CYCLE_1)
	v_cndmask_b32_e64 v4, v4, 0, s13
	s_delay_alu instid0(VALU_DEP_1)
	v_or_b32_e32 v43, v4, v2
.LBB4_1634:                             ;   in Loop: Header=BB4_136 Depth=3
	s_or_b32 exec_lo, exec_lo, s76
                                        ; implicit-def: $vgpr2
.LBB4_1635:                             ;   in Loop: Header=BB4_136 Depth=3
	s_and_not1_saveexec_b32 s13, s75
; %bb.1636:                             ;   in Loop: Header=BB4_136 Depth=3
	v_or_b32_e32 v43, 0x7b, v2
; %bb.1637:                             ;   in Loop: Header=BB4_136 Depth=3
	s_or_b32 exec_lo, exec_lo, s13
                                        ; implicit-def: $vgpr16
                                        ; implicit-def: $vgpr4_vgpr5
                                        ; implicit-def: $vgpr2
.LBB4_1638:                             ;   in Loop: Header=BB4_136 Depth=3
	s_and_not1_saveexec_b32 s13, s74
	s_cbranch_execz .LBB4_1644
; %bb.1639:                             ;   in Loop: Header=BB4_136 Depth=3
	s_mov_b32 s74, exec_lo
                                        ; implicit-def: $vgpr43
	v_cmpx_ne_u64_e32 0, v[4:5]
	s_xor_b32 s74, exec_lo, s74
; %bb.1640:                             ;   in Loop: Header=BB4_136 Depth=3
	v_or_b32_e32 v43, 0x7f, v2
                                        ; implicit-def: $vgpr16
; %bb.1641:                             ;   in Loop: Header=BB4_136 Depth=3
	s_and_not1_saveexec_b32 s74, s74
; %bb.1642:                             ;   in Loop: Header=BB4_136 Depth=3
	v_cmp_lt_i32_e32 vcc_lo, -1, v16
	v_cndmask_b32_e32 v43, 0xfc, v49, vcc_lo
; %bb.1643:                             ;   in Loop: Header=BB4_136 Depth=3
	s_or_b32 exec_lo, exec_lo, s74
.LBB4_1644:                             ;   in Loop: Header=BB4_136 Depth=3
	s_delay_alu instid0(SALU_CYCLE_1) | instskip(SKIP_2) | instid1(VALU_DEP_1)
	s_or_b32 exec_lo, exec_lo, s13
	v_dual_lshrrev_b32 v2, 16, v8 :: v_dual_mov_b32 v4, 0
	s_mov_b32 s74, exec_lo
	v_and_b32_e32 v5, 0xff, v2
	s_delay_alu instid0(VALU_DEP_1)
	v_cmpx_ne_u16_e32 0, v5
	s_cbranch_execz .LBB4_1654
; %bb.1645:                             ;   in Loop: Header=BB4_136 Depth=3
	v_bfrev_b32_e32 v4, 1
	s_mov_b32 s75, exec_lo
	v_cmpx_ne_u16_e32 0x80, v5
	s_cbranch_execz .LBB4_1653
; %bb.1646:                             ;   in Loop: Header=BB4_136 Depth=3
	v_and_b32_e32 v4, 0x7c0000, v8
	v_bfe_u32 v5, v8, 16, 2
	s_delay_alu instid0(VALU_DEP_2) | instskip(SKIP_1) | instid1(SALU_CYCLE_1)
	v_cmp_ne_u32_e32 vcc_lo, 0x7c0000, v4
                                        ; implicit-def: $vgpr4
	s_and_saveexec_b32 s13, vcc_lo
	s_xor_b32 s13, exec_lo, s13
	s_cbranch_execz .LBB4_1650
; %bb.1647:                             ;   in Loop: Header=BB4_136 Depth=3
	v_bfe_u32 v4, v8, 18, 5
	s_mov_b32 s76, exec_lo
	s_delay_alu instid0(VALU_DEP_1)
	v_cmpx_eq_u32_e32 0, v4
; %bb.1648:                             ;   in Loop: Header=BB4_136 Depth=3
	v_clz_i32_u32_e32 v4, v5
	s_delay_alu instid0(VALU_DEP_1) | instskip(NEXT) | instid1(VALU_DEP_1)
	v_min_u32_e32 v4, 32, v4
	v_subrev_nc_u32_e32 v5, 29, v4
	v_sub_nc_u32_e32 v4, 30, v4
	s_delay_alu instid0(VALU_DEP_2) | instskip(NEXT) | instid1(VALU_DEP_1)
	v_lshlrev_b64_e32 v[16:17], v5, v[2:3]
	v_and_b32_e32 v5, 3, v16
; %bb.1649:                             ;   in Loop: Header=BB4_136 Depth=3
	s_or_b32 exec_lo, exec_lo, s76
	v_lshlrev_b32_e32 v2, 24, v2
	s_delay_alu instid0(VALU_DEP_1) | instskip(NEXT) | instid1(VALU_DEP_1)
	v_and_b32_e32 v2, 0x80000000, v2
	v_lshl_add_u32 v2, v4, 23, v2
	s_delay_alu instid0(VALU_DEP_1) | instskip(NEXT) | instid1(VALU_DEP_1)
	v_lshl_or_b32 v2, v5, 21, v2
                                        ; implicit-def: $vgpr5
	v_add_nc_u32_e32 v4, 0x38000000, v2
                                        ; implicit-def: $vgpr2
.LBB4_1650:                             ;   in Loop: Header=BB4_136 Depth=3
	s_and_not1_saveexec_b32 s76, s13
; %bb.1651:                             ;   in Loop: Header=BB4_136 Depth=3
	v_bfe_i32 v2, v2, 0, 8
	v_cmp_eq_u32_e32 vcc_lo, 0, v5
	s_delay_alu instid0(VALU_DEP_2) | instskip(NEXT) | instid1(VALU_DEP_1)
	v_cmp_lt_i16_e64 s13, -1, v2
	v_cndmask_b32_e64 v2, 0xff800000, v48, s13
	s_delay_alu instid0(VALU_DEP_1)
	v_cndmask_b32_e32 v4, 0x7f800001, v2, vcc_lo
; %bb.1652:                             ;   in Loop: Header=BB4_136 Depth=3
	s_or_b32 exec_lo, exec_lo, s76
.LBB4_1653:                             ;   in Loop: Header=BB4_136 Depth=3
	s_delay_alu instid0(SALU_CYCLE_1)
	s_or_b32 exec_lo, exec_lo, s75
.LBB4_1654:                             ;   in Loop: Header=BB4_136 Depth=3
	s_delay_alu instid0(SALU_CYCLE_1) | instskip(NEXT) | instid1(VALU_DEP_1)
	s_or_b32 exec_lo, exec_lo, s74
	v_dual_mul_f32 v16, s73, v4 :: v_dual_mov_b32 v19, v3
	v_mov_b32_e32 v5, v3
                                        ; implicit-def: $vgpr120
	s_mov_b32 s13, exec_lo
	s_delay_alu instid0(VALU_DEP_2) | instskip(SKIP_2) | instid1(VALU_DEP_3)
	v_and_b32_e32 v18, 0x7f800000, v16
	v_and_b32_e32 v4, 0x7fffff, v16
	v_lshrrev_b32_e32 v2, 24, v16
	v_cmpx_ne_u64_e32 0x7f800000, v[18:19]
	s_xor_b32 s74, exec_lo, s13
	s_cbranch_execz .LBB4_1668
; %bb.1655:                             ;   in Loop: Header=BB4_136 Depth=3
	v_and_b32_e32 v18, 0x7fffffff, v16
	v_mov_b32_e32 v19, v3
	v_and_b32_e32 v2, 0x80, v2
                                        ; implicit-def: $vgpr120
	s_mov_b32 s13, exec_lo
	s_delay_alu instid0(VALU_DEP_2)
	v_cmpx_gt_u64_e32 0x47600001, v[18:19]
	s_xor_b32 s75, exec_lo, s13
	s_cbranch_execz .LBB4_1665
; %bb.1656:                             ;   in Loop: Header=BB4_136 Depth=3
	v_mov_b32_e32 v120, 0
	s_mov_b32 s76, exec_lo
	v_cmpx_ne_u32_e32 0, v16
	s_cbranch_execz .LBB4_1664
; %bb.1657:                             ;   in Loop: Header=BB4_136 Depth=3
	v_bfe_u32 v18, v16, 23, 8
	v_or_b32_e32 v17, 0x800000, v4
	s_delay_alu instid0(VALU_DEP_2) | instskip(SKIP_2) | instid1(VALU_DEP_2)
	v_cmp_gt_u32_e64 s13, 0x72, v18
	v_sub_nc_u32_e32 v16, 0x71, v18
	v_cmp_eq_u32_e32 vcc_lo, 0, v18
	v_cndmask_b32_e64 v16, 0, v16, s13
	s_delay_alu instid0(VALU_DEP_1) | instskip(NEXT) | instid1(VALU_DEP_1)
	v_cndmask_b32_e64 v19, v16, 0x70, vcc_lo
	v_dual_cndmask_b32 v4, v17, v4, vcc_lo :: v_dual_add_nc_u32 v16, 21, v19
	v_add_nc_u32_e32 v21, 20, v19
	s_delay_alu instid0(VALU_DEP_2) | instskip(NEXT) | instid1(VALU_DEP_2)
	v_lshlrev_b64_e64 v[16:17], v16, -1
	v_lshlrev_b64_e64 v[86:87], v21, 1
	s_delay_alu instid0(VALU_DEP_2) | instskip(SKIP_1) | instid1(VALU_DEP_4)
	v_bfi_b32 v16, v16, 0, v4
	v_lshrrev_b64 v[4:5], v19, v[4:5]
	v_bfi_b32 v17, v17, 0, 0
	s_delay_alu instid0(VALU_DEP_1) | instskip(NEXT) | instid1(VALU_DEP_3)
	v_cmp_eq_u64_e64 s13, v[16:17], v[86:87]
	v_mov_b64_e32 v[16:17], v[4:5]
	s_and_saveexec_b32 s77, s13
; %bb.1658:                             ;   in Loop: Header=BB4_136 Depth=3
	v_bfe_u32 v16, v4, 21, 1
	v_mov_b32_e32 v17, v3
	s_delay_alu instid0(VALU_DEP_1) | instskip(NEXT) | instid1(VALU_DEP_1)
	v_add_nc_u64_e32 v[16:17], v[4:5], v[16:17]
	v_add_nc_u64_e32 v[16:17], -1, v[16:17]
; %bb.1659:                             ;   in Loop: Header=BB4_136 Depth=3
	s_or_b32 exec_lo, exec_lo, s77
	v_add_nc_u32_e32 v5, 0xffffff81, v18
	v_lshrrev_b32_e32 v17, 23, v4
	s_mov_b32 s13, exec_lo
	s_delay_alu instid0(VALU_DEP_2) | instskip(NEXT) | instid1(VALU_DEP_1)
	v_cndmask_b32_e64 v5, v5, 0xffffff82, vcc_lo
	v_add3_u32 v18, v19, v5, v17
	v_and_b32_e32 v5, 0x1fffff, v16
                                        ; implicit-def: $vgpr16
	s_delay_alu instid0(VALU_DEP_1) | instskip(SKIP_1) | instid1(VALU_DEP_2)
	v_dual_add_nc_u32 v17, 14, v18 :: v_dual_add_nc_u32 v4, v5, v4
	v_mov_b32_e32 v5, v3
	v_cmpx_ne_u32_e32 0, v17
	s_xor_b32 s13, exec_lo, s13
; %bb.1660:                             ;   in Loop: Header=BB4_136 Depth=3
	s_delay_alu instid0(VALU_DEP_2) | instskip(SKIP_1) | instid1(VALU_DEP_1)
	v_cmp_lt_u64_e32 vcc_lo, 0xffffff, v[4:5]
	v_add_nc_u32_e32 v16, 15, v18
	v_cndmask_b32_e32 v16, v17, v16, vcc_lo
	v_cndmask_b32_e64 v17, 0, 1, vcc_lo
	s_delay_alu instid0(VALU_DEP_1)
	v_lshrrev_b64 v[4:5], v17, v[4:5]
; %bb.1661:                             ;   in Loop: Header=BB4_136 Depth=3
	s_and_not1_saveexec_b32 s13, s13
; %bb.1662:                             ;   in Loop: Header=BB4_136 Depth=3
	s_delay_alu instid0(VALU_DEP_1)
	v_bfe_u32 v16, v4, 23, 1
; %bb.1663:                             ;   in Loop: Header=BB4_136 Depth=3
	s_or_b32 exec_lo, exec_lo, s13
	s_delay_alu instid0(VALU_DEP_2) | instskip(NEXT) | instid1(VALU_DEP_2)
	v_lshrrev_b64 v[4:5], 21, v[4:5]
	v_cmp_gt_i32_e32 vcc_lo, 32, v16
	v_min_i32_e32 v17, 31, v16
	v_cmp_eq_u32_e64 s13, 0, v16
	s_delay_alu instid0(VALU_DEP_4) | instskip(NEXT) | instid1(VALU_DEP_3)
	v_cndmask_b32_e32 v5, 0, v5, vcc_lo
	v_dual_cndmask_b32 v4, 3, v4 :: v_dual_lshlrev_b32 v17, 2, v17
	s_delay_alu instid0(VALU_DEP_1) | instskip(NEXT) | instid1(VALU_DEP_2)
	v_and_b32_e32 v17, 0xfc, v17
	v_cmp_eq_u64_e32 vcc_lo, 0, v[4:5]
	s_delay_alu instid0(VALU_DEP_2)
	v_and_or_b32 v4, v4, 3, v17
	s_and_b32 s13, s13, vcc_lo
	s_delay_alu instid0(VALU_DEP_1) | instid1(SALU_CYCLE_1)
	v_cndmask_b32_e64 v4, v4, 0, s13
	s_delay_alu instid0(VALU_DEP_1)
	v_or_b32_e32 v120, v4, v2
.LBB4_1664:                             ;   in Loop: Header=BB4_136 Depth=3
	s_or_b32 exec_lo, exec_lo, s76
                                        ; implicit-def: $vgpr2
.LBB4_1665:                             ;   in Loop: Header=BB4_136 Depth=3
	s_and_not1_saveexec_b32 s13, s75
; %bb.1666:                             ;   in Loop: Header=BB4_136 Depth=3
	v_or_b32_e32 v120, 0x7b, v2
; %bb.1667:                             ;   in Loop: Header=BB4_136 Depth=3
	s_or_b32 exec_lo, exec_lo, s13
                                        ; implicit-def: $vgpr16
                                        ; implicit-def: $vgpr4_vgpr5
                                        ; implicit-def: $vgpr2
.LBB4_1668:                             ;   in Loop: Header=BB4_136 Depth=3
	s_and_not1_saveexec_b32 s13, s74
	s_cbranch_execz .LBB4_1674
; %bb.1669:                             ;   in Loop: Header=BB4_136 Depth=3
	s_mov_b32 s74, exec_lo
                                        ; implicit-def: $vgpr120
	v_cmpx_ne_u64_e32 0, v[4:5]
	s_xor_b32 s74, exec_lo, s74
; %bb.1670:                             ;   in Loop: Header=BB4_136 Depth=3
	v_or_b32_e32 v120, 0x7f, v2
                                        ; implicit-def: $vgpr16
; %bb.1671:                             ;   in Loop: Header=BB4_136 Depth=3
	s_and_not1_saveexec_b32 s74, s74
; %bb.1672:                             ;   in Loop: Header=BB4_136 Depth=3
	v_cmp_lt_i32_e32 vcc_lo, -1, v16
	v_cndmask_b32_e32 v120, 0xfc, v49, vcc_lo
; %bb.1673:                             ;   in Loop: Header=BB4_136 Depth=3
	s_or_b32 exec_lo, exec_lo, s74
.LBB4_1674:                             ;   in Loop: Header=BB4_136 Depth=3
	s_delay_alu instid0(SALU_CYCLE_1)
	s_or_b32 exec_lo, exec_lo, s13
	v_mov_b32_e32 v4, 0
	s_mov_b32 s74, exec_lo
	v_cmpx_lt_u32_e32 0xffffff, v8
	s_cbranch_execz .LBB4_1684
; %bb.1675:                             ;   in Loop: Header=BB4_136 Depth=3
	v_lshrrev_b32_e32 v2, 24, v8
	v_bfrev_b32_e32 v4, 1
	s_mov_b32 s75, exec_lo
	s_delay_alu instid0(VALU_DEP_2)
	v_cmpx_ne_u32_e32 0x80, v2
	s_cbranch_execz .LBB4_1683
; %bb.1676:                             ;   in Loop: Header=BB4_136 Depth=3
	v_and_b32_e32 v4, 0x7c000000, v8
	v_bfe_u32 v5, v8, 24, 2
	s_delay_alu instid0(VALU_DEP_2) | instskip(SKIP_1) | instid1(SALU_CYCLE_1)
	v_cmp_ne_u32_e32 vcc_lo, 0x7c000000, v4
                                        ; implicit-def: $vgpr4
	s_and_saveexec_b32 s13, vcc_lo
	s_xor_b32 s13, exec_lo, s13
	s_cbranch_execz .LBB4_1680
; %bb.1677:                             ;   in Loop: Header=BB4_136 Depth=3
	v_bfe_u32 v4, v8, 26, 5
	s_mov_b32 s76, exec_lo
	s_delay_alu instid0(VALU_DEP_1)
	v_cmpx_eq_u32_e32 0, v4
; %bb.1678:                             ;   in Loop: Header=BB4_136 Depth=3
	v_clz_i32_u32_e32 v4, v5
	s_delay_alu instid0(VALU_DEP_1) | instskip(NEXT) | instid1(VALU_DEP_1)
	v_min_u32_e32 v4, 32, v4
	v_subrev_nc_u32_e32 v5, 29, v4
	v_sub_nc_u32_e32 v4, 30, v4
	s_delay_alu instid0(VALU_DEP_2) | instskip(NEXT) | instid1(VALU_DEP_1)
	v_lshlrev_b64_e32 v[16:17], v5, v[2:3]
	v_and_b32_e32 v5, 3, v16
; %bb.1679:                             ;   in Loop: Header=BB4_136 Depth=3
	s_or_b32 exec_lo, exec_lo, s76
	v_and_b32_e32 v2, 0x80000000, v8
	s_delay_alu instid0(VALU_DEP_1) | instskip(NEXT) | instid1(VALU_DEP_1)
	v_lshl_add_u32 v2, v4, 23, v2
	v_lshl_or_b32 v2, v5, 21, v2
                                        ; implicit-def: $vgpr5
	s_delay_alu instid0(VALU_DEP_1)
	v_add_nc_u32_e32 v4, 0x38000000, v2
.LBB4_1680:                             ;   in Loop: Header=BB4_136 Depth=3
	s_and_not1_saveexec_b32 s76, s13
; %bb.1681:                             ;   in Loop: Header=BB4_136 Depth=3
	v_cmp_lt_i32_e64 s13, -1, v8
	v_cmp_eq_u32_e32 vcc_lo, 0, v5
	s_delay_alu instid0(VALU_DEP_2) | instskip(NEXT) | instid1(VALU_DEP_1)
	v_cndmask_b32_e64 v2, 0xff800000, v48, s13
	v_cndmask_b32_e32 v4, 0x7f800001, v2, vcc_lo
; %bb.1682:                             ;   in Loop: Header=BB4_136 Depth=3
	s_or_b32 exec_lo, exec_lo, s76
.LBB4_1683:                             ;   in Loop: Header=BB4_136 Depth=3
	s_delay_alu instid0(SALU_CYCLE_1)
	s_or_b32 exec_lo, exec_lo, s75
.LBB4_1684:                             ;   in Loop: Header=BB4_136 Depth=3
	s_delay_alu instid0(SALU_CYCLE_1) | instskip(NEXT) | instid1(VALU_DEP_1)
	s_or_b32 exec_lo, exec_lo, s74
	v_dual_mul_f32 v16, s73, v4 :: v_dual_mov_b32 v19, v3
	v_mov_b32_e32 v5, v3
                                        ; implicit-def: $vgpr121
	s_mov_b32 s13, exec_lo
	s_delay_alu instid0(VALU_DEP_2) | instskip(SKIP_2) | instid1(VALU_DEP_3)
	v_and_b32_e32 v18, 0x7f800000, v16
	v_and_b32_e32 v4, 0x7fffff, v16
	v_lshrrev_b32_e32 v2, 24, v16
	v_cmpx_ne_u64_e32 0x7f800000, v[18:19]
	s_xor_b32 s74, exec_lo, s13
	s_cbranch_execz .LBB4_1698
; %bb.1685:                             ;   in Loop: Header=BB4_136 Depth=3
	v_and_b32_e32 v18, 0x7fffffff, v16
	v_mov_b32_e32 v19, v3
	v_and_b32_e32 v2, 0x80, v2
                                        ; implicit-def: $vgpr121
	s_mov_b32 s13, exec_lo
	s_delay_alu instid0(VALU_DEP_2)
	v_cmpx_gt_u64_e32 0x47600001, v[18:19]
	s_xor_b32 s75, exec_lo, s13
	s_cbranch_execz .LBB4_1695
; %bb.1686:                             ;   in Loop: Header=BB4_136 Depth=3
	v_mov_b32_e32 v121, 0
	s_mov_b32 s76, exec_lo
	v_cmpx_ne_u32_e32 0, v16
	s_cbranch_execz .LBB4_1694
; %bb.1687:                             ;   in Loop: Header=BB4_136 Depth=3
	v_bfe_u32 v18, v16, 23, 8
	v_or_b32_e32 v17, 0x800000, v4
	s_delay_alu instid0(VALU_DEP_2) | instskip(SKIP_2) | instid1(VALU_DEP_2)
	v_cmp_gt_u32_e64 s13, 0x72, v18
	v_sub_nc_u32_e32 v16, 0x71, v18
	v_cmp_eq_u32_e32 vcc_lo, 0, v18
	v_cndmask_b32_e64 v16, 0, v16, s13
	s_delay_alu instid0(VALU_DEP_1) | instskip(NEXT) | instid1(VALU_DEP_1)
	v_cndmask_b32_e64 v19, v16, 0x70, vcc_lo
	v_dual_cndmask_b32 v4, v17, v4, vcc_lo :: v_dual_add_nc_u32 v16, 21, v19
	v_add_nc_u32_e32 v21, 20, v19
	s_delay_alu instid0(VALU_DEP_2) | instskip(NEXT) | instid1(VALU_DEP_2)
	v_lshlrev_b64_e64 v[16:17], v16, -1
	v_lshlrev_b64_e64 v[86:87], v21, 1
	s_delay_alu instid0(VALU_DEP_2) | instskip(SKIP_1) | instid1(VALU_DEP_4)
	v_bfi_b32 v16, v16, 0, v4
	v_lshrrev_b64 v[4:5], v19, v[4:5]
	v_bfi_b32 v17, v17, 0, 0
	s_delay_alu instid0(VALU_DEP_1) | instskip(NEXT) | instid1(VALU_DEP_3)
	v_cmp_eq_u64_e64 s13, v[16:17], v[86:87]
	v_mov_b64_e32 v[16:17], v[4:5]
	s_and_saveexec_b32 s77, s13
; %bb.1688:                             ;   in Loop: Header=BB4_136 Depth=3
	v_bfe_u32 v16, v4, 21, 1
	v_mov_b32_e32 v17, v3
	s_delay_alu instid0(VALU_DEP_1) | instskip(NEXT) | instid1(VALU_DEP_1)
	v_add_nc_u64_e32 v[16:17], v[4:5], v[16:17]
	v_add_nc_u64_e32 v[16:17], -1, v[16:17]
; %bb.1689:                             ;   in Loop: Header=BB4_136 Depth=3
	s_or_b32 exec_lo, exec_lo, s77
	v_add_nc_u32_e32 v5, 0xffffff81, v18
	v_lshrrev_b32_e32 v17, 23, v4
	s_mov_b32 s13, exec_lo
	s_delay_alu instid0(VALU_DEP_2) | instskip(NEXT) | instid1(VALU_DEP_1)
	v_cndmask_b32_e64 v5, v5, 0xffffff82, vcc_lo
	v_add3_u32 v18, v19, v5, v17
	v_and_b32_e32 v5, 0x1fffff, v16
                                        ; implicit-def: $vgpr16
	s_delay_alu instid0(VALU_DEP_1) | instskip(SKIP_1) | instid1(VALU_DEP_2)
	v_dual_add_nc_u32 v17, 14, v18 :: v_dual_add_nc_u32 v4, v5, v4
	v_mov_b32_e32 v5, v3
	v_cmpx_ne_u32_e32 0, v17
	s_xor_b32 s13, exec_lo, s13
; %bb.1690:                             ;   in Loop: Header=BB4_136 Depth=3
	s_delay_alu instid0(VALU_DEP_2) | instskip(SKIP_1) | instid1(VALU_DEP_1)
	v_cmp_lt_u64_e32 vcc_lo, 0xffffff, v[4:5]
	v_add_nc_u32_e32 v16, 15, v18
	v_cndmask_b32_e32 v16, v17, v16, vcc_lo
	v_cndmask_b32_e64 v17, 0, 1, vcc_lo
	s_delay_alu instid0(VALU_DEP_1)
	v_lshrrev_b64 v[4:5], v17, v[4:5]
; %bb.1691:                             ;   in Loop: Header=BB4_136 Depth=3
	s_and_not1_saveexec_b32 s13, s13
; %bb.1692:                             ;   in Loop: Header=BB4_136 Depth=3
	s_delay_alu instid0(VALU_DEP_1)
	v_bfe_u32 v16, v4, 23, 1
; %bb.1693:                             ;   in Loop: Header=BB4_136 Depth=3
	s_or_b32 exec_lo, exec_lo, s13
	s_delay_alu instid0(VALU_DEP_2) | instskip(NEXT) | instid1(VALU_DEP_2)
	v_lshrrev_b64 v[4:5], 21, v[4:5]
	v_cmp_gt_i32_e32 vcc_lo, 32, v16
	v_min_i32_e32 v17, 31, v16
	v_cmp_eq_u32_e64 s13, 0, v16
	s_delay_alu instid0(VALU_DEP_4) | instskip(NEXT) | instid1(VALU_DEP_3)
	v_cndmask_b32_e32 v5, 0, v5, vcc_lo
	v_dual_cndmask_b32 v4, 3, v4 :: v_dual_lshlrev_b32 v17, 2, v17
	s_delay_alu instid0(VALU_DEP_1) | instskip(NEXT) | instid1(VALU_DEP_2)
	v_and_b32_e32 v17, 0xfc, v17
	v_cmp_eq_u64_e32 vcc_lo, 0, v[4:5]
	s_delay_alu instid0(VALU_DEP_2)
	v_and_or_b32 v4, v4, 3, v17
	s_and_b32 s13, s13, vcc_lo
	s_delay_alu instid0(VALU_DEP_1) | instid1(SALU_CYCLE_1)
	v_cndmask_b32_e64 v4, v4, 0, s13
	s_delay_alu instid0(VALU_DEP_1)
	v_or_b32_e32 v121, v4, v2
.LBB4_1694:                             ;   in Loop: Header=BB4_136 Depth=3
	s_or_b32 exec_lo, exec_lo, s76
                                        ; implicit-def: $vgpr2
.LBB4_1695:                             ;   in Loop: Header=BB4_136 Depth=3
	s_and_not1_saveexec_b32 s13, s75
; %bb.1696:                             ;   in Loop: Header=BB4_136 Depth=3
	v_or_b32_e32 v121, 0x7b, v2
; %bb.1697:                             ;   in Loop: Header=BB4_136 Depth=3
	s_or_b32 exec_lo, exec_lo, s13
                                        ; implicit-def: $vgpr16
                                        ; implicit-def: $vgpr4_vgpr5
                                        ; implicit-def: $vgpr2
.LBB4_1698:                             ;   in Loop: Header=BB4_136 Depth=3
	s_and_not1_saveexec_b32 s13, s74
	s_cbranch_execz .LBB4_1704
; %bb.1699:                             ;   in Loop: Header=BB4_136 Depth=3
	s_mov_b32 s74, exec_lo
                                        ; implicit-def: $vgpr121
	v_cmpx_ne_u64_e32 0, v[4:5]
	s_xor_b32 s74, exec_lo, s74
; %bb.1700:                             ;   in Loop: Header=BB4_136 Depth=3
	v_or_b32_e32 v121, 0x7f, v2
                                        ; implicit-def: $vgpr16
; %bb.1701:                             ;   in Loop: Header=BB4_136 Depth=3
	s_and_not1_saveexec_b32 s74, s74
; %bb.1702:                             ;   in Loop: Header=BB4_136 Depth=3
	v_cmp_lt_i32_e32 vcc_lo, -1, v16
	v_cndmask_b32_e32 v121, 0xfc, v49, vcc_lo
; %bb.1703:                             ;   in Loop: Header=BB4_136 Depth=3
	s_or_b32 exec_lo, exec_lo, s74
.LBB4_1704:                             ;   in Loop: Header=BB4_136 Depth=3
	s_delay_alu instid0(SALU_CYCLE_1) | instskip(SKIP_4) | instid1(VALU_DEP_3)
	s_or_b32 exec_lo, exec_lo, s13
	v_and_b32_e32 v16, 0xff, v9
	v_dual_mov_b32 v4, v9 :: v_dual_mov_b32 v5, v3
	v_mov_b32_e32 v2, 0
	s_mov_b32 s74, exec_lo
	v_cmpx_ne_u16_e32 0, v16
	s_cbranch_execz .LBB4_1714
; %bb.1705:                             ;   in Loop: Header=BB4_136 Depth=3
	v_bfrev_b32_e32 v2, 1
	s_mov_b32 s75, exec_lo
	v_cmpx_ne_u16_e32 0x80, v16
	s_cbranch_execz .LBB4_1713
; %bb.1706:                             ;   in Loop: Header=BB4_136 Depth=3
	v_and_b32_e32 v2, 0x7c, v9
	v_and_b32_e32 v16, 3, v9
	s_delay_alu instid0(VALU_DEP_2) | instskip(SKIP_1) | instid1(SALU_CYCLE_1)
	v_cmp_ne_u32_e32 vcc_lo, 0x7c, v2
                                        ; implicit-def: $vgpr2
	s_and_saveexec_b32 s13, vcc_lo
	s_xor_b32 s13, exec_lo, s13
	s_cbranch_execz .LBB4_1710
; %bb.1707:                             ;   in Loop: Header=BB4_136 Depth=3
	v_bfe_u32 v2, v9, 2, 5
	s_mov_b32 s76, exec_lo
	s_delay_alu instid0(VALU_DEP_1)
	v_cmpx_eq_u32_e32 0, v2
; %bb.1708:                             ;   in Loop: Header=BB4_136 Depth=3
	v_clz_i32_u32_e32 v2, v16
	s_delay_alu instid0(VALU_DEP_1) | instskip(NEXT) | instid1(VALU_DEP_1)
	v_min_u32_e32 v2, 32, v2
	v_subrev_nc_u32_e32 v16, 29, v2
	s_delay_alu instid0(VALU_DEP_1) | instskip(NEXT) | instid1(VALU_DEP_1)
	v_lshlrev_b64_e32 v[16:17], v16, v[4:5]
	v_dual_sub_nc_u32 v2, 30, v2 :: v_dual_bitop2_b32 v16, 3, v16 bitop3:0x40
; %bb.1709:                             ;   in Loop: Header=BB4_136 Depth=3
	s_or_b32 exec_lo, exec_lo, s76
	v_lshlrev_b32_e32 v5, 24, v9
	s_delay_alu instid0(VALU_DEP_1) | instskip(NEXT) | instid1(VALU_DEP_1)
	v_and_b32_e32 v5, 0x80000000, v5
	v_lshl_add_u32 v2, v2, 23, v5
	s_delay_alu instid0(VALU_DEP_1) | instskip(NEXT) | instid1(VALU_DEP_1)
	v_lshl_or_b32 v2, v16, 21, v2
                                        ; implicit-def: $vgpr16
	v_add_nc_u32_e32 v2, 0x38000000, v2
.LBB4_1710:                             ;   in Loop: Header=BB4_136 Depth=3
	s_and_not1_saveexec_b32 s76, s13
; %bb.1711:                             ;   in Loop: Header=BB4_136 Depth=3
	v_bfe_i32 v2, v9, 0, 8
	v_cmp_eq_u32_e32 vcc_lo, 0, v16
	s_delay_alu instid0(VALU_DEP_2) | instskip(NEXT) | instid1(VALU_DEP_1)
	v_cmp_lt_i16_e64 s13, -1, v2
	v_cndmask_b32_e64 v2, 0xff800000, v48, s13
	s_delay_alu instid0(VALU_DEP_1)
	v_cndmask_b32_e32 v2, 0x7f800001, v2, vcc_lo
; %bb.1712:                             ;   in Loop: Header=BB4_136 Depth=3
	s_or_b32 exec_lo, exec_lo, s76
.LBB4_1713:                             ;   in Loop: Header=BB4_136 Depth=3
	s_delay_alu instid0(SALU_CYCLE_1)
	s_or_b32 exec_lo, exec_lo, s75
.LBB4_1714:                             ;   in Loop: Header=BB4_136 Depth=3
	s_delay_alu instid0(SALU_CYCLE_1) | instskip(NEXT) | instid1(VALU_DEP_1)
	s_or_b32 exec_lo, exec_lo, s74
	v_dual_mul_f32 v5, s73, v2 :: v_dual_mov_b32 v19, v3
	s_delay_alu instid0(VALU_DEP_1) | instskip(SKIP_2) | instid1(VALU_DEP_2)
	v_dual_mov_b32 v17, v3 :: v_dual_lshrrev_b32 v2, 24, v5
	v_and_b32_e32 v18, 0x7f800000, v5
	v_and_b32_e32 v16, 0x7fffff, v5
	v_cmp_ne_u64_e32 vcc_lo, 0x7f800000, v[18:19]
                                        ; implicit-def: $vgpr18
	s_and_saveexec_b32 s13, vcc_lo
	s_delay_alu instid0(SALU_CYCLE_1)
	s_xor_b32 s74, exec_lo, s13
	s_cbranch_execz .LBB4_1728
; %bb.1715:                             ;   in Loop: Header=BB4_136 Depth=3
	v_and_b32_e32 v18, 0x7fffffff, v5
	v_mov_b32_e32 v19, v3
	v_and_b32_e32 v2, 0x80, v2
	s_delay_alu instid0(VALU_DEP_2) | instskip(SKIP_1) | instid1(SALU_CYCLE_1)
	v_cmp_gt_u64_e32 vcc_lo, 0x47600001, v[18:19]
                                        ; implicit-def: $vgpr18
	s_and_saveexec_b32 s13, vcc_lo
	s_xor_b32 s75, exec_lo, s13
	s_cbranch_execz .LBB4_1725
; %bb.1716:                             ;   in Loop: Header=BB4_136 Depth=3
	v_mov_b32_e32 v18, 0
	s_mov_b32 s76, exec_lo
	v_cmpx_ne_u32_e32 0, v5
	s_cbranch_execz .LBB4_1724
; %bb.1717:                             ;   in Loop: Header=BB4_136 Depth=3
	v_bfe_u32 v5, v5, 23, 8
	v_or_b32_e32 v19, 0x800000, v16
	s_delay_alu instid0(VALU_DEP_2) | instskip(SKIP_2) | instid1(VALU_DEP_2)
	v_cmp_gt_u32_e64 s13, 0x72, v5
	v_sub_nc_u32_e32 v18, 0x71, v5
	v_cmp_eq_u32_e32 vcc_lo, 0, v5
	v_dual_cndmask_b32 v18, 0, v18, s13 :: v_dual_cndmask_b32 v16, v19, v16, vcc_lo
	s_delay_alu instid0(VALU_DEP_1) | instskip(NEXT) | instid1(VALU_DEP_1)
	v_cndmask_b32_e64 v21, v18, 0x70, vcc_lo
	v_dual_add_nc_u32 v18, 21, v21 :: v_dual_add_nc_u32 v86, 20, v21
	s_delay_alu instid0(VALU_DEP_1) | instskip(NEXT) | instid1(VALU_DEP_2)
	v_lshlrev_b64_e64 v[18:19], v18, -1
	v_lshlrev_b64_e64 v[86:87], v86, 1
	s_delay_alu instid0(VALU_DEP_2) | instskip(SKIP_1) | instid1(VALU_DEP_4)
	v_bfi_b32 v18, v18, 0, v16
	v_lshrrev_b64 v[16:17], v21, v[16:17]
	v_bfi_b32 v19, v19, 0, 0
	s_delay_alu instid0(VALU_DEP_1) | instskip(NEXT) | instid1(VALU_DEP_3)
	v_cmp_eq_u64_e64 s13, v[18:19], v[86:87]
	v_mov_b64_e32 v[18:19], v[16:17]
	s_and_saveexec_b32 s77, s13
; %bb.1718:                             ;   in Loop: Header=BB4_136 Depth=3
	v_bfe_u32 v18, v16, 21, 1
	v_mov_b32_e32 v19, v3
	s_delay_alu instid0(VALU_DEP_1) | instskip(NEXT) | instid1(VALU_DEP_1)
	v_add_nc_u64_e32 v[18:19], v[16:17], v[18:19]
	v_add_nc_u64_e32 v[18:19], -1, v[18:19]
; %bb.1719:                             ;   in Loop: Header=BB4_136 Depth=3
	s_or_b32 exec_lo, exec_lo, s77
	v_add_nc_u32_e32 v5, 0xffffff81, v5
	v_lshrrev_b32_e32 v17, 23, v16
	s_mov_b32 s13, exec_lo
	s_delay_alu instid0(VALU_DEP_2) | instskip(NEXT) | instid1(VALU_DEP_1)
	v_cndmask_b32_e64 v5, v5, 0xffffff82, vcc_lo
	v_add3_u32 v19, v21, v5, v17
	v_and_b32_e32 v5, 0x1fffff, v18
	s_delay_alu instid0(VALU_DEP_2) | instskip(NEXT) | instid1(VALU_DEP_2)
	v_dual_mov_b32 v17, v3 :: v_dual_add_nc_u32 v18, 14, v19
	v_add_nc_u32_e32 v16, v5, v16
                                        ; implicit-def: $vgpr5
	s_delay_alu instid0(VALU_DEP_2)
	v_cmpx_ne_u32_e32 0, v18
	s_xor_b32 s13, exec_lo, s13
; %bb.1720:                             ;   in Loop: Header=BB4_136 Depth=3
	s_delay_alu instid0(VALU_DEP_2) | instskip(SKIP_1) | instid1(VALU_DEP_1)
	v_cmp_lt_u64_e32 vcc_lo, 0xffffff, v[16:17]
	v_add_nc_u32_e32 v5, 15, v19
	v_cndmask_b32_e32 v5, v18, v5, vcc_lo
	v_cndmask_b32_e64 v18, 0, 1, vcc_lo
	s_delay_alu instid0(VALU_DEP_1)
	v_lshrrev_b64 v[16:17], v18, v[16:17]
; %bb.1721:                             ;   in Loop: Header=BB4_136 Depth=3
	s_and_not1_saveexec_b32 s13, s13
; %bb.1722:                             ;   in Loop: Header=BB4_136 Depth=3
	s_delay_alu instid0(VALU_DEP_1)
	v_bfe_u32 v5, v16, 23, 1
; %bb.1723:                             ;   in Loop: Header=BB4_136 Depth=3
	s_or_b32 exec_lo, exec_lo, s13
	s_delay_alu instid0(VALU_DEP_2) | instskip(NEXT) | instid1(VALU_DEP_2)
	v_lshrrev_b64 v[16:17], 21, v[16:17]
	v_cmp_gt_i32_e32 vcc_lo, 32, v5
	v_min_i32_e32 v18, 31, v5
	v_cmp_eq_u32_e64 s13, 0, v5
	s_delay_alu instid0(VALU_DEP_2) | instskip(SKIP_1) | instid1(VALU_DEP_2)
	v_dual_cndmask_b32 v16, 3, v16, vcc_lo :: v_dual_lshlrev_b32 v18, 2, v18
	v_cndmask_b32_e32 v17, 0, v17, vcc_lo
	v_and_b32_e32 v18, 0xfc, v18
	s_delay_alu instid0(VALU_DEP_2) | instskip(NEXT) | instid1(VALU_DEP_2)
	v_cmp_eq_u64_e32 vcc_lo, 0, v[16:17]
	v_and_or_b32 v5, v16, 3, v18
	s_and_b32 s13, s13, vcc_lo
	s_delay_alu instid0(VALU_DEP_1) | instid1(SALU_CYCLE_1)
	v_cndmask_b32_e64 v5, v5, 0, s13
	s_delay_alu instid0(VALU_DEP_1)
	v_or_b32_e32 v18, v5, v2
.LBB4_1724:                             ;   in Loop: Header=BB4_136 Depth=3
	s_or_b32 exec_lo, exec_lo, s76
                                        ; implicit-def: $vgpr2
.LBB4_1725:                             ;   in Loop: Header=BB4_136 Depth=3
	s_and_not1_saveexec_b32 s13, s75
; %bb.1726:                             ;   in Loop: Header=BB4_136 Depth=3
	v_or_b32_e32 v18, 0x7b, v2
; %bb.1727:                             ;   in Loop: Header=BB4_136 Depth=3
	s_or_b32 exec_lo, exec_lo, s13
                                        ; implicit-def: $vgpr5
                                        ; implicit-def: $vgpr16_vgpr17
                                        ; implicit-def: $vgpr2
.LBB4_1728:                             ;   in Loop: Header=BB4_136 Depth=3
	s_and_not1_saveexec_b32 s13, s74
	s_cbranch_execz .LBB4_1734
; %bb.1729:                             ;   in Loop: Header=BB4_136 Depth=3
	s_mov_b32 s74, exec_lo
                                        ; implicit-def: $vgpr18
	v_cmpx_ne_u64_e32 0, v[16:17]
	s_xor_b32 s74, exec_lo, s74
; %bb.1730:                             ;   in Loop: Header=BB4_136 Depth=3
	v_or_b32_e32 v18, 0x7f, v2
                                        ; implicit-def: $vgpr5
; %bb.1731:                             ;   in Loop: Header=BB4_136 Depth=3
	s_and_not1_saveexec_b32 s74, s74
; %bb.1732:                             ;   in Loop: Header=BB4_136 Depth=3
	v_cmp_lt_i32_e32 vcc_lo, -1, v5
	v_cndmask_b32_e32 v18, 0xfc, v49, vcc_lo
; %bb.1733:                             ;   in Loop: Header=BB4_136 Depth=3
	s_or_b32 exec_lo, exec_lo, s74
.LBB4_1734:                             ;   in Loop: Header=BB4_136 Depth=3
	s_delay_alu instid0(SALU_CYCLE_1) | instskip(SKIP_3) | instid1(VALU_DEP_2)
	s_or_b32 exec_lo, exec_lo, s13
	v_lshrrev_b16 v16, 8, v4
	v_mov_b32_e32 v2, 0
	s_mov_b32 s74, exec_lo
	v_cmpx_ne_u16_e32 0, v16
	s_cbranch_execz .LBB4_1744
; %bb.1735:                             ;   in Loop: Header=BB4_136 Depth=3
	v_bfrev_b32_e32 v2, 1
	s_mov_b32 s75, exec_lo
	v_cmpx_ne_u16_e32 0x80, v16
	s_cbranch_execz .LBB4_1743
; %bb.1736:                             ;   in Loop: Header=BB4_136 Depth=3
	v_and_b32_e32 v5, 0xffff, v16
	s_delay_alu instid0(VALU_DEP_1) | instskip(SKIP_1) | instid1(VALU_DEP_2)
	v_and_b32_e32 v2, 0x7c, v5
	v_and_b32_e32 v17, 3, v5
	v_cmp_ne_u32_e32 vcc_lo, 0x7c, v2
                                        ; implicit-def: $vgpr2
	s_and_saveexec_b32 s13, vcc_lo
	s_delay_alu instid0(SALU_CYCLE_1)
	s_xor_b32 s13, exec_lo, s13
	s_cbranch_execz .LBB4_1740
; %bb.1737:                             ;   in Loop: Header=BB4_136 Depth=3
	v_bfe_u32 v2, v5, 2, 5
	s_mov_b32 s76, exec_lo
	s_delay_alu instid0(VALU_DEP_1)
	v_cmpx_eq_u32_e32 0, v2
	s_cbranch_execz .LBB4_1739
; %bb.1738:                             ;   in Loop: Header=BB4_136 Depth=3
	v_clz_i32_u32_e32 v2, v17
	s_delay_alu instid0(VALU_DEP_1) | instskip(SKIP_1) | instid1(VALU_DEP_2)
	v_min_u32_e32 v2, 32, v2
	v_mov_b32_e32 v17, v3
	v_subrev_nc_u32_e32 v5, 29, v2
	v_sub_nc_u32_e32 v2, 30, v2
	s_delay_alu instid0(VALU_DEP_2) | instskip(NEXT) | instid1(VALU_DEP_1)
	v_lshlrev_b64_e32 v[16:17], v5, v[16:17]
	v_and_b32_e32 v17, 3, v16
.LBB4_1739:                             ;   in Loop: Header=BB4_136 Depth=3
	s_or_b32 exec_lo, exec_lo, s76
	v_lshlrev_b32_e32 v4, 16, v4
	s_delay_alu instid0(VALU_DEP_1) | instskip(NEXT) | instid1(VALU_DEP_1)
	v_and_b32_e32 v4, 0x80000000, v4
	v_lshl_add_u32 v2, v2, 23, v4
                                        ; implicit-def: $vgpr4_vgpr5
	s_delay_alu instid0(VALU_DEP_1) | instskip(NEXT) | instid1(VALU_DEP_1)
	v_lshl_or_b32 v2, v17, 21, v2
                                        ; implicit-def: $vgpr17
	v_add_nc_u32_e32 v2, 0x38000000, v2
.LBB4_1740:                             ;   in Loop: Header=BB4_136 Depth=3
	s_and_not1_saveexec_b32 s76, s13
; %bb.1741:                             ;   in Loop: Header=BB4_136 Depth=3
	v_cmp_lt_i16_e64 s13, -1, v4
	v_cmp_eq_u32_e32 vcc_lo, 0, v17
	s_delay_alu instid0(VALU_DEP_2) | instskip(NEXT) | instid1(VALU_DEP_1)
	v_cndmask_b32_e64 v2, 0xff800000, v48, s13
	v_cndmask_b32_e32 v2, 0x7f800001, v2, vcc_lo
; %bb.1742:                             ;   in Loop: Header=BB4_136 Depth=3
	s_or_b32 exec_lo, exec_lo, s76
.LBB4_1743:                             ;   in Loop: Header=BB4_136 Depth=3
	s_delay_alu instid0(SALU_CYCLE_1)
	s_or_b32 exec_lo, exec_lo, s75
.LBB4_1744:                             ;   in Loop: Header=BB4_136 Depth=3
	s_delay_alu instid0(SALU_CYCLE_1) | instskip(NEXT) | instid1(VALU_DEP_1)
	s_or_b32 exec_lo, exec_lo, s74
	v_dual_mul_f32 v16, s73, v2 :: v_dual_mov_b32 v87, v3
	v_mov_b32_e32 v5, v3
                                        ; implicit-def: $vgpr19
	s_mov_b32 s13, exec_lo
	s_delay_alu instid0(VALU_DEP_2) | instskip(SKIP_2) | instid1(VALU_DEP_3)
	v_and_b32_e32 v86, 0x7f800000, v16
	v_and_b32_e32 v4, 0x7fffff, v16
	v_lshrrev_b32_e32 v2, 24, v16
	v_cmpx_ne_u64_e32 0x7f800000, v[86:87]
	s_xor_b32 s74, exec_lo, s13
	s_cbranch_execz .LBB4_1758
; %bb.1745:                             ;   in Loop: Header=BB4_136 Depth=3
	v_and_b32_e32 v86, 0x7fffffff, v16
	v_mov_b32_e32 v87, v3
	v_and_b32_e32 v2, 0x80, v2
                                        ; implicit-def: $vgpr19
	s_mov_b32 s13, exec_lo
	s_delay_alu instid0(VALU_DEP_2)
	v_cmpx_gt_u64_e32 0x47600001, v[86:87]
	s_xor_b32 s75, exec_lo, s13
	s_cbranch_execz .LBB4_1755
; %bb.1746:                             ;   in Loop: Header=BB4_136 Depth=3
	v_mov_b32_e32 v19, 0
	s_mov_b32 s76, exec_lo
	v_cmpx_ne_u32_e32 0, v16
	s_cbranch_execz .LBB4_1754
; %bb.1747:                             ;   in Loop: Header=BB4_136 Depth=3
	v_bfe_u32 v19, v16, 23, 8
	v_or_b32_e32 v17, 0x800000, v4
	s_delay_alu instid0(VALU_DEP_2) | instskip(SKIP_2) | instid1(VALU_DEP_2)
	v_cmp_gt_u32_e64 s13, 0x72, v19
	v_sub_nc_u32_e32 v16, 0x71, v19
	v_cmp_eq_u32_e32 vcc_lo, 0, v19
	v_cndmask_b32_e64 v16, 0, v16, s13
	s_delay_alu instid0(VALU_DEP_1) | instskip(NEXT) | instid1(VALU_DEP_1)
	v_cndmask_b32_e64 v21, v16, 0x70, vcc_lo
	v_dual_cndmask_b32 v4, v17, v4, vcc_lo :: v_dual_add_nc_u32 v16, 21, v21
	v_add_nc_u32_e32 v86, 20, v21
	s_delay_alu instid0(VALU_DEP_2) | instskip(NEXT) | instid1(VALU_DEP_2)
	v_lshlrev_b64_e64 v[16:17], v16, -1
	v_lshlrev_b64_e64 v[86:87], v86, 1
	s_delay_alu instid0(VALU_DEP_2) | instskip(SKIP_1) | instid1(VALU_DEP_4)
	v_bfi_b32 v16, v16, 0, v4
	v_lshrrev_b64 v[4:5], v21, v[4:5]
	v_bfi_b32 v17, v17, 0, 0
	s_delay_alu instid0(VALU_DEP_1) | instskip(NEXT) | instid1(VALU_DEP_3)
	v_cmp_eq_u64_e64 s13, v[16:17], v[86:87]
	v_mov_b64_e32 v[16:17], v[4:5]
	s_and_saveexec_b32 s77, s13
; %bb.1748:                             ;   in Loop: Header=BB4_136 Depth=3
	v_bfe_u32 v16, v4, 21, 1
	v_mov_b32_e32 v17, v3
	s_delay_alu instid0(VALU_DEP_1) | instskip(NEXT) | instid1(VALU_DEP_1)
	v_add_nc_u64_e32 v[16:17], v[4:5], v[16:17]
	v_add_nc_u64_e32 v[16:17], -1, v[16:17]
; %bb.1749:                             ;   in Loop: Header=BB4_136 Depth=3
	s_or_b32 exec_lo, exec_lo, s77
	v_add_nc_u32_e32 v5, 0xffffff81, v19
	v_lshrrev_b32_e32 v17, 23, v4
	s_mov_b32 s13, exec_lo
	s_delay_alu instid0(VALU_DEP_2) | instskip(NEXT) | instid1(VALU_DEP_1)
	v_cndmask_b32_e64 v5, v5, 0xffffff82, vcc_lo
	v_add3_u32 v19, v21, v5, v17
	v_and_b32_e32 v5, 0x1fffff, v16
                                        ; implicit-def: $vgpr16
	s_delay_alu instid0(VALU_DEP_1) | instskip(SKIP_1) | instid1(VALU_DEP_2)
	v_dual_add_nc_u32 v17, 14, v19 :: v_dual_add_nc_u32 v4, v5, v4
	v_mov_b32_e32 v5, v3
	v_cmpx_ne_u32_e32 0, v17
	s_xor_b32 s13, exec_lo, s13
; %bb.1750:                             ;   in Loop: Header=BB4_136 Depth=3
	s_delay_alu instid0(VALU_DEP_2) | instskip(SKIP_1) | instid1(VALU_DEP_1)
	v_cmp_lt_u64_e32 vcc_lo, 0xffffff, v[4:5]
	v_add_nc_u32_e32 v16, 15, v19
	v_cndmask_b32_e32 v16, v17, v16, vcc_lo
	v_cndmask_b32_e64 v17, 0, 1, vcc_lo
	s_delay_alu instid0(VALU_DEP_1)
	v_lshrrev_b64 v[4:5], v17, v[4:5]
; %bb.1751:                             ;   in Loop: Header=BB4_136 Depth=3
	s_and_not1_saveexec_b32 s13, s13
; %bb.1752:                             ;   in Loop: Header=BB4_136 Depth=3
	s_delay_alu instid0(VALU_DEP_1)
	v_bfe_u32 v16, v4, 23, 1
; %bb.1753:                             ;   in Loop: Header=BB4_136 Depth=3
	s_or_b32 exec_lo, exec_lo, s13
	s_delay_alu instid0(VALU_DEP_2) | instskip(NEXT) | instid1(VALU_DEP_2)
	v_lshrrev_b64 v[4:5], 21, v[4:5]
	v_cmp_gt_i32_e32 vcc_lo, 32, v16
	v_min_i32_e32 v17, 31, v16
	v_cmp_eq_u32_e64 s13, 0, v16
	s_delay_alu instid0(VALU_DEP_4) | instskip(NEXT) | instid1(VALU_DEP_3)
	v_cndmask_b32_e32 v5, 0, v5, vcc_lo
	v_dual_cndmask_b32 v4, 3, v4 :: v_dual_lshlrev_b32 v17, 2, v17
	s_delay_alu instid0(VALU_DEP_1) | instskip(NEXT) | instid1(VALU_DEP_2)
	v_and_b32_e32 v17, 0xfc, v17
	v_cmp_eq_u64_e32 vcc_lo, 0, v[4:5]
	s_delay_alu instid0(VALU_DEP_2)
	v_and_or_b32 v4, v4, 3, v17
	s_and_b32 s13, s13, vcc_lo
	s_delay_alu instid0(VALU_DEP_1) | instid1(SALU_CYCLE_1)
	v_cndmask_b32_e64 v4, v4, 0, s13
	s_delay_alu instid0(VALU_DEP_1)
	v_or_b32_e32 v19, v4, v2
.LBB4_1754:                             ;   in Loop: Header=BB4_136 Depth=3
	s_or_b32 exec_lo, exec_lo, s76
                                        ; implicit-def: $vgpr2
.LBB4_1755:                             ;   in Loop: Header=BB4_136 Depth=3
	s_and_not1_saveexec_b32 s13, s75
; %bb.1756:                             ;   in Loop: Header=BB4_136 Depth=3
	v_or_b32_e32 v19, 0x7b, v2
; %bb.1757:                             ;   in Loop: Header=BB4_136 Depth=3
	s_or_b32 exec_lo, exec_lo, s13
                                        ; implicit-def: $vgpr16
                                        ; implicit-def: $vgpr4_vgpr5
                                        ; implicit-def: $vgpr2
.LBB4_1758:                             ;   in Loop: Header=BB4_136 Depth=3
	s_and_not1_saveexec_b32 s13, s74
	s_cbranch_execz .LBB4_1764
; %bb.1759:                             ;   in Loop: Header=BB4_136 Depth=3
	s_mov_b32 s74, exec_lo
                                        ; implicit-def: $vgpr19
	v_cmpx_ne_u64_e32 0, v[4:5]
	s_xor_b32 s74, exec_lo, s74
; %bb.1760:                             ;   in Loop: Header=BB4_136 Depth=3
	v_or_b32_e32 v19, 0x7f, v2
                                        ; implicit-def: $vgpr16
; %bb.1761:                             ;   in Loop: Header=BB4_136 Depth=3
	s_and_not1_saveexec_b32 s74, s74
; %bb.1762:                             ;   in Loop: Header=BB4_136 Depth=3
	v_cmp_lt_i32_e32 vcc_lo, -1, v16
	v_cndmask_b32_e32 v19, 0xfc, v49, vcc_lo
; %bb.1763:                             ;   in Loop: Header=BB4_136 Depth=3
	s_or_b32 exec_lo, exec_lo, s74
.LBB4_1764:                             ;   in Loop: Header=BB4_136 Depth=3
	s_delay_alu instid0(SALU_CYCLE_1) | instskip(SKIP_2) | instid1(VALU_DEP_1)
	s_or_b32 exec_lo, exec_lo, s13
	v_dual_lshrrev_b32 v2, 16, v9 :: v_dual_mov_b32 v4, 0
	s_mov_b32 s74, exec_lo
	v_and_b32_e32 v5, 0xff, v2
	s_delay_alu instid0(VALU_DEP_1)
	v_cmpx_ne_u16_e32 0, v5
	s_cbranch_execz .LBB4_1774
; %bb.1765:                             ;   in Loop: Header=BB4_136 Depth=3
	v_bfrev_b32_e32 v4, 1
	s_mov_b32 s75, exec_lo
	v_cmpx_ne_u16_e32 0x80, v5
	s_cbranch_execz .LBB4_1773
; %bb.1766:                             ;   in Loop: Header=BB4_136 Depth=3
	v_and_b32_e32 v4, 0x7c0000, v9
	v_bfe_u32 v5, v9, 16, 2
	s_delay_alu instid0(VALU_DEP_2) | instskip(SKIP_1) | instid1(SALU_CYCLE_1)
	v_cmp_ne_u32_e32 vcc_lo, 0x7c0000, v4
                                        ; implicit-def: $vgpr4
	s_and_saveexec_b32 s13, vcc_lo
	s_xor_b32 s13, exec_lo, s13
	s_cbranch_execz .LBB4_1770
; %bb.1767:                             ;   in Loop: Header=BB4_136 Depth=3
	v_bfe_u32 v4, v9, 18, 5
	s_mov_b32 s76, exec_lo
	s_delay_alu instid0(VALU_DEP_1)
	v_cmpx_eq_u32_e32 0, v4
; %bb.1768:                             ;   in Loop: Header=BB4_136 Depth=3
	v_clz_i32_u32_e32 v4, v5
	s_delay_alu instid0(VALU_DEP_1) | instskip(NEXT) | instid1(VALU_DEP_1)
	v_min_u32_e32 v4, 32, v4
	v_subrev_nc_u32_e32 v5, 29, v4
	v_sub_nc_u32_e32 v4, 30, v4
	s_delay_alu instid0(VALU_DEP_2) | instskip(NEXT) | instid1(VALU_DEP_1)
	v_lshlrev_b64_e32 v[16:17], v5, v[2:3]
	v_and_b32_e32 v5, 3, v16
; %bb.1769:                             ;   in Loop: Header=BB4_136 Depth=3
	s_or_b32 exec_lo, exec_lo, s76
	v_lshlrev_b32_e32 v2, 24, v2
	s_delay_alu instid0(VALU_DEP_1) | instskip(NEXT) | instid1(VALU_DEP_1)
	v_and_b32_e32 v2, 0x80000000, v2
	v_lshl_add_u32 v2, v4, 23, v2
	s_delay_alu instid0(VALU_DEP_1) | instskip(NEXT) | instid1(VALU_DEP_1)
	v_lshl_or_b32 v2, v5, 21, v2
                                        ; implicit-def: $vgpr5
	v_add_nc_u32_e32 v4, 0x38000000, v2
                                        ; implicit-def: $vgpr2
.LBB4_1770:                             ;   in Loop: Header=BB4_136 Depth=3
	s_and_not1_saveexec_b32 s76, s13
; %bb.1771:                             ;   in Loop: Header=BB4_136 Depth=3
	v_bfe_i32 v2, v2, 0, 8
	v_cmp_eq_u32_e32 vcc_lo, 0, v5
	s_delay_alu instid0(VALU_DEP_2) | instskip(NEXT) | instid1(VALU_DEP_1)
	v_cmp_lt_i16_e64 s13, -1, v2
	v_cndmask_b32_e64 v2, 0xff800000, v48, s13
	s_delay_alu instid0(VALU_DEP_1)
	v_cndmask_b32_e32 v4, 0x7f800001, v2, vcc_lo
; %bb.1772:                             ;   in Loop: Header=BB4_136 Depth=3
	s_or_b32 exec_lo, exec_lo, s76
.LBB4_1773:                             ;   in Loop: Header=BB4_136 Depth=3
	s_delay_alu instid0(SALU_CYCLE_1)
	s_or_b32 exec_lo, exec_lo, s75
.LBB4_1774:                             ;   in Loop: Header=BB4_136 Depth=3
	s_delay_alu instid0(SALU_CYCLE_1) | instskip(NEXT) | instid1(VALU_DEP_1)
	s_or_b32 exec_lo, exec_lo, s74
	v_dual_mul_f32 v16, s73, v4 :: v_dual_mov_b32 v87, v3
	v_mov_b32_e32 v5, v3
                                        ; implicit-def: $vgpr122
	s_mov_b32 s13, exec_lo
	s_delay_alu instid0(VALU_DEP_2) | instskip(SKIP_2) | instid1(VALU_DEP_3)
	v_and_b32_e32 v86, 0x7f800000, v16
	v_and_b32_e32 v4, 0x7fffff, v16
	v_lshrrev_b32_e32 v2, 24, v16
	v_cmpx_ne_u64_e32 0x7f800000, v[86:87]
	s_xor_b32 s74, exec_lo, s13
	s_cbranch_execz .LBB4_1788
; %bb.1775:                             ;   in Loop: Header=BB4_136 Depth=3
	v_and_b32_e32 v86, 0x7fffffff, v16
	v_mov_b32_e32 v87, v3
	v_and_b32_e32 v2, 0x80, v2
                                        ; implicit-def: $vgpr122
	s_mov_b32 s13, exec_lo
	s_delay_alu instid0(VALU_DEP_2)
	v_cmpx_gt_u64_e32 0x47600001, v[86:87]
	s_xor_b32 s75, exec_lo, s13
	s_cbranch_execz .LBB4_1785
; %bb.1776:                             ;   in Loop: Header=BB4_136 Depth=3
	v_mov_b32_e32 v122, 0
	s_mov_b32 s76, exec_lo
	v_cmpx_ne_u32_e32 0, v16
	s_cbranch_execz .LBB4_1784
; %bb.1777:                             ;   in Loop: Header=BB4_136 Depth=3
	v_bfe_u32 v21, v16, 23, 8
	v_or_b32_e32 v17, 0x800000, v4
	s_delay_alu instid0(VALU_DEP_2) | instskip(SKIP_2) | instid1(VALU_DEP_2)
	v_cmp_gt_u32_e64 s13, 0x72, v21
	v_sub_nc_u32_e32 v16, 0x71, v21
	v_cmp_eq_u32_e32 vcc_lo, 0, v21
	v_cndmask_b32_e64 v16, 0, v16, s13
	v_cndmask_b32_e32 v4, v17, v4, vcc_lo
	s_delay_alu instid0(VALU_DEP_2) | instskip(NEXT) | instid1(VALU_DEP_1)
	v_cndmask_b32_e64 v112, v16, 0x70, vcc_lo
	v_dual_add_nc_u32 v16, 21, v112 :: v_dual_add_nc_u32 v86, 20, v112
	s_delay_alu instid0(VALU_DEP_1) | instskip(NEXT) | instid1(VALU_DEP_2)
	v_lshlrev_b64_e64 v[16:17], v16, -1
	v_lshlrev_b64_e64 v[86:87], v86, 1
	s_delay_alu instid0(VALU_DEP_2) | instskip(SKIP_1) | instid1(VALU_DEP_4)
	v_bfi_b32 v16, v16, 0, v4
	v_lshrrev_b64 v[4:5], v112, v[4:5]
	v_bfi_b32 v17, v17, 0, 0
	s_delay_alu instid0(VALU_DEP_1) | instskip(NEXT) | instid1(VALU_DEP_3)
	v_cmp_eq_u64_e64 s13, v[16:17], v[86:87]
	v_mov_b64_e32 v[16:17], v[4:5]
	s_and_saveexec_b32 s77, s13
; %bb.1778:                             ;   in Loop: Header=BB4_136 Depth=3
	v_bfe_u32 v16, v4, 21, 1
	v_mov_b32_e32 v17, v3
	s_delay_alu instid0(VALU_DEP_1) | instskip(NEXT) | instid1(VALU_DEP_1)
	v_add_nc_u64_e32 v[16:17], v[4:5], v[16:17]
	v_add_nc_u64_e32 v[16:17], -1, v[16:17]
; %bb.1779:                             ;   in Loop: Header=BB4_136 Depth=3
	s_or_b32 exec_lo, exec_lo, s77
	v_add_nc_u32_e32 v5, 0xffffff81, v21
	v_lshrrev_b32_e32 v17, 23, v4
	s_mov_b32 s13, exec_lo
	s_delay_alu instid0(VALU_DEP_2) | instskip(NEXT) | instid1(VALU_DEP_1)
	v_cndmask_b32_e64 v5, v5, 0xffffff82, vcc_lo
	v_add3_u32 v21, v112, v5, v17
	v_and_b32_e32 v5, 0x1fffff, v16
                                        ; implicit-def: $vgpr16
	s_delay_alu instid0(VALU_DEP_1) | instskip(SKIP_1) | instid1(VALU_DEP_2)
	v_dual_add_nc_u32 v17, 14, v21 :: v_dual_add_nc_u32 v4, v5, v4
	v_mov_b32_e32 v5, v3
	v_cmpx_ne_u32_e32 0, v17
	s_xor_b32 s13, exec_lo, s13
; %bb.1780:                             ;   in Loop: Header=BB4_136 Depth=3
	s_delay_alu instid0(VALU_DEP_2) | instskip(SKIP_1) | instid1(VALU_DEP_1)
	v_cmp_lt_u64_e32 vcc_lo, 0xffffff, v[4:5]
	v_add_nc_u32_e32 v16, 15, v21
	v_cndmask_b32_e32 v16, v17, v16, vcc_lo
	v_cndmask_b32_e64 v17, 0, 1, vcc_lo
	s_delay_alu instid0(VALU_DEP_1)
	v_lshrrev_b64 v[4:5], v17, v[4:5]
; %bb.1781:                             ;   in Loop: Header=BB4_136 Depth=3
	s_and_not1_saveexec_b32 s13, s13
; %bb.1782:                             ;   in Loop: Header=BB4_136 Depth=3
	s_delay_alu instid0(VALU_DEP_1)
	v_bfe_u32 v16, v4, 23, 1
; %bb.1783:                             ;   in Loop: Header=BB4_136 Depth=3
	s_or_b32 exec_lo, exec_lo, s13
	s_delay_alu instid0(VALU_DEP_2) | instskip(NEXT) | instid1(VALU_DEP_2)
	v_lshrrev_b64 v[4:5], 21, v[4:5]
	v_cmp_gt_i32_e32 vcc_lo, 32, v16
	v_min_i32_e32 v17, 31, v16
	v_cmp_eq_u32_e64 s13, 0, v16
	s_delay_alu instid0(VALU_DEP_4) | instskip(NEXT) | instid1(VALU_DEP_3)
	v_cndmask_b32_e32 v5, 0, v5, vcc_lo
	v_dual_cndmask_b32 v4, 3, v4 :: v_dual_lshlrev_b32 v17, 2, v17
	s_delay_alu instid0(VALU_DEP_1) | instskip(NEXT) | instid1(VALU_DEP_2)
	v_and_b32_e32 v17, 0xfc, v17
	v_cmp_eq_u64_e32 vcc_lo, 0, v[4:5]
	s_delay_alu instid0(VALU_DEP_2)
	v_and_or_b32 v4, v4, 3, v17
	s_and_b32 s13, s13, vcc_lo
	s_delay_alu instid0(VALU_DEP_1) | instid1(SALU_CYCLE_1)
	v_cndmask_b32_e64 v4, v4, 0, s13
	s_delay_alu instid0(VALU_DEP_1)
	v_or_b32_e32 v122, v4, v2
.LBB4_1784:                             ;   in Loop: Header=BB4_136 Depth=3
	s_or_b32 exec_lo, exec_lo, s76
                                        ; implicit-def: $vgpr2
.LBB4_1785:                             ;   in Loop: Header=BB4_136 Depth=3
	s_and_not1_saveexec_b32 s13, s75
; %bb.1786:                             ;   in Loop: Header=BB4_136 Depth=3
	v_or_b32_e32 v122, 0x7b, v2
; %bb.1787:                             ;   in Loop: Header=BB4_136 Depth=3
	s_or_b32 exec_lo, exec_lo, s13
                                        ; implicit-def: $vgpr16
                                        ; implicit-def: $vgpr4_vgpr5
                                        ; implicit-def: $vgpr2
.LBB4_1788:                             ;   in Loop: Header=BB4_136 Depth=3
	s_and_not1_saveexec_b32 s13, s74
	s_cbranch_execz .LBB4_1794
; %bb.1789:                             ;   in Loop: Header=BB4_136 Depth=3
	s_mov_b32 s74, exec_lo
                                        ; implicit-def: $vgpr122
	v_cmpx_ne_u64_e32 0, v[4:5]
	s_xor_b32 s74, exec_lo, s74
; %bb.1790:                             ;   in Loop: Header=BB4_136 Depth=3
	v_or_b32_e32 v122, 0x7f, v2
                                        ; implicit-def: $vgpr16
; %bb.1791:                             ;   in Loop: Header=BB4_136 Depth=3
	s_and_not1_saveexec_b32 s74, s74
; %bb.1792:                             ;   in Loop: Header=BB4_136 Depth=3
	v_cmp_lt_i32_e32 vcc_lo, -1, v16
	v_cndmask_b32_e32 v122, 0xfc, v49, vcc_lo
; %bb.1793:                             ;   in Loop: Header=BB4_136 Depth=3
	s_or_b32 exec_lo, exec_lo, s74
.LBB4_1794:                             ;   in Loop: Header=BB4_136 Depth=3
	s_delay_alu instid0(SALU_CYCLE_1)
	s_or_b32 exec_lo, exec_lo, s13
	v_mov_b32_e32 v4, 0
	s_mov_b32 s74, exec_lo
	v_cmpx_lt_u64_e64 s[22:23], v[8:9]
	s_cbranch_execz .LBB4_1804
; %bb.1795:                             ;   in Loop: Header=BB4_136 Depth=3
	v_lshrrev_b32_e32 v2, 24, v9
	v_bfrev_b32_e32 v4, 1
	s_mov_b32 s75, exec_lo
	s_delay_alu instid0(VALU_DEP_2)
	v_cmpx_ne_u32_e32 0x80, v2
	s_cbranch_execz .LBB4_1803
; %bb.1796:                             ;   in Loop: Header=BB4_136 Depth=3
	v_and_b32_e32 v4, 0x7c000000, v9
	v_bfe_u32 v5, v9, 24, 2
	s_delay_alu instid0(VALU_DEP_2) | instskip(SKIP_1) | instid1(SALU_CYCLE_1)
	v_cmp_ne_u32_e32 vcc_lo, 0x7c000000, v4
                                        ; implicit-def: $vgpr4
	s_and_saveexec_b32 s13, vcc_lo
	s_xor_b32 s13, exec_lo, s13
	s_cbranch_execz .LBB4_1800
; %bb.1797:                             ;   in Loop: Header=BB4_136 Depth=3
	v_bfe_u32 v4, v9, 26, 5
	s_mov_b32 s76, exec_lo
	s_delay_alu instid0(VALU_DEP_1)
	v_cmpx_eq_u32_e32 0, v4
; %bb.1798:                             ;   in Loop: Header=BB4_136 Depth=3
	v_clz_i32_u32_e32 v4, v5
	s_delay_alu instid0(VALU_DEP_1) | instskip(NEXT) | instid1(VALU_DEP_1)
	v_min_u32_e32 v4, 32, v4
	v_subrev_nc_u32_e32 v5, 29, v4
	v_sub_nc_u32_e32 v4, 30, v4
	s_delay_alu instid0(VALU_DEP_2) | instskip(NEXT) | instid1(VALU_DEP_1)
	v_lshlrev_b64_e32 v[16:17], v5, v[2:3]
	v_and_b32_e32 v5, 3, v16
; %bb.1799:                             ;   in Loop: Header=BB4_136 Depth=3
	s_or_b32 exec_lo, exec_lo, s76
	v_and_b32_e32 v2, 0x80000000, v9
	s_delay_alu instid0(VALU_DEP_1) | instskip(NEXT) | instid1(VALU_DEP_1)
	v_lshl_add_u32 v2, v4, 23, v2
	v_lshl_or_b32 v2, v5, 21, v2
                                        ; implicit-def: $vgpr5
	s_delay_alu instid0(VALU_DEP_1)
	v_add_nc_u32_e32 v4, 0x38000000, v2
.LBB4_1800:                             ;   in Loop: Header=BB4_136 Depth=3
	s_and_not1_saveexec_b32 s76, s13
; %bb.1801:                             ;   in Loop: Header=BB4_136 Depth=3
	v_cmp_lt_i64_e64 s13, -1, v[8:9]
	v_cmp_eq_u32_e32 vcc_lo, 0, v5
	s_delay_alu instid0(VALU_DEP_2) | instskip(NEXT) | instid1(VALU_DEP_1)
	v_cndmask_b32_e64 v2, 0xff800000, v48, s13
	v_cndmask_b32_e32 v4, 0x7f800001, v2, vcc_lo
; %bb.1802:                             ;   in Loop: Header=BB4_136 Depth=3
	s_or_b32 exec_lo, exec_lo, s76
.LBB4_1803:                             ;   in Loop: Header=BB4_136 Depth=3
	s_delay_alu instid0(SALU_CYCLE_1)
	s_or_b32 exec_lo, exec_lo, s75
.LBB4_1804:                             ;   in Loop: Header=BB4_136 Depth=3
	s_delay_alu instid0(SALU_CYCLE_1) | instskip(NEXT) | instid1(VALU_DEP_1)
	s_or_b32 exec_lo, exec_lo, s74
	v_dual_mul_f32 v8, s73, v4 :: v_dual_mov_b32 v17, v3
	v_mov_b32_e32 v5, v3
                                        ; implicit-def: $vgpr123
	s_mov_b32 s13, exec_lo
	s_delay_alu instid0(VALU_DEP_2) | instskip(SKIP_2) | instid1(VALU_DEP_3)
	v_and_b32_e32 v16, 0x7f800000, v8
	v_and_b32_e32 v4, 0x7fffff, v8
	v_lshrrev_b32_e32 v2, 24, v8
	v_cmpx_ne_u64_e32 0x7f800000, v[16:17]
	s_xor_b32 s74, exec_lo, s13
	s_cbranch_execz .LBB4_1818
; %bb.1805:                             ;   in Loop: Header=BB4_136 Depth=3
	v_and_b32_e32 v16, 0x7fffffff, v8
	v_mov_b32_e32 v17, v3
	v_and_b32_e32 v2, 0x80, v2
                                        ; implicit-def: $vgpr123
	s_mov_b32 s13, exec_lo
	s_delay_alu instid0(VALU_DEP_2)
	v_cmpx_gt_u64_e32 0x47600001, v[16:17]
	s_xor_b32 s75, exec_lo, s13
	s_cbranch_execz .LBB4_1815
; %bb.1806:                             ;   in Loop: Header=BB4_136 Depth=3
	v_mov_b32_e32 v123, 0
	s_mov_b32 s76, exec_lo
	v_cmpx_ne_u32_e32 0, v8
	s_cbranch_execz .LBB4_1814
; %bb.1807:                             ;   in Loop: Header=BB4_136 Depth=3
	v_bfe_u32 v16, v8, 23, 8
	v_or_b32_e32 v9, 0x800000, v4
	s_delay_alu instid0(VALU_DEP_2) | instskip(SKIP_2) | instid1(VALU_DEP_2)
	v_cmp_gt_u32_e64 s13, 0x72, v16
	v_sub_nc_u32_e32 v8, 0x71, v16
	v_cmp_eq_u32_e32 vcc_lo, 0, v16
	v_cndmask_b32_e64 v8, 0, v8, s13
	s_delay_alu instid0(VALU_DEP_1) | instskip(NEXT) | instid1(VALU_DEP_1)
	v_cndmask_b32_e64 v17, v8, 0x70, vcc_lo
	v_dual_cndmask_b32 v4, v9, v4, vcc_lo :: v_dual_add_nc_u32 v8, 21, v17
	v_add_nc_u32_e32 v21, 20, v17
	s_delay_alu instid0(VALU_DEP_2) | instskip(NEXT) | instid1(VALU_DEP_2)
	v_lshlrev_b64_e64 v[8:9], v8, -1
	v_lshlrev_b64_e64 v[86:87], v21, 1
	s_delay_alu instid0(VALU_DEP_2) | instskip(SKIP_1) | instid1(VALU_DEP_4)
	v_bfi_b32 v8, v8, 0, v4
	v_lshrrev_b64 v[4:5], v17, v[4:5]
	v_bfi_b32 v9, v9, 0, 0
	s_delay_alu instid0(VALU_DEP_1) | instskip(NEXT) | instid1(VALU_DEP_3)
	v_cmp_eq_u64_e64 s13, v[8:9], v[86:87]
	v_mov_b64_e32 v[8:9], v[4:5]
	s_and_saveexec_b32 s77, s13
; %bb.1808:                             ;   in Loop: Header=BB4_136 Depth=3
	v_bfe_u32 v8, v4, 21, 1
	v_mov_b32_e32 v9, v3
	s_delay_alu instid0(VALU_DEP_1) | instskip(NEXT) | instid1(VALU_DEP_1)
	v_add_nc_u64_e32 v[8:9], v[4:5], v[8:9]
	v_add_nc_u64_e32 v[8:9], -1, v[8:9]
; %bb.1809:                             ;   in Loop: Header=BB4_136 Depth=3
	s_or_b32 exec_lo, exec_lo, s77
	v_add_nc_u32_e32 v5, 0xffffff81, v16
	v_lshrrev_b32_e32 v9, 23, v4
	s_mov_b32 s13, exec_lo
	s_delay_alu instid0(VALU_DEP_2) | instskip(NEXT) | instid1(VALU_DEP_1)
	v_cndmask_b32_e64 v5, v5, 0xffffff82, vcc_lo
	v_add3_u32 v16, v17, v5, v9
	v_and_b32_e32 v5, 0x1fffff, v8
                                        ; implicit-def: $vgpr8
	s_delay_alu instid0(VALU_DEP_2) | instskip(NEXT) | instid1(VALU_DEP_2)
	v_add_nc_u32_e32 v9, 14, v16
	v_dual_mov_b32 v5, v3 :: v_dual_add_nc_u32 v4, v5, v4
	s_delay_alu instid0(VALU_DEP_2)
	v_cmpx_ne_u32_e32 0, v9
	s_xor_b32 s13, exec_lo, s13
; %bb.1810:                             ;   in Loop: Header=BB4_136 Depth=3
	s_delay_alu instid0(VALU_DEP_2) | instskip(SKIP_1) | instid1(VALU_DEP_1)
	v_cmp_lt_u64_e32 vcc_lo, 0xffffff, v[4:5]
	v_add_nc_u32_e32 v8, 15, v16
	v_cndmask_b32_e32 v8, v9, v8, vcc_lo
	v_cndmask_b32_e64 v9, 0, 1, vcc_lo
	s_delay_alu instid0(VALU_DEP_1)
	v_lshrrev_b64 v[4:5], v9, v[4:5]
; %bb.1811:                             ;   in Loop: Header=BB4_136 Depth=3
	s_and_not1_saveexec_b32 s13, s13
; %bb.1812:                             ;   in Loop: Header=BB4_136 Depth=3
	s_delay_alu instid0(VALU_DEP_1)
	v_bfe_u32 v8, v4, 23, 1
; %bb.1813:                             ;   in Loop: Header=BB4_136 Depth=3
	s_or_b32 exec_lo, exec_lo, s13
	s_delay_alu instid0(VALU_DEP_2) | instskip(NEXT) | instid1(VALU_DEP_2)
	v_lshrrev_b64 v[4:5], 21, v[4:5]
	v_cmp_gt_i32_e32 vcc_lo, 32, v8
	v_min_i32_e32 v9, 31, v8
	v_cmp_eq_u32_e64 s13, 0, v8
	s_delay_alu instid0(VALU_DEP_4) | instskip(NEXT) | instid1(VALU_DEP_3)
	v_cndmask_b32_e32 v5, 0, v5, vcc_lo
	v_dual_cndmask_b32 v4, 3, v4 :: v_dual_lshlrev_b32 v9, 2, v9
	s_delay_alu instid0(VALU_DEP_1) | instskip(NEXT) | instid1(VALU_DEP_2)
	v_and_b32_e32 v9, 0xfc, v9
	v_cmp_eq_u64_e32 vcc_lo, 0, v[4:5]
	s_delay_alu instid0(VALU_DEP_2)
	v_and_or_b32 v4, v4, 3, v9
	s_and_b32 s13, s13, vcc_lo
	s_delay_alu instid0(VALU_DEP_1) | instid1(SALU_CYCLE_1)
	v_cndmask_b32_e64 v4, v4, 0, s13
	s_delay_alu instid0(VALU_DEP_1)
	v_or_b32_e32 v123, v4, v2
.LBB4_1814:                             ;   in Loop: Header=BB4_136 Depth=3
	s_or_b32 exec_lo, exec_lo, s76
                                        ; implicit-def: $vgpr2
.LBB4_1815:                             ;   in Loop: Header=BB4_136 Depth=3
	s_and_not1_saveexec_b32 s13, s75
; %bb.1816:                             ;   in Loop: Header=BB4_136 Depth=3
	v_or_b32_e32 v123, 0x7b, v2
; %bb.1817:                             ;   in Loop: Header=BB4_136 Depth=3
	s_or_b32 exec_lo, exec_lo, s13
                                        ; implicit-def: $vgpr8
                                        ; implicit-def: $vgpr4_vgpr5
                                        ; implicit-def: $vgpr2
.LBB4_1818:                             ;   in Loop: Header=BB4_136 Depth=3
	s_and_not1_saveexec_b32 s13, s74
	s_cbranch_execz .LBB4_1824
; %bb.1819:                             ;   in Loop: Header=BB4_136 Depth=3
	s_mov_b32 s74, exec_lo
                                        ; implicit-def: $vgpr123
	v_cmpx_ne_u64_e32 0, v[4:5]
	s_xor_b32 s74, exec_lo, s74
; %bb.1820:                             ;   in Loop: Header=BB4_136 Depth=3
	v_or_b32_e32 v123, 0x7f, v2
                                        ; implicit-def: $vgpr8
; %bb.1821:                             ;   in Loop: Header=BB4_136 Depth=3
	s_and_not1_saveexec_b32 s74, s74
; %bb.1822:                             ;   in Loop: Header=BB4_136 Depth=3
	v_cmp_lt_i32_e32 vcc_lo, -1, v8
	v_cndmask_b32_e32 v123, 0xfc, v49, vcc_lo
; %bb.1823:                             ;   in Loop: Header=BB4_136 Depth=3
	s_or_b32 exec_lo, exec_lo, s74
.LBB4_1824:                             ;   in Loop: Header=BB4_136 Depth=3
	s_delay_alu instid0(SALU_CYCLE_1) | instskip(SKIP_1) | instid1(VALU_DEP_1)
	s_or_b32 exec_lo, exec_lo, s13
	v_and_b32_e32 v2, 0xff, v10
	v_cmp_ne_u16_e32 vcc_lo, 0, v2
	v_mov_b32_e32 v2, 0
	s_and_saveexec_b32 s74, vcc_lo
	s_cbranch_execz .LBB4_1834
; %bb.1825:                             ;   in Loop: Header=BB4_136 Depth=3
	v_bfe_i32 v5, v10, 0, 8
	v_bfrev_b32_e32 v2, 1
	s_mov_b32 s75, exec_lo
	s_delay_alu instid0(VALU_DEP_2)
	v_cmpx_ne_u16_e32 0xff80, v5
	s_cbranch_execz .LBB4_1833
; %bb.1826:                             ;   in Loop: Header=BB4_136 Depth=3
	v_and_b32_e32 v2, 0x7c, v10
	v_and_b32_e32 v4, 3, v10
	s_delay_alu instid0(VALU_DEP_2) | instskip(SKIP_1) | instid1(SALU_CYCLE_1)
	v_cmp_ne_u32_e32 vcc_lo, 0x7c, v2
                                        ; implicit-def: $vgpr2
	s_and_saveexec_b32 s13, vcc_lo
	s_xor_b32 s13, exec_lo, s13
	s_cbranch_execz .LBB4_1830
; %bb.1827:                             ;   in Loop: Header=BB4_136 Depth=3
	v_bfe_u32 v2, v10, 2, 5
	s_mov_b32 s76, exec_lo
	s_delay_alu instid0(VALU_DEP_1)
	v_cmpx_eq_u32_e32 0, v2
; %bb.1828:                             ;   in Loop: Header=BB4_136 Depth=3
	v_clz_i32_u32_e32 v2, v4
	s_delay_alu instid0(VALU_DEP_1) | instskip(NEXT) | instid1(VALU_DEP_1)
	v_min_u32_e32 v2, 32, v2
	v_subrev_nc_u32_e32 v4, 29, v2
	s_delay_alu instid0(VALU_DEP_1) | instskip(NEXT) | instid1(VALU_DEP_1)
	v_lshlrev_b64_e32 v[4:5], v4, v[10:11]
	v_dual_sub_nc_u32 v2, 30, v2 :: v_dual_bitop2_b32 v4, 3, v4 bitop3:0x40
; %bb.1829:                             ;   in Loop: Header=BB4_136 Depth=3
	s_or_b32 exec_lo, exec_lo, s76
	v_lshlrev_b32_e32 v5, 24, v10
	s_delay_alu instid0(VALU_DEP_1) | instskip(NEXT) | instid1(VALU_DEP_1)
	v_and_b32_e32 v5, 0x80000000, v5
	v_lshl_add_u32 v2, v2, 23, v5
                                        ; implicit-def: $vgpr5
	s_delay_alu instid0(VALU_DEP_1) | instskip(NEXT) | instid1(VALU_DEP_1)
	v_lshl_or_b32 v2, v4, 21, v2
                                        ; implicit-def: $vgpr4
	v_add_nc_u32_e32 v2, 0x38000000, v2
.LBB4_1830:                             ;   in Loop: Header=BB4_136 Depth=3
	s_and_not1_saveexec_b32 s76, s13
; %bb.1831:                             ;   in Loop: Header=BB4_136 Depth=3
	v_cmp_lt_i16_e64 s13, -1, v5
	v_cmp_eq_u32_e32 vcc_lo, 0, v4
	s_delay_alu instid0(VALU_DEP_2) | instskip(NEXT) | instid1(VALU_DEP_1)
	v_cndmask_b32_e64 v2, 0xff800000, v48, s13
	v_cndmask_b32_e32 v2, 0x7f800001, v2, vcc_lo
; %bb.1832:                             ;   in Loop: Header=BB4_136 Depth=3
	s_or_b32 exec_lo, exec_lo, s76
.LBB4_1833:                             ;   in Loop: Header=BB4_136 Depth=3
	s_delay_alu instid0(SALU_CYCLE_1)
	s_or_b32 exec_lo, exec_lo, s75
.LBB4_1834:                             ;   in Loop: Header=BB4_136 Depth=3
	s_delay_alu instid0(SALU_CYCLE_1) | instskip(NEXT) | instid1(VALU_DEP_1)
	s_or_b32 exec_lo, exec_lo, s74
	v_dual_mul_f32 v8, s73, v2 :: v_dual_mov_b32 v17, v3
	v_mov_b32_e32 v5, v3
                                        ; implicit-def: $vgpr124
	s_mov_b32 s13, exec_lo
	s_delay_alu instid0(VALU_DEP_2) | instskip(SKIP_2) | instid1(VALU_DEP_3)
	v_and_b32_e32 v16, 0x7f800000, v8
	v_and_b32_e32 v4, 0x7fffff, v8
	v_lshrrev_b32_e32 v2, 24, v8
	v_cmpx_ne_u64_e32 0x7f800000, v[16:17]
	s_xor_b32 s74, exec_lo, s13
	s_cbranch_execz .LBB4_1848
; %bb.1835:                             ;   in Loop: Header=BB4_136 Depth=3
	v_and_b32_e32 v16, 0x7fffffff, v8
	v_mov_b32_e32 v17, v3
	v_and_b32_e32 v2, 0x80, v2
                                        ; implicit-def: $vgpr124
	s_mov_b32 s13, exec_lo
	s_delay_alu instid0(VALU_DEP_2)
	v_cmpx_gt_u64_e32 0x47600001, v[16:17]
	s_xor_b32 s75, exec_lo, s13
	s_cbranch_execz .LBB4_1845
; %bb.1836:                             ;   in Loop: Header=BB4_136 Depth=3
	v_mov_b32_e32 v124, 0
	s_mov_b32 s76, exec_lo
	v_cmpx_ne_u32_e32 0, v8
	s_cbranch_execz .LBB4_1844
; %bb.1837:                             ;   in Loop: Header=BB4_136 Depth=3
	v_bfe_u32 v16, v8, 23, 8
	v_or_b32_e32 v9, 0x800000, v4
	s_delay_alu instid0(VALU_DEP_2) | instskip(SKIP_2) | instid1(VALU_DEP_2)
	v_cmp_gt_u32_e64 s13, 0x72, v16
	v_sub_nc_u32_e32 v8, 0x71, v16
	v_cmp_eq_u32_e32 vcc_lo, 0, v16
	v_cndmask_b32_e64 v8, 0, v8, s13
	s_delay_alu instid0(VALU_DEP_1) | instskip(NEXT) | instid1(VALU_DEP_1)
	v_cndmask_b32_e64 v17, v8, 0x70, vcc_lo
	v_dual_cndmask_b32 v4, v9, v4, vcc_lo :: v_dual_add_nc_u32 v8, 21, v17
	v_add_nc_u32_e32 v21, 20, v17
	s_delay_alu instid0(VALU_DEP_2) | instskip(NEXT) | instid1(VALU_DEP_2)
	v_lshlrev_b64_e64 v[8:9], v8, -1
	v_lshlrev_b64_e64 v[86:87], v21, 1
	s_delay_alu instid0(VALU_DEP_2) | instskip(SKIP_1) | instid1(VALU_DEP_4)
	v_bfi_b32 v8, v8, 0, v4
	v_lshrrev_b64 v[4:5], v17, v[4:5]
	v_bfi_b32 v9, v9, 0, 0
	s_delay_alu instid0(VALU_DEP_1) | instskip(NEXT) | instid1(VALU_DEP_3)
	v_cmp_eq_u64_e64 s13, v[8:9], v[86:87]
	v_mov_b64_e32 v[8:9], v[4:5]
	s_and_saveexec_b32 s77, s13
; %bb.1838:                             ;   in Loop: Header=BB4_136 Depth=3
	v_bfe_u32 v8, v4, 21, 1
	v_mov_b32_e32 v9, v3
	s_delay_alu instid0(VALU_DEP_1) | instskip(NEXT) | instid1(VALU_DEP_1)
	v_add_nc_u64_e32 v[8:9], v[4:5], v[8:9]
	v_add_nc_u64_e32 v[8:9], -1, v[8:9]
; %bb.1839:                             ;   in Loop: Header=BB4_136 Depth=3
	s_or_b32 exec_lo, exec_lo, s77
	v_add_nc_u32_e32 v5, 0xffffff81, v16
	v_lshrrev_b32_e32 v9, 23, v4
	s_mov_b32 s13, exec_lo
	s_delay_alu instid0(VALU_DEP_2) | instskip(NEXT) | instid1(VALU_DEP_1)
	v_cndmask_b32_e64 v5, v5, 0xffffff82, vcc_lo
	v_add3_u32 v16, v17, v5, v9
	v_and_b32_e32 v5, 0x1fffff, v8
                                        ; implicit-def: $vgpr8
	s_delay_alu instid0(VALU_DEP_2) | instskip(NEXT) | instid1(VALU_DEP_2)
	v_add_nc_u32_e32 v9, 14, v16
	v_dual_mov_b32 v5, v3 :: v_dual_add_nc_u32 v4, v5, v4
	s_delay_alu instid0(VALU_DEP_2)
	v_cmpx_ne_u32_e32 0, v9
	s_xor_b32 s13, exec_lo, s13
; %bb.1840:                             ;   in Loop: Header=BB4_136 Depth=3
	s_delay_alu instid0(VALU_DEP_2) | instskip(SKIP_1) | instid1(VALU_DEP_1)
	v_cmp_lt_u64_e32 vcc_lo, 0xffffff, v[4:5]
	v_add_nc_u32_e32 v8, 15, v16
	v_cndmask_b32_e32 v8, v9, v8, vcc_lo
	v_cndmask_b32_e64 v9, 0, 1, vcc_lo
	s_delay_alu instid0(VALU_DEP_1)
	v_lshrrev_b64 v[4:5], v9, v[4:5]
; %bb.1841:                             ;   in Loop: Header=BB4_136 Depth=3
	s_and_not1_saveexec_b32 s13, s13
; %bb.1842:                             ;   in Loop: Header=BB4_136 Depth=3
	s_delay_alu instid0(VALU_DEP_1)
	v_bfe_u32 v8, v4, 23, 1
; %bb.1843:                             ;   in Loop: Header=BB4_136 Depth=3
	s_or_b32 exec_lo, exec_lo, s13
	s_delay_alu instid0(VALU_DEP_2) | instskip(NEXT) | instid1(VALU_DEP_2)
	v_lshrrev_b64 v[4:5], 21, v[4:5]
	v_cmp_gt_i32_e32 vcc_lo, 32, v8
	v_min_i32_e32 v9, 31, v8
	v_cmp_eq_u32_e64 s13, 0, v8
	s_delay_alu instid0(VALU_DEP_4) | instskip(NEXT) | instid1(VALU_DEP_3)
	v_cndmask_b32_e32 v5, 0, v5, vcc_lo
	v_dual_cndmask_b32 v4, 3, v4 :: v_dual_lshlrev_b32 v9, 2, v9
	s_delay_alu instid0(VALU_DEP_1) | instskip(NEXT) | instid1(VALU_DEP_2)
	v_and_b32_e32 v9, 0xfc, v9
	v_cmp_eq_u64_e32 vcc_lo, 0, v[4:5]
	s_delay_alu instid0(VALU_DEP_2)
	v_and_or_b32 v4, v4, 3, v9
	s_and_b32 s13, s13, vcc_lo
	s_delay_alu instid0(VALU_DEP_1) | instid1(SALU_CYCLE_1)
	v_cndmask_b32_e64 v4, v4, 0, s13
	s_delay_alu instid0(VALU_DEP_1)
	v_or_b32_e32 v124, v4, v2
.LBB4_1844:                             ;   in Loop: Header=BB4_136 Depth=3
	s_or_b32 exec_lo, exec_lo, s76
                                        ; implicit-def: $vgpr2
.LBB4_1845:                             ;   in Loop: Header=BB4_136 Depth=3
	s_and_not1_saveexec_b32 s13, s75
; %bb.1846:                             ;   in Loop: Header=BB4_136 Depth=3
	v_or_b32_e32 v124, 0x7b, v2
; %bb.1847:                             ;   in Loop: Header=BB4_136 Depth=3
	s_or_b32 exec_lo, exec_lo, s13
                                        ; implicit-def: $vgpr8
                                        ; implicit-def: $vgpr4_vgpr5
                                        ; implicit-def: $vgpr2
.LBB4_1848:                             ;   in Loop: Header=BB4_136 Depth=3
	s_and_not1_saveexec_b32 s13, s74
	s_cbranch_execz .LBB4_1854
; %bb.1849:                             ;   in Loop: Header=BB4_136 Depth=3
	s_mov_b32 s74, exec_lo
                                        ; implicit-def: $vgpr124
	v_cmpx_ne_u64_e32 0, v[4:5]
	s_xor_b32 s74, exec_lo, s74
; %bb.1850:                             ;   in Loop: Header=BB4_136 Depth=3
	v_or_b32_e32 v124, 0x7f, v2
                                        ; implicit-def: $vgpr8
; %bb.1851:                             ;   in Loop: Header=BB4_136 Depth=3
	s_and_not1_saveexec_b32 s74, s74
; %bb.1852:                             ;   in Loop: Header=BB4_136 Depth=3
	v_cmp_lt_i32_e32 vcc_lo, -1, v8
	v_cndmask_b32_e32 v124, 0xfc, v49, vcc_lo
; %bb.1853:                             ;   in Loop: Header=BB4_136 Depth=3
	s_or_b32 exec_lo, exec_lo, s74
.LBB4_1854:                             ;   in Loop: Header=BB4_136 Depth=3
	s_delay_alu instid0(SALU_CYCLE_1) | instskip(SKIP_3) | instid1(VALU_DEP_2)
	s_or_b32 exec_lo, exec_lo, s13
	v_lshrrev_b16 v4, 8, v10
	v_mov_b32_e32 v2, 0
	s_mov_b32 s74, exec_lo
	v_cmpx_ne_u16_e32 0, v4
	s_cbranch_execz .LBB4_1864
; %bb.1855:                             ;   in Loop: Header=BB4_136 Depth=3
	v_bfrev_b32_e32 v2, 1
	s_mov_b32 s75, exec_lo
	v_cmpx_ne_u16_e32 0x80, v4
	s_cbranch_execz .LBB4_1863
; %bb.1856:                             ;   in Loop: Header=BB4_136 Depth=3
	v_and_b32_e32 v8, 0xffff, v4
	s_delay_alu instid0(VALU_DEP_1) | instskip(SKIP_1) | instid1(VALU_DEP_2)
	v_and_b32_e32 v2, 0x7c, v8
	v_and_b32_e32 v5, 3, v8
	v_cmp_ne_u32_e32 vcc_lo, 0x7c, v2
                                        ; implicit-def: $vgpr2
	s_and_saveexec_b32 s13, vcc_lo
	s_delay_alu instid0(SALU_CYCLE_1)
	s_xor_b32 s13, exec_lo, s13
	s_cbranch_execz .LBB4_1860
; %bb.1857:                             ;   in Loop: Header=BB4_136 Depth=3
	v_bfe_u32 v2, v8, 2, 5
	s_mov_b32 s76, exec_lo
	s_delay_alu instid0(VALU_DEP_1)
	v_cmpx_eq_u32_e32 0, v2
	s_cbranch_execz .LBB4_1859
; %bb.1858:                             ;   in Loop: Header=BB4_136 Depth=3
	v_clz_i32_u32_e32 v2, v5
	s_delay_alu instid0(VALU_DEP_1) | instskip(SKIP_1) | instid1(VALU_DEP_2)
	v_min_u32_e32 v2, 32, v2
	v_mov_b32_e32 v5, v3
	v_subrev_nc_u32_e32 v8, 29, v2
	v_sub_nc_u32_e32 v2, 30, v2
	s_delay_alu instid0(VALU_DEP_2) | instskip(NEXT) | instid1(VALU_DEP_1)
	v_lshlrev_b64_e32 v[4:5], v8, v[4:5]
	v_and_b32_e32 v5, 3, v4
.LBB4_1859:                             ;   in Loop: Header=BB4_136 Depth=3
	s_or_b32 exec_lo, exec_lo, s76
	v_lshlrev_b32_e32 v4, 16, v10
	s_delay_alu instid0(VALU_DEP_1) | instskip(NEXT) | instid1(VALU_DEP_1)
	v_and_b32_e32 v4, 0x80000000, v4
	v_lshl_add_u32 v2, v2, 23, v4
	s_delay_alu instid0(VALU_DEP_1) | instskip(NEXT) | instid1(VALU_DEP_1)
	v_lshl_or_b32 v2, v5, 21, v2
                                        ; implicit-def: $vgpr5
	v_add_nc_u32_e32 v2, 0x38000000, v2
.LBB4_1860:                             ;   in Loop: Header=BB4_136 Depth=3
	s_and_not1_saveexec_b32 s76, s13
; %bb.1861:                             ;   in Loop: Header=BB4_136 Depth=3
	v_cmp_lt_i16_e64 s13, -1, v10
	v_cmp_eq_u32_e32 vcc_lo, 0, v5
	s_delay_alu instid0(VALU_DEP_2) | instskip(NEXT) | instid1(VALU_DEP_1)
	v_cndmask_b32_e64 v2, 0xff800000, v48, s13
	v_cndmask_b32_e32 v2, 0x7f800001, v2, vcc_lo
; %bb.1862:                             ;   in Loop: Header=BB4_136 Depth=3
	s_or_b32 exec_lo, exec_lo, s76
.LBB4_1863:                             ;   in Loop: Header=BB4_136 Depth=3
	s_delay_alu instid0(SALU_CYCLE_1)
	s_or_b32 exec_lo, exec_lo, s75
.LBB4_1864:                             ;   in Loop: Header=BB4_136 Depth=3
	s_delay_alu instid0(SALU_CYCLE_1) | instskip(NEXT) | instid1(VALU_DEP_1)
	s_or_b32 exec_lo, exec_lo, s74
	v_dual_mul_f32 v8, s73, v2 :: v_dual_mov_b32 v17, v3
	v_mov_b32_e32 v5, v3
                                        ; implicit-def: $vgpr125
	s_mov_b32 s13, exec_lo
	s_delay_alu instid0(VALU_DEP_2) | instskip(SKIP_2) | instid1(VALU_DEP_3)
	v_and_b32_e32 v16, 0x7f800000, v8
	v_and_b32_e32 v4, 0x7fffff, v8
	v_lshrrev_b32_e32 v2, 24, v8
	v_cmpx_ne_u64_e32 0x7f800000, v[16:17]
	s_xor_b32 s74, exec_lo, s13
	s_cbranch_execz .LBB4_1878
; %bb.1865:                             ;   in Loop: Header=BB4_136 Depth=3
	v_and_b32_e32 v16, 0x7fffffff, v8
	v_mov_b32_e32 v17, v3
	v_and_b32_e32 v2, 0x80, v2
                                        ; implicit-def: $vgpr125
	s_mov_b32 s13, exec_lo
	s_delay_alu instid0(VALU_DEP_2)
	v_cmpx_gt_u64_e32 0x47600001, v[16:17]
	s_xor_b32 s75, exec_lo, s13
	s_cbranch_execz .LBB4_1875
; %bb.1866:                             ;   in Loop: Header=BB4_136 Depth=3
	v_mov_b32_e32 v125, 0
	s_mov_b32 s76, exec_lo
	v_cmpx_ne_u32_e32 0, v8
	s_cbranch_execz .LBB4_1874
; %bb.1867:                             ;   in Loop: Header=BB4_136 Depth=3
	v_bfe_u32 v16, v8, 23, 8
	v_or_b32_e32 v9, 0x800000, v4
	s_delay_alu instid0(VALU_DEP_2) | instskip(SKIP_2) | instid1(VALU_DEP_2)
	v_cmp_gt_u32_e64 s13, 0x72, v16
	v_sub_nc_u32_e32 v8, 0x71, v16
	v_cmp_eq_u32_e32 vcc_lo, 0, v16
	v_cndmask_b32_e64 v8, 0, v8, s13
	s_delay_alu instid0(VALU_DEP_1) | instskip(NEXT) | instid1(VALU_DEP_1)
	v_cndmask_b32_e64 v17, v8, 0x70, vcc_lo
	v_dual_cndmask_b32 v4, v9, v4, vcc_lo :: v_dual_add_nc_u32 v8, 21, v17
	v_add_nc_u32_e32 v21, 20, v17
	s_delay_alu instid0(VALU_DEP_2) | instskip(NEXT) | instid1(VALU_DEP_2)
	v_lshlrev_b64_e64 v[8:9], v8, -1
	v_lshlrev_b64_e64 v[86:87], v21, 1
	s_delay_alu instid0(VALU_DEP_2) | instskip(SKIP_1) | instid1(VALU_DEP_4)
	v_bfi_b32 v8, v8, 0, v4
	v_lshrrev_b64 v[4:5], v17, v[4:5]
	v_bfi_b32 v9, v9, 0, 0
	s_delay_alu instid0(VALU_DEP_1) | instskip(NEXT) | instid1(VALU_DEP_3)
	v_cmp_eq_u64_e64 s13, v[8:9], v[86:87]
	v_mov_b64_e32 v[8:9], v[4:5]
	s_and_saveexec_b32 s77, s13
; %bb.1868:                             ;   in Loop: Header=BB4_136 Depth=3
	v_bfe_u32 v8, v4, 21, 1
	v_mov_b32_e32 v9, v3
	s_delay_alu instid0(VALU_DEP_1) | instskip(NEXT) | instid1(VALU_DEP_1)
	v_add_nc_u64_e32 v[8:9], v[4:5], v[8:9]
	v_add_nc_u64_e32 v[8:9], -1, v[8:9]
; %bb.1869:                             ;   in Loop: Header=BB4_136 Depth=3
	s_or_b32 exec_lo, exec_lo, s77
	v_add_nc_u32_e32 v5, 0xffffff81, v16
	v_lshrrev_b32_e32 v9, 23, v4
	s_mov_b32 s13, exec_lo
	s_delay_alu instid0(VALU_DEP_2) | instskip(NEXT) | instid1(VALU_DEP_1)
	v_cndmask_b32_e64 v5, v5, 0xffffff82, vcc_lo
	v_add3_u32 v16, v17, v5, v9
	v_and_b32_e32 v5, 0x1fffff, v8
                                        ; implicit-def: $vgpr8
	s_delay_alu instid0(VALU_DEP_2) | instskip(NEXT) | instid1(VALU_DEP_2)
	v_add_nc_u32_e32 v9, 14, v16
	v_dual_mov_b32 v5, v3 :: v_dual_add_nc_u32 v4, v5, v4
	s_delay_alu instid0(VALU_DEP_2)
	v_cmpx_ne_u32_e32 0, v9
	s_xor_b32 s13, exec_lo, s13
; %bb.1870:                             ;   in Loop: Header=BB4_136 Depth=3
	s_delay_alu instid0(VALU_DEP_2) | instskip(SKIP_1) | instid1(VALU_DEP_1)
	v_cmp_lt_u64_e32 vcc_lo, 0xffffff, v[4:5]
	v_add_nc_u32_e32 v8, 15, v16
	v_cndmask_b32_e32 v8, v9, v8, vcc_lo
	v_cndmask_b32_e64 v9, 0, 1, vcc_lo
	s_delay_alu instid0(VALU_DEP_1)
	v_lshrrev_b64 v[4:5], v9, v[4:5]
; %bb.1871:                             ;   in Loop: Header=BB4_136 Depth=3
	s_and_not1_saveexec_b32 s13, s13
; %bb.1872:                             ;   in Loop: Header=BB4_136 Depth=3
	s_delay_alu instid0(VALU_DEP_1)
	v_bfe_u32 v8, v4, 23, 1
; %bb.1873:                             ;   in Loop: Header=BB4_136 Depth=3
	s_or_b32 exec_lo, exec_lo, s13
	s_delay_alu instid0(VALU_DEP_2) | instskip(NEXT) | instid1(VALU_DEP_2)
	v_lshrrev_b64 v[4:5], 21, v[4:5]
	v_cmp_gt_i32_e32 vcc_lo, 32, v8
	v_min_i32_e32 v9, 31, v8
	v_cmp_eq_u32_e64 s13, 0, v8
	s_delay_alu instid0(VALU_DEP_4) | instskip(NEXT) | instid1(VALU_DEP_3)
	v_cndmask_b32_e32 v5, 0, v5, vcc_lo
	v_dual_cndmask_b32 v4, 3, v4 :: v_dual_lshlrev_b32 v9, 2, v9
	s_delay_alu instid0(VALU_DEP_1) | instskip(NEXT) | instid1(VALU_DEP_2)
	v_and_b32_e32 v9, 0xfc, v9
	v_cmp_eq_u64_e32 vcc_lo, 0, v[4:5]
	s_delay_alu instid0(VALU_DEP_2)
	v_and_or_b32 v4, v4, 3, v9
	s_and_b32 s13, s13, vcc_lo
	s_delay_alu instid0(VALU_DEP_1) | instid1(SALU_CYCLE_1)
	v_cndmask_b32_e64 v4, v4, 0, s13
	s_delay_alu instid0(VALU_DEP_1)
	v_or_b32_e32 v125, v4, v2
.LBB4_1874:                             ;   in Loop: Header=BB4_136 Depth=3
	s_or_b32 exec_lo, exec_lo, s76
                                        ; implicit-def: $vgpr2
.LBB4_1875:                             ;   in Loop: Header=BB4_136 Depth=3
	s_and_not1_saveexec_b32 s13, s75
; %bb.1876:                             ;   in Loop: Header=BB4_136 Depth=3
	v_or_b32_e32 v125, 0x7b, v2
; %bb.1877:                             ;   in Loop: Header=BB4_136 Depth=3
	s_or_b32 exec_lo, exec_lo, s13
                                        ; implicit-def: $vgpr8
                                        ; implicit-def: $vgpr4_vgpr5
                                        ; implicit-def: $vgpr2
.LBB4_1878:                             ;   in Loop: Header=BB4_136 Depth=3
	s_and_not1_saveexec_b32 s13, s74
	s_cbranch_execz .LBB4_1884
; %bb.1879:                             ;   in Loop: Header=BB4_136 Depth=3
	s_mov_b32 s74, exec_lo
                                        ; implicit-def: $vgpr125
	v_cmpx_ne_u64_e32 0, v[4:5]
	s_xor_b32 s74, exec_lo, s74
; %bb.1880:                             ;   in Loop: Header=BB4_136 Depth=3
	v_or_b32_e32 v125, 0x7f, v2
                                        ; implicit-def: $vgpr8
; %bb.1881:                             ;   in Loop: Header=BB4_136 Depth=3
	s_and_not1_saveexec_b32 s74, s74
; %bb.1882:                             ;   in Loop: Header=BB4_136 Depth=3
	v_cmp_lt_i32_e32 vcc_lo, -1, v8
	v_cndmask_b32_e32 v125, 0xfc, v49, vcc_lo
; %bb.1883:                             ;   in Loop: Header=BB4_136 Depth=3
	s_or_b32 exec_lo, exec_lo, s74
.LBB4_1884:                             ;   in Loop: Header=BB4_136 Depth=3
	s_delay_alu instid0(SALU_CYCLE_1) | instskip(SKIP_2) | instid1(VALU_DEP_1)
	s_or_b32 exec_lo, exec_lo, s13
	v_dual_lshrrev_b32 v2, 16, v10 :: v_dual_mov_b32 v4, 0
	s_mov_b32 s74, exec_lo
	v_and_b32_e32 v5, 0xff, v2
	s_delay_alu instid0(VALU_DEP_1)
	v_cmpx_ne_u16_e32 0, v5
	s_cbranch_execz .LBB4_1894
; %bb.1885:                             ;   in Loop: Header=BB4_136 Depth=3
	v_bfrev_b32_e32 v4, 1
	s_mov_b32 s75, exec_lo
	v_cmpx_ne_u16_e32 0x80, v5
	s_cbranch_execz .LBB4_1893
; %bb.1886:                             ;   in Loop: Header=BB4_136 Depth=3
	v_and_b32_e32 v4, 0x7c0000, v10
	v_bfe_u32 v5, v10, 16, 2
	s_delay_alu instid0(VALU_DEP_2) | instskip(SKIP_1) | instid1(SALU_CYCLE_1)
	v_cmp_ne_u32_e32 vcc_lo, 0x7c0000, v4
                                        ; implicit-def: $vgpr4
	s_and_saveexec_b32 s13, vcc_lo
	s_xor_b32 s13, exec_lo, s13
	s_cbranch_execz .LBB4_1890
; %bb.1887:                             ;   in Loop: Header=BB4_136 Depth=3
	v_bfe_u32 v4, v10, 18, 5
	s_mov_b32 s76, exec_lo
	s_delay_alu instid0(VALU_DEP_1)
	v_cmpx_eq_u32_e32 0, v4
; %bb.1888:                             ;   in Loop: Header=BB4_136 Depth=3
	v_clz_i32_u32_e32 v4, v5
	s_delay_alu instid0(VALU_DEP_1) | instskip(NEXT) | instid1(VALU_DEP_1)
	v_min_u32_e32 v4, 32, v4
	v_subrev_nc_u32_e32 v5, 29, v4
	v_sub_nc_u32_e32 v4, 30, v4
	s_delay_alu instid0(VALU_DEP_2) | instskip(NEXT) | instid1(VALU_DEP_1)
	v_lshlrev_b64_e32 v[8:9], v5, v[2:3]
	v_and_b32_e32 v5, 3, v8
; %bb.1889:                             ;   in Loop: Header=BB4_136 Depth=3
	s_or_b32 exec_lo, exec_lo, s76
	v_lshlrev_b32_e32 v2, 24, v2
	s_delay_alu instid0(VALU_DEP_1) | instskip(NEXT) | instid1(VALU_DEP_1)
	v_and_b32_e32 v2, 0x80000000, v2
	v_lshl_add_u32 v2, v4, 23, v2
	s_delay_alu instid0(VALU_DEP_1) | instskip(NEXT) | instid1(VALU_DEP_1)
	v_lshl_or_b32 v2, v5, 21, v2
                                        ; implicit-def: $vgpr5
	v_add_nc_u32_e32 v4, 0x38000000, v2
                                        ; implicit-def: $vgpr2
.LBB4_1890:                             ;   in Loop: Header=BB4_136 Depth=3
	s_and_not1_saveexec_b32 s76, s13
; %bb.1891:                             ;   in Loop: Header=BB4_136 Depth=3
	v_bfe_i32 v2, v2, 0, 8
	v_cmp_eq_u32_e32 vcc_lo, 0, v5
	s_delay_alu instid0(VALU_DEP_2) | instskip(NEXT) | instid1(VALU_DEP_1)
	v_cmp_lt_i16_e64 s13, -1, v2
	v_cndmask_b32_e64 v2, 0xff800000, v48, s13
	s_delay_alu instid0(VALU_DEP_1)
	v_cndmask_b32_e32 v4, 0x7f800001, v2, vcc_lo
; %bb.1892:                             ;   in Loop: Header=BB4_136 Depth=3
	s_or_b32 exec_lo, exec_lo, s76
.LBB4_1893:                             ;   in Loop: Header=BB4_136 Depth=3
	s_delay_alu instid0(SALU_CYCLE_1)
	s_or_b32 exec_lo, exec_lo, s75
.LBB4_1894:                             ;   in Loop: Header=BB4_136 Depth=3
	s_delay_alu instid0(SALU_CYCLE_1) | instskip(NEXT) | instid1(VALU_DEP_1)
	s_or_b32 exec_lo, exec_lo, s74
	v_dual_mul_f32 v8, s73, v4 :: v_dual_mov_b32 v17, v3
	v_mov_b32_e32 v5, v3
                                        ; implicit-def: $vgpr112
	s_mov_b32 s13, exec_lo
	s_delay_alu instid0(VALU_DEP_2) | instskip(SKIP_2) | instid1(VALU_DEP_3)
	v_and_b32_e32 v16, 0x7f800000, v8
	v_and_b32_e32 v4, 0x7fffff, v8
	v_lshrrev_b32_e32 v2, 24, v8
	v_cmpx_ne_u64_e32 0x7f800000, v[16:17]
	s_xor_b32 s74, exec_lo, s13
	s_cbranch_execz .LBB4_1908
; %bb.1895:                             ;   in Loop: Header=BB4_136 Depth=3
	v_and_b32_e32 v16, 0x7fffffff, v8
	v_mov_b32_e32 v17, v3
	v_and_b32_e32 v2, 0x80, v2
                                        ; implicit-def: $vgpr112
	s_mov_b32 s13, exec_lo
	s_delay_alu instid0(VALU_DEP_2)
	v_cmpx_gt_u64_e32 0x47600001, v[16:17]
	s_xor_b32 s75, exec_lo, s13
	s_cbranch_execz .LBB4_1905
; %bb.1896:                             ;   in Loop: Header=BB4_136 Depth=3
	v_mov_b32_e32 v112, 0
	s_mov_b32 s76, exec_lo
	v_cmpx_ne_u32_e32 0, v8
	s_cbranch_execz .LBB4_1904
; %bb.1897:                             ;   in Loop: Header=BB4_136 Depth=3
	v_bfe_u32 v16, v8, 23, 8
	v_or_b32_e32 v9, 0x800000, v4
	s_delay_alu instid0(VALU_DEP_2) | instskip(SKIP_2) | instid1(VALU_DEP_2)
	v_cmp_gt_u32_e64 s13, 0x72, v16
	v_sub_nc_u32_e32 v8, 0x71, v16
	v_cmp_eq_u32_e32 vcc_lo, 0, v16
	v_cndmask_b32_e64 v8, 0, v8, s13
	s_delay_alu instid0(VALU_DEP_1) | instskip(NEXT) | instid1(VALU_DEP_1)
	v_cndmask_b32_e64 v17, v8, 0x70, vcc_lo
	v_dual_cndmask_b32 v4, v9, v4, vcc_lo :: v_dual_add_nc_u32 v8, 21, v17
	v_add_nc_u32_e32 v21, 20, v17
	s_delay_alu instid0(VALU_DEP_2) | instskip(NEXT) | instid1(VALU_DEP_2)
	v_lshlrev_b64_e64 v[8:9], v8, -1
	v_lshlrev_b64_e64 v[86:87], v21, 1
	s_delay_alu instid0(VALU_DEP_2) | instskip(SKIP_1) | instid1(VALU_DEP_4)
	v_bfi_b32 v8, v8, 0, v4
	v_lshrrev_b64 v[4:5], v17, v[4:5]
	v_bfi_b32 v9, v9, 0, 0
	s_delay_alu instid0(VALU_DEP_1) | instskip(NEXT) | instid1(VALU_DEP_3)
	v_cmp_eq_u64_e64 s13, v[8:9], v[86:87]
	v_mov_b64_e32 v[8:9], v[4:5]
	s_and_saveexec_b32 s77, s13
; %bb.1898:                             ;   in Loop: Header=BB4_136 Depth=3
	v_bfe_u32 v8, v4, 21, 1
	v_mov_b32_e32 v9, v3
	s_delay_alu instid0(VALU_DEP_1) | instskip(NEXT) | instid1(VALU_DEP_1)
	v_add_nc_u64_e32 v[8:9], v[4:5], v[8:9]
	v_add_nc_u64_e32 v[8:9], -1, v[8:9]
; %bb.1899:                             ;   in Loop: Header=BB4_136 Depth=3
	s_or_b32 exec_lo, exec_lo, s77
	v_add_nc_u32_e32 v5, 0xffffff81, v16
	v_lshrrev_b32_e32 v9, 23, v4
	s_mov_b32 s13, exec_lo
	s_delay_alu instid0(VALU_DEP_2) | instskip(NEXT) | instid1(VALU_DEP_1)
	v_cndmask_b32_e64 v5, v5, 0xffffff82, vcc_lo
	v_add3_u32 v16, v17, v5, v9
	v_and_b32_e32 v5, 0x1fffff, v8
                                        ; implicit-def: $vgpr8
	s_delay_alu instid0(VALU_DEP_2) | instskip(NEXT) | instid1(VALU_DEP_2)
	v_add_nc_u32_e32 v9, 14, v16
	v_dual_mov_b32 v5, v3 :: v_dual_add_nc_u32 v4, v5, v4
	s_delay_alu instid0(VALU_DEP_2)
	v_cmpx_ne_u32_e32 0, v9
	s_xor_b32 s13, exec_lo, s13
; %bb.1900:                             ;   in Loop: Header=BB4_136 Depth=3
	s_delay_alu instid0(VALU_DEP_2) | instskip(SKIP_1) | instid1(VALU_DEP_1)
	v_cmp_lt_u64_e32 vcc_lo, 0xffffff, v[4:5]
	v_add_nc_u32_e32 v8, 15, v16
	v_cndmask_b32_e32 v8, v9, v8, vcc_lo
	v_cndmask_b32_e64 v9, 0, 1, vcc_lo
	s_delay_alu instid0(VALU_DEP_1)
	v_lshrrev_b64 v[4:5], v9, v[4:5]
; %bb.1901:                             ;   in Loop: Header=BB4_136 Depth=3
	s_and_not1_saveexec_b32 s13, s13
; %bb.1902:                             ;   in Loop: Header=BB4_136 Depth=3
	s_delay_alu instid0(VALU_DEP_1)
	v_bfe_u32 v8, v4, 23, 1
; %bb.1903:                             ;   in Loop: Header=BB4_136 Depth=3
	s_or_b32 exec_lo, exec_lo, s13
	s_delay_alu instid0(VALU_DEP_2) | instskip(NEXT) | instid1(VALU_DEP_2)
	v_lshrrev_b64 v[4:5], 21, v[4:5]
	v_cmp_gt_i32_e32 vcc_lo, 32, v8
	v_min_i32_e32 v9, 31, v8
	v_cmp_eq_u32_e64 s13, 0, v8
	s_delay_alu instid0(VALU_DEP_4) | instskip(NEXT) | instid1(VALU_DEP_3)
	v_cndmask_b32_e32 v5, 0, v5, vcc_lo
	v_dual_cndmask_b32 v4, 3, v4 :: v_dual_lshlrev_b32 v9, 2, v9
	s_delay_alu instid0(VALU_DEP_1) | instskip(NEXT) | instid1(VALU_DEP_2)
	v_and_b32_e32 v9, 0xfc, v9
	v_cmp_eq_u64_e32 vcc_lo, 0, v[4:5]
	s_delay_alu instid0(VALU_DEP_2)
	v_and_or_b32 v4, v4, 3, v9
	s_and_b32 s13, s13, vcc_lo
	s_delay_alu instid0(VALU_DEP_1) | instid1(SALU_CYCLE_1)
	v_cndmask_b32_e64 v4, v4, 0, s13
	s_delay_alu instid0(VALU_DEP_1)
	v_or_b32_e32 v112, v4, v2
.LBB4_1904:                             ;   in Loop: Header=BB4_136 Depth=3
	s_or_b32 exec_lo, exec_lo, s76
                                        ; implicit-def: $vgpr2
.LBB4_1905:                             ;   in Loop: Header=BB4_136 Depth=3
	s_and_not1_saveexec_b32 s13, s75
; %bb.1906:                             ;   in Loop: Header=BB4_136 Depth=3
	v_or_b32_e32 v112, 0x7b, v2
; %bb.1907:                             ;   in Loop: Header=BB4_136 Depth=3
	s_or_b32 exec_lo, exec_lo, s13
                                        ; implicit-def: $vgpr8
                                        ; implicit-def: $vgpr4_vgpr5
                                        ; implicit-def: $vgpr2
.LBB4_1908:                             ;   in Loop: Header=BB4_136 Depth=3
	s_and_not1_saveexec_b32 s13, s74
	s_cbranch_execz .LBB4_1914
; %bb.1909:                             ;   in Loop: Header=BB4_136 Depth=3
	s_mov_b32 s74, exec_lo
                                        ; implicit-def: $vgpr112
	v_cmpx_ne_u64_e32 0, v[4:5]
	s_xor_b32 s74, exec_lo, s74
; %bb.1910:                             ;   in Loop: Header=BB4_136 Depth=3
	v_or_b32_e32 v112, 0x7f, v2
                                        ; implicit-def: $vgpr8
; %bb.1911:                             ;   in Loop: Header=BB4_136 Depth=3
	s_and_not1_saveexec_b32 s74, s74
; %bb.1912:                             ;   in Loop: Header=BB4_136 Depth=3
	v_cmp_lt_i32_e32 vcc_lo, -1, v8
	v_cndmask_b32_e32 v112, 0xfc, v49, vcc_lo
; %bb.1913:                             ;   in Loop: Header=BB4_136 Depth=3
	s_or_b32 exec_lo, exec_lo, s74
.LBB4_1914:                             ;   in Loop: Header=BB4_136 Depth=3
	s_delay_alu instid0(SALU_CYCLE_1)
	s_or_b32 exec_lo, exec_lo, s13
	v_mov_b32_e32 v4, 0
	s_mov_b32 s74, exec_lo
	v_cmpx_lt_u32_e32 0xffffff, v10
	s_cbranch_execz .LBB4_1924
; %bb.1915:                             ;   in Loop: Header=BB4_136 Depth=3
	v_lshrrev_b32_e32 v2, 24, v10
	v_bfrev_b32_e32 v4, 1
	s_mov_b32 s75, exec_lo
	s_delay_alu instid0(VALU_DEP_2)
	v_cmpx_ne_u32_e32 0x80, v2
	s_cbranch_execz .LBB4_1923
; %bb.1916:                             ;   in Loop: Header=BB4_136 Depth=3
	v_and_b32_e32 v4, 0x7c000000, v10
	v_bfe_u32 v5, v10, 24, 2
	s_delay_alu instid0(VALU_DEP_2) | instskip(SKIP_1) | instid1(SALU_CYCLE_1)
	v_cmp_ne_u32_e32 vcc_lo, 0x7c000000, v4
                                        ; implicit-def: $vgpr4
	s_and_saveexec_b32 s13, vcc_lo
	s_xor_b32 s13, exec_lo, s13
	s_cbranch_execz .LBB4_1920
; %bb.1917:                             ;   in Loop: Header=BB4_136 Depth=3
	v_bfe_u32 v4, v10, 26, 5
	s_mov_b32 s76, exec_lo
	s_delay_alu instid0(VALU_DEP_1)
	v_cmpx_eq_u32_e32 0, v4
; %bb.1918:                             ;   in Loop: Header=BB4_136 Depth=3
	v_clz_i32_u32_e32 v4, v5
	s_delay_alu instid0(VALU_DEP_1) | instskip(NEXT) | instid1(VALU_DEP_1)
	v_min_u32_e32 v4, 32, v4
	v_subrev_nc_u32_e32 v5, 29, v4
	v_sub_nc_u32_e32 v4, 30, v4
	s_delay_alu instid0(VALU_DEP_2) | instskip(NEXT) | instid1(VALU_DEP_1)
	v_lshlrev_b64_e32 v[8:9], v5, v[2:3]
	v_and_b32_e32 v5, 3, v8
; %bb.1919:                             ;   in Loop: Header=BB4_136 Depth=3
	s_or_b32 exec_lo, exec_lo, s76
	v_and_b32_e32 v2, 0x80000000, v10
	s_delay_alu instid0(VALU_DEP_1) | instskip(NEXT) | instid1(VALU_DEP_1)
	v_lshl_add_u32 v2, v4, 23, v2
	v_lshl_or_b32 v2, v5, 21, v2
                                        ; implicit-def: $vgpr5
	s_delay_alu instid0(VALU_DEP_1)
	v_add_nc_u32_e32 v4, 0x38000000, v2
.LBB4_1920:                             ;   in Loop: Header=BB4_136 Depth=3
	s_and_not1_saveexec_b32 s76, s13
; %bb.1921:                             ;   in Loop: Header=BB4_136 Depth=3
	v_cmp_lt_i32_e64 s13, -1, v10
	v_cmp_eq_u32_e32 vcc_lo, 0, v5
	s_delay_alu instid0(VALU_DEP_2) | instskip(NEXT) | instid1(VALU_DEP_1)
	v_cndmask_b32_e64 v2, 0xff800000, v48, s13
	v_cndmask_b32_e32 v4, 0x7f800001, v2, vcc_lo
; %bb.1922:                             ;   in Loop: Header=BB4_136 Depth=3
	s_or_b32 exec_lo, exec_lo, s76
.LBB4_1923:                             ;   in Loop: Header=BB4_136 Depth=3
	s_delay_alu instid0(SALU_CYCLE_1)
	s_or_b32 exec_lo, exec_lo, s75
.LBB4_1924:                             ;   in Loop: Header=BB4_136 Depth=3
	s_delay_alu instid0(SALU_CYCLE_1) | instskip(NEXT) | instid1(VALU_DEP_1)
	s_or_b32 exec_lo, exec_lo, s74
	v_dual_mul_f32 v8, s73, v4 :: v_dual_mov_b32 v17, v3
	v_mov_b32_e32 v5, v3
                                        ; implicit-def: $vgpr113
	s_mov_b32 s13, exec_lo
	s_delay_alu instid0(VALU_DEP_2) | instskip(SKIP_2) | instid1(VALU_DEP_3)
	v_and_b32_e32 v16, 0x7f800000, v8
	v_and_b32_e32 v4, 0x7fffff, v8
	v_lshrrev_b32_e32 v2, 24, v8
	v_cmpx_ne_u64_e32 0x7f800000, v[16:17]
	s_xor_b32 s74, exec_lo, s13
	s_cbranch_execz .LBB4_1938
; %bb.1925:                             ;   in Loop: Header=BB4_136 Depth=3
	v_and_b32_e32 v16, 0x7fffffff, v8
	v_mov_b32_e32 v17, v3
	v_and_b32_e32 v2, 0x80, v2
                                        ; implicit-def: $vgpr113
	s_mov_b32 s13, exec_lo
	s_delay_alu instid0(VALU_DEP_2)
	v_cmpx_gt_u64_e32 0x47600001, v[16:17]
	s_xor_b32 s75, exec_lo, s13
	s_cbranch_execz .LBB4_1935
; %bb.1926:                             ;   in Loop: Header=BB4_136 Depth=3
	v_mov_b32_e32 v113, 0
	s_mov_b32 s76, exec_lo
	v_cmpx_ne_u32_e32 0, v8
	s_cbranch_execz .LBB4_1934
; %bb.1927:                             ;   in Loop: Header=BB4_136 Depth=3
	v_bfe_u32 v16, v8, 23, 8
	v_or_b32_e32 v9, 0x800000, v4
	s_delay_alu instid0(VALU_DEP_2) | instskip(SKIP_2) | instid1(VALU_DEP_2)
	v_cmp_gt_u32_e64 s13, 0x72, v16
	v_sub_nc_u32_e32 v8, 0x71, v16
	v_cmp_eq_u32_e32 vcc_lo, 0, v16
	v_cndmask_b32_e64 v8, 0, v8, s13
	s_delay_alu instid0(VALU_DEP_1) | instskip(NEXT) | instid1(VALU_DEP_1)
	v_cndmask_b32_e64 v17, v8, 0x70, vcc_lo
	v_dual_cndmask_b32 v4, v9, v4, vcc_lo :: v_dual_add_nc_u32 v8, 21, v17
	v_add_nc_u32_e32 v21, 20, v17
	s_delay_alu instid0(VALU_DEP_2) | instskip(NEXT) | instid1(VALU_DEP_2)
	v_lshlrev_b64_e64 v[8:9], v8, -1
	v_lshlrev_b64_e64 v[86:87], v21, 1
	s_delay_alu instid0(VALU_DEP_2) | instskip(SKIP_1) | instid1(VALU_DEP_4)
	v_bfi_b32 v8, v8, 0, v4
	v_lshrrev_b64 v[4:5], v17, v[4:5]
	v_bfi_b32 v9, v9, 0, 0
	s_delay_alu instid0(VALU_DEP_1) | instskip(NEXT) | instid1(VALU_DEP_3)
	v_cmp_eq_u64_e64 s13, v[8:9], v[86:87]
	v_mov_b64_e32 v[8:9], v[4:5]
	s_and_saveexec_b32 s77, s13
; %bb.1928:                             ;   in Loop: Header=BB4_136 Depth=3
	v_bfe_u32 v8, v4, 21, 1
	v_mov_b32_e32 v9, v3
	s_delay_alu instid0(VALU_DEP_1) | instskip(NEXT) | instid1(VALU_DEP_1)
	v_add_nc_u64_e32 v[8:9], v[4:5], v[8:9]
	v_add_nc_u64_e32 v[8:9], -1, v[8:9]
; %bb.1929:                             ;   in Loop: Header=BB4_136 Depth=3
	s_or_b32 exec_lo, exec_lo, s77
	v_add_nc_u32_e32 v5, 0xffffff81, v16
	v_lshrrev_b32_e32 v9, 23, v4
	s_mov_b32 s13, exec_lo
	s_delay_alu instid0(VALU_DEP_2) | instskip(NEXT) | instid1(VALU_DEP_1)
	v_cndmask_b32_e64 v5, v5, 0xffffff82, vcc_lo
	v_add3_u32 v16, v17, v5, v9
	v_and_b32_e32 v5, 0x1fffff, v8
                                        ; implicit-def: $vgpr8
	s_delay_alu instid0(VALU_DEP_2) | instskip(NEXT) | instid1(VALU_DEP_2)
	v_add_nc_u32_e32 v9, 14, v16
	v_dual_mov_b32 v5, v3 :: v_dual_add_nc_u32 v4, v5, v4
	s_delay_alu instid0(VALU_DEP_2)
	v_cmpx_ne_u32_e32 0, v9
	s_xor_b32 s13, exec_lo, s13
; %bb.1930:                             ;   in Loop: Header=BB4_136 Depth=3
	s_delay_alu instid0(VALU_DEP_2) | instskip(SKIP_1) | instid1(VALU_DEP_1)
	v_cmp_lt_u64_e32 vcc_lo, 0xffffff, v[4:5]
	v_add_nc_u32_e32 v8, 15, v16
	v_cndmask_b32_e32 v8, v9, v8, vcc_lo
	v_cndmask_b32_e64 v9, 0, 1, vcc_lo
	s_delay_alu instid0(VALU_DEP_1)
	v_lshrrev_b64 v[4:5], v9, v[4:5]
; %bb.1931:                             ;   in Loop: Header=BB4_136 Depth=3
	s_and_not1_saveexec_b32 s13, s13
; %bb.1932:                             ;   in Loop: Header=BB4_136 Depth=3
	s_delay_alu instid0(VALU_DEP_1)
	v_bfe_u32 v8, v4, 23, 1
; %bb.1933:                             ;   in Loop: Header=BB4_136 Depth=3
	s_or_b32 exec_lo, exec_lo, s13
	s_delay_alu instid0(VALU_DEP_2) | instskip(NEXT) | instid1(VALU_DEP_2)
	v_lshrrev_b64 v[4:5], 21, v[4:5]
	v_cmp_gt_i32_e32 vcc_lo, 32, v8
	v_min_i32_e32 v9, 31, v8
	v_cmp_eq_u32_e64 s13, 0, v8
	s_delay_alu instid0(VALU_DEP_4) | instskip(NEXT) | instid1(VALU_DEP_3)
	v_cndmask_b32_e32 v5, 0, v5, vcc_lo
	v_dual_cndmask_b32 v4, 3, v4 :: v_dual_lshlrev_b32 v9, 2, v9
	s_delay_alu instid0(VALU_DEP_1) | instskip(NEXT) | instid1(VALU_DEP_2)
	v_and_b32_e32 v9, 0xfc, v9
	v_cmp_eq_u64_e32 vcc_lo, 0, v[4:5]
	s_delay_alu instid0(VALU_DEP_2)
	v_and_or_b32 v4, v4, 3, v9
	s_and_b32 s13, s13, vcc_lo
	s_delay_alu instid0(VALU_DEP_1) | instid1(SALU_CYCLE_1)
	v_cndmask_b32_e64 v4, v4, 0, s13
	s_delay_alu instid0(VALU_DEP_1)
	v_or_b32_e32 v113, v4, v2
.LBB4_1934:                             ;   in Loop: Header=BB4_136 Depth=3
	s_or_b32 exec_lo, exec_lo, s76
                                        ; implicit-def: $vgpr2
.LBB4_1935:                             ;   in Loop: Header=BB4_136 Depth=3
	s_and_not1_saveexec_b32 s13, s75
; %bb.1936:                             ;   in Loop: Header=BB4_136 Depth=3
	v_or_b32_e32 v113, 0x7b, v2
; %bb.1937:                             ;   in Loop: Header=BB4_136 Depth=3
	s_or_b32 exec_lo, exec_lo, s13
                                        ; implicit-def: $vgpr8
                                        ; implicit-def: $vgpr4_vgpr5
                                        ; implicit-def: $vgpr2
.LBB4_1938:                             ;   in Loop: Header=BB4_136 Depth=3
	s_and_not1_saveexec_b32 s13, s74
	s_cbranch_execz .LBB4_1944
; %bb.1939:                             ;   in Loop: Header=BB4_136 Depth=3
	s_mov_b32 s74, exec_lo
                                        ; implicit-def: $vgpr113
	v_cmpx_ne_u64_e32 0, v[4:5]
	s_xor_b32 s74, exec_lo, s74
; %bb.1940:                             ;   in Loop: Header=BB4_136 Depth=3
	v_or_b32_e32 v113, 0x7f, v2
                                        ; implicit-def: $vgpr8
; %bb.1941:                             ;   in Loop: Header=BB4_136 Depth=3
	s_and_not1_saveexec_b32 s74, s74
; %bb.1942:                             ;   in Loop: Header=BB4_136 Depth=3
	v_cmp_lt_i32_e32 vcc_lo, -1, v8
	v_cndmask_b32_e32 v113, 0xfc, v49, vcc_lo
; %bb.1943:                             ;   in Loop: Header=BB4_136 Depth=3
	s_or_b32 exec_lo, exec_lo, s74
.LBB4_1944:                             ;   in Loop: Header=BB4_136 Depth=3
	s_delay_alu instid0(SALU_CYCLE_1) | instskip(SKIP_4) | instid1(VALU_DEP_3)
	s_or_b32 exec_lo, exec_lo, s13
	v_and_b32_e32 v8, 0xff, v11
	v_dual_mov_b32 v4, v11 :: v_dual_mov_b32 v5, v3
	v_mov_b32_e32 v2, 0
	s_mov_b32 s74, exec_lo
	v_cmpx_ne_u16_e32 0, v8
	s_cbranch_execz .LBB4_1954
; %bb.1945:                             ;   in Loop: Header=BB4_136 Depth=3
	v_bfrev_b32_e32 v2, 1
	s_mov_b32 s75, exec_lo
	v_cmpx_ne_u16_e32 0x80, v8
	s_cbranch_execz .LBB4_1953
; %bb.1946:                             ;   in Loop: Header=BB4_136 Depth=3
	v_and_b32_e32 v2, 0x7c, v11
	v_and_b32_e32 v8, 3, v11
	s_delay_alu instid0(VALU_DEP_2) | instskip(SKIP_1) | instid1(SALU_CYCLE_1)
	v_cmp_ne_u32_e32 vcc_lo, 0x7c, v2
                                        ; implicit-def: $vgpr2
	s_and_saveexec_b32 s13, vcc_lo
	s_xor_b32 s13, exec_lo, s13
	s_cbranch_execz .LBB4_1950
; %bb.1947:                             ;   in Loop: Header=BB4_136 Depth=3
	v_bfe_u32 v2, v11, 2, 5
	s_mov_b32 s76, exec_lo
	s_delay_alu instid0(VALU_DEP_1)
	v_cmpx_eq_u32_e32 0, v2
; %bb.1948:                             ;   in Loop: Header=BB4_136 Depth=3
	v_clz_i32_u32_e32 v2, v8
	s_delay_alu instid0(VALU_DEP_1) | instskip(NEXT) | instid1(VALU_DEP_1)
	v_min_u32_e32 v2, 32, v2
	v_subrev_nc_u32_e32 v8, 29, v2
	s_delay_alu instid0(VALU_DEP_1) | instskip(NEXT) | instid1(VALU_DEP_1)
	v_lshlrev_b64_e32 v[8:9], v8, v[4:5]
	v_dual_sub_nc_u32 v2, 30, v2 :: v_dual_bitop2_b32 v8, 3, v8 bitop3:0x40
; %bb.1949:                             ;   in Loop: Header=BB4_136 Depth=3
	s_or_b32 exec_lo, exec_lo, s76
	v_lshlrev_b32_e32 v5, 24, v11
	s_delay_alu instid0(VALU_DEP_1) | instskip(NEXT) | instid1(VALU_DEP_1)
	v_and_b32_e32 v5, 0x80000000, v5
	v_lshl_add_u32 v2, v2, 23, v5
	s_delay_alu instid0(VALU_DEP_1) | instskip(NEXT) | instid1(VALU_DEP_1)
	v_lshl_or_b32 v2, v8, 21, v2
                                        ; implicit-def: $vgpr8
	v_add_nc_u32_e32 v2, 0x38000000, v2
.LBB4_1950:                             ;   in Loop: Header=BB4_136 Depth=3
	s_and_not1_saveexec_b32 s76, s13
; %bb.1951:                             ;   in Loop: Header=BB4_136 Depth=3
	v_bfe_i32 v2, v11, 0, 8
	v_cmp_eq_u32_e32 vcc_lo, 0, v8
	s_delay_alu instid0(VALU_DEP_2) | instskip(NEXT) | instid1(VALU_DEP_1)
	v_cmp_lt_i16_e64 s13, -1, v2
	v_cndmask_b32_e64 v2, 0xff800000, v48, s13
	s_delay_alu instid0(VALU_DEP_1)
	v_cndmask_b32_e32 v2, 0x7f800001, v2, vcc_lo
; %bb.1952:                             ;   in Loop: Header=BB4_136 Depth=3
	s_or_b32 exec_lo, exec_lo, s76
.LBB4_1953:                             ;   in Loop: Header=BB4_136 Depth=3
	s_delay_alu instid0(SALU_CYCLE_1)
	s_or_b32 exec_lo, exec_lo, s75
.LBB4_1954:                             ;   in Loop: Header=BB4_136 Depth=3
	s_delay_alu instid0(SALU_CYCLE_1) | instskip(NEXT) | instid1(VALU_DEP_1)
	s_or_b32 exec_lo, exec_lo, s74
	v_dual_mul_f32 v5, s73, v2 :: v_dual_mov_b32 v17, v3
	s_delay_alu instid0(VALU_DEP_1) | instskip(SKIP_2) | instid1(VALU_DEP_2)
	v_dual_mov_b32 v9, v3 :: v_dual_lshrrev_b32 v2, 24, v5
	v_and_b32_e32 v16, 0x7f800000, v5
	v_and_b32_e32 v8, 0x7fffff, v5
	v_cmp_ne_u64_e32 vcc_lo, 0x7f800000, v[16:17]
                                        ; implicit-def: $vgpr16
	s_and_saveexec_b32 s13, vcc_lo
	s_delay_alu instid0(SALU_CYCLE_1)
	s_xor_b32 s74, exec_lo, s13
	s_cbranch_execz .LBB4_1968
; %bb.1955:                             ;   in Loop: Header=BB4_136 Depth=3
	v_and_b32_e32 v16, 0x7fffffff, v5
	v_mov_b32_e32 v17, v3
	v_and_b32_e32 v2, 0x80, v2
	s_delay_alu instid0(VALU_DEP_2) | instskip(SKIP_1) | instid1(SALU_CYCLE_1)
	v_cmp_gt_u64_e32 vcc_lo, 0x47600001, v[16:17]
                                        ; implicit-def: $vgpr16
	s_and_saveexec_b32 s13, vcc_lo
	s_xor_b32 s75, exec_lo, s13
	s_cbranch_execz .LBB4_1965
; %bb.1956:                             ;   in Loop: Header=BB4_136 Depth=3
	v_mov_b32_e32 v16, 0
	s_mov_b32 s76, exec_lo
	v_cmpx_ne_u32_e32 0, v5
	s_cbranch_execz .LBB4_1964
; %bb.1957:                             ;   in Loop: Header=BB4_136 Depth=3
	v_bfe_u32 v5, v5, 23, 8
	v_or_b32_e32 v17, 0x800000, v8
	s_delay_alu instid0(VALU_DEP_2) | instskip(SKIP_2) | instid1(VALU_DEP_2)
	v_cmp_gt_u32_e64 s13, 0x72, v5
	v_sub_nc_u32_e32 v16, 0x71, v5
	v_cmp_eq_u32_e32 vcc_lo, 0, v5
	v_cndmask_b32_e64 v16, 0, v16, s13
	s_delay_alu instid0(VALU_DEP_1) | instskip(NEXT) | instid1(VALU_DEP_1)
	v_cndmask_b32_e64 v21, v16, 0x70, vcc_lo
	v_dual_cndmask_b32 v8, v17, v8, vcc_lo :: v_dual_add_nc_u32 v16, 21, v21
	v_add_nc_u32_e32 v86, 20, v21
	s_delay_alu instid0(VALU_DEP_2) | instskip(NEXT) | instid1(VALU_DEP_2)
	v_lshlrev_b64_e64 v[16:17], v16, -1
	v_lshlrev_b64_e64 v[86:87], v86, 1
	s_delay_alu instid0(VALU_DEP_2) | instskip(SKIP_1) | instid1(VALU_DEP_4)
	v_bfi_b32 v16, v16, 0, v8
	v_lshrrev_b64 v[8:9], v21, v[8:9]
	v_bfi_b32 v17, v17, 0, 0
	s_delay_alu instid0(VALU_DEP_1) | instskip(NEXT) | instid1(VALU_DEP_3)
	v_cmp_eq_u64_e64 s13, v[16:17], v[86:87]
	v_mov_b64_e32 v[16:17], v[8:9]
	s_and_saveexec_b32 s77, s13
; %bb.1958:                             ;   in Loop: Header=BB4_136 Depth=3
	v_bfe_u32 v16, v8, 21, 1
	v_mov_b32_e32 v17, v3
	s_delay_alu instid0(VALU_DEP_1) | instskip(NEXT) | instid1(VALU_DEP_1)
	v_add_nc_u64_e32 v[16:17], v[8:9], v[16:17]
	v_add_nc_u64_e32 v[16:17], -1, v[16:17]
; %bb.1959:                             ;   in Loop: Header=BB4_136 Depth=3
	s_or_b32 exec_lo, exec_lo, s77
	v_add_nc_u32_e32 v5, 0xffffff81, v5
	v_lshrrev_b32_e32 v9, 23, v8
	s_mov_b32 s13, exec_lo
	s_delay_alu instid0(VALU_DEP_2) | instskip(NEXT) | instid1(VALU_DEP_1)
	v_cndmask_b32_e64 v5, v5, 0xffffff82, vcc_lo
	v_add3_u32 v17, v21, v5, v9
	v_and_b32_e32 v5, 0x1fffff, v16
	s_delay_alu instid0(VALU_DEP_2) | instskip(NEXT) | instid1(VALU_DEP_2)
	v_dual_mov_b32 v9, v3 :: v_dual_add_nc_u32 v16, 14, v17
	v_add_nc_u32_e32 v8, v5, v8
                                        ; implicit-def: $vgpr5
	s_delay_alu instid0(VALU_DEP_2)
	v_cmpx_ne_u32_e32 0, v16
	s_xor_b32 s13, exec_lo, s13
; %bb.1960:                             ;   in Loop: Header=BB4_136 Depth=3
	s_delay_alu instid0(VALU_DEP_2) | instskip(SKIP_1) | instid1(VALU_DEP_1)
	v_cmp_lt_u64_e32 vcc_lo, 0xffffff, v[8:9]
	v_add_nc_u32_e32 v5, 15, v17
	v_cndmask_b32_e32 v5, v16, v5, vcc_lo
	v_cndmask_b32_e64 v16, 0, 1, vcc_lo
	s_delay_alu instid0(VALU_DEP_1)
	v_lshrrev_b64 v[8:9], v16, v[8:9]
; %bb.1961:                             ;   in Loop: Header=BB4_136 Depth=3
	s_and_not1_saveexec_b32 s13, s13
; %bb.1962:                             ;   in Loop: Header=BB4_136 Depth=3
	s_delay_alu instid0(VALU_DEP_1)
	v_bfe_u32 v5, v8, 23, 1
; %bb.1963:                             ;   in Loop: Header=BB4_136 Depth=3
	s_or_b32 exec_lo, exec_lo, s13
	s_delay_alu instid0(VALU_DEP_2) | instskip(NEXT) | instid1(VALU_DEP_2)
	v_lshrrev_b64 v[8:9], 21, v[8:9]
	v_cmp_gt_i32_e32 vcc_lo, 32, v5
	v_min_i32_e32 v16, 31, v5
	v_cmp_eq_u32_e64 s13, 0, v5
	s_delay_alu instid0(VALU_DEP_4) | instskip(NEXT) | instid1(VALU_DEP_3)
	v_cndmask_b32_e32 v8, 3, v8, vcc_lo
	v_dual_cndmask_b32 v9, 0, v9 :: v_dual_lshlrev_b32 v16, 2, v16
	s_delay_alu instid0(VALU_DEP_1) | instskip(NEXT) | instid1(VALU_DEP_2)
	v_and_b32_e32 v16, 0xfc, v16
	v_cmp_eq_u64_e32 vcc_lo, 0, v[8:9]
	s_delay_alu instid0(VALU_DEP_2)
	v_and_or_b32 v5, v8, 3, v16
	s_and_b32 s13, s13, vcc_lo
	s_delay_alu instid0(VALU_DEP_1) | instid1(SALU_CYCLE_1)
	v_cndmask_b32_e64 v5, v5, 0, s13
	s_delay_alu instid0(VALU_DEP_1)
	v_or_b32_e32 v16, v5, v2
.LBB4_1964:                             ;   in Loop: Header=BB4_136 Depth=3
	s_or_b32 exec_lo, exec_lo, s76
                                        ; implicit-def: $vgpr2
.LBB4_1965:                             ;   in Loop: Header=BB4_136 Depth=3
	s_and_not1_saveexec_b32 s13, s75
; %bb.1966:                             ;   in Loop: Header=BB4_136 Depth=3
	v_or_b32_e32 v16, 0x7b, v2
; %bb.1967:                             ;   in Loop: Header=BB4_136 Depth=3
	s_or_b32 exec_lo, exec_lo, s13
                                        ; implicit-def: $vgpr5
                                        ; implicit-def: $vgpr8_vgpr9
                                        ; implicit-def: $vgpr2
.LBB4_1968:                             ;   in Loop: Header=BB4_136 Depth=3
	s_and_not1_saveexec_b32 s13, s74
	s_cbranch_execz .LBB4_1974
; %bb.1969:                             ;   in Loop: Header=BB4_136 Depth=3
	s_mov_b32 s74, exec_lo
                                        ; implicit-def: $vgpr16
	v_cmpx_ne_u64_e32 0, v[8:9]
	s_xor_b32 s74, exec_lo, s74
; %bb.1970:                             ;   in Loop: Header=BB4_136 Depth=3
	v_or_b32_e32 v16, 0x7f, v2
                                        ; implicit-def: $vgpr5
; %bb.1971:                             ;   in Loop: Header=BB4_136 Depth=3
	s_and_not1_saveexec_b32 s74, s74
; %bb.1972:                             ;   in Loop: Header=BB4_136 Depth=3
	v_cmp_lt_i32_e32 vcc_lo, -1, v5
	v_cndmask_b32_e32 v16, 0xfc, v49, vcc_lo
; %bb.1973:                             ;   in Loop: Header=BB4_136 Depth=3
	s_or_b32 exec_lo, exec_lo, s74
.LBB4_1974:                             ;   in Loop: Header=BB4_136 Depth=3
	s_delay_alu instid0(SALU_CYCLE_1) | instskip(SKIP_3) | instid1(VALU_DEP_2)
	s_or_b32 exec_lo, exec_lo, s13
	v_lshrrev_b16 v8, 8, v4
	v_mov_b32_e32 v2, 0
	s_mov_b32 s74, exec_lo
	v_cmpx_ne_u16_e32 0, v8
	s_cbranch_execz .LBB4_1984
; %bb.1975:                             ;   in Loop: Header=BB4_136 Depth=3
	v_bfrev_b32_e32 v2, 1
	s_mov_b32 s75, exec_lo
	v_cmpx_ne_u16_e32 0x80, v8
	s_cbranch_execz .LBB4_1983
; %bb.1976:                             ;   in Loop: Header=BB4_136 Depth=3
	v_and_b32_e32 v5, 0xffff, v8
	s_delay_alu instid0(VALU_DEP_1) | instskip(SKIP_1) | instid1(VALU_DEP_2)
	v_and_b32_e32 v2, 0x7c, v5
	v_and_b32_e32 v9, 3, v5
	v_cmp_ne_u32_e32 vcc_lo, 0x7c, v2
                                        ; implicit-def: $vgpr2
	s_and_saveexec_b32 s13, vcc_lo
	s_delay_alu instid0(SALU_CYCLE_1)
	s_xor_b32 s13, exec_lo, s13
	s_cbranch_execz .LBB4_1980
; %bb.1977:                             ;   in Loop: Header=BB4_136 Depth=3
	v_bfe_u32 v2, v5, 2, 5
	s_mov_b32 s76, exec_lo
	s_delay_alu instid0(VALU_DEP_1)
	v_cmpx_eq_u32_e32 0, v2
	s_cbranch_execz .LBB4_1979
; %bb.1978:                             ;   in Loop: Header=BB4_136 Depth=3
	v_clz_i32_u32_e32 v2, v9
	s_delay_alu instid0(VALU_DEP_1) | instskip(SKIP_1) | instid1(VALU_DEP_2)
	v_min_u32_e32 v2, 32, v2
	v_mov_b32_e32 v9, v3
	v_subrev_nc_u32_e32 v5, 29, v2
	v_sub_nc_u32_e32 v2, 30, v2
	s_delay_alu instid0(VALU_DEP_2) | instskip(NEXT) | instid1(VALU_DEP_1)
	v_lshlrev_b64_e32 v[8:9], v5, v[8:9]
	v_and_b32_e32 v9, 3, v8
.LBB4_1979:                             ;   in Loop: Header=BB4_136 Depth=3
	s_or_b32 exec_lo, exec_lo, s76
	v_lshlrev_b32_e32 v4, 16, v4
	s_delay_alu instid0(VALU_DEP_1) | instskip(NEXT) | instid1(VALU_DEP_1)
	v_and_b32_e32 v4, 0x80000000, v4
	v_lshl_add_u32 v2, v2, 23, v4
                                        ; implicit-def: $vgpr4_vgpr5
	s_delay_alu instid0(VALU_DEP_1) | instskip(NEXT) | instid1(VALU_DEP_1)
	v_lshl_or_b32 v2, v9, 21, v2
                                        ; implicit-def: $vgpr9
	v_add_nc_u32_e32 v2, 0x38000000, v2
.LBB4_1980:                             ;   in Loop: Header=BB4_136 Depth=3
	s_and_not1_saveexec_b32 s76, s13
; %bb.1981:                             ;   in Loop: Header=BB4_136 Depth=3
	v_cmp_lt_i16_e64 s13, -1, v4
	v_cmp_eq_u32_e32 vcc_lo, 0, v9
	s_delay_alu instid0(VALU_DEP_2) | instskip(NEXT) | instid1(VALU_DEP_1)
	v_cndmask_b32_e64 v2, 0xff800000, v48, s13
	v_cndmask_b32_e32 v2, 0x7f800001, v2, vcc_lo
; %bb.1982:                             ;   in Loop: Header=BB4_136 Depth=3
	s_or_b32 exec_lo, exec_lo, s76
.LBB4_1983:                             ;   in Loop: Header=BB4_136 Depth=3
	s_delay_alu instid0(SALU_CYCLE_1)
	s_or_b32 exec_lo, exec_lo, s75
.LBB4_1984:                             ;   in Loop: Header=BB4_136 Depth=3
	s_delay_alu instid0(SALU_CYCLE_1) | instskip(NEXT) | instid1(VALU_DEP_1)
	s_or_b32 exec_lo, exec_lo, s74
	v_dual_mul_f32 v8, s73, v2 :: v_dual_mov_b32 v87, v3
	v_mov_b32_e32 v5, v3
                                        ; implicit-def: $vgpr17
	s_mov_b32 s13, exec_lo
	s_delay_alu instid0(VALU_DEP_2) | instskip(SKIP_2) | instid1(VALU_DEP_3)
	v_and_b32_e32 v86, 0x7f800000, v8
	v_and_b32_e32 v4, 0x7fffff, v8
	v_lshrrev_b32_e32 v2, 24, v8
	v_cmpx_ne_u64_e32 0x7f800000, v[86:87]
	s_xor_b32 s74, exec_lo, s13
	s_cbranch_execz .LBB4_1998
; %bb.1985:                             ;   in Loop: Header=BB4_136 Depth=3
	v_and_b32_e32 v86, 0x7fffffff, v8
	v_mov_b32_e32 v87, v3
	v_and_b32_e32 v2, 0x80, v2
                                        ; implicit-def: $vgpr17
	s_mov_b32 s13, exec_lo
	s_delay_alu instid0(VALU_DEP_2)
	v_cmpx_gt_u64_e32 0x47600001, v[86:87]
	s_xor_b32 s75, exec_lo, s13
	s_cbranch_execz .LBB4_1995
; %bb.1986:                             ;   in Loop: Header=BB4_136 Depth=3
	v_mov_b32_e32 v17, 0
	s_mov_b32 s76, exec_lo
	v_cmpx_ne_u32_e32 0, v8
	s_cbranch_execz .LBB4_1994
; %bb.1987:                             ;   in Loop: Header=BB4_136 Depth=3
	v_bfe_u32 v17, v8, 23, 8
	v_or_b32_e32 v9, 0x800000, v4
	s_delay_alu instid0(VALU_DEP_2) | instskip(SKIP_2) | instid1(VALU_DEP_2)
	v_cmp_gt_u32_e64 s13, 0x72, v17
	v_sub_nc_u32_e32 v8, 0x71, v17
	v_cmp_eq_u32_e32 vcc_lo, 0, v17
	v_cndmask_b32_e64 v8, 0, v8, s13
	s_delay_alu instid0(VALU_DEP_1) | instskip(NEXT) | instid1(VALU_DEP_1)
	v_cndmask_b32_e64 v21, v8, 0x70, vcc_lo
	v_dual_cndmask_b32 v4, v9, v4, vcc_lo :: v_dual_add_nc_u32 v8, 21, v21
	v_add_nc_u32_e32 v86, 20, v21
	s_delay_alu instid0(VALU_DEP_2) | instskip(NEXT) | instid1(VALU_DEP_2)
	v_lshlrev_b64_e64 v[8:9], v8, -1
	v_lshlrev_b64_e64 v[86:87], v86, 1
	s_delay_alu instid0(VALU_DEP_2) | instskip(SKIP_1) | instid1(VALU_DEP_4)
	v_bfi_b32 v8, v8, 0, v4
	v_lshrrev_b64 v[4:5], v21, v[4:5]
	v_bfi_b32 v9, v9, 0, 0
	s_delay_alu instid0(VALU_DEP_1) | instskip(NEXT) | instid1(VALU_DEP_3)
	v_cmp_eq_u64_e64 s13, v[8:9], v[86:87]
	v_mov_b64_e32 v[8:9], v[4:5]
	s_and_saveexec_b32 s77, s13
; %bb.1988:                             ;   in Loop: Header=BB4_136 Depth=3
	v_bfe_u32 v8, v4, 21, 1
	v_mov_b32_e32 v9, v3
	s_delay_alu instid0(VALU_DEP_1) | instskip(NEXT) | instid1(VALU_DEP_1)
	v_add_nc_u64_e32 v[8:9], v[4:5], v[8:9]
	v_add_nc_u64_e32 v[8:9], -1, v[8:9]
; %bb.1989:                             ;   in Loop: Header=BB4_136 Depth=3
	s_or_b32 exec_lo, exec_lo, s77
	v_add_nc_u32_e32 v5, 0xffffff81, v17
	v_lshrrev_b32_e32 v9, 23, v4
	s_mov_b32 s13, exec_lo
	s_delay_alu instid0(VALU_DEP_2) | instskip(NEXT) | instid1(VALU_DEP_1)
	v_cndmask_b32_e64 v5, v5, 0xffffff82, vcc_lo
	v_add3_u32 v17, v21, v5, v9
	v_and_b32_e32 v5, 0x1fffff, v8
                                        ; implicit-def: $vgpr8
	s_delay_alu instid0(VALU_DEP_1) | instskip(SKIP_1) | instid1(VALU_DEP_2)
	v_dual_add_nc_u32 v9, 14, v17 :: v_dual_add_nc_u32 v4, v5, v4
	v_mov_b32_e32 v5, v3
	v_cmpx_ne_u32_e32 0, v9
	s_xor_b32 s13, exec_lo, s13
; %bb.1990:                             ;   in Loop: Header=BB4_136 Depth=3
	s_delay_alu instid0(VALU_DEP_2) | instskip(SKIP_1) | instid1(VALU_DEP_1)
	v_cmp_lt_u64_e32 vcc_lo, 0xffffff, v[4:5]
	v_add_nc_u32_e32 v8, 15, v17
	v_cndmask_b32_e32 v8, v9, v8, vcc_lo
	v_cndmask_b32_e64 v9, 0, 1, vcc_lo
	s_delay_alu instid0(VALU_DEP_1)
	v_lshrrev_b64 v[4:5], v9, v[4:5]
; %bb.1991:                             ;   in Loop: Header=BB4_136 Depth=3
	s_and_not1_saveexec_b32 s13, s13
; %bb.1992:                             ;   in Loop: Header=BB4_136 Depth=3
	s_delay_alu instid0(VALU_DEP_1)
	v_bfe_u32 v8, v4, 23, 1
; %bb.1993:                             ;   in Loop: Header=BB4_136 Depth=3
	s_or_b32 exec_lo, exec_lo, s13
	s_delay_alu instid0(VALU_DEP_2) | instskip(NEXT) | instid1(VALU_DEP_2)
	v_lshrrev_b64 v[4:5], 21, v[4:5]
	v_cmp_gt_i32_e32 vcc_lo, 32, v8
	v_min_i32_e32 v9, 31, v8
	v_cmp_eq_u32_e64 s13, 0, v8
	s_delay_alu instid0(VALU_DEP_4) | instskip(NEXT) | instid1(VALU_DEP_3)
	v_cndmask_b32_e32 v5, 0, v5, vcc_lo
	v_dual_cndmask_b32 v4, 3, v4 :: v_dual_lshlrev_b32 v9, 2, v9
	s_delay_alu instid0(VALU_DEP_1) | instskip(NEXT) | instid1(VALU_DEP_2)
	v_and_b32_e32 v9, 0xfc, v9
	v_cmp_eq_u64_e32 vcc_lo, 0, v[4:5]
	s_delay_alu instid0(VALU_DEP_2)
	v_and_or_b32 v4, v4, 3, v9
	s_and_b32 s13, s13, vcc_lo
	s_delay_alu instid0(VALU_DEP_1) | instid1(SALU_CYCLE_1)
	v_cndmask_b32_e64 v4, v4, 0, s13
	s_delay_alu instid0(VALU_DEP_1)
	v_or_b32_e32 v17, v4, v2
.LBB4_1994:                             ;   in Loop: Header=BB4_136 Depth=3
	s_or_b32 exec_lo, exec_lo, s76
                                        ; implicit-def: $vgpr2
.LBB4_1995:                             ;   in Loop: Header=BB4_136 Depth=3
	s_and_not1_saveexec_b32 s13, s75
; %bb.1996:                             ;   in Loop: Header=BB4_136 Depth=3
	v_or_b32_e32 v17, 0x7b, v2
; %bb.1997:                             ;   in Loop: Header=BB4_136 Depth=3
	s_or_b32 exec_lo, exec_lo, s13
                                        ; implicit-def: $vgpr8
                                        ; implicit-def: $vgpr4_vgpr5
                                        ; implicit-def: $vgpr2
.LBB4_1998:                             ;   in Loop: Header=BB4_136 Depth=3
	s_and_not1_saveexec_b32 s13, s74
	s_cbranch_execz .LBB4_2004
; %bb.1999:                             ;   in Loop: Header=BB4_136 Depth=3
	s_mov_b32 s74, exec_lo
                                        ; implicit-def: $vgpr17
	v_cmpx_ne_u64_e32 0, v[4:5]
	s_xor_b32 s74, exec_lo, s74
; %bb.2000:                             ;   in Loop: Header=BB4_136 Depth=3
	v_or_b32_e32 v17, 0x7f, v2
                                        ; implicit-def: $vgpr8
; %bb.2001:                             ;   in Loop: Header=BB4_136 Depth=3
	s_and_not1_saveexec_b32 s74, s74
; %bb.2002:                             ;   in Loop: Header=BB4_136 Depth=3
	v_cmp_lt_i32_e32 vcc_lo, -1, v8
	v_cndmask_b32_e32 v17, 0xfc, v49, vcc_lo
; %bb.2003:                             ;   in Loop: Header=BB4_136 Depth=3
	s_or_b32 exec_lo, exec_lo, s74
.LBB4_2004:                             ;   in Loop: Header=BB4_136 Depth=3
	s_delay_alu instid0(SALU_CYCLE_1) | instskip(SKIP_2) | instid1(VALU_DEP_1)
	s_or_b32 exec_lo, exec_lo, s13
	v_dual_lshrrev_b32 v2, 16, v11 :: v_dual_mov_b32 v4, 0
	s_mov_b32 s74, exec_lo
	v_and_b32_e32 v5, 0xff, v2
	s_delay_alu instid0(VALU_DEP_1)
	v_cmpx_ne_u16_e32 0, v5
	s_cbranch_execz .LBB4_2014
; %bb.2005:                             ;   in Loop: Header=BB4_136 Depth=3
	v_bfrev_b32_e32 v4, 1
	s_mov_b32 s75, exec_lo
	v_cmpx_ne_u16_e32 0x80, v5
	s_cbranch_execz .LBB4_2013
; %bb.2006:                             ;   in Loop: Header=BB4_136 Depth=3
	v_and_b32_e32 v4, 0x7c0000, v11
	v_bfe_u32 v5, v11, 16, 2
	s_delay_alu instid0(VALU_DEP_2) | instskip(SKIP_1) | instid1(SALU_CYCLE_1)
	v_cmp_ne_u32_e32 vcc_lo, 0x7c0000, v4
                                        ; implicit-def: $vgpr4
	s_and_saveexec_b32 s13, vcc_lo
	s_xor_b32 s13, exec_lo, s13
	s_cbranch_execz .LBB4_2010
; %bb.2007:                             ;   in Loop: Header=BB4_136 Depth=3
	v_bfe_u32 v4, v11, 18, 5
	s_mov_b32 s76, exec_lo
	s_delay_alu instid0(VALU_DEP_1)
	v_cmpx_eq_u32_e32 0, v4
; %bb.2008:                             ;   in Loop: Header=BB4_136 Depth=3
	v_clz_i32_u32_e32 v4, v5
	s_delay_alu instid0(VALU_DEP_1) | instskip(NEXT) | instid1(VALU_DEP_1)
	v_min_u32_e32 v4, 32, v4
	v_subrev_nc_u32_e32 v5, 29, v4
	v_sub_nc_u32_e32 v4, 30, v4
	s_delay_alu instid0(VALU_DEP_2) | instskip(NEXT) | instid1(VALU_DEP_1)
	v_lshlrev_b64_e32 v[8:9], v5, v[2:3]
	v_and_b32_e32 v5, 3, v8
; %bb.2009:                             ;   in Loop: Header=BB4_136 Depth=3
	s_or_b32 exec_lo, exec_lo, s76
	v_lshlrev_b32_e32 v2, 24, v2
	s_delay_alu instid0(VALU_DEP_1) | instskip(NEXT) | instid1(VALU_DEP_1)
	v_and_b32_e32 v2, 0x80000000, v2
	v_lshl_add_u32 v2, v4, 23, v2
	s_delay_alu instid0(VALU_DEP_1) | instskip(NEXT) | instid1(VALU_DEP_1)
	v_lshl_or_b32 v2, v5, 21, v2
                                        ; implicit-def: $vgpr5
	v_add_nc_u32_e32 v4, 0x38000000, v2
                                        ; implicit-def: $vgpr2
.LBB4_2010:                             ;   in Loop: Header=BB4_136 Depth=3
	s_and_not1_saveexec_b32 s76, s13
; %bb.2011:                             ;   in Loop: Header=BB4_136 Depth=3
	v_bfe_i32 v2, v2, 0, 8
	v_cmp_eq_u32_e32 vcc_lo, 0, v5
	s_delay_alu instid0(VALU_DEP_2) | instskip(NEXT) | instid1(VALU_DEP_1)
	v_cmp_lt_i16_e64 s13, -1, v2
	v_cndmask_b32_e64 v2, 0xff800000, v48, s13
	s_delay_alu instid0(VALU_DEP_1)
	v_cndmask_b32_e32 v4, 0x7f800001, v2, vcc_lo
; %bb.2012:                             ;   in Loop: Header=BB4_136 Depth=3
	s_or_b32 exec_lo, exec_lo, s76
.LBB4_2013:                             ;   in Loop: Header=BB4_136 Depth=3
	s_delay_alu instid0(SALU_CYCLE_1)
	s_or_b32 exec_lo, exec_lo, s75
.LBB4_2014:                             ;   in Loop: Header=BB4_136 Depth=3
	s_delay_alu instid0(SALU_CYCLE_1) | instskip(NEXT) | instid1(VALU_DEP_1)
	s_or_b32 exec_lo, exec_lo, s74
	v_dual_mul_f32 v8, s73, v4 :: v_dual_mov_b32 v87, v3
	v_mov_b32_e32 v5, v3
                                        ; implicit-def: $vgpr21
	s_mov_b32 s13, exec_lo
	s_delay_alu instid0(VALU_DEP_2) | instskip(SKIP_2) | instid1(VALU_DEP_3)
	v_and_b32_e32 v86, 0x7f800000, v8
	v_and_b32_e32 v4, 0x7fffff, v8
	v_lshrrev_b32_e32 v2, 24, v8
	v_cmpx_ne_u64_e32 0x7f800000, v[86:87]
	s_xor_b32 s74, exec_lo, s13
	s_cbranch_execz .LBB4_2028
; %bb.2015:                             ;   in Loop: Header=BB4_136 Depth=3
	v_and_b32_e32 v86, 0x7fffffff, v8
	v_mov_b32_e32 v87, v3
	v_and_b32_e32 v2, 0x80, v2
                                        ; implicit-def: $vgpr21
	s_mov_b32 s13, exec_lo
	s_delay_alu instid0(VALU_DEP_2)
	v_cmpx_gt_u64_e32 0x47600001, v[86:87]
	s_xor_b32 s75, exec_lo, s13
	s_cbranch_execz .LBB4_2025
; %bb.2016:                             ;   in Loop: Header=BB4_136 Depth=3
	v_mov_b32_e32 v21, 0
	s_mov_b32 s76, exec_lo
	v_cmpx_ne_u32_e32 0, v8
	s_cbranch_execz .LBB4_2024
; %bb.2017:                             ;   in Loop: Header=BB4_136 Depth=3
	v_bfe_u32 v21, v8, 23, 8
	v_or_b32_e32 v9, 0x800000, v4
	s_delay_alu instid0(VALU_DEP_2) | instskip(SKIP_2) | instid1(VALU_DEP_2)
	v_cmp_gt_u32_e64 s13, 0x72, v21
	v_sub_nc_u32_e32 v8, 0x71, v21
	v_cmp_eq_u32_e32 vcc_lo, 0, v21
	v_cndmask_b32_e64 v8, 0, v8, s13
	s_delay_alu instid0(VALU_DEP_1) | instskip(NEXT) | instid1(VALU_DEP_1)
	v_cndmask_b32_e64 v86, v8, 0x70, vcc_lo
	v_dual_cndmask_b32 v4, v9, v4, vcc_lo :: v_dual_add_nc_u32 v8, 21, v86
	v_add_nc_u32_e32 v87, 20, v86
	s_delay_alu instid0(VALU_DEP_2) | instskip(NEXT) | instid1(VALU_DEP_2)
	v_lshlrev_b64_e64 v[8:9], v8, -1
	v_lshlrev_b64_e64 v[96:97], v87, 1
	s_delay_alu instid0(VALU_DEP_2) | instskip(SKIP_1) | instid1(VALU_DEP_4)
	v_bfi_b32 v8, v8, 0, v4
	v_lshrrev_b64 v[4:5], v86, v[4:5]
	v_bfi_b32 v9, v9, 0, 0
	s_delay_alu instid0(VALU_DEP_1) | instskip(NEXT) | instid1(VALU_DEP_3)
	v_cmp_eq_u64_e64 s13, v[8:9], v[96:97]
	v_mov_b64_e32 v[8:9], v[4:5]
	s_and_saveexec_b32 s77, s13
; %bb.2018:                             ;   in Loop: Header=BB4_136 Depth=3
	v_bfe_u32 v8, v4, 21, 1
	v_mov_b32_e32 v9, v3
	s_delay_alu instid0(VALU_DEP_1) | instskip(NEXT) | instid1(VALU_DEP_1)
	v_add_nc_u64_e32 v[8:9], v[4:5], v[8:9]
	v_add_nc_u64_e32 v[8:9], -1, v[8:9]
; %bb.2019:                             ;   in Loop: Header=BB4_136 Depth=3
	s_or_b32 exec_lo, exec_lo, s77
	v_add_nc_u32_e32 v5, 0xffffff81, v21
	v_lshrrev_b32_e32 v9, 23, v4
	s_mov_b32 s13, exec_lo
	s_delay_alu instid0(VALU_DEP_2) | instskip(NEXT) | instid1(VALU_DEP_1)
	v_cndmask_b32_e64 v5, v5, 0xffffff82, vcc_lo
	v_add3_u32 v21, v86, v5, v9
	v_and_b32_e32 v5, 0x1fffff, v8
                                        ; implicit-def: $vgpr8
	s_delay_alu instid0(VALU_DEP_1) | instskip(SKIP_1) | instid1(VALU_DEP_2)
	v_dual_add_nc_u32 v9, 14, v21 :: v_dual_add_nc_u32 v4, v5, v4
	v_mov_b32_e32 v5, v3
	v_cmpx_ne_u32_e32 0, v9
	s_xor_b32 s13, exec_lo, s13
; %bb.2020:                             ;   in Loop: Header=BB4_136 Depth=3
	s_delay_alu instid0(VALU_DEP_2) | instskip(SKIP_1) | instid1(VALU_DEP_1)
	v_cmp_lt_u64_e32 vcc_lo, 0xffffff, v[4:5]
	v_add_nc_u32_e32 v8, 15, v21
	v_cndmask_b32_e32 v8, v9, v8, vcc_lo
	v_cndmask_b32_e64 v9, 0, 1, vcc_lo
	s_delay_alu instid0(VALU_DEP_1)
	v_lshrrev_b64 v[4:5], v9, v[4:5]
; %bb.2021:                             ;   in Loop: Header=BB4_136 Depth=3
	s_and_not1_saveexec_b32 s13, s13
; %bb.2022:                             ;   in Loop: Header=BB4_136 Depth=3
	s_delay_alu instid0(VALU_DEP_1)
	v_bfe_u32 v8, v4, 23, 1
; %bb.2023:                             ;   in Loop: Header=BB4_136 Depth=3
	s_or_b32 exec_lo, exec_lo, s13
	s_delay_alu instid0(VALU_DEP_2) | instskip(NEXT) | instid1(VALU_DEP_2)
	v_lshrrev_b64 v[4:5], 21, v[4:5]
	v_cmp_gt_i32_e32 vcc_lo, 32, v8
	v_min_i32_e32 v9, 31, v8
	v_cmp_eq_u32_e64 s13, 0, v8
	s_delay_alu instid0(VALU_DEP_4) | instskip(NEXT) | instid1(VALU_DEP_3)
	v_cndmask_b32_e32 v5, 0, v5, vcc_lo
	v_dual_cndmask_b32 v4, 3, v4 :: v_dual_lshlrev_b32 v9, 2, v9
	s_delay_alu instid0(VALU_DEP_1) | instskip(NEXT) | instid1(VALU_DEP_2)
	v_and_b32_e32 v9, 0xfc, v9
	v_cmp_eq_u64_e32 vcc_lo, 0, v[4:5]
	s_delay_alu instid0(VALU_DEP_2)
	v_and_or_b32 v4, v4, 3, v9
	s_and_b32 s13, s13, vcc_lo
	s_delay_alu instid0(VALU_DEP_1) | instid1(SALU_CYCLE_1)
	v_cndmask_b32_e64 v4, v4, 0, s13
	s_delay_alu instid0(VALU_DEP_1)
	v_or_b32_e32 v21, v4, v2
.LBB4_2024:                             ;   in Loop: Header=BB4_136 Depth=3
	s_or_b32 exec_lo, exec_lo, s76
                                        ; implicit-def: $vgpr2
.LBB4_2025:                             ;   in Loop: Header=BB4_136 Depth=3
	s_and_not1_saveexec_b32 s13, s75
; %bb.2026:                             ;   in Loop: Header=BB4_136 Depth=3
	v_or_b32_e32 v21, 0x7b, v2
; %bb.2027:                             ;   in Loop: Header=BB4_136 Depth=3
	s_or_b32 exec_lo, exec_lo, s13
                                        ; implicit-def: $vgpr8
                                        ; implicit-def: $vgpr4_vgpr5
                                        ; implicit-def: $vgpr2
.LBB4_2028:                             ;   in Loop: Header=BB4_136 Depth=3
	s_and_not1_saveexec_b32 s13, s74
	s_cbranch_execz .LBB4_2034
; %bb.2029:                             ;   in Loop: Header=BB4_136 Depth=3
	s_mov_b32 s74, exec_lo
                                        ; implicit-def: $vgpr21
	v_cmpx_ne_u64_e32 0, v[4:5]
	s_xor_b32 s74, exec_lo, s74
; %bb.2030:                             ;   in Loop: Header=BB4_136 Depth=3
	v_or_b32_e32 v21, 0x7f, v2
                                        ; implicit-def: $vgpr8
; %bb.2031:                             ;   in Loop: Header=BB4_136 Depth=3
	s_and_not1_saveexec_b32 s74, s74
; %bb.2032:                             ;   in Loop: Header=BB4_136 Depth=3
	v_cmp_lt_i32_e32 vcc_lo, -1, v8
	v_cndmask_b32_e32 v21, 0xfc, v49, vcc_lo
; %bb.2033:                             ;   in Loop: Header=BB4_136 Depth=3
	s_or_b32 exec_lo, exec_lo, s74
.LBB4_2034:                             ;   in Loop: Header=BB4_136 Depth=3
	s_delay_alu instid0(SALU_CYCLE_1)
	s_or_b32 exec_lo, exec_lo, s13
	v_mov_b32_e32 v4, 0
	s_mov_b32 s74, exec_lo
	v_cmpx_lt_u64_e64 s[22:23], v[10:11]
	s_cbranch_execz .LBB4_2044
; %bb.2035:                             ;   in Loop: Header=BB4_136 Depth=3
	v_lshrrev_b32_e32 v2, 24, v11
	v_bfrev_b32_e32 v4, 1
	s_mov_b32 s75, exec_lo
	s_delay_alu instid0(VALU_DEP_2)
	v_cmpx_ne_u32_e32 0x80, v2
	s_cbranch_execz .LBB4_2043
; %bb.2036:                             ;   in Loop: Header=BB4_136 Depth=3
	v_and_b32_e32 v4, 0x7c000000, v11
	v_bfe_u32 v5, v11, 24, 2
	s_delay_alu instid0(VALU_DEP_2) | instskip(SKIP_1) | instid1(SALU_CYCLE_1)
	v_cmp_ne_u32_e32 vcc_lo, 0x7c000000, v4
                                        ; implicit-def: $vgpr4
	s_and_saveexec_b32 s13, vcc_lo
	s_xor_b32 s13, exec_lo, s13
	s_cbranch_execz .LBB4_2040
; %bb.2037:                             ;   in Loop: Header=BB4_136 Depth=3
	v_bfe_u32 v4, v11, 26, 5
	s_mov_b32 s76, exec_lo
	s_delay_alu instid0(VALU_DEP_1)
	v_cmpx_eq_u32_e32 0, v4
; %bb.2038:                             ;   in Loop: Header=BB4_136 Depth=3
	v_clz_i32_u32_e32 v4, v5
	s_delay_alu instid0(VALU_DEP_1) | instskip(NEXT) | instid1(VALU_DEP_1)
	v_min_u32_e32 v4, 32, v4
	v_subrev_nc_u32_e32 v5, 29, v4
	v_sub_nc_u32_e32 v4, 30, v4
	s_delay_alu instid0(VALU_DEP_2) | instskip(NEXT) | instid1(VALU_DEP_1)
	v_lshlrev_b64_e32 v[8:9], v5, v[2:3]
	v_and_b32_e32 v5, 3, v8
; %bb.2039:                             ;   in Loop: Header=BB4_136 Depth=3
	s_or_b32 exec_lo, exec_lo, s76
	v_and_b32_e32 v2, 0x80000000, v11
                                        ; implicit-def: $vgpr10_vgpr11
	s_delay_alu instid0(VALU_DEP_1) | instskip(NEXT) | instid1(VALU_DEP_1)
	v_lshl_add_u32 v2, v4, 23, v2
	v_lshl_or_b32 v2, v5, 21, v2
                                        ; implicit-def: $vgpr5
	s_delay_alu instid0(VALU_DEP_1)
	v_add_nc_u32_e32 v4, 0x38000000, v2
.LBB4_2040:                             ;   in Loop: Header=BB4_136 Depth=3
	s_and_not1_saveexec_b32 s76, s13
; %bb.2041:                             ;   in Loop: Header=BB4_136 Depth=3
	v_cmp_lt_i64_e64 s13, -1, v[10:11]
	v_cmp_eq_u32_e32 vcc_lo, 0, v5
	s_delay_alu instid0(VALU_DEP_2) | instskip(NEXT) | instid1(VALU_DEP_1)
	v_cndmask_b32_e64 v2, 0xff800000, v48, s13
	v_cndmask_b32_e32 v4, 0x7f800001, v2, vcc_lo
; %bb.2042:                             ;   in Loop: Header=BB4_136 Depth=3
	s_or_b32 exec_lo, exec_lo, s76
.LBB4_2043:                             ;   in Loop: Header=BB4_136 Depth=3
	s_delay_alu instid0(SALU_CYCLE_1)
	s_or_b32 exec_lo, exec_lo, s75
.LBB4_2044:                             ;   in Loop: Header=BB4_136 Depth=3
	s_delay_alu instid0(SALU_CYCLE_1) | instskip(NEXT) | instid1(VALU_DEP_1)
	s_or_b32 exec_lo, exec_lo, s74
	v_dual_mul_f32 v9, s73, v4 :: v_dual_mov_b32 v11, v3
	v_mov_b32_e32 v5, v3
                                        ; implicit-def: $vgpr8
	s_mov_b32 s13, exec_lo
	s_delay_alu instid0(VALU_DEP_2) | instskip(SKIP_2) | instid1(VALU_DEP_3)
	v_and_b32_e32 v10, 0x7f800000, v9
	v_and_b32_e32 v4, 0x7fffff, v9
	v_lshrrev_b32_e32 v2, 24, v9
	v_cmpx_ne_u64_e32 0x7f800000, v[10:11]
	s_xor_b32 s73, exec_lo, s13
	s_cbranch_execz .LBB4_2058
; %bb.2045:                             ;   in Loop: Header=BB4_136 Depth=3
	v_and_b32_e32 v10, 0x7fffffff, v9
	v_mov_b32_e32 v11, v3
	v_and_b32_e32 v2, 0x80, v2
                                        ; implicit-def: $vgpr8
	s_mov_b32 s13, exec_lo
	s_delay_alu instid0(VALU_DEP_2)
	v_cmpx_gt_u64_e32 0x47600001, v[10:11]
	s_xor_b32 s74, exec_lo, s13
	s_cbranch_execz .LBB4_2055
; %bb.2046:                             ;   in Loop: Header=BB4_136 Depth=3
	v_mov_b32_e32 v8, 0
	s_mov_b32 s75, exec_lo
	v_cmpx_ne_u32_e32 0, v9
	s_cbranch_execz .LBB4_2054
; %bb.2047:                             ;   in Loop: Header=BB4_136 Depth=3
	v_bfe_u32 v10, v9, 23, 8
	v_or_b32_e32 v9, 0x800000, v4
	s_delay_alu instid0(VALU_DEP_2) | instskip(SKIP_2) | instid1(VALU_DEP_2)
	v_cmp_gt_u32_e64 s13, 0x72, v10
	v_sub_nc_u32_e32 v8, 0x71, v10
	v_cmp_eq_u32_e32 vcc_lo, 0, v10
	v_cndmask_b32_e64 v8, 0, v8, s13
	s_delay_alu instid0(VALU_DEP_1) | instskip(NEXT) | instid1(VALU_DEP_1)
	v_cndmask_b32_e64 v11, v8, 0x70, vcc_lo
	v_dual_cndmask_b32 v4, v9, v4, vcc_lo :: v_dual_add_nc_u32 v8, 21, v11
	v_add_nc_u32_e32 v86, 20, v11
	s_delay_alu instid0(VALU_DEP_2) | instskip(NEXT) | instid1(VALU_DEP_2)
	v_lshlrev_b64_e64 v[8:9], v8, -1
	v_lshlrev_b64_e64 v[86:87], v86, 1
	s_delay_alu instid0(VALU_DEP_2) | instskip(SKIP_1) | instid1(VALU_DEP_4)
	v_bfi_b32 v8, v8, 0, v4
	v_lshrrev_b64 v[4:5], v11, v[4:5]
	v_bfi_b32 v9, v9, 0, 0
	s_delay_alu instid0(VALU_DEP_1) | instskip(NEXT) | instid1(VALU_DEP_3)
	v_cmp_eq_u64_e64 s13, v[8:9], v[86:87]
	v_mov_b64_e32 v[8:9], v[4:5]
	s_and_saveexec_b32 s76, s13
; %bb.2048:                             ;   in Loop: Header=BB4_136 Depth=3
	v_bfe_u32 v8, v4, 21, 1
	v_mov_b32_e32 v9, v3
	s_delay_alu instid0(VALU_DEP_1) | instskip(NEXT) | instid1(VALU_DEP_1)
	v_add_nc_u64_e32 v[8:9], v[4:5], v[8:9]
	v_add_nc_u64_e32 v[8:9], -1, v[8:9]
; %bb.2049:                             ;   in Loop: Header=BB4_136 Depth=3
	s_or_b32 exec_lo, exec_lo, s76
	v_add_nc_u32_e32 v5, 0xffffff81, v10
	v_lshrrev_b32_e32 v9, 23, v4
	s_mov_b32 s13, exec_lo
	s_delay_alu instid0(VALU_DEP_2) | instskip(NEXT) | instid1(VALU_DEP_1)
	v_cndmask_b32_e64 v5, v5, 0xffffff82, vcc_lo
	v_add3_u32 v10, v11, v5, v9
	v_and_b32_e32 v5, 0x1fffff, v8
                                        ; implicit-def: $vgpr8
	s_delay_alu instid0(VALU_DEP_1) | instskip(SKIP_1) | instid1(VALU_DEP_2)
	v_dual_add_nc_u32 v9, 14, v10 :: v_dual_add_nc_u32 v4, v5, v4
	v_mov_b32_e32 v5, v3
	v_cmpx_ne_u32_e32 0, v9
	s_xor_b32 s13, exec_lo, s13
; %bb.2050:                             ;   in Loop: Header=BB4_136 Depth=3
	s_delay_alu instid0(VALU_DEP_2) | instskip(SKIP_1) | instid1(VALU_DEP_1)
	v_cmp_lt_u64_e32 vcc_lo, 0xffffff, v[4:5]
	v_add_nc_u32_e32 v8, 15, v10
	v_cndmask_b32_e32 v8, v9, v8, vcc_lo
	v_cndmask_b32_e64 v9, 0, 1, vcc_lo
	s_delay_alu instid0(VALU_DEP_1)
	v_lshrrev_b64 v[4:5], v9, v[4:5]
; %bb.2051:                             ;   in Loop: Header=BB4_136 Depth=3
	s_and_not1_saveexec_b32 s13, s13
; %bb.2052:                             ;   in Loop: Header=BB4_136 Depth=3
	s_delay_alu instid0(VALU_DEP_1)
	v_bfe_u32 v8, v4, 23, 1
; %bb.2053:                             ;   in Loop: Header=BB4_136 Depth=3
	s_or_b32 exec_lo, exec_lo, s13
	s_delay_alu instid0(VALU_DEP_2) | instskip(NEXT) | instid1(VALU_DEP_2)
	v_lshrrev_b64 v[4:5], 21, v[4:5]
	v_cmp_gt_i32_e32 vcc_lo, 32, v8
	v_min_i32_e32 v9, 31, v8
	v_cmp_eq_u32_e64 s13, 0, v8
	s_delay_alu instid0(VALU_DEP_4) | instskip(NEXT) | instid1(VALU_DEP_3)
	v_cndmask_b32_e32 v5, 0, v5, vcc_lo
	v_dual_cndmask_b32 v4, 3, v4 :: v_dual_lshlrev_b32 v9, 2, v9
	s_delay_alu instid0(VALU_DEP_1) | instskip(NEXT) | instid1(VALU_DEP_2)
	v_and_b32_e32 v9, 0xfc, v9
	v_cmp_eq_u64_e32 vcc_lo, 0, v[4:5]
	s_delay_alu instid0(VALU_DEP_2)
	v_and_or_b32 v4, v4, 3, v9
	s_and_b32 s13, s13, vcc_lo
	s_delay_alu instid0(VALU_DEP_1) | instid1(SALU_CYCLE_1)
	v_cndmask_b32_e64 v4, v4, 0, s13
	s_delay_alu instid0(VALU_DEP_1)
	v_or_b32_e32 v8, v4, v2
.LBB4_2054:                             ;   in Loop: Header=BB4_136 Depth=3
	s_or_b32 exec_lo, exec_lo, s75
                                        ; implicit-def: $vgpr2
.LBB4_2055:                             ;   in Loop: Header=BB4_136 Depth=3
	s_and_not1_saveexec_b32 s13, s74
; %bb.2056:                             ;   in Loop: Header=BB4_136 Depth=3
	v_or_b32_e32 v8, 0x7b, v2
; %bb.2057:                             ;   in Loop: Header=BB4_136 Depth=3
	s_or_b32 exec_lo, exec_lo, s13
                                        ; implicit-def: $vgpr9
                                        ; implicit-def: $vgpr4_vgpr5
                                        ; implicit-def: $vgpr2
.LBB4_2058:                             ;   in Loop: Header=BB4_136 Depth=3
	s_and_not1_saveexec_b32 s13, s73
	s_cbranch_execz .LBB4_135
; %bb.2059:                             ;   in Loop: Header=BB4_136 Depth=3
	s_mov_b32 s73, exec_lo
                                        ; implicit-def: $vgpr8
	v_cmpx_ne_u64_e32 0, v[4:5]
	s_xor_b32 s73, exec_lo, s73
; %bb.2060:                             ;   in Loop: Header=BB4_136 Depth=3
	v_or_b32_e32 v8, 0x7f, v2
                                        ; implicit-def: $vgpr9
; %bb.2061:                             ;   in Loop: Header=BB4_136 Depth=3
	s_and_not1_saveexec_b32 s73, s73
	s_cbranch_execz .LBB4_134
; %bb.2062:                             ;   in Loop: Header=BB4_136 Depth=3
	v_cmp_lt_i32_e32 vcc_lo, -1, v9
	v_cndmask_b32_e32 v8, 0xfc, v49, vcc_lo
	s_branch .LBB4_134
.LBB4_2063:                             ;   in Loop: Header=BB4_57 Depth=2
	s_or_b32 exec_lo, exec_lo, s15
	scratch_load_b32 v4, off, s33 offset:228 ; 4-byte Folded Reload
.LBB4_2064:                             ;   in Loop: Header=BB4_57 Depth=2
	s_wait_xcnt 0x0
	s_or_b32 exec_lo, exec_lo, s14
	s_wait_loadcnt 0x0
	v_dual_mov_b32 v2, 0 :: v_dual_lshlrev_b32 v21, 11, v4
	s_mov_b32 s13, 0
	s_mov_b32 s15, exec_lo
                                        ; implicit-def: $vgpr18
                                        ; implicit-def: $vgpr19
	s_delay_alu instid0(VALU_DEP_1)
	v_cmpx_ne_u32_e64 v13, v21
	s_cbranch_execz .LBB4_2558
; %bb.2065:                             ;   in Loop: Header=BB4_57 Depth=2
	v_dual_lshlrev_b32 v2, 5, v15 :: v_dual_bitop2_b32 v4, 31, v0 bitop3:0x40
	s_mov_b32 s63, exec_lo
	s_delay_alu instid0(VALU_DEP_1) | instskip(NEXT) | instid1(VALU_DEP_1)
	v_dual_sub_nc_u32 v5, v13, v21 :: v_dual_sub_nc_u32 v2, v4, v2
	v_dual_ashrrev_i32 v8, 31, v5 :: v_dual_ashrrev_i32 v4, 31, v2
	s_delay_alu instid0(VALU_DEP_1) | instskip(NEXT) | instid1(VALU_DEP_2)
	v_lshrrev_b32_e32 v8, 23, v8
	v_lshrrev_b32_e32 v4, 27, v4
	s_delay_alu instid0(VALU_DEP_1) | instskip(NEXT) | instid1(VALU_DEP_1)
	v_add_nc_u32_e32 v4, v2, v4
	v_and_b32_e32 v9, 0xffffffe0, v4
	s_delay_alu instid0(VALU_DEP_1) | instskip(NEXT) | instid1(VALU_DEP_1)
	v_sub_nc_u32_e32 v15, v2, v9
	v_dual_lshlrev_b32 v2, 4, v15 :: v_dual_ashrrev_i32 v4, 5, v4
	s_delay_alu instid0(VALU_DEP_1) | instskip(NEXT) | instid1(VALU_DEP_1)
	v_lshl_add_u32 v2, v4, 9, v2
	v_dual_add_nc_u32 v8, v5, v8 :: v_dual_sub_nc_u32 v51, v5, v2
	s_delay_alu instid0(VALU_DEP_1) | instskip(NEXT) | instid1(VALU_DEP_1)
	v_and_b32_e32 v30, 0xfffffe00, v8
	v_dual_ashrrev_i32 v8, 9, v8 :: v_dual_sub_nc_u32 v31, v5, v30
	s_delay_alu instid0(VALU_DEP_1) | instskip(NEXT) | instid1(VALU_DEP_1)
	v_cmp_lt_i32_e64 s13, 15, v31
	v_add_co_ci_u32_e64 v8, null, 0, v8, s13
	s_delay_alu instid0(VALU_DEP_1)
	v_sub_nc_u32_e32 v50, v8, v4
	v_cmpx_lt_i32_e32 15, v51
	s_cbranch_execz .LBB4_2557
; %bb.2066:                             ;   in Loop: Header=BB4_57 Depth=2
	s_trap 2
	ds_load_b64 v[4:5], v0
	v_add_nc_u32_e32 v118, v2, v21
	s_delay_alu instid0(VALU_DEP_1)
	v_ashrrev_i32_e32 v119, 31, v118
	s_wait_dscnt 0x0
	v_readfirstlane_b32 s72, v4
	v_readfirstlane_b32 s73, v5
	s_and_b32 s74, s72, 3
	s_bfe_i32 s14, s72, 0x80000
	s_clz_i32_u32 s77, s74
	s_bfe_u32 s75, s72, 0x50002
	s_min_u32 s77, s77, 32
	s_and_b32 s76, s72, 0x7c
	s_sub_co_i32 s88, s77, 29
	s_lshl_b32 s78, s72, 24
	s_sext_i32_i8 s79, s72
	s_lshl_b64 s[72:73], s[72:73], s88
	s_and_b32 s78, s78, 0x80000000
	s_sub_co_i32 s73, 30, s77
	s_and_b32 s72, s72, 3
	s_cmp_gt_i32 s79, -1
	s_cselect_b32 s77, s47, 0xff800000
	s_cmp_eq_u32 s74, 0
	s_cselect_b32 s77, s77, 0x7f800001
	s_cmp_eq_u32 s75, 0
	s_cselect_b32 s73, s73, s75
	s_cselect_b32 s72, s72, s74
	s_lshl_b32 s73, s73, 23
	s_lshl_b32 s72, s72, 21
	s_add_co_i32 s73, s73, s78
	s_delay_alu instid0(SALU_CYCLE_1) | instskip(NEXT) | instid1(SALU_CYCLE_1)
	s_or_b32 s72, s73, s72
	s_add_co_i32 s73, s72, 0x38000000
	s_cmp_eq_u32 s76, 0x7c
	s_mov_b32 s72, 0
	s_cselect_b32 s73, s77, s73
	s_and_b32 s74, s14, 0xff
	s_branch .LBB4_2069
.LBB4_2067:                             ;   in Loop: Header=BB4_2069 Depth=3
	s_or_b32 exec_lo, exec_lo, s75
.LBB4_2068:                             ;   in Loop: Header=BB4_2069 Depth=3
	s_delay_alu instid0(SALU_CYCLE_1)
	s_or_b32 exec_lo, exec_lo, s14
	v_lshl_or_b32 v2, v19, 8, v18
	v_dual_lshlrev_b32 v9, 16, v100 :: v_dual_lshlrev_b32 v10, 24, v101
	v_lshl_or_b32 v11, v65, 8, v64
	v_dual_lshlrev_b32 v65, 24, v8 :: v_dual_sub_nc_u32 v51, v51, v54
	v_lshl_or_b32 v18, v103, 8, v102
	s_delay_alu instid0(VALU_DEP_4)
	v_or3_b32 v9, v2, v9, v10
	v_dual_lshlrev_b32 v2, 16, v66 :: v_dual_lshlrev_b32 v10, 24, v67
	v_dual_lshlrev_b32 v19, 16, v112 :: v_dual_lshlrev_b32 v64, 24, v113
	v_lshlrev_b32_e32 v66, 16, v40
	v_lshl_or_b32 v16, v17, 8, v16
	v_add_nc_u64_e32 v[4:5], v[116:117], v[118:119]
	v_cmp_gt_i32_e32 vcc_lo, 16, v51
	v_add_nc_u64_e32 v[118:119], v[118:119], v[54:55]
	v_or3_b32 v8, v11, v2, v10
	v_or3_b32 v10, v18, v19, v64
	;; [unrolled: 1-line block ×3, first 2 shown]
	v_sub_nc_u32_e32 v50, v50, v36
	s_or_b32 s72, vcc_lo, s72
	global_store_b128 v[4:5], v[8:11], off th:TH_STORE_NT
	s_wait_xcnt 0x0
	s_and_not1_b32 exec_lo, exec_lo, s72
	s_cbranch_execz .LBB4_2556
.LBB4_2069:                             ;   Parent Loop BB4_47 Depth=1
                                        ;     Parent Loop BB4_57 Depth=2
                                        ; =>    This Inner Loop Header: Depth=3
	s_cmp_lt_i32 s74, 0x80
	s_cbranch_scc1 .LBB4_2073
; %bb.2070:                             ;   in Loop: Header=BB4_2069 Depth=3
	s_and_b32 s14, 0xffff, s74
	s_delay_alu instid0(SALU_CYCLE_1)
	s_cmp_eq_u32 s14, 0x80
	s_mov_b32 s14, -1
	s_cbranch_scc0 .LBB4_2072
; %bb.2071:                             ;   in Loop: Header=BB4_2069 Depth=3
	s_mov_b32 s14, 0
.LBB4_2072:                             ;   in Loop: Header=BB4_2069 Depth=3
	s_brev_b32 s75, 1
	s_branch .LBB4_2075
.LBB4_2073:                             ;   in Loop: Header=BB4_2069 Depth=3
	s_mov_b32 s14, 0
	s_brev_b32 s75, 1
	s_cbranch_execz .LBB4_2075
; %bb.2074:                             ;   in Loop: Header=BB4_2069 Depth=3
	s_and_b32 s14, 0xffff, s74
	s_mov_b32 s75, 0
	s_cmp_lg_u32 s14, 0
	s_cselect_b32 s14, -1, 0
.LBB4_2075:                             ;   in Loop: Header=BB4_2069 Depth=3
	s_delay_alu instid0(SALU_CYCLE_1)
	s_and_not1_b32 vcc_lo, exec_lo, s14
	s_cbranch_vccnz .LBB4_2077
; %bb.2076:                             ;   in Loop: Header=BB4_2069 Depth=3
	s_mov_b32 s75, s73
.LBB4_2077:                             ;   in Loop: Header=BB4_2069 Depth=3
	v_add_nc_u64_e32 v[4:5], v[114:115], v[118:119]
	global_load_b128 v[8:11], v[4:5], off th:TH_LOAD_NT
	s_wait_loadcnt 0x0
	v_and_b32_e32 v2, 0xff, v8
	s_delay_alu instid0(VALU_DEP_1)
	v_cmp_ne_u16_e32 vcc_lo, 0, v2
	v_mov_b32_e32 v2, 0
	s_wait_xcnt 0x0
	s_and_saveexec_b32 s14, vcc_lo
	s_cbranch_execz .LBB4_2087
; %bb.2078:                             ;   in Loop: Header=BB4_2069 Depth=3
	v_bfe_i32 v5, v8, 0, 8
	v_bfrev_b32_e32 v2, 1
	s_mov_b32 s76, exec_lo
	s_delay_alu instid0(VALU_DEP_2)
	v_cmpx_ne_u16_e32 0xff80, v5
	s_cbranch_execz .LBB4_2086
; %bb.2079:                             ;   in Loop: Header=BB4_2069 Depth=3
	v_and_b32_e32 v2, 0x7c, v8
	v_and_b32_e32 v4, 3, v8
	s_delay_alu instid0(VALU_DEP_2) | instskip(SKIP_1) | instid1(SALU_CYCLE_1)
	v_cmp_ne_u32_e32 vcc_lo, 0x7c, v2
                                        ; implicit-def: $vgpr2
	s_and_saveexec_b32 s77, vcc_lo
	s_xor_b32 s77, exec_lo, s77
	s_cbranch_execz .LBB4_2083
; %bb.2080:                             ;   in Loop: Header=BB4_2069 Depth=3
	v_bfe_u32 v2, v8, 2, 5
	s_mov_b32 s78, exec_lo
	s_delay_alu instid0(VALU_DEP_1)
	v_cmpx_eq_u32_e32 0, v2
; %bb.2081:                             ;   in Loop: Header=BB4_2069 Depth=3
	v_clz_i32_u32_e32 v2, v4
	s_delay_alu instid0(VALU_DEP_1) | instskip(NEXT) | instid1(VALU_DEP_1)
	v_min_u32_e32 v2, 32, v2
	v_subrev_nc_u32_e32 v4, 29, v2
	s_delay_alu instid0(VALU_DEP_1) | instskip(NEXT) | instid1(VALU_DEP_1)
	v_lshlrev_b64_e32 v[4:5], v4, v[8:9]
	v_dual_sub_nc_u32 v2, 30, v2 :: v_dual_bitop2_b32 v4, 3, v4 bitop3:0x40
; %bb.2082:                             ;   in Loop: Header=BB4_2069 Depth=3
	s_or_b32 exec_lo, exec_lo, s78
	v_lshlrev_b32_e32 v5, 24, v8
	s_delay_alu instid0(VALU_DEP_1) | instskip(NEXT) | instid1(VALU_DEP_1)
	v_and_b32_e32 v5, 0x80000000, v5
	v_lshl_add_u32 v2, v2, 23, v5
                                        ; implicit-def: $vgpr5
	s_delay_alu instid0(VALU_DEP_1) | instskip(NEXT) | instid1(VALU_DEP_1)
	v_lshl_or_b32 v2, v4, 21, v2
                                        ; implicit-def: $vgpr4
	v_add_nc_u32_e32 v2, 0x38000000, v2
.LBB4_2083:                             ;   in Loop: Header=BB4_2069 Depth=3
	s_and_not1_saveexec_b32 s77, s77
; %bb.2084:                             ;   in Loop: Header=BB4_2069 Depth=3
	v_cmp_lt_i16_e32 vcc_lo, -1, v5
	v_cndmask_b32_e32 v2, 0xff800000, v48, vcc_lo
	v_cmp_eq_u32_e32 vcc_lo, 0, v4
	s_delay_alu instid0(VALU_DEP_2)
	v_cndmask_b32_e32 v2, 0x7f800001, v2, vcc_lo
; %bb.2085:                             ;   in Loop: Header=BB4_2069 Depth=3
	s_or_b32 exec_lo, exec_lo, s77
.LBB4_2086:                             ;   in Loop: Header=BB4_2069 Depth=3
	s_delay_alu instid0(SALU_CYCLE_1)
	s_or_b32 exec_lo, exec_lo, s76
.LBB4_2087:                             ;   in Loop: Header=BB4_2069 Depth=3
	s_delay_alu instid0(SALU_CYCLE_1) | instskip(NEXT) | instid1(VALU_DEP_1)
	s_or_b32 exec_lo, exec_lo, s14
	v_dual_mul_f32 v16, s75, v2 :: v_dual_mov_b32 v19, v3
	v_mov_b32_e32 v5, v3
                                        ; implicit-def: $vgpr64
	s_mov_b32 s14, exec_lo
	s_delay_alu instid0(VALU_DEP_2) | instskip(SKIP_2) | instid1(VALU_DEP_3)
	v_and_b32_e32 v18, 0x7f800000, v16
	v_and_b32_e32 v4, 0x7fffff, v16
	v_lshrrev_b32_e32 v2, 24, v16
	v_cmpx_ne_u64_e32 0x7f800000, v[18:19]
	s_xor_b32 s76, exec_lo, s14
	s_cbranch_execz .LBB4_2101
; %bb.2088:                             ;   in Loop: Header=BB4_2069 Depth=3
	v_and_b32_e32 v18, 0x7fffffff, v16
	v_mov_b32_e32 v19, v3
	v_and_b32_e32 v2, 0x80, v2
                                        ; implicit-def: $vgpr64
	s_mov_b32 s14, exec_lo
	s_delay_alu instid0(VALU_DEP_2)
	v_cmpx_gt_u64_e32 0x47600001, v[18:19]
	s_xor_b32 s77, exec_lo, s14
	s_cbranch_execz .LBB4_2098
; %bb.2089:                             ;   in Loop: Header=BB4_2069 Depth=3
	v_mov_b32_e32 v64, 0
	s_mov_b32 s78, exec_lo
	v_cmpx_ne_u32_e32 0, v16
	s_cbranch_execz .LBB4_2097
; %bb.2090:                             ;   in Loop: Header=BB4_2069 Depth=3
	v_bfe_u32 v18, v16, 23, 8
	v_or_b32_e32 v64, 0x800000, v4
	s_delay_alu instid0(VALU_DEP_2) | instskip(SKIP_1) | instid1(VALU_DEP_2)
	v_sub_nc_u32_e32 v16, 0x71, v18
	v_cmp_gt_u32_e32 vcc_lo, 0x72, v18
	v_cndmask_b32_e32 v16, 0, v16, vcc_lo
	v_cmp_eq_u32_e32 vcc_lo, 0, v18
	s_delay_alu instid0(VALU_DEP_2) | instskip(NEXT) | instid1(VALU_DEP_1)
	v_cndmask_b32_e64 v19, v16, 0x70, vcc_lo
	v_dual_cndmask_b32 v4, v64, v4, vcc_lo :: v_dual_add_nc_u32 v16, 21, v19
	v_add_nc_u32_e32 v65, 20, v19
	s_delay_alu instid0(VALU_DEP_2) | instskip(NEXT) | instid1(VALU_DEP_2)
	v_lshlrev_b64_e64 v[16:17], v16, -1
	v_lshlrev_b64_e64 v[64:65], v65, 1
	s_delay_alu instid0(VALU_DEP_2) | instskip(SKIP_1) | instid1(VALU_DEP_4)
	v_bfi_b32 v16, v16, 0, v4
	v_lshrrev_b64 v[4:5], v19, v[4:5]
	v_bfi_b32 v17, v17, 0, 0
	s_delay_alu instid0(VALU_DEP_1) | instskip(NEXT) | instid1(VALU_DEP_3)
	v_cmp_eq_u64_e64 s14, v[16:17], v[64:65]
	v_mov_b64_e32 v[16:17], v[4:5]
	s_and_saveexec_b32 s79, s14
; %bb.2091:                             ;   in Loop: Header=BB4_2069 Depth=3
	v_bfe_u32 v16, v4, 21, 1
	v_mov_b32_e32 v17, v3
	s_delay_alu instid0(VALU_DEP_1) | instskip(NEXT) | instid1(VALU_DEP_1)
	v_add_nc_u64_e32 v[16:17], v[4:5], v[16:17]
	v_add_nc_u64_e32 v[16:17], -1, v[16:17]
; %bb.2092:                             ;   in Loop: Header=BB4_2069 Depth=3
	s_or_b32 exec_lo, exec_lo, s79
	v_add_nc_u32_e32 v5, 0xffffff81, v18
	v_lshrrev_b32_e32 v17, 23, v4
	s_mov_b32 s14, exec_lo
	s_delay_alu instid0(VALU_DEP_2) | instskip(NEXT) | instid1(VALU_DEP_1)
	v_cndmask_b32_e64 v5, v5, 0xffffff82, vcc_lo
	v_add3_u32 v17, v19, v5, v17
	v_and_b32_e32 v5, 0x1fffff, v16
                                        ; implicit-def: $vgpr16
	s_delay_alu instid0(VALU_DEP_1) | instskip(SKIP_1) | instid1(VALU_DEP_2)
	v_dual_add_nc_u32 v18, 14, v17 :: v_dual_add_nc_u32 v4, v5, v4
	v_mov_b32_e32 v5, v3
	v_cmpx_ne_u32_e32 0, v18
	s_xor_b32 s14, exec_lo, s14
; %bb.2093:                             ;   in Loop: Header=BB4_2069 Depth=3
	s_delay_alu instid0(VALU_DEP_2) | instskip(SKIP_2) | instid1(VALU_DEP_2)
	v_cmp_lt_u64_e32 vcc_lo, 0xffffff, v[4:5]
	v_add_nc_u32_e32 v16, 15, v17
	v_cndmask_b32_e64 v17, 0, 1, vcc_lo
	v_cndmask_b32_e32 v16, v18, v16, vcc_lo
	s_delay_alu instid0(VALU_DEP_2)
	v_lshrrev_b64 v[4:5], v17, v[4:5]
; %bb.2094:                             ;   in Loop: Header=BB4_2069 Depth=3
	s_and_not1_saveexec_b32 s14, s14
; %bb.2095:                             ;   in Loop: Header=BB4_2069 Depth=3
	s_delay_alu instid0(VALU_DEP_1)
	v_bfe_u32 v16, v4, 23, 1
; %bb.2096:                             ;   in Loop: Header=BB4_2069 Depth=3
	s_or_b32 exec_lo, exec_lo, s14
	s_delay_alu instid0(VALU_DEP_2) | instskip(NEXT) | instid1(VALU_DEP_2)
	v_lshrrev_b64 v[4:5], 21, v[4:5]
	v_cmp_gt_i32_e32 vcc_lo, 32, v16
	v_min_i32_e32 v17, 31, v16
	v_cmp_eq_u32_e64 s14, 0, v16
	s_delay_alu instid0(VALU_DEP_4) | instskip(NEXT) | instid1(VALU_DEP_3)
	v_cndmask_b32_e32 v5, 0, v5, vcc_lo
	v_dual_cndmask_b32 v4, 3, v4 :: v_dual_lshlrev_b32 v17, 2, v17
	s_delay_alu instid0(VALU_DEP_1) | instskip(NEXT) | instid1(VALU_DEP_2)
	v_and_b32_e32 v17, 0xfc, v17
	v_cmp_eq_u64_e32 vcc_lo, 0, v[4:5]
	s_delay_alu instid0(VALU_DEP_2)
	v_and_or_b32 v4, v4, 3, v17
	s_and_b32 s14, s14, vcc_lo
	s_delay_alu instid0(VALU_DEP_1) | instid1(SALU_CYCLE_1)
	v_cndmask_b32_e64 v4, v4, 0, s14
	s_delay_alu instid0(VALU_DEP_1)
	v_or_b32_e32 v64, v4, v2
.LBB4_2097:                             ;   in Loop: Header=BB4_2069 Depth=3
	s_or_b32 exec_lo, exec_lo, s78
                                        ; implicit-def: $vgpr2
.LBB4_2098:                             ;   in Loop: Header=BB4_2069 Depth=3
	s_and_not1_saveexec_b32 s14, s77
; %bb.2099:                             ;   in Loop: Header=BB4_2069 Depth=3
	v_or_b32_e32 v64, 0x7b, v2
; %bb.2100:                             ;   in Loop: Header=BB4_2069 Depth=3
	s_or_b32 exec_lo, exec_lo, s14
                                        ; implicit-def: $vgpr16
                                        ; implicit-def: $vgpr4_vgpr5
                                        ; implicit-def: $vgpr2
.LBB4_2101:                             ;   in Loop: Header=BB4_2069 Depth=3
	s_and_not1_saveexec_b32 s14, s76
	s_cbranch_execz .LBB4_2107
; %bb.2102:                             ;   in Loop: Header=BB4_2069 Depth=3
	s_mov_b32 s76, exec_lo
                                        ; implicit-def: $vgpr64
	v_cmpx_ne_u64_e32 0, v[4:5]
	s_xor_b32 s76, exec_lo, s76
; %bb.2103:                             ;   in Loop: Header=BB4_2069 Depth=3
	v_or_b32_e32 v64, 0x7f, v2
                                        ; implicit-def: $vgpr16
; %bb.2104:                             ;   in Loop: Header=BB4_2069 Depth=3
	s_and_not1_saveexec_b32 s76, s76
; %bb.2105:                             ;   in Loop: Header=BB4_2069 Depth=3
	v_cmp_lt_i32_e32 vcc_lo, -1, v16
	v_cndmask_b32_e32 v64, 0xfc, v49, vcc_lo
; %bb.2106:                             ;   in Loop: Header=BB4_2069 Depth=3
	s_or_b32 exec_lo, exec_lo, s76
.LBB4_2107:                             ;   in Loop: Header=BB4_2069 Depth=3
	s_delay_alu instid0(SALU_CYCLE_1) | instskip(SKIP_3) | instid1(VALU_DEP_2)
	s_or_b32 exec_lo, exec_lo, s14
	v_lshrrev_b16 v4, 8, v8
	v_mov_b32_e32 v5, 0
	s_mov_b32 s14, exec_lo
	v_cmpx_ne_u16_e32 0, v4
	s_cbranch_execz .LBB4_2117
; %bb.2108:                             ;   in Loop: Header=BB4_2069 Depth=3
	v_bfrev_b32_e32 v5, 1
	s_mov_b32 s76, exec_lo
	v_cmpx_ne_u16_e32 0x80, v4
	s_cbranch_execz .LBB4_2116
; %bb.2109:                             ;   in Loop: Header=BB4_2069 Depth=3
	v_and_b32_e32 v16, 0xffff, v4
	s_delay_alu instid0(VALU_DEP_1) | instskip(SKIP_1) | instid1(VALU_DEP_2)
	v_and_b32_e32 v5, 0x7c, v16
	v_and_b32_e32 v2, 3, v16
	v_cmp_ne_u32_e32 vcc_lo, 0x7c, v5
                                        ; implicit-def: $vgpr5
	s_and_saveexec_b32 s77, vcc_lo
	s_delay_alu instid0(SALU_CYCLE_1)
	s_xor_b32 s77, exec_lo, s77
	s_cbranch_execz .LBB4_2113
; %bb.2110:                             ;   in Loop: Header=BB4_2069 Depth=3
	v_bfe_u32 v5, v16, 2, 5
	s_mov_b32 s78, exec_lo
	s_delay_alu instid0(VALU_DEP_1)
	v_cmpx_eq_u32_e32 0, v5
; %bb.2111:                             ;   in Loop: Header=BB4_2069 Depth=3
	v_clz_i32_u32_e32 v2, v2
	v_mov_b32_e32 v5, v3
	s_delay_alu instid0(VALU_DEP_2) | instskip(NEXT) | instid1(VALU_DEP_1)
	v_min_u32_e32 v2, 32, v2
	v_subrev_nc_u32_e32 v16, 29, v2
	s_delay_alu instid0(VALU_DEP_1) | instskip(NEXT) | instid1(VALU_DEP_1)
	v_lshlrev_b64_e32 v[4:5], v16, v[4:5]
	v_dual_sub_nc_u32 v5, 30, v2 :: v_dual_bitop2_b32 v2, 3, v4 bitop3:0x40
; %bb.2112:                             ;   in Loop: Header=BB4_2069 Depth=3
	s_or_b32 exec_lo, exec_lo, s78
	v_lshlrev_b32_e32 v4, 16, v8
	s_delay_alu instid0(VALU_DEP_1) | instskip(NEXT) | instid1(VALU_DEP_1)
	v_and_b32_e32 v4, 0x80000000, v4
	v_lshl_add_u32 v4, v5, 23, v4
	s_delay_alu instid0(VALU_DEP_1) | instskip(NEXT) | instid1(VALU_DEP_1)
	v_lshl_or_b32 v2, v2, 21, v4
	v_add_nc_u32_e32 v5, 0x38000000, v2
                                        ; implicit-def: $vgpr2
.LBB4_2113:                             ;   in Loop: Header=BB4_2069 Depth=3
	s_and_not1_saveexec_b32 s77, s77
; %bb.2114:                             ;   in Loop: Header=BB4_2069 Depth=3
	v_cmp_lt_i16_e32 vcc_lo, -1, v8
	v_cndmask_b32_e32 v4, 0xff800000, v48, vcc_lo
	v_cmp_eq_u32_e32 vcc_lo, 0, v2
	s_delay_alu instid0(VALU_DEP_2)
	v_cndmask_b32_e32 v5, 0x7f800001, v4, vcc_lo
; %bb.2115:                             ;   in Loop: Header=BB4_2069 Depth=3
	s_or_b32 exec_lo, exec_lo, s77
.LBB4_2116:                             ;   in Loop: Header=BB4_2069 Depth=3
	s_delay_alu instid0(SALU_CYCLE_1)
	s_or_b32 exec_lo, exec_lo, s76
.LBB4_2117:                             ;   in Loop: Header=BB4_2069 Depth=3
	s_delay_alu instid0(SALU_CYCLE_1) | instskip(NEXT) | instid1(VALU_DEP_1)
	s_or_b32 exec_lo, exec_lo, s14
	v_dual_mul_f32 v16, s75, v5 :: v_dual_mov_b32 v19, v3
	v_mov_b32_e32 v5, v3
                                        ; implicit-def: $vgpr65
	s_mov_b32 s14, exec_lo
	s_delay_alu instid0(VALU_DEP_2) | instskip(SKIP_2) | instid1(VALU_DEP_3)
	v_and_b32_e32 v18, 0x7f800000, v16
	v_and_b32_e32 v4, 0x7fffff, v16
	v_lshrrev_b32_e32 v2, 24, v16
	v_cmpx_ne_u64_e32 0x7f800000, v[18:19]
	s_xor_b32 s76, exec_lo, s14
	s_cbranch_execz .LBB4_2131
; %bb.2118:                             ;   in Loop: Header=BB4_2069 Depth=3
	v_and_b32_e32 v18, 0x7fffffff, v16
	v_mov_b32_e32 v19, v3
	v_and_b32_e32 v2, 0x80, v2
                                        ; implicit-def: $vgpr65
	s_mov_b32 s14, exec_lo
	s_delay_alu instid0(VALU_DEP_2)
	v_cmpx_gt_u64_e32 0x47600001, v[18:19]
	s_xor_b32 s77, exec_lo, s14
	s_cbranch_execz .LBB4_2128
; %bb.2119:                             ;   in Loop: Header=BB4_2069 Depth=3
	v_mov_b32_e32 v65, 0
	s_mov_b32 s78, exec_lo
	v_cmpx_ne_u32_e32 0, v16
	s_cbranch_execz .LBB4_2127
; %bb.2120:                             ;   in Loop: Header=BB4_2069 Depth=3
	v_bfe_u32 v18, v16, 23, 8
	v_or_b32_e32 v65, 0x800000, v4
	s_delay_alu instid0(VALU_DEP_2) | instskip(SKIP_1) | instid1(VALU_DEP_2)
	v_sub_nc_u32_e32 v16, 0x71, v18
	v_cmp_gt_u32_e32 vcc_lo, 0x72, v18
	v_cndmask_b32_e32 v16, 0, v16, vcc_lo
	v_cmp_eq_u32_e32 vcc_lo, 0, v18
	s_delay_alu instid0(VALU_DEP_2) | instskip(NEXT) | instid1(VALU_DEP_1)
	v_cndmask_b32_e64 v19, v16, 0x70, vcc_lo
	v_dual_cndmask_b32 v4, v65, v4, vcc_lo :: v_dual_add_nc_u32 v16, 21, v19
	v_add_nc_u32_e32 v66, 20, v19
	s_delay_alu instid0(VALU_DEP_2) | instskip(NEXT) | instid1(VALU_DEP_2)
	v_lshlrev_b64_e64 v[16:17], v16, -1
	v_lshlrev_b64_e64 v[66:67], v66, 1
	s_delay_alu instid0(VALU_DEP_2) | instskip(SKIP_1) | instid1(VALU_DEP_4)
	v_bfi_b32 v16, v16, 0, v4
	v_lshrrev_b64 v[4:5], v19, v[4:5]
	v_bfi_b32 v17, v17, 0, 0
	s_delay_alu instid0(VALU_DEP_1) | instskip(NEXT) | instid1(VALU_DEP_3)
	v_cmp_eq_u64_e64 s14, v[16:17], v[66:67]
	v_mov_b64_e32 v[16:17], v[4:5]
	s_and_saveexec_b32 s79, s14
; %bb.2121:                             ;   in Loop: Header=BB4_2069 Depth=3
	v_bfe_u32 v16, v4, 21, 1
	v_mov_b32_e32 v17, v3
	s_delay_alu instid0(VALU_DEP_1) | instskip(NEXT) | instid1(VALU_DEP_1)
	v_add_nc_u64_e32 v[16:17], v[4:5], v[16:17]
	v_add_nc_u64_e32 v[16:17], -1, v[16:17]
; %bb.2122:                             ;   in Loop: Header=BB4_2069 Depth=3
	s_or_b32 exec_lo, exec_lo, s79
	v_add_nc_u32_e32 v5, 0xffffff81, v18
	v_lshrrev_b32_e32 v17, 23, v4
	s_mov_b32 s14, exec_lo
	s_delay_alu instid0(VALU_DEP_2) | instskip(NEXT) | instid1(VALU_DEP_1)
	v_cndmask_b32_e64 v5, v5, 0xffffff82, vcc_lo
	v_add3_u32 v17, v19, v5, v17
	v_and_b32_e32 v5, 0x1fffff, v16
                                        ; implicit-def: $vgpr16
	s_delay_alu instid0(VALU_DEP_1) | instskip(SKIP_1) | instid1(VALU_DEP_2)
	v_dual_add_nc_u32 v18, 14, v17 :: v_dual_add_nc_u32 v4, v5, v4
	v_mov_b32_e32 v5, v3
	v_cmpx_ne_u32_e32 0, v18
	s_xor_b32 s14, exec_lo, s14
; %bb.2123:                             ;   in Loop: Header=BB4_2069 Depth=3
	s_delay_alu instid0(VALU_DEP_2) | instskip(SKIP_2) | instid1(VALU_DEP_2)
	v_cmp_lt_u64_e32 vcc_lo, 0xffffff, v[4:5]
	v_add_nc_u32_e32 v16, 15, v17
	v_cndmask_b32_e64 v17, 0, 1, vcc_lo
	v_cndmask_b32_e32 v16, v18, v16, vcc_lo
	s_delay_alu instid0(VALU_DEP_2)
	v_lshrrev_b64 v[4:5], v17, v[4:5]
; %bb.2124:                             ;   in Loop: Header=BB4_2069 Depth=3
	s_and_not1_saveexec_b32 s14, s14
; %bb.2125:                             ;   in Loop: Header=BB4_2069 Depth=3
	s_delay_alu instid0(VALU_DEP_1)
	v_bfe_u32 v16, v4, 23, 1
; %bb.2126:                             ;   in Loop: Header=BB4_2069 Depth=3
	s_or_b32 exec_lo, exec_lo, s14
	s_delay_alu instid0(VALU_DEP_2) | instskip(NEXT) | instid1(VALU_DEP_2)
	v_lshrrev_b64 v[4:5], 21, v[4:5]
	v_cmp_gt_i32_e32 vcc_lo, 32, v16
	v_min_i32_e32 v17, 31, v16
	v_cmp_eq_u32_e64 s14, 0, v16
	s_delay_alu instid0(VALU_DEP_4) | instskip(NEXT) | instid1(VALU_DEP_3)
	v_cndmask_b32_e32 v5, 0, v5, vcc_lo
	v_dual_cndmask_b32 v4, 3, v4 :: v_dual_lshlrev_b32 v17, 2, v17
	s_delay_alu instid0(VALU_DEP_1) | instskip(NEXT) | instid1(VALU_DEP_2)
	v_and_b32_e32 v17, 0xfc, v17
	v_cmp_eq_u64_e32 vcc_lo, 0, v[4:5]
	s_delay_alu instid0(VALU_DEP_2)
	v_and_or_b32 v4, v4, 3, v17
	s_and_b32 s14, s14, vcc_lo
	s_delay_alu instid0(VALU_DEP_1) | instid1(SALU_CYCLE_1)
	v_cndmask_b32_e64 v4, v4, 0, s14
	s_delay_alu instid0(VALU_DEP_1)
	v_or_b32_e32 v65, v4, v2
.LBB4_2127:                             ;   in Loop: Header=BB4_2069 Depth=3
	s_or_b32 exec_lo, exec_lo, s78
                                        ; implicit-def: $vgpr2
.LBB4_2128:                             ;   in Loop: Header=BB4_2069 Depth=3
	s_and_not1_saveexec_b32 s14, s77
; %bb.2129:                             ;   in Loop: Header=BB4_2069 Depth=3
	v_or_b32_e32 v65, 0x7b, v2
; %bb.2130:                             ;   in Loop: Header=BB4_2069 Depth=3
	s_or_b32 exec_lo, exec_lo, s14
                                        ; implicit-def: $vgpr16
                                        ; implicit-def: $vgpr4_vgpr5
                                        ; implicit-def: $vgpr2
.LBB4_2131:                             ;   in Loop: Header=BB4_2069 Depth=3
	s_and_not1_saveexec_b32 s14, s76
	s_cbranch_execz .LBB4_2137
; %bb.2132:                             ;   in Loop: Header=BB4_2069 Depth=3
	s_mov_b32 s76, exec_lo
                                        ; implicit-def: $vgpr65
	v_cmpx_ne_u64_e32 0, v[4:5]
	s_xor_b32 s76, exec_lo, s76
; %bb.2133:                             ;   in Loop: Header=BB4_2069 Depth=3
	v_or_b32_e32 v65, 0x7f, v2
                                        ; implicit-def: $vgpr16
; %bb.2134:                             ;   in Loop: Header=BB4_2069 Depth=3
	s_and_not1_saveexec_b32 s76, s76
; %bb.2135:                             ;   in Loop: Header=BB4_2069 Depth=3
	v_cmp_lt_i32_e32 vcc_lo, -1, v16
	v_cndmask_b32_e32 v65, 0xfc, v49, vcc_lo
; %bb.2136:                             ;   in Loop: Header=BB4_2069 Depth=3
	s_or_b32 exec_lo, exec_lo, s76
.LBB4_2137:                             ;   in Loop: Header=BB4_2069 Depth=3
	s_delay_alu instid0(SALU_CYCLE_1) | instskip(SKIP_2) | instid1(VALU_DEP_1)
	s_or_b32 exec_lo, exec_lo, s14
	v_dual_lshrrev_b32 v2, 16, v8 :: v_dual_mov_b32 v4, 0
	s_mov_b32 s14, exec_lo
	v_and_b32_e32 v5, 0xff, v2
	s_delay_alu instid0(VALU_DEP_1)
	v_cmpx_ne_u16_e32 0, v5
	s_cbranch_execz .LBB4_2147
; %bb.2138:                             ;   in Loop: Header=BB4_2069 Depth=3
	v_bfrev_b32_e32 v4, 1
	s_mov_b32 s76, exec_lo
	v_cmpx_ne_u16_e32 0x80, v5
	s_cbranch_execz .LBB4_2146
; %bb.2139:                             ;   in Loop: Header=BB4_2069 Depth=3
	v_and_b32_e32 v4, 0x7c0000, v8
	v_bfe_u32 v5, v8, 16, 2
	s_delay_alu instid0(VALU_DEP_2) | instskip(SKIP_1) | instid1(SALU_CYCLE_1)
	v_cmp_ne_u32_e32 vcc_lo, 0x7c0000, v4
                                        ; implicit-def: $vgpr4
	s_and_saveexec_b32 s77, vcc_lo
	s_xor_b32 s77, exec_lo, s77
	s_cbranch_execz .LBB4_2143
; %bb.2140:                             ;   in Loop: Header=BB4_2069 Depth=3
	v_bfe_u32 v4, v8, 18, 5
	s_mov_b32 s78, exec_lo
	s_delay_alu instid0(VALU_DEP_1)
	v_cmpx_eq_u32_e32 0, v4
; %bb.2141:                             ;   in Loop: Header=BB4_2069 Depth=3
	v_clz_i32_u32_e32 v4, v5
	s_delay_alu instid0(VALU_DEP_1) | instskip(NEXT) | instid1(VALU_DEP_1)
	v_min_u32_e32 v4, 32, v4
	v_subrev_nc_u32_e32 v5, 29, v4
	v_sub_nc_u32_e32 v4, 30, v4
	s_delay_alu instid0(VALU_DEP_2) | instskip(NEXT) | instid1(VALU_DEP_1)
	v_lshlrev_b64_e32 v[16:17], v5, v[2:3]
	v_and_b32_e32 v5, 3, v16
; %bb.2142:                             ;   in Loop: Header=BB4_2069 Depth=3
	s_or_b32 exec_lo, exec_lo, s78
	v_lshlrev_b32_e32 v2, 24, v2
	s_delay_alu instid0(VALU_DEP_1) | instskip(NEXT) | instid1(VALU_DEP_1)
	v_and_b32_e32 v2, 0x80000000, v2
	v_lshl_add_u32 v2, v4, 23, v2
	s_delay_alu instid0(VALU_DEP_1) | instskip(NEXT) | instid1(VALU_DEP_1)
	v_lshl_or_b32 v2, v5, 21, v2
                                        ; implicit-def: $vgpr5
	v_add_nc_u32_e32 v4, 0x38000000, v2
                                        ; implicit-def: $vgpr2
.LBB4_2143:                             ;   in Loop: Header=BB4_2069 Depth=3
	s_and_not1_saveexec_b32 s77, s77
; %bb.2144:                             ;   in Loop: Header=BB4_2069 Depth=3
	v_bfe_i32 v2, v2, 0, 8
	s_delay_alu instid0(VALU_DEP_1) | instskip(SKIP_2) | instid1(VALU_DEP_2)
	v_cmp_lt_i16_e32 vcc_lo, -1, v2
	v_cndmask_b32_e32 v2, 0xff800000, v48, vcc_lo
	v_cmp_eq_u32_e32 vcc_lo, 0, v5
	v_cndmask_b32_e32 v4, 0x7f800001, v2, vcc_lo
; %bb.2145:                             ;   in Loop: Header=BB4_2069 Depth=3
	s_or_b32 exec_lo, exec_lo, s77
.LBB4_2146:                             ;   in Loop: Header=BB4_2069 Depth=3
	s_delay_alu instid0(SALU_CYCLE_1)
	s_or_b32 exec_lo, exec_lo, s76
.LBB4_2147:                             ;   in Loop: Header=BB4_2069 Depth=3
	s_delay_alu instid0(SALU_CYCLE_1) | instskip(NEXT) | instid1(VALU_DEP_1)
	s_or_b32 exec_lo, exec_lo, s14
	v_dual_mul_f32 v16, s75, v4 :: v_dual_mov_b32 v19, v3
	v_mov_b32_e32 v5, v3
                                        ; implicit-def: $vgpr66
	s_mov_b32 s14, exec_lo
	s_delay_alu instid0(VALU_DEP_2) | instskip(SKIP_2) | instid1(VALU_DEP_3)
	v_and_b32_e32 v18, 0x7f800000, v16
	v_and_b32_e32 v4, 0x7fffff, v16
	v_lshrrev_b32_e32 v2, 24, v16
	v_cmpx_ne_u64_e32 0x7f800000, v[18:19]
	s_xor_b32 s76, exec_lo, s14
	s_cbranch_execz .LBB4_2161
; %bb.2148:                             ;   in Loop: Header=BB4_2069 Depth=3
	v_and_b32_e32 v18, 0x7fffffff, v16
	v_mov_b32_e32 v19, v3
	v_and_b32_e32 v2, 0x80, v2
                                        ; implicit-def: $vgpr66
	s_mov_b32 s14, exec_lo
	s_delay_alu instid0(VALU_DEP_2)
	v_cmpx_gt_u64_e32 0x47600001, v[18:19]
	s_xor_b32 s77, exec_lo, s14
	s_cbranch_execz .LBB4_2158
; %bb.2149:                             ;   in Loop: Header=BB4_2069 Depth=3
	v_mov_b32_e32 v66, 0
	s_mov_b32 s78, exec_lo
	v_cmpx_ne_u32_e32 0, v16
	s_cbranch_execz .LBB4_2157
; %bb.2150:                             ;   in Loop: Header=BB4_2069 Depth=3
	v_bfe_u32 v18, v16, 23, 8
	v_or_b32_e32 v66, 0x800000, v4
	s_delay_alu instid0(VALU_DEP_2) | instskip(SKIP_1) | instid1(VALU_DEP_2)
	v_sub_nc_u32_e32 v16, 0x71, v18
	v_cmp_gt_u32_e32 vcc_lo, 0x72, v18
	v_cndmask_b32_e32 v16, 0, v16, vcc_lo
	v_cmp_eq_u32_e32 vcc_lo, 0, v18
	s_delay_alu instid0(VALU_DEP_2) | instskip(NEXT) | instid1(VALU_DEP_1)
	v_cndmask_b32_e64 v19, v16, 0x70, vcc_lo
	v_dual_cndmask_b32 v4, v66, v4, vcc_lo :: v_dual_add_nc_u32 v16, 21, v19
	v_add_nc_u32_e32 v67, 20, v19
	s_delay_alu instid0(VALU_DEP_2) | instskip(NEXT) | instid1(VALU_DEP_2)
	v_lshlrev_b64_e64 v[16:17], v16, -1
	v_lshlrev_b64_e64 v[66:67], v67, 1
	s_delay_alu instid0(VALU_DEP_2) | instskip(SKIP_1) | instid1(VALU_DEP_4)
	v_bfi_b32 v16, v16, 0, v4
	v_lshrrev_b64 v[4:5], v19, v[4:5]
	v_bfi_b32 v17, v17, 0, 0
	s_delay_alu instid0(VALU_DEP_1) | instskip(NEXT) | instid1(VALU_DEP_3)
	v_cmp_eq_u64_e64 s14, v[16:17], v[66:67]
	v_mov_b64_e32 v[16:17], v[4:5]
	s_and_saveexec_b32 s79, s14
; %bb.2151:                             ;   in Loop: Header=BB4_2069 Depth=3
	v_bfe_u32 v16, v4, 21, 1
	v_mov_b32_e32 v17, v3
	s_delay_alu instid0(VALU_DEP_1) | instskip(NEXT) | instid1(VALU_DEP_1)
	v_add_nc_u64_e32 v[16:17], v[4:5], v[16:17]
	v_add_nc_u64_e32 v[16:17], -1, v[16:17]
; %bb.2152:                             ;   in Loop: Header=BB4_2069 Depth=3
	s_or_b32 exec_lo, exec_lo, s79
	v_add_nc_u32_e32 v5, 0xffffff81, v18
	v_lshrrev_b32_e32 v17, 23, v4
	s_mov_b32 s14, exec_lo
	s_delay_alu instid0(VALU_DEP_2) | instskip(NEXT) | instid1(VALU_DEP_1)
	v_cndmask_b32_e64 v5, v5, 0xffffff82, vcc_lo
	v_add3_u32 v17, v19, v5, v17
	v_and_b32_e32 v5, 0x1fffff, v16
                                        ; implicit-def: $vgpr16
	s_delay_alu instid0(VALU_DEP_1) | instskip(SKIP_1) | instid1(VALU_DEP_2)
	v_dual_add_nc_u32 v18, 14, v17 :: v_dual_add_nc_u32 v4, v5, v4
	v_mov_b32_e32 v5, v3
	v_cmpx_ne_u32_e32 0, v18
	s_xor_b32 s14, exec_lo, s14
; %bb.2153:                             ;   in Loop: Header=BB4_2069 Depth=3
	s_delay_alu instid0(VALU_DEP_2) | instskip(SKIP_2) | instid1(VALU_DEP_2)
	v_cmp_lt_u64_e32 vcc_lo, 0xffffff, v[4:5]
	v_add_nc_u32_e32 v16, 15, v17
	v_cndmask_b32_e64 v17, 0, 1, vcc_lo
	v_cndmask_b32_e32 v16, v18, v16, vcc_lo
	s_delay_alu instid0(VALU_DEP_2)
	v_lshrrev_b64 v[4:5], v17, v[4:5]
; %bb.2154:                             ;   in Loop: Header=BB4_2069 Depth=3
	s_and_not1_saveexec_b32 s14, s14
; %bb.2155:                             ;   in Loop: Header=BB4_2069 Depth=3
	s_delay_alu instid0(VALU_DEP_1)
	v_bfe_u32 v16, v4, 23, 1
; %bb.2156:                             ;   in Loop: Header=BB4_2069 Depth=3
	s_or_b32 exec_lo, exec_lo, s14
	s_delay_alu instid0(VALU_DEP_2) | instskip(NEXT) | instid1(VALU_DEP_2)
	v_lshrrev_b64 v[4:5], 21, v[4:5]
	v_cmp_gt_i32_e32 vcc_lo, 32, v16
	v_min_i32_e32 v17, 31, v16
	v_cmp_eq_u32_e64 s14, 0, v16
	s_delay_alu instid0(VALU_DEP_4) | instskip(NEXT) | instid1(VALU_DEP_3)
	v_cndmask_b32_e32 v5, 0, v5, vcc_lo
	v_dual_cndmask_b32 v4, 3, v4 :: v_dual_lshlrev_b32 v17, 2, v17
	s_delay_alu instid0(VALU_DEP_1) | instskip(NEXT) | instid1(VALU_DEP_2)
	v_and_b32_e32 v17, 0xfc, v17
	v_cmp_eq_u64_e32 vcc_lo, 0, v[4:5]
	s_delay_alu instid0(VALU_DEP_2)
	v_and_or_b32 v4, v4, 3, v17
	s_and_b32 s14, s14, vcc_lo
	s_delay_alu instid0(VALU_DEP_1) | instid1(SALU_CYCLE_1)
	v_cndmask_b32_e64 v4, v4, 0, s14
	s_delay_alu instid0(VALU_DEP_1)
	v_or_b32_e32 v66, v4, v2
.LBB4_2157:                             ;   in Loop: Header=BB4_2069 Depth=3
	s_or_b32 exec_lo, exec_lo, s78
                                        ; implicit-def: $vgpr2
.LBB4_2158:                             ;   in Loop: Header=BB4_2069 Depth=3
	s_and_not1_saveexec_b32 s14, s77
; %bb.2159:                             ;   in Loop: Header=BB4_2069 Depth=3
	v_or_b32_e32 v66, 0x7b, v2
; %bb.2160:                             ;   in Loop: Header=BB4_2069 Depth=3
	s_or_b32 exec_lo, exec_lo, s14
                                        ; implicit-def: $vgpr16
                                        ; implicit-def: $vgpr4_vgpr5
                                        ; implicit-def: $vgpr2
.LBB4_2161:                             ;   in Loop: Header=BB4_2069 Depth=3
	s_and_not1_saveexec_b32 s14, s76
	s_cbranch_execz .LBB4_2167
; %bb.2162:                             ;   in Loop: Header=BB4_2069 Depth=3
	s_mov_b32 s76, exec_lo
                                        ; implicit-def: $vgpr66
	v_cmpx_ne_u64_e32 0, v[4:5]
	s_xor_b32 s76, exec_lo, s76
; %bb.2163:                             ;   in Loop: Header=BB4_2069 Depth=3
	v_or_b32_e32 v66, 0x7f, v2
                                        ; implicit-def: $vgpr16
; %bb.2164:                             ;   in Loop: Header=BB4_2069 Depth=3
	s_and_not1_saveexec_b32 s76, s76
; %bb.2165:                             ;   in Loop: Header=BB4_2069 Depth=3
	v_cmp_lt_i32_e32 vcc_lo, -1, v16
	v_cndmask_b32_e32 v66, 0xfc, v49, vcc_lo
; %bb.2166:                             ;   in Loop: Header=BB4_2069 Depth=3
	s_or_b32 exec_lo, exec_lo, s76
.LBB4_2167:                             ;   in Loop: Header=BB4_2069 Depth=3
	s_delay_alu instid0(SALU_CYCLE_1)
	s_or_b32 exec_lo, exec_lo, s14
	v_mov_b32_e32 v4, 0
	s_mov_b32 s14, exec_lo
	v_cmpx_lt_u32_e32 0xffffff, v8
	s_cbranch_execz .LBB4_2177
; %bb.2168:                             ;   in Loop: Header=BB4_2069 Depth=3
	v_lshrrev_b32_e32 v2, 24, v8
	v_bfrev_b32_e32 v4, 1
	s_mov_b32 s76, exec_lo
	s_delay_alu instid0(VALU_DEP_2)
	v_cmpx_ne_u32_e32 0x80, v2
	s_cbranch_execz .LBB4_2176
; %bb.2169:                             ;   in Loop: Header=BB4_2069 Depth=3
	v_and_b32_e32 v4, 0x7c000000, v8
	v_bfe_u32 v5, v8, 24, 2
	s_delay_alu instid0(VALU_DEP_2) | instskip(SKIP_1) | instid1(SALU_CYCLE_1)
	v_cmp_ne_u32_e32 vcc_lo, 0x7c000000, v4
                                        ; implicit-def: $vgpr4
	s_and_saveexec_b32 s77, vcc_lo
	s_xor_b32 s77, exec_lo, s77
	s_cbranch_execz .LBB4_2173
; %bb.2170:                             ;   in Loop: Header=BB4_2069 Depth=3
	v_bfe_u32 v4, v8, 26, 5
	s_mov_b32 s78, exec_lo
	s_delay_alu instid0(VALU_DEP_1)
	v_cmpx_eq_u32_e32 0, v4
; %bb.2171:                             ;   in Loop: Header=BB4_2069 Depth=3
	v_clz_i32_u32_e32 v4, v5
	s_delay_alu instid0(VALU_DEP_1) | instskip(NEXT) | instid1(VALU_DEP_1)
	v_min_u32_e32 v4, 32, v4
	v_subrev_nc_u32_e32 v5, 29, v4
	v_sub_nc_u32_e32 v4, 30, v4
	s_delay_alu instid0(VALU_DEP_2) | instskip(NEXT) | instid1(VALU_DEP_1)
	v_lshlrev_b64_e32 v[16:17], v5, v[2:3]
	v_and_b32_e32 v5, 3, v16
; %bb.2172:                             ;   in Loop: Header=BB4_2069 Depth=3
	s_or_b32 exec_lo, exec_lo, s78
	v_and_b32_e32 v2, 0x80000000, v8
	s_delay_alu instid0(VALU_DEP_1) | instskip(NEXT) | instid1(VALU_DEP_1)
	v_lshl_add_u32 v2, v4, 23, v2
	v_lshl_or_b32 v2, v5, 21, v2
                                        ; implicit-def: $vgpr5
	s_delay_alu instid0(VALU_DEP_1)
	v_add_nc_u32_e32 v4, 0x38000000, v2
.LBB4_2173:                             ;   in Loop: Header=BB4_2069 Depth=3
	s_and_not1_saveexec_b32 s77, s77
; %bb.2174:                             ;   in Loop: Header=BB4_2069 Depth=3
	v_cmp_lt_i32_e32 vcc_lo, -1, v8
	v_cndmask_b32_e32 v2, 0xff800000, v48, vcc_lo
	v_cmp_eq_u32_e32 vcc_lo, 0, v5
	s_delay_alu instid0(VALU_DEP_2)
	v_cndmask_b32_e32 v4, 0x7f800001, v2, vcc_lo
; %bb.2175:                             ;   in Loop: Header=BB4_2069 Depth=3
	s_or_b32 exec_lo, exec_lo, s77
.LBB4_2176:                             ;   in Loop: Header=BB4_2069 Depth=3
	s_delay_alu instid0(SALU_CYCLE_1)
	s_or_b32 exec_lo, exec_lo, s76
.LBB4_2177:                             ;   in Loop: Header=BB4_2069 Depth=3
	s_delay_alu instid0(SALU_CYCLE_1) | instskip(NEXT) | instid1(VALU_DEP_1)
	s_or_b32 exec_lo, exec_lo, s14
	v_dual_mul_f32 v16, s75, v4 :: v_dual_mov_b32 v19, v3
	v_mov_b32_e32 v5, v3
                                        ; implicit-def: $vgpr67
	s_mov_b32 s14, exec_lo
	s_delay_alu instid0(VALU_DEP_2) | instskip(SKIP_2) | instid1(VALU_DEP_3)
	v_and_b32_e32 v18, 0x7f800000, v16
	v_and_b32_e32 v4, 0x7fffff, v16
	v_lshrrev_b32_e32 v2, 24, v16
	v_cmpx_ne_u64_e32 0x7f800000, v[18:19]
	s_xor_b32 s76, exec_lo, s14
	s_cbranch_execz .LBB4_2191
; %bb.2178:                             ;   in Loop: Header=BB4_2069 Depth=3
	v_and_b32_e32 v18, 0x7fffffff, v16
	v_mov_b32_e32 v19, v3
	v_and_b32_e32 v2, 0x80, v2
                                        ; implicit-def: $vgpr67
	s_mov_b32 s14, exec_lo
	s_delay_alu instid0(VALU_DEP_2)
	v_cmpx_gt_u64_e32 0x47600001, v[18:19]
	s_xor_b32 s77, exec_lo, s14
	s_cbranch_execz .LBB4_2188
; %bb.2179:                             ;   in Loop: Header=BB4_2069 Depth=3
	v_mov_b32_e32 v67, 0
	s_mov_b32 s78, exec_lo
	v_cmpx_ne_u32_e32 0, v16
	s_cbranch_execz .LBB4_2187
; %bb.2180:                             ;   in Loop: Header=BB4_2069 Depth=3
	v_bfe_u32 v18, v16, 23, 8
	v_or_b32_e32 v67, 0x800000, v4
	s_delay_alu instid0(VALU_DEP_2) | instskip(SKIP_1) | instid1(VALU_DEP_2)
	v_sub_nc_u32_e32 v16, 0x71, v18
	v_cmp_gt_u32_e32 vcc_lo, 0x72, v18
	v_cndmask_b32_e32 v16, 0, v16, vcc_lo
	v_cmp_eq_u32_e32 vcc_lo, 0, v18
	s_delay_alu instid0(VALU_DEP_2) | instskip(NEXT) | instid1(VALU_DEP_1)
	v_cndmask_b32_e64 v19, v16, 0x70, vcc_lo
	v_dual_cndmask_b32 v4, v67, v4, vcc_lo :: v_dual_add_nc_u32 v16, 21, v19
	v_add_nc_u32_e32 v86, 20, v19
	s_delay_alu instid0(VALU_DEP_2) | instskip(NEXT) | instid1(VALU_DEP_2)
	v_lshlrev_b64_e64 v[16:17], v16, -1
	v_lshlrev_b64_e64 v[86:87], v86, 1
	s_delay_alu instid0(VALU_DEP_2) | instskip(SKIP_1) | instid1(VALU_DEP_4)
	v_bfi_b32 v16, v16, 0, v4
	v_lshrrev_b64 v[4:5], v19, v[4:5]
	v_bfi_b32 v17, v17, 0, 0
	s_delay_alu instid0(VALU_DEP_1) | instskip(NEXT) | instid1(VALU_DEP_3)
	v_cmp_eq_u64_e64 s14, v[16:17], v[86:87]
	v_mov_b64_e32 v[16:17], v[4:5]
	s_and_saveexec_b32 s79, s14
; %bb.2181:                             ;   in Loop: Header=BB4_2069 Depth=3
	v_bfe_u32 v16, v4, 21, 1
	v_mov_b32_e32 v17, v3
	s_delay_alu instid0(VALU_DEP_1) | instskip(NEXT) | instid1(VALU_DEP_1)
	v_add_nc_u64_e32 v[16:17], v[4:5], v[16:17]
	v_add_nc_u64_e32 v[16:17], -1, v[16:17]
; %bb.2182:                             ;   in Loop: Header=BB4_2069 Depth=3
	s_or_b32 exec_lo, exec_lo, s79
	v_add_nc_u32_e32 v5, 0xffffff81, v18
	v_lshrrev_b32_e32 v17, 23, v4
	s_mov_b32 s14, exec_lo
	s_delay_alu instid0(VALU_DEP_2) | instskip(NEXT) | instid1(VALU_DEP_1)
	v_cndmask_b32_e64 v5, v5, 0xffffff82, vcc_lo
	v_add3_u32 v17, v19, v5, v17
	v_and_b32_e32 v5, 0x1fffff, v16
                                        ; implicit-def: $vgpr16
	s_delay_alu instid0(VALU_DEP_1) | instskip(SKIP_1) | instid1(VALU_DEP_2)
	v_dual_add_nc_u32 v18, 14, v17 :: v_dual_add_nc_u32 v4, v5, v4
	v_mov_b32_e32 v5, v3
	v_cmpx_ne_u32_e32 0, v18
	s_xor_b32 s14, exec_lo, s14
; %bb.2183:                             ;   in Loop: Header=BB4_2069 Depth=3
	s_delay_alu instid0(VALU_DEP_2) | instskip(SKIP_2) | instid1(VALU_DEP_2)
	v_cmp_lt_u64_e32 vcc_lo, 0xffffff, v[4:5]
	v_add_nc_u32_e32 v16, 15, v17
	v_cndmask_b32_e64 v17, 0, 1, vcc_lo
	v_cndmask_b32_e32 v16, v18, v16, vcc_lo
	s_delay_alu instid0(VALU_DEP_2)
	v_lshrrev_b64 v[4:5], v17, v[4:5]
; %bb.2184:                             ;   in Loop: Header=BB4_2069 Depth=3
	s_and_not1_saveexec_b32 s14, s14
; %bb.2185:                             ;   in Loop: Header=BB4_2069 Depth=3
	s_delay_alu instid0(VALU_DEP_1)
	v_bfe_u32 v16, v4, 23, 1
; %bb.2186:                             ;   in Loop: Header=BB4_2069 Depth=3
	s_or_b32 exec_lo, exec_lo, s14
	s_delay_alu instid0(VALU_DEP_2) | instskip(NEXT) | instid1(VALU_DEP_2)
	v_lshrrev_b64 v[4:5], 21, v[4:5]
	v_cmp_gt_i32_e32 vcc_lo, 32, v16
	v_min_i32_e32 v17, 31, v16
	v_cmp_eq_u32_e64 s14, 0, v16
	s_delay_alu instid0(VALU_DEP_4) | instskip(NEXT) | instid1(VALU_DEP_3)
	v_cndmask_b32_e32 v5, 0, v5, vcc_lo
	v_dual_cndmask_b32 v4, 3, v4 :: v_dual_lshlrev_b32 v17, 2, v17
	s_delay_alu instid0(VALU_DEP_1) | instskip(NEXT) | instid1(VALU_DEP_2)
	v_and_b32_e32 v17, 0xfc, v17
	v_cmp_eq_u64_e32 vcc_lo, 0, v[4:5]
	s_delay_alu instid0(VALU_DEP_2)
	v_and_or_b32 v4, v4, 3, v17
	s_and_b32 s14, s14, vcc_lo
	s_delay_alu instid0(VALU_DEP_1) | instid1(SALU_CYCLE_1)
	v_cndmask_b32_e64 v4, v4, 0, s14
	s_delay_alu instid0(VALU_DEP_1)
	v_or_b32_e32 v67, v4, v2
.LBB4_2187:                             ;   in Loop: Header=BB4_2069 Depth=3
	s_or_b32 exec_lo, exec_lo, s78
                                        ; implicit-def: $vgpr2
.LBB4_2188:                             ;   in Loop: Header=BB4_2069 Depth=3
	s_and_not1_saveexec_b32 s14, s77
; %bb.2189:                             ;   in Loop: Header=BB4_2069 Depth=3
	v_or_b32_e32 v67, 0x7b, v2
; %bb.2190:                             ;   in Loop: Header=BB4_2069 Depth=3
	s_or_b32 exec_lo, exec_lo, s14
                                        ; implicit-def: $vgpr16
                                        ; implicit-def: $vgpr4_vgpr5
                                        ; implicit-def: $vgpr2
.LBB4_2191:                             ;   in Loop: Header=BB4_2069 Depth=3
	s_and_not1_saveexec_b32 s14, s76
	s_cbranch_execz .LBB4_2197
; %bb.2192:                             ;   in Loop: Header=BB4_2069 Depth=3
	s_mov_b32 s76, exec_lo
                                        ; implicit-def: $vgpr67
	v_cmpx_ne_u64_e32 0, v[4:5]
	s_xor_b32 s76, exec_lo, s76
; %bb.2193:                             ;   in Loop: Header=BB4_2069 Depth=3
	v_or_b32_e32 v67, 0x7f, v2
                                        ; implicit-def: $vgpr16
; %bb.2194:                             ;   in Loop: Header=BB4_2069 Depth=3
	s_and_not1_saveexec_b32 s76, s76
; %bb.2195:                             ;   in Loop: Header=BB4_2069 Depth=3
	v_cmp_lt_i32_e32 vcc_lo, -1, v16
	v_cndmask_b32_e32 v67, 0xfc, v49, vcc_lo
; %bb.2196:                             ;   in Loop: Header=BB4_2069 Depth=3
	s_or_b32 exec_lo, exec_lo, s76
.LBB4_2197:                             ;   in Loop: Header=BB4_2069 Depth=3
	s_delay_alu instid0(SALU_CYCLE_1) | instskip(SKIP_4) | instid1(VALU_DEP_3)
	s_or_b32 exec_lo, exec_lo, s14
	v_and_b32_e32 v16, 0xff, v9
	v_dual_mov_b32 v4, v9 :: v_dual_mov_b32 v5, v3
	v_mov_b32_e32 v2, 0
	s_mov_b32 s14, exec_lo
	v_cmpx_ne_u16_e32 0, v16
	s_cbranch_execz .LBB4_2207
; %bb.2198:                             ;   in Loop: Header=BB4_2069 Depth=3
	v_bfrev_b32_e32 v2, 1
	s_mov_b32 s76, exec_lo
	v_cmpx_ne_u16_e32 0x80, v16
	s_cbranch_execz .LBB4_2206
; %bb.2199:                             ;   in Loop: Header=BB4_2069 Depth=3
	v_and_b32_e32 v2, 0x7c, v9
	v_and_b32_e32 v16, 3, v9
	s_delay_alu instid0(VALU_DEP_2) | instskip(SKIP_1) | instid1(SALU_CYCLE_1)
	v_cmp_ne_u32_e32 vcc_lo, 0x7c, v2
                                        ; implicit-def: $vgpr2
	s_and_saveexec_b32 s77, vcc_lo
	s_xor_b32 s77, exec_lo, s77
	s_cbranch_execz .LBB4_2203
; %bb.2200:                             ;   in Loop: Header=BB4_2069 Depth=3
	v_bfe_u32 v2, v9, 2, 5
	s_mov_b32 s78, exec_lo
	s_delay_alu instid0(VALU_DEP_1)
	v_cmpx_eq_u32_e32 0, v2
; %bb.2201:                             ;   in Loop: Header=BB4_2069 Depth=3
	v_clz_i32_u32_e32 v2, v16
	s_delay_alu instid0(VALU_DEP_1) | instskip(NEXT) | instid1(VALU_DEP_1)
	v_min_u32_e32 v2, 32, v2
	v_subrev_nc_u32_e32 v16, 29, v2
	s_delay_alu instid0(VALU_DEP_1) | instskip(NEXT) | instid1(VALU_DEP_1)
	v_lshlrev_b64_e32 v[16:17], v16, v[4:5]
	v_dual_sub_nc_u32 v2, 30, v2 :: v_dual_bitop2_b32 v16, 3, v16 bitop3:0x40
; %bb.2202:                             ;   in Loop: Header=BB4_2069 Depth=3
	s_or_b32 exec_lo, exec_lo, s78
	v_lshlrev_b32_e32 v5, 24, v9
	s_delay_alu instid0(VALU_DEP_1) | instskip(NEXT) | instid1(VALU_DEP_1)
	v_and_b32_e32 v5, 0x80000000, v5
	v_lshl_add_u32 v2, v2, 23, v5
	s_delay_alu instid0(VALU_DEP_1) | instskip(NEXT) | instid1(VALU_DEP_1)
	v_lshl_or_b32 v2, v16, 21, v2
                                        ; implicit-def: $vgpr16
	v_add_nc_u32_e32 v2, 0x38000000, v2
.LBB4_2203:                             ;   in Loop: Header=BB4_2069 Depth=3
	s_and_not1_saveexec_b32 s77, s77
; %bb.2204:                             ;   in Loop: Header=BB4_2069 Depth=3
	v_bfe_i32 v2, v9, 0, 8
	s_delay_alu instid0(VALU_DEP_1) | instskip(SKIP_2) | instid1(VALU_DEP_2)
	v_cmp_lt_i16_e32 vcc_lo, -1, v2
	v_cndmask_b32_e32 v2, 0xff800000, v48, vcc_lo
	v_cmp_eq_u32_e32 vcc_lo, 0, v16
	v_cndmask_b32_e32 v2, 0x7f800001, v2, vcc_lo
; %bb.2205:                             ;   in Loop: Header=BB4_2069 Depth=3
	s_or_b32 exec_lo, exec_lo, s77
.LBB4_2206:                             ;   in Loop: Header=BB4_2069 Depth=3
	s_delay_alu instid0(SALU_CYCLE_1)
	s_or_b32 exec_lo, exec_lo, s76
.LBB4_2207:                             ;   in Loop: Header=BB4_2069 Depth=3
	s_delay_alu instid0(SALU_CYCLE_1) | instskip(NEXT) | instid1(VALU_DEP_1)
	s_or_b32 exec_lo, exec_lo, s14
	v_dual_mul_f32 v5, s75, v2 :: v_dual_mov_b32 v19, v3
	s_delay_alu instid0(VALU_DEP_1) | instskip(SKIP_2) | instid1(VALU_DEP_2)
	v_dual_mov_b32 v17, v3 :: v_dual_lshrrev_b32 v2, 24, v5
	v_and_b32_e32 v18, 0x7f800000, v5
	v_and_b32_e32 v16, 0x7fffff, v5
	v_cmp_ne_u64_e32 vcc_lo, 0x7f800000, v[18:19]
                                        ; implicit-def: $vgpr18
	s_and_saveexec_b32 s14, vcc_lo
	s_delay_alu instid0(SALU_CYCLE_1)
	s_xor_b32 s76, exec_lo, s14
	s_cbranch_execz .LBB4_2221
; %bb.2208:                             ;   in Loop: Header=BB4_2069 Depth=3
	v_and_b32_e32 v18, 0x7fffffff, v5
	v_mov_b32_e32 v19, v3
	v_and_b32_e32 v2, 0x80, v2
	s_delay_alu instid0(VALU_DEP_2) | instskip(SKIP_1) | instid1(SALU_CYCLE_1)
	v_cmp_gt_u64_e32 vcc_lo, 0x47600001, v[18:19]
                                        ; implicit-def: $vgpr18
	s_and_saveexec_b32 s14, vcc_lo
	s_xor_b32 s77, exec_lo, s14
	s_cbranch_execz .LBB4_2218
; %bb.2209:                             ;   in Loop: Header=BB4_2069 Depth=3
	v_mov_b32_e32 v18, 0
	s_mov_b32 s78, exec_lo
	v_cmpx_ne_u32_e32 0, v5
	s_cbranch_execz .LBB4_2217
; %bb.2210:                             ;   in Loop: Header=BB4_2069 Depth=3
	v_bfe_u32 v5, v5, 23, 8
	v_or_b32_e32 v87, 0x800000, v16
	s_delay_alu instid0(VALU_DEP_2) | instskip(SKIP_1) | instid1(VALU_DEP_2)
	v_sub_nc_u32_e32 v18, 0x71, v5
	v_cmp_gt_u32_e32 vcc_lo, 0x72, v5
	v_cndmask_b32_e32 v18, 0, v18, vcc_lo
	v_cmp_eq_u32_e32 vcc_lo, 0, v5
	v_cndmask_b32_e32 v16, v87, v16, vcc_lo
	s_delay_alu instid0(VALU_DEP_3) | instskip(NEXT) | instid1(VALU_DEP_1)
	v_cndmask_b32_e64 v86, v18, 0x70, vcc_lo
	v_dual_add_nc_u32 v18, 21, v86 :: v_dual_add_nc_u32 v96, 20, v86
	s_delay_alu instid0(VALU_DEP_1) | instskip(NEXT) | instid1(VALU_DEP_2)
	v_lshlrev_b64_e64 v[18:19], v18, -1
	v_lshlrev_b64_e64 v[96:97], v96, 1
	s_delay_alu instid0(VALU_DEP_2) | instskip(SKIP_1) | instid1(VALU_DEP_4)
	v_bfi_b32 v18, v18, 0, v16
	v_lshrrev_b64 v[16:17], v86, v[16:17]
	v_bfi_b32 v19, v19, 0, 0
	s_delay_alu instid0(VALU_DEP_1) | instskip(NEXT) | instid1(VALU_DEP_3)
	v_cmp_eq_u64_e64 s14, v[18:19], v[96:97]
	v_mov_b64_e32 v[18:19], v[16:17]
	s_and_saveexec_b32 s79, s14
; %bb.2211:                             ;   in Loop: Header=BB4_2069 Depth=3
	v_bfe_u32 v18, v16, 21, 1
	v_mov_b32_e32 v19, v3
	s_delay_alu instid0(VALU_DEP_1) | instskip(NEXT) | instid1(VALU_DEP_1)
	v_add_nc_u64_e32 v[18:19], v[16:17], v[18:19]
	v_add_nc_u64_e32 v[18:19], -1, v[18:19]
; %bb.2212:                             ;   in Loop: Header=BB4_2069 Depth=3
	s_or_b32 exec_lo, exec_lo, s79
	v_add_nc_u32_e32 v5, 0xffffff81, v5
	v_lshrrev_b32_e32 v17, 23, v16
	s_mov_b32 s14, exec_lo
	s_delay_alu instid0(VALU_DEP_2) | instskip(NEXT) | instid1(VALU_DEP_1)
	v_cndmask_b32_e64 v5, v5, 0xffffff82, vcc_lo
	v_add3_u32 v19, v86, v5, v17
	v_and_b32_e32 v5, 0x1fffff, v18
	s_delay_alu instid0(VALU_DEP_2) | instskip(NEXT) | instid1(VALU_DEP_2)
	v_dual_mov_b32 v17, v3 :: v_dual_add_nc_u32 v18, 14, v19
	v_add_nc_u32_e32 v16, v5, v16
                                        ; implicit-def: $vgpr5
	s_delay_alu instid0(VALU_DEP_2)
	v_cmpx_ne_u32_e32 0, v18
	s_xor_b32 s14, exec_lo, s14
; %bb.2213:                             ;   in Loop: Header=BB4_2069 Depth=3
	s_delay_alu instid0(VALU_DEP_2) | instskip(SKIP_1) | instid1(VALU_DEP_1)
	v_cmp_lt_u64_e32 vcc_lo, 0xffffff, v[16:17]
	v_add_nc_u32_e32 v5, 15, v19
	v_cndmask_b32_e32 v5, v18, v5, vcc_lo
	v_cndmask_b32_e64 v18, 0, 1, vcc_lo
	s_delay_alu instid0(VALU_DEP_1)
	v_lshrrev_b64 v[16:17], v18, v[16:17]
; %bb.2214:                             ;   in Loop: Header=BB4_2069 Depth=3
	s_and_not1_saveexec_b32 s14, s14
; %bb.2215:                             ;   in Loop: Header=BB4_2069 Depth=3
	s_delay_alu instid0(VALU_DEP_1)
	v_bfe_u32 v5, v16, 23, 1
; %bb.2216:                             ;   in Loop: Header=BB4_2069 Depth=3
	s_or_b32 exec_lo, exec_lo, s14
	s_delay_alu instid0(VALU_DEP_2) | instskip(NEXT) | instid1(VALU_DEP_2)
	v_lshrrev_b64 v[16:17], 21, v[16:17]
	v_cmp_gt_i32_e32 vcc_lo, 32, v5
	v_min_i32_e32 v18, 31, v5
	v_cmp_eq_u32_e64 s14, 0, v5
	s_delay_alu instid0(VALU_DEP_2) | instskip(SKIP_1) | instid1(VALU_DEP_2)
	v_dual_cndmask_b32 v16, 3, v16, vcc_lo :: v_dual_lshlrev_b32 v18, 2, v18
	v_cndmask_b32_e32 v17, 0, v17, vcc_lo
	v_and_b32_e32 v18, 0xfc, v18
	s_delay_alu instid0(VALU_DEP_2) | instskip(NEXT) | instid1(VALU_DEP_2)
	v_cmp_eq_u64_e32 vcc_lo, 0, v[16:17]
	v_and_or_b32 v5, v16, 3, v18
	s_and_b32 s14, s14, vcc_lo
	s_delay_alu instid0(VALU_DEP_1) | instid1(SALU_CYCLE_1)
	v_cndmask_b32_e64 v5, v5, 0, s14
	s_delay_alu instid0(VALU_DEP_1)
	v_or_b32_e32 v18, v5, v2
.LBB4_2217:                             ;   in Loop: Header=BB4_2069 Depth=3
	s_or_b32 exec_lo, exec_lo, s78
                                        ; implicit-def: $vgpr2
.LBB4_2218:                             ;   in Loop: Header=BB4_2069 Depth=3
	s_and_not1_saveexec_b32 s14, s77
; %bb.2219:                             ;   in Loop: Header=BB4_2069 Depth=3
	v_or_b32_e32 v18, 0x7b, v2
; %bb.2220:                             ;   in Loop: Header=BB4_2069 Depth=3
	s_or_b32 exec_lo, exec_lo, s14
                                        ; implicit-def: $vgpr5
                                        ; implicit-def: $vgpr16_vgpr17
                                        ; implicit-def: $vgpr2
.LBB4_2221:                             ;   in Loop: Header=BB4_2069 Depth=3
	s_and_not1_saveexec_b32 s14, s76
	s_cbranch_execz .LBB4_2227
; %bb.2222:                             ;   in Loop: Header=BB4_2069 Depth=3
	s_mov_b32 s76, exec_lo
                                        ; implicit-def: $vgpr18
	v_cmpx_ne_u64_e32 0, v[16:17]
	s_xor_b32 s76, exec_lo, s76
; %bb.2223:                             ;   in Loop: Header=BB4_2069 Depth=3
	v_or_b32_e32 v18, 0x7f, v2
                                        ; implicit-def: $vgpr5
; %bb.2224:                             ;   in Loop: Header=BB4_2069 Depth=3
	s_and_not1_saveexec_b32 s76, s76
; %bb.2225:                             ;   in Loop: Header=BB4_2069 Depth=3
	v_cmp_lt_i32_e32 vcc_lo, -1, v5
	v_cndmask_b32_e32 v18, 0xfc, v49, vcc_lo
; %bb.2226:                             ;   in Loop: Header=BB4_2069 Depth=3
	s_or_b32 exec_lo, exec_lo, s76
.LBB4_2227:                             ;   in Loop: Header=BB4_2069 Depth=3
	s_delay_alu instid0(SALU_CYCLE_1) | instskip(SKIP_3) | instid1(VALU_DEP_2)
	s_or_b32 exec_lo, exec_lo, s14
	v_lshrrev_b16 v16, 8, v4
	v_mov_b32_e32 v17, 0
	s_mov_b32 s14, exec_lo
	v_cmpx_ne_u16_e32 0, v16
	s_cbranch_execz .LBB4_2237
; %bb.2228:                             ;   in Loop: Header=BB4_2069 Depth=3
	v_bfrev_b32_e32 v17, 1
	s_mov_b32 s76, exec_lo
	v_cmpx_ne_u16_e32 0x80, v16
	s_cbranch_execz .LBB4_2236
; %bb.2229:                             ;   in Loop: Header=BB4_2069 Depth=3
	v_and_b32_e32 v5, 0xffff, v16
	s_delay_alu instid0(VALU_DEP_1) | instskip(SKIP_1) | instid1(VALU_DEP_2)
	v_and_b32_e32 v17, 0x7c, v5
	v_and_b32_e32 v2, 3, v5
	v_cmp_ne_u32_e32 vcc_lo, 0x7c, v17
                                        ; implicit-def: $vgpr17
	s_and_saveexec_b32 s77, vcc_lo
	s_delay_alu instid0(SALU_CYCLE_1)
	s_xor_b32 s77, exec_lo, s77
	s_cbranch_execz .LBB4_2233
; %bb.2230:                             ;   in Loop: Header=BB4_2069 Depth=3
	v_bfe_u32 v5, v5, 2, 5
	s_mov_b32 s78, exec_lo
	s_delay_alu instid0(VALU_DEP_1)
	v_cmpx_eq_u32_e32 0, v5
; %bb.2231:                             ;   in Loop: Header=BB4_2069 Depth=3
	v_clz_i32_u32_e32 v2, v2
	s_delay_alu instid0(VALU_DEP_1) | instskip(SKIP_1) | instid1(VALU_DEP_2)
	v_min_u32_e32 v2, 32, v2
	v_mov_b32_e32 v17, v3
	v_subrev_nc_u32_e32 v5, 29, v2
	s_delay_alu instid0(VALU_DEP_1) | instskip(NEXT) | instid1(VALU_DEP_1)
	v_lshlrev_b64_e32 v[16:17], v5, v[16:17]
	v_dual_sub_nc_u32 v5, 30, v2 :: v_dual_bitop2_b32 v2, 3, v16 bitop3:0x40
; %bb.2232:                             ;   in Loop: Header=BB4_2069 Depth=3
	s_or_b32 exec_lo, exec_lo, s78
	v_lshlrev_b32_e32 v4, 16, v4
	s_delay_alu instid0(VALU_DEP_1) | instskip(NEXT) | instid1(VALU_DEP_1)
	v_and_b32_e32 v4, 0x80000000, v4
	v_lshl_add_u32 v4, v5, 23, v4
	s_delay_alu instid0(VALU_DEP_1) | instskip(NEXT) | instid1(VALU_DEP_1)
	v_lshl_or_b32 v2, v2, 21, v4
                                        ; implicit-def: $vgpr4_vgpr5
	v_add_nc_u32_e32 v17, 0x38000000, v2
                                        ; implicit-def: $vgpr2
.LBB4_2233:                             ;   in Loop: Header=BB4_2069 Depth=3
	s_and_not1_saveexec_b32 s77, s77
; %bb.2234:                             ;   in Loop: Header=BB4_2069 Depth=3
	v_cmp_lt_i16_e32 vcc_lo, -1, v4
	v_cndmask_b32_e32 v4, 0xff800000, v48, vcc_lo
	v_cmp_eq_u32_e32 vcc_lo, 0, v2
	s_delay_alu instid0(VALU_DEP_2)
	v_cndmask_b32_e32 v17, 0x7f800001, v4, vcc_lo
; %bb.2235:                             ;   in Loop: Header=BB4_2069 Depth=3
	s_or_b32 exec_lo, exec_lo, s77
.LBB4_2236:                             ;   in Loop: Header=BB4_2069 Depth=3
	s_delay_alu instid0(SALU_CYCLE_1)
	s_or_b32 exec_lo, exec_lo, s76
.LBB4_2237:                             ;   in Loop: Header=BB4_2069 Depth=3
	s_delay_alu instid0(SALU_CYCLE_1) | instskip(NEXT) | instid1(VALU_DEP_1)
	s_or_b32 exec_lo, exec_lo, s14
	v_dual_mul_f32 v16, s75, v17 :: v_dual_mov_b32 v87, v3
	v_mov_b32_e32 v5, v3
                                        ; implicit-def: $vgpr19
	s_mov_b32 s14, exec_lo
	s_delay_alu instid0(VALU_DEP_2) | instskip(SKIP_2) | instid1(VALU_DEP_3)
	v_and_b32_e32 v86, 0x7f800000, v16
	v_and_b32_e32 v4, 0x7fffff, v16
	v_lshrrev_b32_e32 v2, 24, v16
	v_cmpx_ne_u64_e32 0x7f800000, v[86:87]
	s_xor_b32 s76, exec_lo, s14
	s_cbranch_execz .LBB4_2251
; %bb.2238:                             ;   in Loop: Header=BB4_2069 Depth=3
	v_and_b32_e32 v86, 0x7fffffff, v16
	v_mov_b32_e32 v87, v3
	v_and_b32_e32 v2, 0x80, v2
                                        ; implicit-def: $vgpr19
	s_mov_b32 s14, exec_lo
	s_delay_alu instid0(VALU_DEP_2)
	v_cmpx_gt_u64_e32 0x47600001, v[86:87]
	s_xor_b32 s77, exec_lo, s14
	s_cbranch_execz .LBB4_2248
; %bb.2239:                             ;   in Loop: Header=BB4_2069 Depth=3
	v_mov_b32_e32 v19, 0
	s_mov_b32 s78, exec_lo
	v_cmpx_ne_u32_e32 0, v16
	s_cbranch_execz .LBB4_2247
; %bb.2240:                             ;   in Loop: Header=BB4_2069 Depth=3
	v_bfe_u32 v19, v16, 23, 8
	v_or_b32_e32 v87, 0x800000, v4
	s_delay_alu instid0(VALU_DEP_2) | instskip(SKIP_1) | instid1(VALU_DEP_2)
	v_sub_nc_u32_e32 v16, 0x71, v19
	v_cmp_gt_u32_e32 vcc_lo, 0x72, v19
	v_cndmask_b32_e32 v16, 0, v16, vcc_lo
	v_cmp_eq_u32_e32 vcc_lo, 0, v19
	s_delay_alu instid0(VALU_DEP_2) | instskip(NEXT) | instid1(VALU_DEP_1)
	v_cndmask_b32_e64 v86, v16, 0x70, vcc_lo
	v_dual_cndmask_b32 v4, v87, v4, vcc_lo :: v_dual_add_nc_u32 v16, 21, v86
	v_add_nc_u32_e32 v96, 20, v86
	s_delay_alu instid0(VALU_DEP_2) | instskip(NEXT) | instid1(VALU_DEP_2)
	v_lshlrev_b64_e64 v[16:17], v16, -1
	v_lshlrev_b64_e64 v[96:97], v96, 1
	s_delay_alu instid0(VALU_DEP_2) | instskip(SKIP_1) | instid1(VALU_DEP_4)
	v_bfi_b32 v16, v16, 0, v4
	v_lshrrev_b64 v[4:5], v86, v[4:5]
	v_bfi_b32 v17, v17, 0, 0
	s_delay_alu instid0(VALU_DEP_1) | instskip(NEXT) | instid1(VALU_DEP_3)
	v_cmp_eq_u64_e64 s14, v[16:17], v[96:97]
	v_mov_b64_e32 v[16:17], v[4:5]
	s_and_saveexec_b32 s79, s14
; %bb.2241:                             ;   in Loop: Header=BB4_2069 Depth=3
	v_bfe_u32 v16, v4, 21, 1
	v_mov_b32_e32 v17, v3
	s_delay_alu instid0(VALU_DEP_1) | instskip(NEXT) | instid1(VALU_DEP_1)
	v_add_nc_u64_e32 v[16:17], v[4:5], v[16:17]
	v_add_nc_u64_e32 v[16:17], -1, v[16:17]
; %bb.2242:                             ;   in Loop: Header=BB4_2069 Depth=3
	s_or_b32 exec_lo, exec_lo, s79
	v_add_nc_u32_e32 v5, 0xffffff81, v19
	v_lshrrev_b32_e32 v17, 23, v4
	s_mov_b32 s14, exec_lo
	s_delay_alu instid0(VALU_DEP_2) | instskip(NEXT) | instid1(VALU_DEP_1)
	v_cndmask_b32_e64 v5, v5, 0xffffff82, vcc_lo
	v_add3_u32 v17, v86, v5, v17
	v_and_b32_e32 v5, 0x1fffff, v16
                                        ; implicit-def: $vgpr16
	s_delay_alu instid0(VALU_DEP_1) | instskip(SKIP_1) | instid1(VALU_DEP_2)
	v_dual_add_nc_u32 v19, 14, v17 :: v_dual_add_nc_u32 v4, v5, v4
	v_mov_b32_e32 v5, v3
	v_cmpx_ne_u32_e32 0, v19
	s_xor_b32 s14, exec_lo, s14
; %bb.2243:                             ;   in Loop: Header=BB4_2069 Depth=3
	s_delay_alu instid0(VALU_DEP_2) | instskip(SKIP_2) | instid1(VALU_DEP_2)
	v_cmp_lt_u64_e32 vcc_lo, 0xffffff, v[4:5]
	v_add_nc_u32_e32 v16, 15, v17
	v_cndmask_b32_e64 v17, 0, 1, vcc_lo
	v_cndmask_b32_e32 v16, v19, v16, vcc_lo
	s_delay_alu instid0(VALU_DEP_2)
	v_lshrrev_b64 v[4:5], v17, v[4:5]
; %bb.2244:                             ;   in Loop: Header=BB4_2069 Depth=3
	s_and_not1_saveexec_b32 s14, s14
; %bb.2245:                             ;   in Loop: Header=BB4_2069 Depth=3
	s_delay_alu instid0(VALU_DEP_1)
	v_bfe_u32 v16, v4, 23, 1
; %bb.2246:                             ;   in Loop: Header=BB4_2069 Depth=3
	s_or_b32 exec_lo, exec_lo, s14
	s_delay_alu instid0(VALU_DEP_2) | instskip(NEXT) | instid1(VALU_DEP_2)
	v_lshrrev_b64 v[4:5], 21, v[4:5]
	v_cmp_gt_i32_e32 vcc_lo, 32, v16
	v_min_i32_e32 v17, 31, v16
	v_cmp_eq_u32_e64 s14, 0, v16
	s_delay_alu instid0(VALU_DEP_4) | instskip(NEXT) | instid1(VALU_DEP_3)
	v_cndmask_b32_e32 v5, 0, v5, vcc_lo
	v_dual_cndmask_b32 v4, 3, v4 :: v_dual_lshlrev_b32 v17, 2, v17
	s_delay_alu instid0(VALU_DEP_1) | instskip(NEXT) | instid1(VALU_DEP_2)
	v_and_b32_e32 v17, 0xfc, v17
	v_cmp_eq_u64_e32 vcc_lo, 0, v[4:5]
	s_delay_alu instid0(VALU_DEP_2)
	v_and_or_b32 v4, v4, 3, v17
	s_and_b32 s14, s14, vcc_lo
	s_delay_alu instid0(VALU_DEP_1) | instid1(SALU_CYCLE_1)
	v_cndmask_b32_e64 v4, v4, 0, s14
	s_delay_alu instid0(VALU_DEP_1)
	v_or_b32_e32 v19, v4, v2
.LBB4_2247:                             ;   in Loop: Header=BB4_2069 Depth=3
	s_or_b32 exec_lo, exec_lo, s78
                                        ; implicit-def: $vgpr2
.LBB4_2248:                             ;   in Loop: Header=BB4_2069 Depth=3
	s_and_not1_saveexec_b32 s14, s77
; %bb.2249:                             ;   in Loop: Header=BB4_2069 Depth=3
	v_or_b32_e32 v19, 0x7b, v2
; %bb.2250:                             ;   in Loop: Header=BB4_2069 Depth=3
	s_or_b32 exec_lo, exec_lo, s14
                                        ; implicit-def: $vgpr16
                                        ; implicit-def: $vgpr4_vgpr5
                                        ; implicit-def: $vgpr2
.LBB4_2251:                             ;   in Loop: Header=BB4_2069 Depth=3
	s_and_not1_saveexec_b32 s14, s76
	s_cbranch_execz .LBB4_2257
; %bb.2252:                             ;   in Loop: Header=BB4_2069 Depth=3
	s_mov_b32 s76, exec_lo
                                        ; implicit-def: $vgpr19
	v_cmpx_ne_u64_e32 0, v[4:5]
	s_xor_b32 s76, exec_lo, s76
; %bb.2253:                             ;   in Loop: Header=BB4_2069 Depth=3
	v_or_b32_e32 v19, 0x7f, v2
                                        ; implicit-def: $vgpr16
; %bb.2254:                             ;   in Loop: Header=BB4_2069 Depth=3
	s_and_not1_saveexec_b32 s76, s76
; %bb.2255:                             ;   in Loop: Header=BB4_2069 Depth=3
	v_cmp_lt_i32_e32 vcc_lo, -1, v16
	v_cndmask_b32_e32 v19, 0xfc, v49, vcc_lo
; %bb.2256:                             ;   in Loop: Header=BB4_2069 Depth=3
	s_or_b32 exec_lo, exec_lo, s76
.LBB4_2257:                             ;   in Loop: Header=BB4_2069 Depth=3
	s_delay_alu instid0(SALU_CYCLE_1) | instskip(SKIP_2) | instid1(VALU_DEP_1)
	s_or_b32 exec_lo, exec_lo, s14
	v_dual_lshrrev_b32 v2, 16, v9 :: v_dual_mov_b32 v4, 0
	s_mov_b32 s14, exec_lo
	v_and_b32_e32 v5, 0xff, v2
	s_delay_alu instid0(VALU_DEP_1)
	v_cmpx_ne_u16_e32 0, v5
	s_cbranch_execz .LBB4_2267
; %bb.2258:                             ;   in Loop: Header=BB4_2069 Depth=3
	v_bfrev_b32_e32 v4, 1
	s_mov_b32 s76, exec_lo
	v_cmpx_ne_u16_e32 0x80, v5
	s_cbranch_execz .LBB4_2266
; %bb.2259:                             ;   in Loop: Header=BB4_2069 Depth=3
	v_and_b32_e32 v4, 0x7c0000, v9
	v_bfe_u32 v5, v9, 16, 2
	s_delay_alu instid0(VALU_DEP_2) | instskip(SKIP_1) | instid1(SALU_CYCLE_1)
	v_cmp_ne_u32_e32 vcc_lo, 0x7c0000, v4
                                        ; implicit-def: $vgpr4
	s_and_saveexec_b32 s77, vcc_lo
	s_xor_b32 s77, exec_lo, s77
	s_cbranch_execz .LBB4_2263
; %bb.2260:                             ;   in Loop: Header=BB4_2069 Depth=3
	v_bfe_u32 v4, v9, 18, 5
	s_mov_b32 s78, exec_lo
	s_delay_alu instid0(VALU_DEP_1)
	v_cmpx_eq_u32_e32 0, v4
; %bb.2261:                             ;   in Loop: Header=BB4_2069 Depth=3
	v_clz_i32_u32_e32 v4, v5
	s_delay_alu instid0(VALU_DEP_1) | instskip(NEXT) | instid1(VALU_DEP_1)
	v_min_u32_e32 v4, 32, v4
	v_subrev_nc_u32_e32 v5, 29, v4
	v_sub_nc_u32_e32 v4, 30, v4
	s_delay_alu instid0(VALU_DEP_2) | instskip(NEXT) | instid1(VALU_DEP_1)
	v_lshlrev_b64_e32 v[16:17], v5, v[2:3]
	v_and_b32_e32 v5, 3, v16
; %bb.2262:                             ;   in Loop: Header=BB4_2069 Depth=3
	s_or_b32 exec_lo, exec_lo, s78
	v_lshlrev_b32_e32 v2, 24, v2
	s_delay_alu instid0(VALU_DEP_1) | instskip(NEXT) | instid1(VALU_DEP_1)
	v_and_b32_e32 v2, 0x80000000, v2
	v_lshl_add_u32 v2, v4, 23, v2
	s_delay_alu instid0(VALU_DEP_1) | instskip(NEXT) | instid1(VALU_DEP_1)
	v_lshl_or_b32 v2, v5, 21, v2
                                        ; implicit-def: $vgpr5
	v_add_nc_u32_e32 v4, 0x38000000, v2
                                        ; implicit-def: $vgpr2
.LBB4_2263:                             ;   in Loop: Header=BB4_2069 Depth=3
	s_and_not1_saveexec_b32 s77, s77
; %bb.2264:                             ;   in Loop: Header=BB4_2069 Depth=3
	v_bfe_i32 v2, v2, 0, 8
	s_delay_alu instid0(VALU_DEP_1) | instskip(SKIP_2) | instid1(VALU_DEP_2)
	v_cmp_lt_i16_e32 vcc_lo, -1, v2
	v_cndmask_b32_e32 v2, 0xff800000, v48, vcc_lo
	v_cmp_eq_u32_e32 vcc_lo, 0, v5
	v_cndmask_b32_e32 v4, 0x7f800001, v2, vcc_lo
; %bb.2265:                             ;   in Loop: Header=BB4_2069 Depth=3
	s_or_b32 exec_lo, exec_lo, s77
.LBB4_2266:                             ;   in Loop: Header=BB4_2069 Depth=3
	s_delay_alu instid0(SALU_CYCLE_1)
	s_or_b32 exec_lo, exec_lo, s76
.LBB4_2267:                             ;   in Loop: Header=BB4_2069 Depth=3
	s_delay_alu instid0(SALU_CYCLE_1) | instskip(NEXT) | instid1(VALU_DEP_1)
	s_or_b32 exec_lo, exec_lo, s14
	v_dual_mul_f32 v16, s75, v4 :: v_dual_mov_b32 v87, v3
	v_mov_b32_e32 v5, v3
                                        ; implicit-def: $vgpr100
	s_mov_b32 s14, exec_lo
	s_delay_alu instid0(VALU_DEP_2) | instskip(SKIP_2) | instid1(VALU_DEP_3)
	v_and_b32_e32 v86, 0x7f800000, v16
	v_and_b32_e32 v4, 0x7fffff, v16
	v_lshrrev_b32_e32 v2, 24, v16
	v_cmpx_ne_u64_e32 0x7f800000, v[86:87]
	s_xor_b32 s76, exec_lo, s14
	s_cbranch_execz .LBB4_2281
; %bb.2268:                             ;   in Loop: Header=BB4_2069 Depth=3
	v_and_b32_e32 v86, 0x7fffffff, v16
	v_mov_b32_e32 v87, v3
	v_and_b32_e32 v2, 0x80, v2
                                        ; implicit-def: $vgpr100
	s_mov_b32 s14, exec_lo
	s_delay_alu instid0(VALU_DEP_2)
	v_cmpx_gt_u64_e32 0x47600001, v[86:87]
	s_xor_b32 s77, exec_lo, s14
	s_cbranch_execz .LBB4_2278
; %bb.2269:                             ;   in Loop: Header=BB4_2069 Depth=3
	v_mov_b32_e32 v100, 0
	s_mov_b32 s78, exec_lo
	v_cmpx_ne_u32_e32 0, v16
	s_cbranch_execz .LBB4_2277
; %bb.2270:                             ;   in Loop: Header=BB4_2069 Depth=3
	v_bfe_u32 v86, v16, 23, 8
	v_or_b32_e32 v96, 0x800000, v4
	s_delay_alu instid0(VALU_DEP_2) | instskip(SKIP_1) | instid1(VALU_DEP_2)
	v_sub_nc_u32_e32 v16, 0x71, v86
	v_cmp_gt_u32_e32 vcc_lo, 0x72, v86
	v_cndmask_b32_e32 v16, 0, v16, vcc_lo
	v_cmp_eq_u32_e32 vcc_lo, 0, v86
	s_delay_alu instid0(VALU_DEP_2) | instskip(NEXT) | instid1(VALU_DEP_1)
	v_cndmask_b32_e64 v87, v16, 0x70, vcc_lo
	v_dual_cndmask_b32 v4, v96, v4, vcc_lo :: v_dual_add_nc_u32 v16, 21, v87
	v_add_nc_u32_e32 v97, 20, v87
	s_delay_alu instid0(VALU_DEP_2) | instskip(NEXT) | instid1(VALU_DEP_2)
	v_lshlrev_b64_e64 v[16:17], v16, -1
	v_lshlrev_b64_e64 v[96:97], v97, 1
	s_delay_alu instid0(VALU_DEP_2) | instskip(SKIP_1) | instid1(VALU_DEP_4)
	v_bfi_b32 v16, v16, 0, v4
	v_lshrrev_b64 v[4:5], v87, v[4:5]
	v_bfi_b32 v17, v17, 0, 0
	s_delay_alu instid0(VALU_DEP_1) | instskip(NEXT) | instid1(VALU_DEP_3)
	v_cmp_eq_u64_e64 s14, v[16:17], v[96:97]
	v_mov_b64_e32 v[16:17], v[4:5]
	s_and_saveexec_b32 s79, s14
; %bb.2271:                             ;   in Loop: Header=BB4_2069 Depth=3
	v_bfe_u32 v16, v4, 21, 1
	v_mov_b32_e32 v17, v3
	s_delay_alu instid0(VALU_DEP_1) | instskip(NEXT) | instid1(VALU_DEP_1)
	v_add_nc_u64_e32 v[16:17], v[4:5], v[16:17]
	v_add_nc_u64_e32 v[16:17], -1, v[16:17]
; %bb.2272:                             ;   in Loop: Header=BB4_2069 Depth=3
	s_or_b32 exec_lo, exec_lo, s79
	v_add_nc_u32_e32 v5, 0xffffff81, v86
	v_lshrrev_b32_e32 v17, 23, v4
	s_mov_b32 s14, exec_lo
	s_delay_alu instid0(VALU_DEP_2) | instskip(NEXT) | instid1(VALU_DEP_1)
	v_cndmask_b32_e64 v5, v5, 0xffffff82, vcc_lo
	v_add3_u32 v17, v87, v5, v17
	v_and_b32_e32 v5, 0x1fffff, v16
                                        ; implicit-def: $vgpr16
	s_delay_alu instid0(VALU_DEP_1) | instskip(SKIP_1) | instid1(VALU_DEP_2)
	v_dual_add_nc_u32 v86, 14, v17 :: v_dual_add_nc_u32 v4, v5, v4
	v_mov_b32_e32 v5, v3
	v_cmpx_ne_u32_e32 0, v86
	s_xor_b32 s14, exec_lo, s14
; %bb.2273:                             ;   in Loop: Header=BB4_2069 Depth=3
	s_delay_alu instid0(VALU_DEP_2) | instskip(SKIP_2) | instid1(VALU_DEP_2)
	v_cmp_lt_u64_e32 vcc_lo, 0xffffff, v[4:5]
	v_add_nc_u32_e32 v16, 15, v17
	v_cndmask_b32_e64 v17, 0, 1, vcc_lo
	v_cndmask_b32_e32 v16, v86, v16, vcc_lo
	s_delay_alu instid0(VALU_DEP_2)
	v_lshrrev_b64 v[4:5], v17, v[4:5]
; %bb.2274:                             ;   in Loop: Header=BB4_2069 Depth=3
	s_and_not1_saveexec_b32 s14, s14
; %bb.2275:                             ;   in Loop: Header=BB4_2069 Depth=3
	s_delay_alu instid0(VALU_DEP_1)
	v_bfe_u32 v16, v4, 23, 1
; %bb.2276:                             ;   in Loop: Header=BB4_2069 Depth=3
	s_or_b32 exec_lo, exec_lo, s14
	s_delay_alu instid0(VALU_DEP_2) | instskip(NEXT) | instid1(VALU_DEP_2)
	v_lshrrev_b64 v[4:5], 21, v[4:5]
	v_cmp_gt_i32_e32 vcc_lo, 32, v16
	v_min_i32_e32 v17, 31, v16
	v_cmp_eq_u32_e64 s14, 0, v16
	s_delay_alu instid0(VALU_DEP_4) | instskip(NEXT) | instid1(VALU_DEP_3)
	v_cndmask_b32_e32 v5, 0, v5, vcc_lo
	v_dual_cndmask_b32 v4, 3, v4 :: v_dual_lshlrev_b32 v17, 2, v17
	s_delay_alu instid0(VALU_DEP_1) | instskip(NEXT) | instid1(VALU_DEP_2)
	v_and_b32_e32 v17, 0xfc, v17
	v_cmp_eq_u64_e32 vcc_lo, 0, v[4:5]
	s_delay_alu instid0(VALU_DEP_2)
	v_and_or_b32 v4, v4, 3, v17
	s_and_b32 s14, s14, vcc_lo
	s_delay_alu instid0(VALU_DEP_1) | instid1(SALU_CYCLE_1)
	v_cndmask_b32_e64 v4, v4, 0, s14
	s_delay_alu instid0(VALU_DEP_1)
	v_or_b32_e32 v100, v4, v2
.LBB4_2277:                             ;   in Loop: Header=BB4_2069 Depth=3
	s_or_b32 exec_lo, exec_lo, s78
                                        ; implicit-def: $vgpr2
.LBB4_2278:                             ;   in Loop: Header=BB4_2069 Depth=3
	s_and_not1_saveexec_b32 s14, s77
; %bb.2279:                             ;   in Loop: Header=BB4_2069 Depth=3
	v_or_b32_e32 v100, 0x7b, v2
; %bb.2280:                             ;   in Loop: Header=BB4_2069 Depth=3
	s_or_b32 exec_lo, exec_lo, s14
                                        ; implicit-def: $vgpr16
                                        ; implicit-def: $vgpr4_vgpr5
                                        ; implicit-def: $vgpr2
.LBB4_2281:                             ;   in Loop: Header=BB4_2069 Depth=3
	s_and_not1_saveexec_b32 s14, s76
	s_cbranch_execz .LBB4_2287
; %bb.2282:                             ;   in Loop: Header=BB4_2069 Depth=3
	s_mov_b32 s76, exec_lo
                                        ; implicit-def: $vgpr100
	v_cmpx_ne_u64_e32 0, v[4:5]
	s_xor_b32 s76, exec_lo, s76
; %bb.2283:                             ;   in Loop: Header=BB4_2069 Depth=3
	v_or_b32_e32 v100, 0x7f, v2
                                        ; implicit-def: $vgpr16
; %bb.2284:                             ;   in Loop: Header=BB4_2069 Depth=3
	s_and_not1_saveexec_b32 s76, s76
; %bb.2285:                             ;   in Loop: Header=BB4_2069 Depth=3
	v_cmp_lt_i32_e32 vcc_lo, -1, v16
	v_cndmask_b32_e32 v100, 0xfc, v49, vcc_lo
; %bb.2286:                             ;   in Loop: Header=BB4_2069 Depth=3
	s_or_b32 exec_lo, exec_lo, s76
.LBB4_2287:                             ;   in Loop: Header=BB4_2069 Depth=3
	s_delay_alu instid0(SALU_CYCLE_1)
	s_or_b32 exec_lo, exec_lo, s14
	v_mov_b32_e32 v4, 0
	s_mov_b32 s14, exec_lo
	v_cmpx_lt_u64_e64 s[22:23], v[8:9]
	s_cbranch_execz .LBB4_2297
; %bb.2288:                             ;   in Loop: Header=BB4_2069 Depth=3
	v_lshrrev_b32_e32 v2, 24, v9
	v_bfrev_b32_e32 v4, 1
	s_mov_b32 s76, exec_lo
	s_delay_alu instid0(VALU_DEP_2)
	v_cmpx_ne_u32_e32 0x80, v2
	s_cbranch_execz .LBB4_2296
; %bb.2289:                             ;   in Loop: Header=BB4_2069 Depth=3
	v_and_b32_e32 v4, 0x7c000000, v9
	v_bfe_u32 v5, v9, 24, 2
	s_delay_alu instid0(VALU_DEP_2) | instskip(SKIP_1) | instid1(SALU_CYCLE_1)
	v_cmp_ne_u32_e32 vcc_lo, 0x7c000000, v4
                                        ; implicit-def: $vgpr4
	s_and_saveexec_b32 s77, vcc_lo
	s_xor_b32 s77, exec_lo, s77
	s_cbranch_execz .LBB4_2293
; %bb.2290:                             ;   in Loop: Header=BB4_2069 Depth=3
	v_bfe_u32 v4, v9, 26, 5
	s_mov_b32 s78, exec_lo
	s_delay_alu instid0(VALU_DEP_1)
	v_cmpx_eq_u32_e32 0, v4
; %bb.2291:                             ;   in Loop: Header=BB4_2069 Depth=3
	v_clz_i32_u32_e32 v4, v5
	s_delay_alu instid0(VALU_DEP_1) | instskip(NEXT) | instid1(VALU_DEP_1)
	v_min_u32_e32 v4, 32, v4
	v_subrev_nc_u32_e32 v5, 29, v4
	v_sub_nc_u32_e32 v4, 30, v4
	s_delay_alu instid0(VALU_DEP_2) | instskip(NEXT) | instid1(VALU_DEP_1)
	v_lshlrev_b64_e32 v[16:17], v5, v[2:3]
	v_and_b32_e32 v5, 3, v16
; %bb.2292:                             ;   in Loop: Header=BB4_2069 Depth=3
	s_or_b32 exec_lo, exec_lo, s78
	v_and_b32_e32 v2, 0x80000000, v9
	s_delay_alu instid0(VALU_DEP_1) | instskip(NEXT) | instid1(VALU_DEP_1)
	v_lshl_add_u32 v2, v4, 23, v2
	v_lshl_or_b32 v2, v5, 21, v2
                                        ; implicit-def: $vgpr5
	s_delay_alu instid0(VALU_DEP_1)
	v_add_nc_u32_e32 v4, 0x38000000, v2
.LBB4_2293:                             ;   in Loop: Header=BB4_2069 Depth=3
	s_and_not1_saveexec_b32 s77, s77
; %bb.2294:                             ;   in Loop: Header=BB4_2069 Depth=3
	v_cmp_lt_i64_e32 vcc_lo, -1, v[8:9]
	v_cndmask_b32_e32 v2, 0xff800000, v48, vcc_lo
	v_cmp_eq_u32_e32 vcc_lo, 0, v5
	s_delay_alu instid0(VALU_DEP_2)
	v_cndmask_b32_e32 v4, 0x7f800001, v2, vcc_lo
; %bb.2295:                             ;   in Loop: Header=BB4_2069 Depth=3
	s_or_b32 exec_lo, exec_lo, s77
.LBB4_2296:                             ;   in Loop: Header=BB4_2069 Depth=3
	s_delay_alu instid0(SALU_CYCLE_1)
	s_or_b32 exec_lo, exec_lo, s76
.LBB4_2297:                             ;   in Loop: Header=BB4_2069 Depth=3
	s_delay_alu instid0(SALU_CYCLE_1) | instskip(NEXT) | instid1(VALU_DEP_1)
	s_or_b32 exec_lo, exec_lo, s14
	v_dual_mul_f32 v8, s75, v4 :: v_dual_mov_b32 v17, v3
	v_mov_b32_e32 v5, v3
                                        ; implicit-def: $vgpr101
	s_mov_b32 s14, exec_lo
	s_delay_alu instid0(VALU_DEP_2) | instskip(SKIP_2) | instid1(VALU_DEP_3)
	v_and_b32_e32 v16, 0x7f800000, v8
	v_and_b32_e32 v4, 0x7fffff, v8
	v_lshrrev_b32_e32 v2, 24, v8
	v_cmpx_ne_u64_e32 0x7f800000, v[16:17]
	s_xor_b32 s76, exec_lo, s14
	s_cbranch_execz .LBB4_2311
; %bb.2298:                             ;   in Loop: Header=BB4_2069 Depth=3
	v_and_b32_e32 v16, 0x7fffffff, v8
	v_mov_b32_e32 v17, v3
	v_and_b32_e32 v2, 0x80, v2
                                        ; implicit-def: $vgpr101
	s_mov_b32 s14, exec_lo
	s_delay_alu instid0(VALU_DEP_2)
	v_cmpx_gt_u64_e32 0x47600001, v[16:17]
	s_xor_b32 s77, exec_lo, s14
	s_cbranch_execz .LBB4_2308
; %bb.2299:                             ;   in Loop: Header=BB4_2069 Depth=3
	v_mov_b32_e32 v101, 0
	s_mov_b32 s78, exec_lo
	v_cmpx_ne_u32_e32 0, v8
	s_cbranch_execz .LBB4_2307
; %bb.2300:                             ;   in Loop: Header=BB4_2069 Depth=3
	v_bfe_u32 v16, v8, 23, 8
	v_or_b32_e32 v86, 0x800000, v4
	s_delay_alu instid0(VALU_DEP_2) | instskip(SKIP_1) | instid1(VALU_DEP_2)
	v_sub_nc_u32_e32 v8, 0x71, v16
	v_cmp_gt_u32_e32 vcc_lo, 0x72, v16
	v_cndmask_b32_e32 v8, 0, v8, vcc_lo
	v_cmp_eq_u32_e32 vcc_lo, 0, v16
	s_delay_alu instid0(VALU_DEP_2) | instskip(NEXT) | instid1(VALU_DEP_1)
	v_cndmask_b32_e64 v17, v8, 0x70, vcc_lo
	v_dual_cndmask_b32 v4, v86, v4, vcc_lo :: v_dual_add_nc_u32 v8, 21, v17
	v_add_nc_u32_e32 v87, 20, v17
	s_delay_alu instid0(VALU_DEP_2) | instskip(NEXT) | instid1(VALU_DEP_2)
	v_lshlrev_b64_e64 v[8:9], v8, -1
	v_lshlrev_b64_e64 v[86:87], v87, 1
	s_delay_alu instid0(VALU_DEP_2) | instskip(SKIP_1) | instid1(VALU_DEP_4)
	v_bfi_b32 v8, v8, 0, v4
	v_lshrrev_b64 v[4:5], v17, v[4:5]
	v_bfi_b32 v9, v9, 0, 0
	s_delay_alu instid0(VALU_DEP_1) | instskip(NEXT) | instid1(VALU_DEP_3)
	v_cmp_eq_u64_e64 s14, v[8:9], v[86:87]
	v_mov_b64_e32 v[8:9], v[4:5]
	s_and_saveexec_b32 s79, s14
; %bb.2301:                             ;   in Loop: Header=BB4_2069 Depth=3
	v_bfe_u32 v8, v4, 21, 1
	v_mov_b32_e32 v9, v3
	s_delay_alu instid0(VALU_DEP_1) | instskip(NEXT) | instid1(VALU_DEP_1)
	v_add_nc_u64_e32 v[8:9], v[4:5], v[8:9]
	v_add_nc_u64_e32 v[8:9], -1, v[8:9]
; %bb.2302:                             ;   in Loop: Header=BB4_2069 Depth=3
	s_or_b32 exec_lo, exec_lo, s79
	v_add_nc_u32_e32 v5, 0xffffff81, v16
	v_lshrrev_b32_e32 v9, 23, v4
	s_mov_b32 s14, exec_lo
	s_delay_alu instid0(VALU_DEP_2) | instskip(NEXT) | instid1(VALU_DEP_1)
	v_cndmask_b32_e64 v5, v5, 0xffffff82, vcc_lo
	v_add3_u32 v9, v17, v5, v9
	v_and_b32_e32 v5, 0x1fffff, v8
                                        ; implicit-def: $vgpr8
	s_delay_alu instid0(VALU_DEP_1) | instskip(SKIP_1) | instid1(VALU_DEP_2)
	v_dual_add_nc_u32 v16, 14, v9 :: v_dual_add_nc_u32 v4, v5, v4
	v_mov_b32_e32 v5, v3
	v_cmpx_ne_u32_e32 0, v16
	s_xor_b32 s14, exec_lo, s14
; %bb.2303:                             ;   in Loop: Header=BB4_2069 Depth=3
	s_delay_alu instid0(VALU_DEP_2) | instskip(SKIP_2) | instid1(VALU_DEP_2)
	v_cmp_lt_u64_e32 vcc_lo, 0xffffff, v[4:5]
	v_add_nc_u32_e32 v8, 15, v9
	v_cndmask_b32_e64 v9, 0, 1, vcc_lo
	v_cndmask_b32_e32 v8, v16, v8, vcc_lo
	s_delay_alu instid0(VALU_DEP_2)
	v_lshrrev_b64 v[4:5], v9, v[4:5]
; %bb.2304:                             ;   in Loop: Header=BB4_2069 Depth=3
	s_and_not1_saveexec_b32 s14, s14
; %bb.2305:                             ;   in Loop: Header=BB4_2069 Depth=3
	s_delay_alu instid0(VALU_DEP_1)
	v_bfe_u32 v8, v4, 23, 1
; %bb.2306:                             ;   in Loop: Header=BB4_2069 Depth=3
	s_or_b32 exec_lo, exec_lo, s14
	s_delay_alu instid0(VALU_DEP_2) | instskip(NEXT) | instid1(VALU_DEP_2)
	v_lshrrev_b64 v[4:5], 21, v[4:5]
	v_cmp_gt_i32_e32 vcc_lo, 32, v8
	v_min_i32_e32 v9, 31, v8
	v_cmp_eq_u32_e64 s14, 0, v8
	s_delay_alu instid0(VALU_DEP_4) | instskip(NEXT) | instid1(VALU_DEP_3)
	v_cndmask_b32_e32 v5, 0, v5, vcc_lo
	v_dual_cndmask_b32 v4, 3, v4 :: v_dual_lshlrev_b32 v9, 2, v9
	s_delay_alu instid0(VALU_DEP_1) | instskip(NEXT) | instid1(VALU_DEP_2)
	v_and_b32_e32 v9, 0xfc, v9
	v_cmp_eq_u64_e32 vcc_lo, 0, v[4:5]
	s_delay_alu instid0(VALU_DEP_2)
	v_and_or_b32 v4, v4, 3, v9
	s_and_b32 s14, s14, vcc_lo
	s_delay_alu instid0(VALU_DEP_1) | instid1(SALU_CYCLE_1)
	v_cndmask_b32_e64 v4, v4, 0, s14
	s_delay_alu instid0(VALU_DEP_1)
	v_or_b32_e32 v101, v4, v2
.LBB4_2307:                             ;   in Loop: Header=BB4_2069 Depth=3
	s_or_b32 exec_lo, exec_lo, s78
                                        ; implicit-def: $vgpr2
.LBB4_2308:                             ;   in Loop: Header=BB4_2069 Depth=3
	s_and_not1_saveexec_b32 s14, s77
; %bb.2309:                             ;   in Loop: Header=BB4_2069 Depth=3
	v_or_b32_e32 v101, 0x7b, v2
; %bb.2310:                             ;   in Loop: Header=BB4_2069 Depth=3
	s_or_b32 exec_lo, exec_lo, s14
                                        ; implicit-def: $vgpr8
                                        ; implicit-def: $vgpr4_vgpr5
                                        ; implicit-def: $vgpr2
.LBB4_2311:                             ;   in Loop: Header=BB4_2069 Depth=3
	s_and_not1_saveexec_b32 s14, s76
	s_cbranch_execz .LBB4_2317
; %bb.2312:                             ;   in Loop: Header=BB4_2069 Depth=3
	s_mov_b32 s76, exec_lo
                                        ; implicit-def: $vgpr101
	v_cmpx_ne_u64_e32 0, v[4:5]
	s_xor_b32 s76, exec_lo, s76
; %bb.2313:                             ;   in Loop: Header=BB4_2069 Depth=3
	v_or_b32_e32 v101, 0x7f, v2
                                        ; implicit-def: $vgpr8
; %bb.2314:                             ;   in Loop: Header=BB4_2069 Depth=3
	s_and_not1_saveexec_b32 s76, s76
; %bb.2315:                             ;   in Loop: Header=BB4_2069 Depth=3
	v_cmp_lt_i32_e32 vcc_lo, -1, v8
	v_cndmask_b32_e32 v101, 0xfc, v49, vcc_lo
; %bb.2316:                             ;   in Loop: Header=BB4_2069 Depth=3
	s_or_b32 exec_lo, exec_lo, s76
.LBB4_2317:                             ;   in Loop: Header=BB4_2069 Depth=3
	s_delay_alu instid0(SALU_CYCLE_1) | instskip(SKIP_1) | instid1(VALU_DEP_1)
	s_or_b32 exec_lo, exec_lo, s14
	v_and_b32_e32 v2, 0xff, v10
	v_cmp_ne_u16_e32 vcc_lo, 0, v2
	v_mov_b32_e32 v2, 0
	s_and_saveexec_b32 s14, vcc_lo
	s_cbranch_execz .LBB4_2327
; %bb.2318:                             ;   in Loop: Header=BB4_2069 Depth=3
	v_bfe_i32 v5, v10, 0, 8
	v_bfrev_b32_e32 v2, 1
	s_mov_b32 s76, exec_lo
	s_delay_alu instid0(VALU_DEP_2)
	v_cmpx_ne_u16_e32 0xff80, v5
	s_cbranch_execz .LBB4_2326
; %bb.2319:                             ;   in Loop: Header=BB4_2069 Depth=3
	v_and_b32_e32 v2, 0x7c, v10
	v_and_b32_e32 v4, 3, v10
	s_delay_alu instid0(VALU_DEP_2) | instskip(SKIP_1) | instid1(SALU_CYCLE_1)
	v_cmp_ne_u32_e32 vcc_lo, 0x7c, v2
                                        ; implicit-def: $vgpr2
	s_and_saveexec_b32 s77, vcc_lo
	s_xor_b32 s77, exec_lo, s77
	s_cbranch_execz .LBB4_2323
; %bb.2320:                             ;   in Loop: Header=BB4_2069 Depth=3
	v_bfe_u32 v2, v10, 2, 5
	s_mov_b32 s78, exec_lo
	s_delay_alu instid0(VALU_DEP_1)
	v_cmpx_eq_u32_e32 0, v2
; %bb.2321:                             ;   in Loop: Header=BB4_2069 Depth=3
	v_clz_i32_u32_e32 v2, v4
	s_delay_alu instid0(VALU_DEP_1) | instskip(NEXT) | instid1(VALU_DEP_1)
	v_min_u32_e32 v2, 32, v2
	v_subrev_nc_u32_e32 v4, 29, v2
	s_delay_alu instid0(VALU_DEP_1) | instskip(NEXT) | instid1(VALU_DEP_1)
	v_lshlrev_b64_e32 v[4:5], v4, v[10:11]
	v_dual_sub_nc_u32 v2, 30, v2 :: v_dual_bitop2_b32 v4, 3, v4 bitop3:0x40
; %bb.2322:                             ;   in Loop: Header=BB4_2069 Depth=3
	s_or_b32 exec_lo, exec_lo, s78
	v_lshlrev_b32_e32 v5, 24, v10
	s_delay_alu instid0(VALU_DEP_1) | instskip(NEXT) | instid1(VALU_DEP_1)
	v_and_b32_e32 v5, 0x80000000, v5
	v_lshl_add_u32 v2, v2, 23, v5
                                        ; implicit-def: $vgpr5
	s_delay_alu instid0(VALU_DEP_1) | instskip(NEXT) | instid1(VALU_DEP_1)
	v_lshl_or_b32 v2, v4, 21, v2
                                        ; implicit-def: $vgpr4
	v_add_nc_u32_e32 v2, 0x38000000, v2
.LBB4_2323:                             ;   in Loop: Header=BB4_2069 Depth=3
	s_and_not1_saveexec_b32 s77, s77
; %bb.2324:                             ;   in Loop: Header=BB4_2069 Depth=3
	v_cmp_lt_i16_e32 vcc_lo, -1, v5
	v_cndmask_b32_e32 v2, 0xff800000, v48, vcc_lo
	v_cmp_eq_u32_e32 vcc_lo, 0, v4
	s_delay_alu instid0(VALU_DEP_2)
	v_cndmask_b32_e32 v2, 0x7f800001, v2, vcc_lo
; %bb.2325:                             ;   in Loop: Header=BB4_2069 Depth=3
	s_or_b32 exec_lo, exec_lo, s77
.LBB4_2326:                             ;   in Loop: Header=BB4_2069 Depth=3
	s_delay_alu instid0(SALU_CYCLE_1)
	s_or_b32 exec_lo, exec_lo, s76
.LBB4_2327:                             ;   in Loop: Header=BB4_2069 Depth=3
	s_delay_alu instid0(SALU_CYCLE_1) | instskip(NEXT) | instid1(VALU_DEP_1)
	s_or_b32 exec_lo, exec_lo, s14
	v_dual_mul_f32 v8, s75, v2 :: v_dual_mov_b32 v17, v3
	v_mov_b32_e32 v5, v3
                                        ; implicit-def: $vgpr102
	s_mov_b32 s14, exec_lo
	s_delay_alu instid0(VALU_DEP_2) | instskip(SKIP_2) | instid1(VALU_DEP_3)
	v_and_b32_e32 v16, 0x7f800000, v8
	v_and_b32_e32 v4, 0x7fffff, v8
	v_lshrrev_b32_e32 v2, 24, v8
	v_cmpx_ne_u64_e32 0x7f800000, v[16:17]
	s_xor_b32 s76, exec_lo, s14
	s_cbranch_execz .LBB4_2341
; %bb.2328:                             ;   in Loop: Header=BB4_2069 Depth=3
	v_and_b32_e32 v16, 0x7fffffff, v8
	v_mov_b32_e32 v17, v3
	v_and_b32_e32 v2, 0x80, v2
                                        ; implicit-def: $vgpr102
	s_mov_b32 s14, exec_lo
	s_delay_alu instid0(VALU_DEP_2)
	v_cmpx_gt_u64_e32 0x47600001, v[16:17]
	s_xor_b32 s77, exec_lo, s14
	s_cbranch_execz .LBB4_2338
; %bb.2329:                             ;   in Loop: Header=BB4_2069 Depth=3
	v_mov_b32_e32 v102, 0
	s_mov_b32 s78, exec_lo
	v_cmpx_ne_u32_e32 0, v8
	s_cbranch_execz .LBB4_2337
; %bb.2330:                             ;   in Loop: Header=BB4_2069 Depth=3
	v_bfe_u32 v16, v8, 23, 8
	v_or_b32_e32 v86, 0x800000, v4
	s_delay_alu instid0(VALU_DEP_2) | instskip(SKIP_1) | instid1(VALU_DEP_2)
	v_sub_nc_u32_e32 v8, 0x71, v16
	v_cmp_gt_u32_e32 vcc_lo, 0x72, v16
	v_cndmask_b32_e32 v8, 0, v8, vcc_lo
	v_cmp_eq_u32_e32 vcc_lo, 0, v16
	s_delay_alu instid0(VALU_DEP_2) | instskip(NEXT) | instid1(VALU_DEP_1)
	v_cndmask_b32_e64 v17, v8, 0x70, vcc_lo
	v_dual_cndmask_b32 v4, v86, v4, vcc_lo :: v_dual_add_nc_u32 v8, 21, v17
	v_add_nc_u32_e32 v87, 20, v17
	s_delay_alu instid0(VALU_DEP_2) | instskip(NEXT) | instid1(VALU_DEP_2)
	v_lshlrev_b64_e64 v[8:9], v8, -1
	v_lshlrev_b64_e64 v[86:87], v87, 1
	s_delay_alu instid0(VALU_DEP_2) | instskip(SKIP_1) | instid1(VALU_DEP_4)
	v_bfi_b32 v8, v8, 0, v4
	v_lshrrev_b64 v[4:5], v17, v[4:5]
	v_bfi_b32 v9, v9, 0, 0
	s_delay_alu instid0(VALU_DEP_1) | instskip(NEXT) | instid1(VALU_DEP_3)
	v_cmp_eq_u64_e64 s14, v[8:9], v[86:87]
	v_mov_b64_e32 v[8:9], v[4:5]
	s_and_saveexec_b32 s79, s14
; %bb.2331:                             ;   in Loop: Header=BB4_2069 Depth=3
	v_bfe_u32 v8, v4, 21, 1
	v_mov_b32_e32 v9, v3
	s_delay_alu instid0(VALU_DEP_1) | instskip(NEXT) | instid1(VALU_DEP_1)
	v_add_nc_u64_e32 v[8:9], v[4:5], v[8:9]
	v_add_nc_u64_e32 v[8:9], -1, v[8:9]
; %bb.2332:                             ;   in Loop: Header=BB4_2069 Depth=3
	s_or_b32 exec_lo, exec_lo, s79
	v_add_nc_u32_e32 v5, 0xffffff81, v16
	v_lshrrev_b32_e32 v9, 23, v4
	s_mov_b32 s14, exec_lo
	s_delay_alu instid0(VALU_DEP_2) | instskip(NEXT) | instid1(VALU_DEP_1)
	v_cndmask_b32_e64 v5, v5, 0xffffff82, vcc_lo
	v_add3_u32 v9, v17, v5, v9
	v_and_b32_e32 v5, 0x1fffff, v8
                                        ; implicit-def: $vgpr8
	s_delay_alu instid0(VALU_DEP_1) | instskip(SKIP_1) | instid1(VALU_DEP_2)
	v_dual_add_nc_u32 v16, 14, v9 :: v_dual_add_nc_u32 v4, v5, v4
	v_mov_b32_e32 v5, v3
	v_cmpx_ne_u32_e32 0, v16
	s_xor_b32 s14, exec_lo, s14
; %bb.2333:                             ;   in Loop: Header=BB4_2069 Depth=3
	s_delay_alu instid0(VALU_DEP_2) | instskip(SKIP_2) | instid1(VALU_DEP_2)
	v_cmp_lt_u64_e32 vcc_lo, 0xffffff, v[4:5]
	v_add_nc_u32_e32 v8, 15, v9
	v_cndmask_b32_e64 v9, 0, 1, vcc_lo
	v_cndmask_b32_e32 v8, v16, v8, vcc_lo
	s_delay_alu instid0(VALU_DEP_2)
	v_lshrrev_b64 v[4:5], v9, v[4:5]
; %bb.2334:                             ;   in Loop: Header=BB4_2069 Depth=3
	s_and_not1_saveexec_b32 s14, s14
; %bb.2335:                             ;   in Loop: Header=BB4_2069 Depth=3
	s_delay_alu instid0(VALU_DEP_1)
	v_bfe_u32 v8, v4, 23, 1
; %bb.2336:                             ;   in Loop: Header=BB4_2069 Depth=3
	s_or_b32 exec_lo, exec_lo, s14
	s_delay_alu instid0(VALU_DEP_2) | instskip(NEXT) | instid1(VALU_DEP_2)
	v_lshrrev_b64 v[4:5], 21, v[4:5]
	v_cmp_gt_i32_e32 vcc_lo, 32, v8
	v_min_i32_e32 v9, 31, v8
	v_cmp_eq_u32_e64 s14, 0, v8
	s_delay_alu instid0(VALU_DEP_4) | instskip(NEXT) | instid1(VALU_DEP_3)
	v_cndmask_b32_e32 v5, 0, v5, vcc_lo
	v_dual_cndmask_b32 v4, 3, v4 :: v_dual_lshlrev_b32 v9, 2, v9
	s_delay_alu instid0(VALU_DEP_1) | instskip(NEXT) | instid1(VALU_DEP_2)
	v_and_b32_e32 v9, 0xfc, v9
	v_cmp_eq_u64_e32 vcc_lo, 0, v[4:5]
	s_delay_alu instid0(VALU_DEP_2)
	v_and_or_b32 v4, v4, 3, v9
	s_and_b32 s14, s14, vcc_lo
	s_delay_alu instid0(VALU_DEP_1) | instid1(SALU_CYCLE_1)
	v_cndmask_b32_e64 v4, v4, 0, s14
	s_delay_alu instid0(VALU_DEP_1)
	v_or_b32_e32 v102, v4, v2
.LBB4_2337:                             ;   in Loop: Header=BB4_2069 Depth=3
	s_or_b32 exec_lo, exec_lo, s78
                                        ; implicit-def: $vgpr2
.LBB4_2338:                             ;   in Loop: Header=BB4_2069 Depth=3
	s_and_not1_saveexec_b32 s14, s77
; %bb.2339:                             ;   in Loop: Header=BB4_2069 Depth=3
	v_or_b32_e32 v102, 0x7b, v2
; %bb.2340:                             ;   in Loop: Header=BB4_2069 Depth=3
	s_or_b32 exec_lo, exec_lo, s14
                                        ; implicit-def: $vgpr8
                                        ; implicit-def: $vgpr4_vgpr5
                                        ; implicit-def: $vgpr2
.LBB4_2341:                             ;   in Loop: Header=BB4_2069 Depth=3
	s_and_not1_saveexec_b32 s14, s76
	s_cbranch_execz .LBB4_2347
; %bb.2342:                             ;   in Loop: Header=BB4_2069 Depth=3
	s_mov_b32 s76, exec_lo
                                        ; implicit-def: $vgpr102
	v_cmpx_ne_u64_e32 0, v[4:5]
	s_xor_b32 s76, exec_lo, s76
; %bb.2343:                             ;   in Loop: Header=BB4_2069 Depth=3
	v_or_b32_e32 v102, 0x7f, v2
                                        ; implicit-def: $vgpr8
; %bb.2344:                             ;   in Loop: Header=BB4_2069 Depth=3
	s_and_not1_saveexec_b32 s76, s76
; %bb.2345:                             ;   in Loop: Header=BB4_2069 Depth=3
	v_cmp_lt_i32_e32 vcc_lo, -1, v8
	v_cndmask_b32_e32 v102, 0xfc, v49, vcc_lo
; %bb.2346:                             ;   in Loop: Header=BB4_2069 Depth=3
	s_or_b32 exec_lo, exec_lo, s76
.LBB4_2347:                             ;   in Loop: Header=BB4_2069 Depth=3
	s_delay_alu instid0(SALU_CYCLE_1) | instskip(SKIP_3) | instid1(VALU_DEP_2)
	s_or_b32 exec_lo, exec_lo, s14
	v_lshrrev_b16 v4, 8, v10
	v_mov_b32_e32 v5, 0
	s_mov_b32 s14, exec_lo
	v_cmpx_ne_u16_e32 0, v4
	s_cbranch_execz .LBB4_2357
; %bb.2348:                             ;   in Loop: Header=BB4_2069 Depth=3
	v_bfrev_b32_e32 v5, 1
	s_mov_b32 s76, exec_lo
	v_cmpx_ne_u16_e32 0x80, v4
	s_cbranch_execz .LBB4_2356
; %bb.2349:                             ;   in Loop: Header=BB4_2069 Depth=3
	v_and_b32_e32 v8, 0xffff, v4
	s_delay_alu instid0(VALU_DEP_1) | instskip(SKIP_1) | instid1(VALU_DEP_2)
	v_and_b32_e32 v5, 0x7c, v8
	v_and_b32_e32 v2, 3, v8
	v_cmp_ne_u32_e32 vcc_lo, 0x7c, v5
                                        ; implicit-def: $vgpr5
	s_and_saveexec_b32 s77, vcc_lo
	s_delay_alu instid0(SALU_CYCLE_1)
	s_xor_b32 s77, exec_lo, s77
	s_cbranch_execz .LBB4_2353
; %bb.2350:                             ;   in Loop: Header=BB4_2069 Depth=3
	v_bfe_u32 v5, v8, 2, 5
	s_mov_b32 s78, exec_lo
	s_delay_alu instid0(VALU_DEP_1)
	v_cmpx_eq_u32_e32 0, v5
; %bb.2351:                             ;   in Loop: Header=BB4_2069 Depth=3
	v_clz_i32_u32_e32 v2, v2
	v_mov_b32_e32 v5, v3
	s_delay_alu instid0(VALU_DEP_2) | instskip(NEXT) | instid1(VALU_DEP_1)
	v_min_u32_e32 v2, 32, v2
	v_subrev_nc_u32_e32 v8, 29, v2
	s_delay_alu instid0(VALU_DEP_1) | instskip(NEXT) | instid1(VALU_DEP_1)
	v_lshlrev_b64_e32 v[4:5], v8, v[4:5]
	v_dual_sub_nc_u32 v5, 30, v2 :: v_dual_bitop2_b32 v2, 3, v4 bitop3:0x40
; %bb.2352:                             ;   in Loop: Header=BB4_2069 Depth=3
	s_or_b32 exec_lo, exec_lo, s78
	v_lshlrev_b32_e32 v4, 16, v10
	s_delay_alu instid0(VALU_DEP_1) | instskip(NEXT) | instid1(VALU_DEP_1)
	v_and_b32_e32 v4, 0x80000000, v4
	v_lshl_add_u32 v4, v5, 23, v4
	s_delay_alu instid0(VALU_DEP_1) | instskip(NEXT) | instid1(VALU_DEP_1)
	v_lshl_or_b32 v2, v2, 21, v4
	v_add_nc_u32_e32 v5, 0x38000000, v2
                                        ; implicit-def: $vgpr2
.LBB4_2353:                             ;   in Loop: Header=BB4_2069 Depth=3
	s_and_not1_saveexec_b32 s77, s77
; %bb.2354:                             ;   in Loop: Header=BB4_2069 Depth=3
	v_cmp_lt_i16_e32 vcc_lo, -1, v10
	v_cndmask_b32_e32 v4, 0xff800000, v48, vcc_lo
	v_cmp_eq_u32_e32 vcc_lo, 0, v2
	s_delay_alu instid0(VALU_DEP_2)
	v_cndmask_b32_e32 v5, 0x7f800001, v4, vcc_lo
; %bb.2355:                             ;   in Loop: Header=BB4_2069 Depth=3
	s_or_b32 exec_lo, exec_lo, s77
.LBB4_2356:                             ;   in Loop: Header=BB4_2069 Depth=3
	s_delay_alu instid0(SALU_CYCLE_1)
	s_or_b32 exec_lo, exec_lo, s76
.LBB4_2357:                             ;   in Loop: Header=BB4_2069 Depth=3
	s_delay_alu instid0(SALU_CYCLE_1) | instskip(NEXT) | instid1(VALU_DEP_1)
	s_or_b32 exec_lo, exec_lo, s14
	v_dual_mul_f32 v8, s75, v5 :: v_dual_mov_b32 v17, v3
	v_mov_b32_e32 v5, v3
                                        ; implicit-def: $vgpr103
	s_mov_b32 s14, exec_lo
	s_delay_alu instid0(VALU_DEP_2) | instskip(SKIP_2) | instid1(VALU_DEP_3)
	v_and_b32_e32 v16, 0x7f800000, v8
	v_and_b32_e32 v4, 0x7fffff, v8
	v_lshrrev_b32_e32 v2, 24, v8
	v_cmpx_ne_u64_e32 0x7f800000, v[16:17]
	s_xor_b32 s76, exec_lo, s14
	s_cbranch_execz .LBB4_2371
; %bb.2358:                             ;   in Loop: Header=BB4_2069 Depth=3
	v_and_b32_e32 v16, 0x7fffffff, v8
	v_mov_b32_e32 v17, v3
	v_and_b32_e32 v2, 0x80, v2
                                        ; implicit-def: $vgpr103
	s_mov_b32 s14, exec_lo
	s_delay_alu instid0(VALU_DEP_2)
	v_cmpx_gt_u64_e32 0x47600001, v[16:17]
	s_xor_b32 s77, exec_lo, s14
	s_cbranch_execz .LBB4_2368
; %bb.2359:                             ;   in Loop: Header=BB4_2069 Depth=3
	v_mov_b32_e32 v103, 0
	s_mov_b32 s78, exec_lo
	v_cmpx_ne_u32_e32 0, v8
	s_cbranch_execz .LBB4_2367
; %bb.2360:                             ;   in Loop: Header=BB4_2069 Depth=3
	v_bfe_u32 v16, v8, 23, 8
	v_or_b32_e32 v86, 0x800000, v4
	s_delay_alu instid0(VALU_DEP_2) | instskip(SKIP_1) | instid1(VALU_DEP_2)
	v_sub_nc_u32_e32 v8, 0x71, v16
	v_cmp_gt_u32_e32 vcc_lo, 0x72, v16
	v_cndmask_b32_e32 v8, 0, v8, vcc_lo
	v_cmp_eq_u32_e32 vcc_lo, 0, v16
	s_delay_alu instid0(VALU_DEP_2) | instskip(NEXT) | instid1(VALU_DEP_1)
	v_cndmask_b32_e64 v17, v8, 0x70, vcc_lo
	v_dual_cndmask_b32 v4, v86, v4, vcc_lo :: v_dual_add_nc_u32 v8, 21, v17
	v_add_nc_u32_e32 v87, 20, v17
	s_delay_alu instid0(VALU_DEP_2) | instskip(NEXT) | instid1(VALU_DEP_2)
	v_lshlrev_b64_e64 v[8:9], v8, -1
	v_lshlrev_b64_e64 v[86:87], v87, 1
	s_delay_alu instid0(VALU_DEP_2) | instskip(SKIP_1) | instid1(VALU_DEP_4)
	v_bfi_b32 v8, v8, 0, v4
	v_lshrrev_b64 v[4:5], v17, v[4:5]
	v_bfi_b32 v9, v9, 0, 0
	s_delay_alu instid0(VALU_DEP_1) | instskip(NEXT) | instid1(VALU_DEP_3)
	v_cmp_eq_u64_e64 s14, v[8:9], v[86:87]
	v_mov_b64_e32 v[8:9], v[4:5]
	s_and_saveexec_b32 s79, s14
; %bb.2361:                             ;   in Loop: Header=BB4_2069 Depth=3
	v_bfe_u32 v8, v4, 21, 1
	v_mov_b32_e32 v9, v3
	s_delay_alu instid0(VALU_DEP_1) | instskip(NEXT) | instid1(VALU_DEP_1)
	v_add_nc_u64_e32 v[8:9], v[4:5], v[8:9]
	v_add_nc_u64_e32 v[8:9], -1, v[8:9]
; %bb.2362:                             ;   in Loop: Header=BB4_2069 Depth=3
	s_or_b32 exec_lo, exec_lo, s79
	v_add_nc_u32_e32 v5, 0xffffff81, v16
	v_lshrrev_b32_e32 v9, 23, v4
	s_mov_b32 s14, exec_lo
	s_delay_alu instid0(VALU_DEP_2) | instskip(NEXT) | instid1(VALU_DEP_1)
	v_cndmask_b32_e64 v5, v5, 0xffffff82, vcc_lo
	v_add3_u32 v9, v17, v5, v9
	v_and_b32_e32 v5, 0x1fffff, v8
                                        ; implicit-def: $vgpr8
	s_delay_alu instid0(VALU_DEP_1) | instskip(SKIP_1) | instid1(VALU_DEP_2)
	v_dual_add_nc_u32 v16, 14, v9 :: v_dual_add_nc_u32 v4, v5, v4
	v_mov_b32_e32 v5, v3
	v_cmpx_ne_u32_e32 0, v16
	s_xor_b32 s14, exec_lo, s14
; %bb.2363:                             ;   in Loop: Header=BB4_2069 Depth=3
	s_delay_alu instid0(VALU_DEP_2) | instskip(SKIP_2) | instid1(VALU_DEP_2)
	v_cmp_lt_u64_e32 vcc_lo, 0xffffff, v[4:5]
	v_add_nc_u32_e32 v8, 15, v9
	v_cndmask_b32_e64 v9, 0, 1, vcc_lo
	v_cndmask_b32_e32 v8, v16, v8, vcc_lo
	s_delay_alu instid0(VALU_DEP_2)
	v_lshrrev_b64 v[4:5], v9, v[4:5]
; %bb.2364:                             ;   in Loop: Header=BB4_2069 Depth=3
	s_and_not1_saveexec_b32 s14, s14
; %bb.2365:                             ;   in Loop: Header=BB4_2069 Depth=3
	s_delay_alu instid0(VALU_DEP_1)
	v_bfe_u32 v8, v4, 23, 1
; %bb.2366:                             ;   in Loop: Header=BB4_2069 Depth=3
	s_or_b32 exec_lo, exec_lo, s14
	s_delay_alu instid0(VALU_DEP_2) | instskip(NEXT) | instid1(VALU_DEP_2)
	v_lshrrev_b64 v[4:5], 21, v[4:5]
	v_cmp_gt_i32_e32 vcc_lo, 32, v8
	v_min_i32_e32 v9, 31, v8
	v_cmp_eq_u32_e64 s14, 0, v8
	s_delay_alu instid0(VALU_DEP_4) | instskip(NEXT) | instid1(VALU_DEP_3)
	v_cndmask_b32_e32 v5, 0, v5, vcc_lo
	v_dual_cndmask_b32 v4, 3, v4 :: v_dual_lshlrev_b32 v9, 2, v9
	s_delay_alu instid0(VALU_DEP_1) | instskip(NEXT) | instid1(VALU_DEP_2)
	v_and_b32_e32 v9, 0xfc, v9
	v_cmp_eq_u64_e32 vcc_lo, 0, v[4:5]
	s_delay_alu instid0(VALU_DEP_2)
	v_and_or_b32 v4, v4, 3, v9
	s_and_b32 s14, s14, vcc_lo
	s_delay_alu instid0(VALU_DEP_1) | instid1(SALU_CYCLE_1)
	v_cndmask_b32_e64 v4, v4, 0, s14
	s_delay_alu instid0(VALU_DEP_1)
	v_or_b32_e32 v103, v4, v2
.LBB4_2367:                             ;   in Loop: Header=BB4_2069 Depth=3
	s_or_b32 exec_lo, exec_lo, s78
                                        ; implicit-def: $vgpr2
.LBB4_2368:                             ;   in Loop: Header=BB4_2069 Depth=3
	s_and_not1_saveexec_b32 s14, s77
; %bb.2369:                             ;   in Loop: Header=BB4_2069 Depth=3
	v_or_b32_e32 v103, 0x7b, v2
; %bb.2370:                             ;   in Loop: Header=BB4_2069 Depth=3
	s_or_b32 exec_lo, exec_lo, s14
                                        ; implicit-def: $vgpr8
                                        ; implicit-def: $vgpr4_vgpr5
                                        ; implicit-def: $vgpr2
.LBB4_2371:                             ;   in Loop: Header=BB4_2069 Depth=3
	s_and_not1_saveexec_b32 s14, s76
	s_cbranch_execz .LBB4_2377
; %bb.2372:                             ;   in Loop: Header=BB4_2069 Depth=3
	s_mov_b32 s76, exec_lo
                                        ; implicit-def: $vgpr103
	v_cmpx_ne_u64_e32 0, v[4:5]
	s_xor_b32 s76, exec_lo, s76
; %bb.2373:                             ;   in Loop: Header=BB4_2069 Depth=3
	v_or_b32_e32 v103, 0x7f, v2
                                        ; implicit-def: $vgpr8
; %bb.2374:                             ;   in Loop: Header=BB4_2069 Depth=3
	s_and_not1_saveexec_b32 s76, s76
; %bb.2375:                             ;   in Loop: Header=BB4_2069 Depth=3
	v_cmp_lt_i32_e32 vcc_lo, -1, v8
	v_cndmask_b32_e32 v103, 0xfc, v49, vcc_lo
; %bb.2376:                             ;   in Loop: Header=BB4_2069 Depth=3
	s_or_b32 exec_lo, exec_lo, s76
.LBB4_2377:                             ;   in Loop: Header=BB4_2069 Depth=3
	s_delay_alu instid0(SALU_CYCLE_1) | instskip(SKIP_2) | instid1(VALU_DEP_1)
	s_or_b32 exec_lo, exec_lo, s14
	v_dual_lshrrev_b32 v2, 16, v10 :: v_dual_mov_b32 v4, 0
	s_mov_b32 s14, exec_lo
	v_and_b32_e32 v5, 0xff, v2
	s_delay_alu instid0(VALU_DEP_1)
	v_cmpx_ne_u16_e32 0, v5
	s_cbranch_execz .LBB4_2387
; %bb.2378:                             ;   in Loop: Header=BB4_2069 Depth=3
	v_bfrev_b32_e32 v4, 1
	s_mov_b32 s76, exec_lo
	v_cmpx_ne_u16_e32 0x80, v5
	s_cbranch_execz .LBB4_2386
; %bb.2379:                             ;   in Loop: Header=BB4_2069 Depth=3
	v_and_b32_e32 v4, 0x7c0000, v10
	v_bfe_u32 v5, v10, 16, 2
	s_delay_alu instid0(VALU_DEP_2) | instskip(SKIP_1) | instid1(SALU_CYCLE_1)
	v_cmp_ne_u32_e32 vcc_lo, 0x7c0000, v4
                                        ; implicit-def: $vgpr4
	s_and_saveexec_b32 s77, vcc_lo
	s_xor_b32 s77, exec_lo, s77
	s_cbranch_execz .LBB4_2383
; %bb.2380:                             ;   in Loop: Header=BB4_2069 Depth=3
	v_bfe_u32 v4, v10, 18, 5
	s_mov_b32 s78, exec_lo
	s_delay_alu instid0(VALU_DEP_1)
	v_cmpx_eq_u32_e32 0, v4
; %bb.2381:                             ;   in Loop: Header=BB4_2069 Depth=3
	v_clz_i32_u32_e32 v4, v5
	s_delay_alu instid0(VALU_DEP_1) | instskip(NEXT) | instid1(VALU_DEP_1)
	v_min_u32_e32 v4, 32, v4
	v_subrev_nc_u32_e32 v5, 29, v4
	v_sub_nc_u32_e32 v4, 30, v4
	s_delay_alu instid0(VALU_DEP_2) | instskip(NEXT) | instid1(VALU_DEP_1)
	v_lshlrev_b64_e32 v[8:9], v5, v[2:3]
	v_and_b32_e32 v5, 3, v8
; %bb.2382:                             ;   in Loop: Header=BB4_2069 Depth=3
	s_or_b32 exec_lo, exec_lo, s78
	v_lshlrev_b32_e32 v2, 24, v2
	s_delay_alu instid0(VALU_DEP_1) | instskip(NEXT) | instid1(VALU_DEP_1)
	v_and_b32_e32 v2, 0x80000000, v2
	v_lshl_add_u32 v2, v4, 23, v2
	s_delay_alu instid0(VALU_DEP_1) | instskip(NEXT) | instid1(VALU_DEP_1)
	v_lshl_or_b32 v2, v5, 21, v2
                                        ; implicit-def: $vgpr5
	v_add_nc_u32_e32 v4, 0x38000000, v2
                                        ; implicit-def: $vgpr2
.LBB4_2383:                             ;   in Loop: Header=BB4_2069 Depth=3
	s_and_not1_saveexec_b32 s77, s77
; %bb.2384:                             ;   in Loop: Header=BB4_2069 Depth=3
	v_bfe_i32 v2, v2, 0, 8
	s_delay_alu instid0(VALU_DEP_1) | instskip(SKIP_2) | instid1(VALU_DEP_2)
	v_cmp_lt_i16_e32 vcc_lo, -1, v2
	v_cndmask_b32_e32 v2, 0xff800000, v48, vcc_lo
	v_cmp_eq_u32_e32 vcc_lo, 0, v5
	v_cndmask_b32_e32 v4, 0x7f800001, v2, vcc_lo
; %bb.2385:                             ;   in Loop: Header=BB4_2069 Depth=3
	s_or_b32 exec_lo, exec_lo, s77
.LBB4_2386:                             ;   in Loop: Header=BB4_2069 Depth=3
	s_delay_alu instid0(SALU_CYCLE_1)
	s_or_b32 exec_lo, exec_lo, s76
.LBB4_2387:                             ;   in Loop: Header=BB4_2069 Depth=3
	s_delay_alu instid0(SALU_CYCLE_1) | instskip(NEXT) | instid1(VALU_DEP_1)
	s_or_b32 exec_lo, exec_lo, s14
	v_dual_mul_f32 v8, s75, v4 :: v_dual_mov_b32 v17, v3
	v_mov_b32_e32 v5, v3
                                        ; implicit-def: $vgpr112
	s_mov_b32 s14, exec_lo
	s_delay_alu instid0(VALU_DEP_2) | instskip(SKIP_2) | instid1(VALU_DEP_3)
	v_and_b32_e32 v16, 0x7f800000, v8
	v_and_b32_e32 v4, 0x7fffff, v8
	v_lshrrev_b32_e32 v2, 24, v8
	v_cmpx_ne_u64_e32 0x7f800000, v[16:17]
	s_xor_b32 s76, exec_lo, s14
	s_cbranch_execz .LBB4_2401
; %bb.2388:                             ;   in Loop: Header=BB4_2069 Depth=3
	v_and_b32_e32 v16, 0x7fffffff, v8
	v_mov_b32_e32 v17, v3
	v_and_b32_e32 v2, 0x80, v2
                                        ; implicit-def: $vgpr112
	s_mov_b32 s14, exec_lo
	s_delay_alu instid0(VALU_DEP_2)
	v_cmpx_gt_u64_e32 0x47600001, v[16:17]
	s_xor_b32 s77, exec_lo, s14
	s_cbranch_execz .LBB4_2398
; %bb.2389:                             ;   in Loop: Header=BB4_2069 Depth=3
	v_mov_b32_e32 v112, 0
	s_mov_b32 s78, exec_lo
	v_cmpx_ne_u32_e32 0, v8
	s_cbranch_execz .LBB4_2397
; %bb.2390:                             ;   in Loop: Header=BB4_2069 Depth=3
	v_bfe_u32 v16, v8, 23, 8
	v_or_b32_e32 v86, 0x800000, v4
	s_delay_alu instid0(VALU_DEP_2) | instskip(SKIP_1) | instid1(VALU_DEP_2)
	v_sub_nc_u32_e32 v8, 0x71, v16
	v_cmp_gt_u32_e32 vcc_lo, 0x72, v16
	v_cndmask_b32_e32 v8, 0, v8, vcc_lo
	v_cmp_eq_u32_e32 vcc_lo, 0, v16
	s_delay_alu instid0(VALU_DEP_2) | instskip(NEXT) | instid1(VALU_DEP_1)
	v_cndmask_b32_e64 v17, v8, 0x70, vcc_lo
	v_dual_cndmask_b32 v4, v86, v4, vcc_lo :: v_dual_add_nc_u32 v8, 21, v17
	v_add_nc_u32_e32 v87, 20, v17
	s_delay_alu instid0(VALU_DEP_2) | instskip(NEXT) | instid1(VALU_DEP_2)
	v_lshlrev_b64_e64 v[8:9], v8, -1
	v_lshlrev_b64_e64 v[86:87], v87, 1
	s_delay_alu instid0(VALU_DEP_2) | instskip(SKIP_1) | instid1(VALU_DEP_4)
	v_bfi_b32 v8, v8, 0, v4
	v_lshrrev_b64 v[4:5], v17, v[4:5]
	v_bfi_b32 v9, v9, 0, 0
	s_delay_alu instid0(VALU_DEP_1) | instskip(NEXT) | instid1(VALU_DEP_3)
	v_cmp_eq_u64_e64 s14, v[8:9], v[86:87]
	v_mov_b64_e32 v[8:9], v[4:5]
	s_and_saveexec_b32 s79, s14
; %bb.2391:                             ;   in Loop: Header=BB4_2069 Depth=3
	v_bfe_u32 v8, v4, 21, 1
	v_mov_b32_e32 v9, v3
	s_delay_alu instid0(VALU_DEP_1) | instskip(NEXT) | instid1(VALU_DEP_1)
	v_add_nc_u64_e32 v[8:9], v[4:5], v[8:9]
	v_add_nc_u64_e32 v[8:9], -1, v[8:9]
; %bb.2392:                             ;   in Loop: Header=BB4_2069 Depth=3
	s_or_b32 exec_lo, exec_lo, s79
	v_add_nc_u32_e32 v5, 0xffffff81, v16
	v_lshrrev_b32_e32 v9, 23, v4
	s_mov_b32 s14, exec_lo
	s_delay_alu instid0(VALU_DEP_2) | instskip(NEXT) | instid1(VALU_DEP_1)
	v_cndmask_b32_e64 v5, v5, 0xffffff82, vcc_lo
	v_add3_u32 v9, v17, v5, v9
	v_and_b32_e32 v5, 0x1fffff, v8
                                        ; implicit-def: $vgpr8
	s_delay_alu instid0(VALU_DEP_1) | instskip(SKIP_1) | instid1(VALU_DEP_2)
	v_dual_add_nc_u32 v16, 14, v9 :: v_dual_add_nc_u32 v4, v5, v4
	v_mov_b32_e32 v5, v3
	v_cmpx_ne_u32_e32 0, v16
	s_xor_b32 s14, exec_lo, s14
; %bb.2393:                             ;   in Loop: Header=BB4_2069 Depth=3
	s_delay_alu instid0(VALU_DEP_2) | instskip(SKIP_2) | instid1(VALU_DEP_2)
	v_cmp_lt_u64_e32 vcc_lo, 0xffffff, v[4:5]
	v_add_nc_u32_e32 v8, 15, v9
	v_cndmask_b32_e64 v9, 0, 1, vcc_lo
	v_cndmask_b32_e32 v8, v16, v8, vcc_lo
	s_delay_alu instid0(VALU_DEP_2)
	v_lshrrev_b64 v[4:5], v9, v[4:5]
; %bb.2394:                             ;   in Loop: Header=BB4_2069 Depth=3
	s_and_not1_saveexec_b32 s14, s14
; %bb.2395:                             ;   in Loop: Header=BB4_2069 Depth=3
	s_delay_alu instid0(VALU_DEP_1)
	v_bfe_u32 v8, v4, 23, 1
; %bb.2396:                             ;   in Loop: Header=BB4_2069 Depth=3
	s_or_b32 exec_lo, exec_lo, s14
	s_delay_alu instid0(VALU_DEP_2) | instskip(NEXT) | instid1(VALU_DEP_2)
	v_lshrrev_b64 v[4:5], 21, v[4:5]
	v_cmp_gt_i32_e32 vcc_lo, 32, v8
	v_min_i32_e32 v9, 31, v8
	v_cmp_eq_u32_e64 s14, 0, v8
	s_delay_alu instid0(VALU_DEP_4) | instskip(NEXT) | instid1(VALU_DEP_3)
	v_cndmask_b32_e32 v5, 0, v5, vcc_lo
	v_dual_cndmask_b32 v4, 3, v4 :: v_dual_lshlrev_b32 v9, 2, v9
	s_delay_alu instid0(VALU_DEP_1) | instskip(NEXT) | instid1(VALU_DEP_2)
	v_and_b32_e32 v9, 0xfc, v9
	v_cmp_eq_u64_e32 vcc_lo, 0, v[4:5]
	s_delay_alu instid0(VALU_DEP_2)
	v_and_or_b32 v4, v4, 3, v9
	s_and_b32 s14, s14, vcc_lo
	s_delay_alu instid0(VALU_DEP_1) | instid1(SALU_CYCLE_1)
	v_cndmask_b32_e64 v4, v4, 0, s14
	s_delay_alu instid0(VALU_DEP_1)
	v_or_b32_e32 v112, v4, v2
.LBB4_2397:                             ;   in Loop: Header=BB4_2069 Depth=3
	s_or_b32 exec_lo, exec_lo, s78
                                        ; implicit-def: $vgpr2
.LBB4_2398:                             ;   in Loop: Header=BB4_2069 Depth=3
	s_and_not1_saveexec_b32 s14, s77
; %bb.2399:                             ;   in Loop: Header=BB4_2069 Depth=3
	v_or_b32_e32 v112, 0x7b, v2
; %bb.2400:                             ;   in Loop: Header=BB4_2069 Depth=3
	s_or_b32 exec_lo, exec_lo, s14
                                        ; implicit-def: $vgpr8
                                        ; implicit-def: $vgpr4_vgpr5
                                        ; implicit-def: $vgpr2
.LBB4_2401:                             ;   in Loop: Header=BB4_2069 Depth=3
	s_and_not1_saveexec_b32 s14, s76
	s_cbranch_execz .LBB4_2407
; %bb.2402:                             ;   in Loop: Header=BB4_2069 Depth=3
	s_mov_b32 s76, exec_lo
                                        ; implicit-def: $vgpr112
	v_cmpx_ne_u64_e32 0, v[4:5]
	s_xor_b32 s76, exec_lo, s76
; %bb.2403:                             ;   in Loop: Header=BB4_2069 Depth=3
	v_or_b32_e32 v112, 0x7f, v2
                                        ; implicit-def: $vgpr8
; %bb.2404:                             ;   in Loop: Header=BB4_2069 Depth=3
	s_and_not1_saveexec_b32 s76, s76
; %bb.2405:                             ;   in Loop: Header=BB4_2069 Depth=3
	v_cmp_lt_i32_e32 vcc_lo, -1, v8
	v_cndmask_b32_e32 v112, 0xfc, v49, vcc_lo
; %bb.2406:                             ;   in Loop: Header=BB4_2069 Depth=3
	s_or_b32 exec_lo, exec_lo, s76
.LBB4_2407:                             ;   in Loop: Header=BB4_2069 Depth=3
	s_delay_alu instid0(SALU_CYCLE_1)
	s_or_b32 exec_lo, exec_lo, s14
	v_mov_b32_e32 v4, 0
	s_mov_b32 s14, exec_lo
	v_cmpx_lt_u32_e32 0xffffff, v10
	s_cbranch_execz .LBB4_2417
; %bb.2408:                             ;   in Loop: Header=BB4_2069 Depth=3
	v_lshrrev_b32_e32 v2, 24, v10
	v_bfrev_b32_e32 v4, 1
	s_mov_b32 s76, exec_lo
	s_delay_alu instid0(VALU_DEP_2)
	v_cmpx_ne_u32_e32 0x80, v2
	s_cbranch_execz .LBB4_2416
; %bb.2409:                             ;   in Loop: Header=BB4_2069 Depth=3
	v_and_b32_e32 v4, 0x7c000000, v10
	v_bfe_u32 v5, v10, 24, 2
	s_delay_alu instid0(VALU_DEP_2) | instskip(SKIP_1) | instid1(SALU_CYCLE_1)
	v_cmp_ne_u32_e32 vcc_lo, 0x7c000000, v4
                                        ; implicit-def: $vgpr4
	s_and_saveexec_b32 s77, vcc_lo
	s_xor_b32 s77, exec_lo, s77
	s_cbranch_execz .LBB4_2413
; %bb.2410:                             ;   in Loop: Header=BB4_2069 Depth=3
	v_bfe_u32 v4, v10, 26, 5
	s_mov_b32 s78, exec_lo
	s_delay_alu instid0(VALU_DEP_1)
	v_cmpx_eq_u32_e32 0, v4
; %bb.2411:                             ;   in Loop: Header=BB4_2069 Depth=3
	v_clz_i32_u32_e32 v4, v5
	s_delay_alu instid0(VALU_DEP_1) | instskip(NEXT) | instid1(VALU_DEP_1)
	v_min_u32_e32 v4, 32, v4
	v_subrev_nc_u32_e32 v5, 29, v4
	v_sub_nc_u32_e32 v4, 30, v4
	s_delay_alu instid0(VALU_DEP_2) | instskip(NEXT) | instid1(VALU_DEP_1)
	v_lshlrev_b64_e32 v[8:9], v5, v[2:3]
	v_and_b32_e32 v5, 3, v8
; %bb.2412:                             ;   in Loop: Header=BB4_2069 Depth=3
	s_or_b32 exec_lo, exec_lo, s78
	v_and_b32_e32 v2, 0x80000000, v10
	s_delay_alu instid0(VALU_DEP_1) | instskip(NEXT) | instid1(VALU_DEP_1)
	v_lshl_add_u32 v2, v4, 23, v2
	v_lshl_or_b32 v2, v5, 21, v2
                                        ; implicit-def: $vgpr5
	s_delay_alu instid0(VALU_DEP_1)
	v_add_nc_u32_e32 v4, 0x38000000, v2
.LBB4_2413:                             ;   in Loop: Header=BB4_2069 Depth=3
	s_and_not1_saveexec_b32 s77, s77
; %bb.2414:                             ;   in Loop: Header=BB4_2069 Depth=3
	v_cmp_lt_i32_e32 vcc_lo, -1, v10
	v_cndmask_b32_e32 v2, 0xff800000, v48, vcc_lo
	v_cmp_eq_u32_e32 vcc_lo, 0, v5
	s_delay_alu instid0(VALU_DEP_2)
	v_cndmask_b32_e32 v4, 0x7f800001, v2, vcc_lo
; %bb.2415:                             ;   in Loop: Header=BB4_2069 Depth=3
	s_or_b32 exec_lo, exec_lo, s77
.LBB4_2416:                             ;   in Loop: Header=BB4_2069 Depth=3
	s_delay_alu instid0(SALU_CYCLE_1)
	s_or_b32 exec_lo, exec_lo, s76
.LBB4_2417:                             ;   in Loop: Header=BB4_2069 Depth=3
	s_delay_alu instid0(SALU_CYCLE_1) | instskip(NEXT) | instid1(VALU_DEP_1)
	s_or_b32 exec_lo, exec_lo, s14
	v_dual_mul_f32 v8, s75, v4 :: v_dual_mov_b32 v17, v3
	v_mov_b32_e32 v5, v3
                                        ; implicit-def: $vgpr113
	s_mov_b32 s14, exec_lo
	s_delay_alu instid0(VALU_DEP_2) | instskip(SKIP_2) | instid1(VALU_DEP_3)
	v_and_b32_e32 v16, 0x7f800000, v8
	v_and_b32_e32 v4, 0x7fffff, v8
	v_lshrrev_b32_e32 v2, 24, v8
	v_cmpx_ne_u64_e32 0x7f800000, v[16:17]
	s_xor_b32 s76, exec_lo, s14
	s_cbranch_execz .LBB4_2431
; %bb.2418:                             ;   in Loop: Header=BB4_2069 Depth=3
	v_and_b32_e32 v16, 0x7fffffff, v8
	v_mov_b32_e32 v17, v3
	v_and_b32_e32 v2, 0x80, v2
                                        ; implicit-def: $vgpr113
	s_mov_b32 s14, exec_lo
	s_delay_alu instid0(VALU_DEP_2)
	v_cmpx_gt_u64_e32 0x47600001, v[16:17]
	s_xor_b32 s77, exec_lo, s14
	s_cbranch_execz .LBB4_2428
; %bb.2419:                             ;   in Loop: Header=BB4_2069 Depth=3
	v_mov_b32_e32 v113, 0
	s_mov_b32 s78, exec_lo
	v_cmpx_ne_u32_e32 0, v8
	s_cbranch_execz .LBB4_2427
; %bb.2420:                             ;   in Loop: Header=BB4_2069 Depth=3
	v_bfe_u32 v16, v8, 23, 8
	v_or_b32_e32 v86, 0x800000, v4
	s_delay_alu instid0(VALU_DEP_2) | instskip(SKIP_1) | instid1(VALU_DEP_2)
	v_sub_nc_u32_e32 v8, 0x71, v16
	v_cmp_gt_u32_e32 vcc_lo, 0x72, v16
	v_cndmask_b32_e32 v8, 0, v8, vcc_lo
	v_cmp_eq_u32_e32 vcc_lo, 0, v16
	s_delay_alu instid0(VALU_DEP_2) | instskip(NEXT) | instid1(VALU_DEP_1)
	v_cndmask_b32_e64 v17, v8, 0x70, vcc_lo
	v_dual_cndmask_b32 v4, v86, v4, vcc_lo :: v_dual_add_nc_u32 v8, 21, v17
	v_add_nc_u32_e32 v87, 20, v17
	s_delay_alu instid0(VALU_DEP_2) | instskip(NEXT) | instid1(VALU_DEP_2)
	v_lshlrev_b64_e64 v[8:9], v8, -1
	v_lshlrev_b64_e64 v[86:87], v87, 1
	s_delay_alu instid0(VALU_DEP_2) | instskip(SKIP_1) | instid1(VALU_DEP_4)
	v_bfi_b32 v8, v8, 0, v4
	v_lshrrev_b64 v[4:5], v17, v[4:5]
	v_bfi_b32 v9, v9, 0, 0
	s_delay_alu instid0(VALU_DEP_1) | instskip(NEXT) | instid1(VALU_DEP_3)
	v_cmp_eq_u64_e64 s14, v[8:9], v[86:87]
	v_mov_b64_e32 v[8:9], v[4:5]
	s_and_saveexec_b32 s79, s14
; %bb.2421:                             ;   in Loop: Header=BB4_2069 Depth=3
	v_bfe_u32 v8, v4, 21, 1
	v_mov_b32_e32 v9, v3
	s_delay_alu instid0(VALU_DEP_1) | instskip(NEXT) | instid1(VALU_DEP_1)
	v_add_nc_u64_e32 v[8:9], v[4:5], v[8:9]
	v_add_nc_u64_e32 v[8:9], -1, v[8:9]
; %bb.2422:                             ;   in Loop: Header=BB4_2069 Depth=3
	s_or_b32 exec_lo, exec_lo, s79
	v_add_nc_u32_e32 v5, 0xffffff81, v16
	v_lshrrev_b32_e32 v9, 23, v4
	s_mov_b32 s14, exec_lo
	s_delay_alu instid0(VALU_DEP_2) | instskip(NEXT) | instid1(VALU_DEP_1)
	v_cndmask_b32_e64 v5, v5, 0xffffff82, vcc_lo
	v_add3_u32 v9, v17, v5, v9
	v_and_b32_e32 v5, 0x1fffff, v8
                                        ; implicit-def: $vgpr8
	s_delay_alu instid0(VALU_DEP_1) | instskip(SKIP_1) | instid1(VALU_DEP_2)
	v_dual_add_nc_u32 v16, 14, v9 :: v_dual_add_nc_u32 v4, v5, v4
	v_mov_b32_e32 v5, v3
	v_cmpx_ne_u32_e32 0, v16
	s_xor_b32 s14, exec_lo, s14
; %bb.2423:                             ;   in Loop: Header=BB4_2069 Depth=3
	s_delay_alu instid0(VALU_DEP_2) | instskip(SKIP_2) | instid1(VALU_DEP_2)
	v_cmp_lt_u64_e32 vcc_lo, 0xffffff, v[4:5]
	v_add_nc_u32_e32 v8, 15, v9
	v_cndmask_b32_e64 v9, 0, 1, vcc_lo
	v_cndmask_b32_e32 v8, v16, v8, vcc_lo
	s_delay_alu instid0(VALU_DEP_2)
	v_lshrrev_b64 v[4:5], v9, v[4:5]
; %bb.2424:                             ;   in Loop: Header=BB4_2069 Depth=3
	s_and_not1_saveexec_b32 s14, s14
; %bb.2425:                             ;   in Loop: Header=BB4_2069 Depth=3
	s_delay_alu instid0(VALU_DEP_1)
	v_bfe_u32 v8, v4, 23, 1
; %bb.2426:                             ;   in Loop: Header=BB4_2069 Depth=3
	s_or_b32 exec_lo, exec_lo, s14
	s_delay_alu instid0(VALU_DEP_2) | instskip(NEXT) | instid1(VALU_DEP_2)
	v_lshrrev_b64 v[4:5], 21, v[4:5]
	v_cmp_gt_i32_e32 vcc_lo, 32, v8
	v_min_i32_e32 v9, 31, v8
	v_cmp_eq_u32_e64 s14, 0, v8
	s_delay_alu instid0(VALU_DEP_4) | instskip(NEXT) | instid1(VALU_DEP_3)
	v_cndmask_b32_e32 v5, 0, v5, vcc_lo
	v_dual_cndmask_b32 v4, 3, v4 :: v_dual_lshlrev_b32 v9, 2, v9
	s_delay_alu instid0(VALU_DEP_1) | instskip(NEXT) | instid1(VALU_DEP_2)
	v_and_b32_e32 v9, 0xfc, v9
	v_cmp_eq_u64_e32 vcc_lo, 0, v[4:5]
	s_delay_alu instid0(VALU_DEP_2)
	v_and_or_b32 v4, v4, 3, v9
	s_and_b32 s14, s14, vcc_lo
	s_delay_alu instid0(VALU_DEP_1) | instid1(SALU_CYCLE_1)
	v_cndmask_b32_e64 v4, v4, 0, s14
	s_delay_alu instid0(VALU_DEP_1)
	v_or_b32_e32 v113, v4, v2
.LBB4_2427:                             ;   in Loop: Header=BB4_2069 Depth=3
	s_or_b32 exec_lo, exec_lo, s78
                                        ; implicit-def: $vgpr2
.LBB4_2428:                             ;   in Loop: Header=BB4_2069 Depth=3
	s_and_not1_saveexec_b32 s14, s77
; %bb.2429:                             ;   in Loop: Header=BB4_2069 Depth=3
	v_or_b32_e32 v113, 0x7b, v2
; %bb.2430:                             ;   in Loop: Header=BB4_2069 Depth=3
	s_or_b32 exec_lo, exec_lo, s14
                                        ; implicit-def: $vgpr8
                                        ; implicit-def: $vgpr4_vgpr5
                                        ; implicit-def: $vgpr2
.LBB4_2431:                             ;   in Loop: Header=BB4_2069 Depth=3
	s_and_not1_saveexec_b32 s14, s76
	s_cbranch_execz .LBB4_2437
; %bb.2432:                             ;   in Loop: Header=BB4_2069 Depth=3
	s_mov_b32 s76, exec_lo
                                        ; implicit-def: $vgpr113
	v_cmpx_ne_u64_e32 0, v[4:5]
	s_xor_b32 s76, exec_lo, s76
; %bb.2433:                             ;   in Loop: Header=BB4_2069 Depth=3
	v_or_b32_e32 v113, 0x7f, v2
                                        ; implicit-def: $vgpr8
; %bb.2434:                             ;   in Loop: Header=BB4_2069 Depth=3
	s_and_not1_saveexec_b32 s76, s76
; %bb.2435:                             ;   in Loop: Header=BB4_2069 Depth=3
	v_cmp_lt_i32_e32 vcc_lo, -1, v8
	v_cndmask_b32_e32 v113, 0xfc, v49, vcc_lo
; %bb.2436:                             ;   in Loop: Header=BB4_2069 Depth=3
	s_or_b32 exec_lo, exec_lo, s76
.LBB4_2437:                             ;   in Loop: Header=BB4_2069 Depth=3
	s_delay_alu instid0(SALU_CYCLE_1) | instskip(SKIP_4) | instid1(VALU_DEP_3)
	s_or_b32 exec_lo, exec_lo, s14
	v_and_b32_e32 v8, 0xff, v11
	v_dual_mov_b32 v4, v11 :: v_dual_mov_b32 v5, v3
	v_mov_b32_e32 v2, 0
	s_mov_b32 s14, exec_lo
	v_cmpx_ne_u16_e32 0, v8
	s_cbranch_execz .LBB4_2447
; %bb.2438:                             ;   in Loop: Header=BB4_2069 Depth=3
	v_bfrev_b32_e32 v2, 1
	s_mov_b32 s76, exec_lo
	v_cmpx_ne_u16_e32 0x80, v8
	s_cbranch_execz .LBB4_2446
; %bb.2439:                             ;   in Loop: Header=BB4_2069 Depth=3
	v_and_b32_e32 v2, 0x7c, v11
	v_and_b32_e32 v8, 3, v11
	s_delay_alu instid0(VALU_DEP_2) | instskip(SKIP_1) | instid1(SALU_CYCLE_1)
	v_cmp_ne_u32_e32 vcc_lo, 0x7c, v2
                                        ; implicit-def: $vgpr2
	s_and_saveexec_b32 s77, vcc_lo
	s_xor_b32 s77, exec_lo, s77
	s_cbranch_execz .LBB4_2443
; %bb.2440:                             ;   in Loop: Header=BB4_2069 Depth=3
	v_bfe_u32 v2, v11, 2, 5
	s_mov_b32 s78, exec_lo
	s_delay_alu instid0(VALU_DEP_1)
	v_cmpx_eq_u32_e32 0, v2
; %bb.2441:                             ;   in Loop: Header=BB4_2069 Depth=3
	v_clz_i32_u32_e32 v2, v8
	s_delay_alu instid0(VALU_DEP_1) | instskip(NEXT) | instid1(VALU_DEP_1)
	v_min_u32_e32 v2, 32, v2
	v_subrev_nc_u32_e32 v8, 29, v2
	s_delay_alu instid0(VALU_DEP_1) | instskip(NEXT) | instid1(VALU_DEP_1)
	v_lshlrev_b64_e32 v[8:9], v8, v[4:5]
	v_dual_sub_nc_u32 v2, 30, v2 :: v_dual_bitop2_b32 v8, 3, v8 bitop3:0x40
; %bb.2442:                             ;   in Loop: Header=BB4_2069 Depth=3
	s_or_b32 exec_lo, exec_lo, s78
	v_lshlrev_b32_e32 v5, 24, v11
	s_delay_alu instid0(VALU_DEP_1) | instskip(NEXT) | instid1(VALU_DEP_1)
	v_and_b32_e32 v5, 0x80000000, v5
	v_lshl_add_u32 v2, v2, 23, v5
	s_delay_alu instid0(VALU_DEP_1) | instskip(NEXT) | instid1(VALU_DEP_1)
	v_lshl_or_b32 v2, v8, 21, v2
                                        ; implicit-def: $vgpr8
	v_add_nc_u32_e32 v2, 0x38000000, v2
.LBB4_2443:                             ;   in Loop: Header=BB4_2069 Depth=3
	s_and_not1_saveexec_b32 s77, s77
; %bb.2444:                             ;   in Loop: Header=BB4_2069 Depth=3
	v_bfe_i32 v2, v11, 0, 8
	s_delay_alu instid0(VALU_DEP_1) | instskip(SKIP_2) | instid1(VALU_DEP_2)
	v_cmp_lt_i16_e32 vcc_lo, -1, v2
	v_cndmask_b32_e32 v2, 0xff800000, v48, vcc_lo
	v_cmp_eq_u32_e32 vcc_lo, 0, v8
	v_cndmask_b32_e32 v2, 0x7f800001, v2, vcc_lo
; %bb.2445:                             ;   in Loop: Header=BB4_2069 Depth=3
	s_or_b32 exec_lo, exec_lo, s77
.LBB4_2446:                             ;   in Loop: Header=BB4_2069 Depth=3
	s_delay_alu instid0(SALU_CYCLE_1)
	s_or_b32 exec_lo, exec_lo, s76
.LBB4_2447:                             ;   in Loop: Header=BB4_2069 Depth=3
	s_delay_alu instid0(SALU_CYCLE_1) | instskip(NEXT) | instid1(VALU_DEP_1)
	s_or_b32 exec_lo, exec_lo, s14
	v_dual_mul_f32 v5, s75, v2 :: v_dual_mov_b32 v17, v3
	s_delay_alu instid0(VALU_DEP_1) | instskip(SKIP_2) | instid1(VALU_DEP_2)
	v_dual_mov_b32 v9, v3 :: v_dual_lshrrev_b32 v2, 24, v5
	v_and_b32_e32 v16, 0x7f800000, v5
	v_and_b32_e32 v8, 0x7fffff, v5
	v_cmp_ne_u64_e32 vcc_lo, 0x7f800000, v[16:17]
                                        ; implicit-def: $vgpr16
	s_and_saveexec_b32 s14, vcc_lo
	s_delay_alu instid0(SALU_CYCLE_1)
	s_xor_b32 s76, exec_lo, s14
	s_cbranch_execz .LBB4_2461
; %bb.2448:                             ;   in Loop: Header=BB4_2069 Depth=3
	v_and_b32_e32 v16, 0x7fffffff, v5
	v_mov_b32_e32 v17, v3
	v_and_b32_e32 v2, 0x80, v2
	s_delay_alu instid0(VALU_DEP_2) | instskip(SKIP_1) | instid1(SALU_CYCLE_1)
	v_cmp_gt_u64_e32 vcc_lo, 0x47600001, v[16:17]
                                        ; implicit-def: $vgpr16
	s_and_saveexec_b32 s14, vcc_lo
	s_xor_b32 s77, exec_lo, s14
	s_cbranch_execz .LBB4_2458
; %bb.2449:                             ;   in Loop: Header=BB4_2069 Depth=3
	v_mov_b32_e32 v16, 0
	s_mov_b32 s78, exec_lo
	v_cmpx_ne_u32_e32 0, v5
	s_cbranch_execz .LBB4_2457
; %bb.2450:                             ;   in Loop: Header=BB4_2069 Depth=3
	v_bfe_u32 v5, v5, 23, 8
	v_or_b32_e32 v87, 0x800000, v8
	s_delay_alu instid0(VALU_DEP_2) | instskip(SKIP_1) | instid1(VALU_DEP_2)
	v_sub_nc_u32_e32 v16, 0x71, v5
	v_cmp_gt_u32_e32 vcc_lo, 0x72, v5
	v_cndmask_b32_e32 v16, 0, v16, vcc_lo
	v_cmp_eq_u32_e32 vcc_lo, 0, v5
	s_delay_alu instid0(VALU_DEP_2) | instskip(NEXT) | instid1(VALU_DEP_1)
	v_cndmask_b32_e64 v86, v16, 0x70, vcc_lo
	v_dual_cndmask_b32 v8, v87, v8, vcc_lo :: v_dual_add_nc_u32 v16, 21, v86
	v_add_nc_u32_e32 v96, 20, v86
	s_delay_alu instid0(VALU_DEP_2) | instskip(NEXT) | instid1(VALU_DEP_2)
	v_lshlrev_b64_e64 v[16:17], v16, -1
	v_lshlrev_b64_e64 v[96:97], v96, 1
	s_delay_alu instid0(VALU_DEP_2) | instskip(SKIP_1) | instid1(VALU_DEP_4)
	v_bfi_b32 v16, v16, 0, v8
	v_lshrrev_b64 v[8:9], v86, v[8:9]
	v_bfi_b32 v17, v17, 0, 0
	s_delay_alu instid0(VALU_DEP_1) | instskip(NEXT) | instid1(VALU_DEP_3)
	v_cmp_eq_u64_e64 s14, v[16:17], v[96:97]
	v_mov_b64_e32 v[16:17], v[8:9]
	s_and_saveexec_b32 s79, s14
; %bb.2451:                             ;   in Loop: Header=BB4_2069 Depth=3
	v_bfe_u32 v16, v8, 21, 1
	v_mov_b32_e32 v17, v3
	s_delay_alu instid0(VALU_DEP_1) | instskip(NEXT) | instid1(VALU_DEP_1)
	v_add_nc_u64_e32 v[16:17], v[8:9], v[16:17]
	v_add_nc_u64_e32 v[16:17], -1, v[16:17]
; %bb.2452:                             ;   in Loop: Header=BB4_2069 Depth=3
	s_or_b32 exec_lo, exec_lo, s79
	v_add_nc_u32_e32 v5, 0xffffff81, v5
	v_lshrrev_b32_e32 v9, 23, v8
	s_mov_b32 s14, exec_lo
	s_delay_alu instid0(VALU_DEP_2) | instskip(NEXT) | instid1(VALU_DEP_1)
	v_cndmask_b32_e64 v5, v5, 0xffffff82, vcc_lo
	v_add3_u32 v17, v86, v5, v9
	v_and_b32_e32 v5, 0x1fffff, v16
	s_delay_alu instid0(VALU_DEP_2) | instskip(NEXT) | instid1(VALU_DEP_2)
	v_dual_mov_b32 v9, v3 :: v_dual_add_nc_u32 v16, 14, v17
	v_add_nc_u32_e32 v8, v5, v8
                                        ; implicit-def: $vgpr5
	s_delay_alu instid0(VALU_DEP_2)
	v_cmpx_ne_u32_e32 0, v16
	s_xor_b32 s14, exec_lo, s14
; %bb.2453:                             ;   in Loop: Header=BB4_2069 Depth=3
	s_delay_alu instid0(VALU_DEP_2) | instskip(SKIP_1) | instid1(VALU_DEP_1)
	v_cmp_lt_u64_e32 vcc_lo, 0xffffff, v[8:9]
	v_add_nc_u32_e32 v5, 15, v17
	v_cndmask_b32_e32 v5, v16, v5, vcc_lo
	v_cndmask_b32_e64 v16, 0, 1, vcc_lo
	s_delay_alu instid0(VALU_DEP_1)
	v_lshrrev_b64 v[8:9], v16, v[8:9]
; %bb.2454:                             ;   in Loop: Header=BB4_2069 Depth=3
	s_and_not1_saveexec_b32 s14, s14
; %bb.2455:                             ;   in Loop: Header=BB4_2069 Depth=3
	s_delay_alu instid0(VALU_DEP_1)
	v_bfe_u32 v5, v8, 23, 1
; %bb.2456:                             ;   in Loop: Header=BB4_2069 Depth=3
	s_or_b32 exec_lo, exec_lo, s14
	s_delay_alu instid0(VALU_DEP_2) | instskip(NEXT) | instid1(VALU_DEP_2)
	v_lshrrev_b64 v[8:9], 21, v[8:9]
	v_cmp_gt_i32_e32 vcc_lo, 32, v5
	v_min_i32_e32 v16, 31, v5
	v_cmp_eq_u32_e64 s14, 0, v5
	s_delay_alu instid0(VALU_DEP_4) | instskip(NEXT) | instid1(VALU_DEP_3)
	v_cndmask_b32_e32 v8, 3, v8, vcc_lo
	v_dual_cndmask_b32 v9, 0, v9 :: v_dual_lshlrev_b32 v16, 2, v16
	s_delay_alu instid0(VALU_DEP_1) | instskip(NEXT) | instid1(VALU_DEP_2)
	v_and_b32_e32 v16, 0xfc, v16
	v_cmp_eq_u64_e32 vcc_lo, 0, v[8:9]
	s_delay_alu instid0(VALU_DEP_2)
	v_and_or_b32 v5, v8, 3, v16
	s_and_b32 s14, s14, vcc_lo
	s_delay_alu instid0(VALU_DEP_1) | instid1(SALU_CYCLE_1)
	v_cndmask_b32_e64 v5, v5, 0, s14
	s_delay_alu instid0(VALU_DEP_1)
	v_or_b32_e32 v16, v5, v2
.LBB4_2457:                             ;   in Loop: Header=BB4_2069 Depth=3
	s_or_b32 exec_lo, exec_lo, s78
                                        ; implicit-def: $vgpr2
.LBB4_2458:                             ;   in Loop: Header=BB4_2069 Depth=3
	s_and_not1_saveexec_b32 s14, s77
; %bb.2459:                             ;   in Loop: Header=BB4_2069 Depth=3
	v_or_b32_e32 v16, 0x7b, v2
; %bb.2460:                             ;   in Loop: Header=BB4_2069 Depth=3
	s_or_b32 exec_lo, exec_lo, s14
                                        ; implicit-def: $vgpr5
                                        ; implicit-def: $vgpr8_vgpr9
                                        ; implicit-def: $vgpr2
.LBB4_2461:                             ;   in Loop: Header=BB4_2069 Depth=3
	s_and_not1_saveexec_b32 s14, s76
	s_cbranch_execz .LBB4_2467
; %bb.2462:                             ;   in Loop: Header=BB4_2069 Depth=3
	s_mov_b32 s76, exec_lo
                                        ; implicit-def: $vgpr16
	v_cmpx_ne_u64_e32 0, v[8:9]
	s_xor_b32 s76, exec_lo, s76
; %bb.2463:                             ;   in Loop: Header=BB4_2069 Depth=3
	v_or_b32_e32 v16, 0x7f, v2
                                        ; implicit-def: $vgpr5
; %bb.2464:                             ;   in Loop: Header=BB4_2069 Depth=3
	s_and_not1_saveexec_b32 s76, s76
; %bb.2465:                             ;   in Loop: Header=BB4_2069 Depth=3
	v_cmp_lt_i32_e32 vcc_lo, -1, v5
	v_cndmask_b32_e32 v16, 0xfc, v49, vcc_lo
; %bb.2466:                             ;   in Loop: Header=BB4_2069 Depth=3
	s_or_b32 exec_lo, exec_lo, s76
.LBB4_2467:                             ;   in Loop: Header=BB4_2069 Depth=3
	s_delay_alu instid0(SALU_CYCLE_1) | instskip(SKIP_3) | instid1(VALU_DEP_2)
	s_or_b32 exec_lo, exec_lo, s14
	v_lshrrev_b16 v8, 8, v4
	v_mov_b32_e32 v9, 0
	s_mov_b32 s14, exec_lo
	v_cmpx_ne_u16_e32 0, v8
	s_cbranch_execz .LBB4_2477
; %bb.2468:                             ;   in Loop: Header=BB4_2069 Depth=3
	v_bfrev_b32_e32 v9, 1
	s_mov_b32 s76, exec_lo
	v_cmpx_ne_u16_e32 0x80, v8
	s_cbranch_execz .LBB4_2476
; %bb.2469:                             ;   in Loop: Header=BB4_2069 Depth=3
	v_and_b32_e32 v5, 0xffff, v8
	s_delay_alu instid0(VALU_DEP_1) | instskip(SKIP_1) | instid1(VALU_DEP_2)
	v_and_b32_e32 v9, 0x7c, v5
	v_and_b32_e32 v2, 3, v5
	v_cmp_ne_u32_e32 vcc_lo, 0x7c, v9
                                        ; implicit-def: $vgpr9
	s_and_saveexec_b32 s77, vcc_lo
	s_delay_alu instid0(SALU_CYCLE_1)
	s_xor_b32 s77, exec_lo, s77
	s_cbranch_execz .LBB4_2473
; %bb.2470:                             ;   in Loop: Header=BB4_2069 Depth=3
	v_bfe_u32 v5, v5, 2, 5
	s_mov_b32 s78, exec_lo
	s_delay_alu instid0(VALU_DEP_1)
	v_cmpx_eq_u32_e32 0, v5
; %bb.2471:                             ;   in Loop: Header=BB4_2069 Depth=3
	v_clz_i32_u32_e32 v2, v2
	s_delay_alu instid0(VALU_DEP_1) | instskip(SKIP_1) | instid1(VALU_DEP_2)
	v_min_u32_e32 v2, 32, v2
	v_mov_b32_e32 v9, v3
	v_subrev_nc_u32_e32 v5, 29, v2
	s_delay_alu instid0(VALU_DEP_1) | instskip(NEXT) | instid1(VALU_DEP_1)
	v_lshlrev_b64_e32 v[8:9], v5, v[8:9]
	v_dual_sub_nc_u32 v5, 30, v2 :: v_dual_bitop2_b32 v2, 3, v8 bitop3:0x40
; %bb.2472:                             ;   in Loop: Header=BB4_2069 Depth=3
	s_or_b32 exec_lo, exec_lo, s78
	v_lshlrev_b32_e32 v4, 16, v4
	s_delay_alu instid0(VALU_DEP_1) | instskip(NEXT) | instid1(VALU_DEP_1)
	v_and_b32_e32 v4, 0x80000000, v4
	v_lshl_add_u32 v4, v5, 23, v4
	s_delay_alu instid0(VALU_DEP_1) | instskip(NEXT) | instid1(VALU_DEP_1)
	v_lshl_or_b32 v2, v2, 21, v4
                                        ; implicit-def: $vgpr4_vgpr5
	v_add_nc_u32_e32 v9, 0x38000000, v2
                                        ; implicit-def: $vgpr2
.LBB4_2473:                             ;   in Loop: Header=BB4_2069 Depth=3
	s_and_not1_saveexec_b32 s77, s77
; %bb.2474:                             ;   in Loop: Header=BB4_2069 Depth=3
	v_cmp_lt_i16_e32 vcc_lo, -1, v4
	v_cndmask_b32_e32 v4, 0xff800000, v48, vcc_lo
	v_cmp_eq_u32_e32 vcc_lo, 0, v2
	s_delay_alu instid0(VALU_DEP_2)
	v_cndmask_b32_e32 v9, 0x7f800001, v4, vcc_lo
; %bb.2475:                             ;   in Loop: Header=BB4_2069 Depth=3
	s_or_b32 exec_lo, exec_lo, s77
.LBB4_2476:                             ;   in Loop: Header=BB4_2069 Depth=3
	s_delay_alu instid0(SALU_CYCLE_1)
	s_or_b32 exec_lo, exec_lo, s76
.LBB4_2477:                             ;   in Loop: Header=BB4_2069 Depth=3
	s_delay_alu instid0(SALU_CYCLE_1) | instskip(NEXT) | instid1(VALU_DEP_1)
	s_or_b32 exec_lo, exec_lo, s14
	v_dual_mul_f32 v8, s75, v9 :: v_dual_mov_b32 v87, v3
	v_mov_b32_e32 v5, v3
                                        ; implicit-def: $vgpr17
	s_mov_b32 s14, exec_lo
	s_delay_alu instid0(VALU_DEP_2) | instskip(SKIP_2) | instid1(VALU_DEP_3)
	v_and_b32_e32 v86, 0x7f800000, v8
	v_and_b32_e32 v4, 0x7fffff, v8
	v_lshrrev_b32_e32 v2, 24, v8
	v_cmpx_ne_u64_e32 0x7f800000, v[86:87]
	s_xor_b32 s76, exec_lo, s14
	s_cbranch_execz .LBB4_2491
; %bb.2478:                             ;   in Loop: Header=BB4_2069 Depth=3
	v_and_b32_e32 v86, 0x7fffffff, v8
	v_mov_b32_e32 v87, v3
	v_and_b32_e32 v2, 0x80, v2
                                        ; implicit-def: $vgpr17
	s_mov_b32 s14, exec_lo
	s_delay_alu instid0(VALU_DEP_2)
	v_cmpx_gt_u64_e32 0x47600001, v[86:87]
	s_xor_b32 s77, exec_lo, s14
	s_cbranch_execz .LBB4_2488
; %bb.2479:                             ;   in Loop: Header=BB4_2069 Depth=3
	v_mov_b32_e32 v17, 0
	s_mov_b32 s78, exec_lo
	v_cmpx_ne_u32_e32 0, v8
	s_cbranch_execz .LBB4_2487
; %bb.2480:                             ;   in Loop: Header=BB4_2069 Depth=3
	v_bfe_u32 v17, v8, 23, 8
	v_or_b32_e32 v87, 0x800000, v4
	s_delay_alu instid0(VALU_DEP_2) | instskip(SKIP_1) | instid1(VALU_DEP_2)
	v_sub_nc_u32_e32 v8, 0x71, v17
	v_cmp_gt_u32_e32 vcc_lo, 0x72, v17
	v_cndmask_b32_e32 v8, 0, v8, vcc_lo
	v_cmp_eq_u32_e32 vcc_lo, 0, v17
	s_delay_alu instid0(VALU_DEP_2) | instskip(NEXT) | instid1(VALU_DEP_1)
	v_cndmask_b32_e64 v86, v8, 0x70, vcc_lo
	v_dual_cndmask_b32 v4, v87, v4, vcc_lo :: v_dual_add_nc_u32 v8, 21, v86
	v_add_nc_u32_e32 v96, 20, v86
	s_delay_alu instid0(VALU_DEP_2) | instskip(NEXT) | instid1(VALU_DEP_2)
	v_lshlrev_b64_e64 v[8:9], v8, -1
	v_lshlrev_b64_e64 v[96:97], v96, 1
	s_delay_alu instid0(VALU_DEP_2) | instskip(SKIP_1) | instid1(VALU_DEP_4)
	v_bfi_b32 v8, v8, 0, v4
	v_lshrrev_b64 v[4:5], v86, v[4:5]
	v_bfi_b32 v9, v9, 0, 0
	s_delay_alu instid0(VALU_DEP_1) | instskip(NEXT) | instid1(VALU_DEP_3)
	v_cmp_eq_u64_e64 s14, v[8:9], v[96:97]
	v_mov_b64_e32 v[8:9], v[4:5]
	s_and_saveexec_b32 s79, s14
; %bb.2481:                             ;   in Loop: Header=BB4_2069 Depth=3
	v_bfe_u32 v8, v4, 21, 1
	v_mov_b32_e32 v9, v3
	s_delay_alu instid0(VALU_DEP_1) | instskip(NEXT) | instid1(VALU_DEP_1)
	v_add_nc_u64_e32 v[8:9], v[4:5], v[8:9]
	v_add_nc_u64_e32 v[8:9], -1, v[8:9]
; %bb.2482:                             ;   in Loop: Header=BB4_2069 Depth=3
	s_or_b32 exec_lo, exec_lo, s79
	v_add_nc_u32_e32 v5, 0xffffff81, v17
	v_lshrrev_b32_e32 v9, 23, v4
	s_mov_b32 s14, exec_lo
	s_delay_alu instid0(VALU_DEP_2) | instskip(NEXT) | instid1(VALU_DEP_1)
	v_cndmask_b32_e64 v5, v5, 0xffffff82, vcc_lo
	v_add3_u32 v9, v86, v5, v9
	v_and_b32_e32 v5, 0x1fffff, v8
                                        ; implicit-def: $vgpr8
	s_delay_alu instid0(VALU_DEP_1) | instskip(SKIP_1) | instid1(VALU_DEP_2)
	v_dual_add_nc_u32 v17, 14, v9 :: v_dual_add_nc_u32 v4, v5, v4
	v_mov_b32_e32 v5, v3
	v_cmpx_ne_u32_e32 0, v17
	s_xor_b32 s14, exec_lo, s14
; %bb.2483:                             ;   in Loop: Header=BB4_2069 Depth=3
	s_delay_alu instid0(VALU_DEP_2) | instskip(SKIP_2) | instid1(VALU_DEP_2)
	v_cmp_lt_u64_e32 vcc_lo, 0xffffff, v[4:5]
	v_add_nc_u32_e32 v8, 15, v9
	v_cndmask_b32_e64 v9, 0, 1, vcc_lo
	v_cndmask_b32_e32 v8, v17, v8, vcc_lo
	s_delay_alu instid0(VALU_DEP_2)
	v_lshrrev_b64 v[4:5], v9, v[4:5]
; %bb.2484:                             ;   in Loop: Header=BB4_2069 Depth=3
	s_and_not1_saveexec_b32 s14, s14
; %bb.2485:                             ;   in Loop: Header=BB4_2069 Depth=3
	s_delay_alu instid0(VALU_DEP_1)
	v_bfe_u32 v8, v4, 23, 1
; %bb.2486:                             ;   in Loop: Header=BB4_2069 Depth=3
	s_or_b32 exec_lo, exec_lo, s14
	s_delay_alu instid0(VALU_DEP_2) | instskip(NEXT) | instid1(VALU_DEP_2)
	v_lshrrev_b64 v[4:5], 21, v[4:5]
	v_cmp_gt_i32_e32 vcc_lo, 32, v8
	v_min_i32_e32 v9, 31, v8
	v_cmp_eq_u32_e64 s14, 0, v8
	s_delay_alu instid0(VALU_DEP_4) | instskip(NEXT) | instid1(VALU_DEP_3)
	v_cndmask_b32_e32 v5, 0, v5, vcc_lo
	v_dual_cndmask_b32 v4, 3, v4 :: v_dual_lshlrev_b32 v9, 2, v9
	s_delay_alu instid0(VALU_DEP_1) | instskip(NEXT) | instid1(VALU_DEP_2)
	v_and_b32_e32 v9, 0xfc, v9
	v_cmp_eq_u64_e32 vcc_lo, 0, v[4:5]
	s_delay_alu instid0(VALU_DEP_2)
	v_and_or_b32 v4, v4, 3, v9
	s_and_b32 s14, s14, vcc_lo
	s_delay_alu instid0(VALU_DEP_1) | instid1(SALU_CYCLE_1)
	v_cndmask_b32_e64 v4, v4, 0, s14
	s_delay_alu instid0(VALU_DEP_1)
	v_or_b32_e32 v17, v4, v2
.LBB4_2487:                             ;   in Loop: Header=BB4_2069 Depth=3
	s_or_b32 exec_lo, exec_lo, s78
                                        ; implicit-def: $vgpr2
.LBB4_2488:                             ;   in Loop: Header=BB4_2069 Depth=3
	s_and_not1_saveexec_b32 s14, s77
; %bb.2489:                             ;   in Loop: Header=BB4_2069 Depth=3
	v_or_b32_e32 v17, 0x7b, v2
; %bb.2490:                             ;   in Loop: Header=BB4_2069 Depth=3
	s_or_b32 exec_lo, exec_lo, s14
                                        ; implicit-def: $vgpr8
                                        ; implicit-def: $vgpr4_vgpr5
                                        ; implicit-def: $vgpr2
.LBB4_2491:                             ;   in Loop: Header=BB4_2069 Depth=3
	s_and_not1_saveexec_b32 s14, s76
	s_cbranch_execz .LBB4_2497
; %bb.2492:                             ;   in Loop: Header=BB4_2069 Depth=3
	s_mov_b32 s76, exec_lo
                                        ; implicit-def: $vgpr17
	v_cmpx_ne_u64_e32 0, v[4:5]
	s_xor_b32 s76, exec_lo, s76
; %bb.2493:                             ;   in Loop: Header=BB4_2069 Depth=3
	v_or_b32_e32 v17, 0x7f, v2
                                        ; implicit-def: $vgpr8
; %bb.2494:                             ;   in Loop: Header=BB4_2069 Depth=3
	s_and_not1_saveexec_b32 s76, s76
; %bb.2495:                             ;   in Loop: Header=BB4_2069 Depth=3
	v_cmp_lt_i32_e32 vcc_lo, -1, v8
	v_cndmask_b32_e32 v17, 0xfc, v49, vcc_lo
; %bb.2496:                             ;   in Loop: Header=BB4_2069 Depth=3
	s_or_b32 exec_lo, exec_lo, s76
.LBB4_2497:                             ;   in Loop: Header=BB4_2069 Depth=3
	s_delay_alu instid0(SALU_CYCLE_1) | instskip(SKIP_2) | instid1(VALU_DEP_1)
	s_or_b32 exec_lo, exec_lo, s14
	v_dual_lshrrev_b32 v2, 16, v11 :: v_dual_mov_b32 v4, 0
	s_mov_b32 s14, exec_lo
	v_and_b32_e32 v5, 0xff, v2
	s_delay_alu instid0(VALU_DEP_1)
	v_cmpx_ne_u16_e32 0, v5
	s_cbranch_execz .LBB4_2507
; %bb.2498:                             ;   in Loop: Header=BB4_2069 Depth=3
	v_bfrev_b32_e32 v4, 1
	s_mov_b32 s76, exec_lo
	v_cmpx_ne_u16_e32 0x80, v5
	s_cbranch_execz .LBB4_2506
; %bb.2499:                             ;   in Loop: Header=BB4_2069 Depth=3
	v_and_b32_e32 v4, 0x7c0000, v11
	v_bfe_u32 v5, v11, 16, 2
	s_delay_alu instid0(VALU_DEP_2) | instskip(SKIP_1) | instid1(SALU_CYCLE_1)
	v_cmp_ne_u32_e32 vcc_lo, 0x7c0000, v4
                                        ; implicit-def: $vgpr4
	s_and_saveexec_b32 s77, vcc_lo
	s_xor_b32 s77, exec_lo, s77
	s_cbranch_execz .LBB4_2503
; %bb.2500:                             ;   in Loop: Header=BB4_2069 Depth=3
	v_bfe_u32 v4, v11, 18, 5
	s_mov_b32 s78, exec_lo
	s_delay_alu instid0(VALU_DEP_1)
	v_cmpx_eq_u32_e32 0, v4
; %bb.2501:                             ;   in Loop: Header=BB4_2069 Depth=3
	v_clz_i32_u32_e32 v4, v5
	s_delay_alu instid0(VALU_DEP_1) | instskip(NEXT) | instid1(VALU_DEP_1)
	v_min_u32_e32 v4, 32, v4
	v_subrev_nc_u32_e32 v5, 29, v4
	v_sub_nc_u32_e32 v4, 30, v4
	s_delay_alu instid0(VALU_DEP_2) | instskip(NEXT) | instid1(VALU_DEP_1)
	v_lshlrev_b64_e32 v[8:9], v5, v[2:3]
	v_and_b32_e32 v5, 3, v8
; %bb.2502:                             ;   in Loop: Header=BB4_2069 Depth=3
	s_or_b32 exec_lo, exec_lo, s78
	v_lshlrev_b32_e32 v2, 24, v2
	s_delay_alu instid0(VALU_DEP_1) | instskip(NEXT) | instid1(VALU_DEP_1)
	v_and_b32_e32 v2, 0x80000000, v2
	v_lshl_add_u32 v2, v4, 23, v2
	s_delay_alu instid0(VALU_DEP_1) | instskip(NEXT) | instid1(VALU_DEP_1)
	v_lshl_or_b32 v2, v5, 21, v2
                                        ; implicit-def: $vgpr5
	v_add_nc_u32_e32 v4, 0x38000000, v2
                                        ; implicit-def: $vgpr2
.LBB4_2503:                             ;   in Loop: Header=BB4_2069 Depth=3
	s_and_not1_saveexec_b32 s77, s77
; %bb.2504:                             ;   in Loop: Header=BB4_2069 Depth=3
	v_bfe_i32 v2, v2, 0, 8
	s_delay_alu instid0(VALU_DEP_1) | instskip(SKIP_2) | instid1(VALU_DEP_2)
	v_cmp_lt_i16_e32 vcc_lo, -1, v2
	v_cndmask_b32_e32 v2, 0xff800000, v48, vcc_lo
	v_cmp_eq_u32_e32 vcc_lo, 0, v5
	v_cndmask_b32_e32 v4, 0x7f800001, v2, vcc_lo
; %bb.2505:                             ;   in Loop: Header=BB4_2069 Depth=3
	s_or_b32 exec_lo, exec_lo, s77
.LBB4_2506:                             ;   in Loop: Header=BB4_2069 Depth=3
	s_delay_alu instid0(SALU_CYCLE_1)
	s_or_b32 exec_lo, exec_lo, s76
.LBB4_2507:                             ;   in Loop: Header=BB4_2069 Depth=3
	s_delay_alu instid0(SALU_CYCLE_1) | instskip(NEXT) | instid1(VALU_DEP_1)
	s_or_b32 exec_lo, exec_lo, s14
	v_dual_mul_f32 v8, s75, v4 :: v_dual_mov_b32 v87, v3
	v_mov_b32_e32 v5, v3
                                        ; implicit-def: $vgpr40
	s_mov_b32 s14, exec_lo
	s_delay_alu instid0(VALU_DEP_2) | instskip(SKIP_2) | instid1(VALU_DEP_3)
	v_and_b32_e32 v86, 0x7f800000, v8
	v_and_b32_e32 v4, 0x7fffff, v8
	v_lshrrev_b32_e32 v2, 24, v8
	v_cmpx_ne_u64_e32 0x7f800000, v[86:87]
	s_xor_b32 s76, exec_lo, s14
	s_cbranch_execz .LBB4_2521
; %bb.2508:                             ;   in Loop: Header=BB4_2069 Depth=3
	v_and_b32_e32 v86, 0x7fffffff, v8
	v_mov_b32_e32 v87, v3
	v_and_b32_e32 v2, 0x80, v2
                                        ; implicit-def: $vgpr40
	s_mov_b32 s14, exec_lo
	s_delay_alu instid0(VALU_DEP_2)
	v_cmpx_gt_u64_e32 0x47600001, v[86:87]
	s_xor_b32 s77, exec_lo, s14
	s_cbranch_execz .LBB4_2518
; %bb.2509:                             ;   in Loop: Header=BB4_2069 Depth=3
	v_mov_b32_e32 v40, 0
	s_mov_b32 s78, exec_lo
	v_cmpx_ne_u32_e32 0, v8
	s_cbranch_execz .LBB4_2517
; %bb.2510:                             ;   in Loop: Header=BB4_2069 Depth=3
	v_bfe_u32 v86, v8, 23, 8
	v_or_b32_e32 v96, 0x800000, v4
	s_delay_alu instid0(VALU_DEP_2) | instskip(SKIP_1) | instid1(VALU_DEP_2)
	v_sub_nc_u32_e32 v8, 0x71, v86
	v_cmp_gt_u32_e32 vcc_lo, 0x72, v86
	v_cndmask_b32_e32 v8, 0, v8, vcc_lo
	v_cmp_eq_u32_e32 vcc_lo, 0, v86
	s_delay_alu instid0(VALU_DEP_2) | instskip(NEXT) | instid1(VALU_DEP_1)
	v_cndmask_b32_e64 v87, v8, 0x70, vcc_lo
	v_dual_cndmask_b32 v4, v96, v4, vcc_lo :: v_dual_add_nc_u32 v8, 21, v87
	v_add_nc_u32_e32 v97, 20, v87
	s_delay_alu instid0(VALU_DEP_2) | instskip(NEXT) | instid1(VALU_DEP_2)
	v_lshlrev_b64_e64 v[8:9], v8, -1
	v_lshlrev_b64_e64 v[96:97], v97, 1
	s_delay_alu instid0(VALU_DEP_2) | instskip(SKIP_1) | instid1(VALU_DEP_4)
	v_bfi_b32 v8, v8, 0, v4
	v_lshrrev_b64 v[4:5], v87, v[4:5]
	v_bfi_b32 v9, v9, 0, 0
	s_delay_alu instid0(VALU_DEP_1) | instskip(NEXT) | instid1(VALU_DEP_3)
	v_cmp_eq_u64_e64 s14, v[8:9], v[96:97]
	v_mov_b64_e32 v[8:9], v[4:5]
	s_and_saveexec_b32 s79, s14
; %bb.2511:                             ;   in Loop: Header=BB4_2069 Depth=3
	v_bfe_u32 v8, v4, 21, 1
	v_mov_b32_e32 v9, v3
	s_delay_alu instid0(VALU_DEP_1) | instskip(NEXT) | instid1(VALU_DEP_1)
	v_add_nc_u64_e32 v[8:9], v[4:5], v[8:9]
	v_add_nc_u64_e32 v[8:9], -1, v[8:9]
; %bb.2512:                             ;   in Loop: Header=BB4_2069 Depth=3
	s_or_b32 exec_lo, exec_lo, s79
	v_add_nc_u32_e32 v5, 0xffffff81, v86
	v_lshrrev_b32_e32 v9, 23, v4
	s_mov_b32 s14, exec_lo
	s_delay_alu instid0(VALU_DEP_2) | instskip(NEXT) | instid1(VALU_DEP_1)
	v_cndmask_b32_e64 v5, v5, 0xffffff82, vcc_lo
	v_add3_u32 v9, v87, v5, v9
	v_and_b32_e32 v5, 0x1fffff, v8
                                        ; implicit-def: $vgpr8
	s_delay_alu instid0(VALU_DEP_1) | instskip(SKIP_1) | instid1(VALU_DEP_2)
	v_dual_add_nc_u32 v86, 14, v9 :: v_dual_add_nc_u32 v4, v5, v4
	v_mov_b32_e32 v5, v3
	v_cmpx_ne_u32_e32 0, v86
	s_xor_b32 s14, exec_lo, s14
; %bb.2513:                             ;   in Loop: Header=BB4_2069 Depth=3
	s_delay_alu instid0(VALU_DEP_2) | instskip(SKIP_2) | instid1(VALU_DEP_2)
	v_cmp_lt_u64_e32 vcc_lo, 0xffffff, v[4:5]
	v_add_nc_u32_e32 v8, 15, v9
	v_cndmask_b32_e64 v9, 0, 1, vcc_lo
	v_cndmask_b32_e32 v8, v86, v8, vcc_lo
	s_delay_alu instid0(VALU_DEP_2)
	v_lshrrev_b64 v[4:5], v9, v[4:5]
; %bb.2514:                             ;   in Loop: Header=BB4_2069 Depth=3
	s_and_not1_saveexec_b32 s14, s14
; %bb.2515:                             ;   in Loop: Header=BB4_2069 Depth=3
	s_delay_alu instid0(VALU_DEP_1)
	v_bfe_u32 v8, v4, 23, 1
; %bb.2516:                             ;   in Loop: Header=BB4_2069 Depth=3
	s_or_b32 exec_lo, exec_lo, s14
	s_delay_alu instid0(VALU_DEP_2) | instskip(NEXT) | instid1(VALU_DEP_2)
	v_lshrrev_b64 v[4:5], 21, v[4:5]
	v_cmp_gt_i32_e32 vcc_lo, 32, v8
	v_min_i32_e32 v9, 31, v8
	v_cmp_eq_u32_e64 s14, 0, v8
	s_delay_alu instid0(VALU_DEP_4) | instskip(NEXT) | instid1(VALU_DEP_3)
	v_cndmask_b32_e32 v5, 0, v5, vcc_lo
	v_dual_cndmask_b32 v4, 3, v4 :: v_dual_lshlrev_b32 v9, 2, v9
	s_delay_alu instid0(VALU_DEP_1) | instskip(NEXT) | instid1(VALU_DEP_2)
	v_and_b32_e32 v9, 0xfc, v9
	v_cmp_eq_u64_e32 vcc_lo, 0, v[4:5]
	s_delay_alu instid0(VALU_DEP_2)
	v_and_or_b32 v4, v4, 3, v9
	s_and_b32 s14, s14, vcc_lo
	s_delay_alu instid0(VALU_DEP_1) | instid1(SALU_CYCLE_1)
	v_cndmask_b32_e64 v4, v4, 0, s14
	s_delay_alu instid0(VALU_DEP_1)
	v_or_b32_e32 v40, v4, v2
.LBB4_2517:                             ;   in Loop: Header=BB4_2069 Depth=3
	s_or_b32 exec_lo, exec_lo, s78
                                        ; implicit-def: $vgpr2
.LBB4_2518:                             ;   in Loop: Header=BB4_2069 Depth=3
	s_and_not1_saveexec_b32 s14, s77
; %bb.2519:                             ;   in Loop: Header=BB4_2069 Depth=3
	v_or_b32_e32 v40, 0x7b, v2
; %bb.2520:                             ;   in Loop: Header=BB4_2069 Depth=3
	s_or_b32 exec_lo, exec_lo, s14
                                        ; implicit-def: $vgpr8
                                        ; implicit-def: $vgpr4_vgpr5
                                        ; implicit-def: $vgpr2
.LBB4_2521:                             ;   in Loop: Header=BB4_2069 Depth=3
	s_and_not1_saveexec_b32 s14, s76
	s_cbranch_execz .LBB4_2527
; %bb.2522:                             ;   in Loop: Header=BB4_2069 Depth=3
	s_mov_b32 s76, exec_lo
                                        ; implicit-def: $vgpr40
	v_cmpx_ne_u64_e32 0, v[4:5]
	s_xor_b32 s76, exec_lo, s76
; %bb.2523:                             ;   in Loop: Header=BB4_2069 Depth=3
	v_or_b32_e32 v40, 0x7f, v2
                                        ; implicit-def: $vgpr8
; %bb.2524:                             ;   in Loop: Header=BB4_2069 Depth=3
	s_and_not1_saveexec_b32 s76, s76
; %bb.2525:                             ;   in Loop: Header=BB4_2069 Depth=3
	v_cmp_lt_i32_e32 vcc_lo, -1, v8
	v_cndmask_b32_e32 v40, 0xfc, v49, vcc_lo
; %bb.2526:                             ;   in Loop: Header=BB4_2069 Depth=3
	s_or_b32 exec_lo, exec_lo, s76
.LBB4_2527:                             ;   in Loop: Header=BB4_2069 Depth=3
	s_delay_alu instid0(SALU_CYCLE_1)
	s_or_b32 exec_lo, exec_lo, s14
	v_mov_b32_e32 v4, 0
	s_mov_b32 s14, exec_lo
	v_cmpx_lt_u64_e64 s[22:23], v[10:11]
	s_cbranch_execz .LBB4_2537
; %bb.2528:                             ;   in Loop: Header=BB4_2069 Depth=3
	v_lshrrev_b32_e32 v2, 24, v11
	v_bfrev_b32_e32 v4, 1
	s_mov_b32 s76, exec_lo
	s_delay_alu instid0(VALU_DEP_2)
	v_cmpx_ne_u32_e32 0x80, v2
	s_cbranch_execz .LBB4_2536
; %bb.2529:                             ;   in Loop: Header=BB4_2069 Depth=3
	v_and_b32_e32 v4, 0x7c000000, v11
	v_bfe_u32 v5, v11, 24, 2
	s_delay_alu instid0(VALU_DEP_2) | instskip(SKIP_1) | instid1(SALU_CYCLE_1)
	v_cmp_ne_u32_e32 vcc_lo, 0x7c000000, v4
                                        ; implicit-def: $vgpr4
	s_and_saveexec_b32 s77, vcc_lo
	s_xor_b32 s77, exec_lo, s77
	s_cbranch_execz .LBB4_2533
; %bb.2530:                             ;   in Loop: Header=BB4_2069 Depth=3
	v_bfe_u32 v4, v11, 26, 5
	s_mov_b32 s78, exec_lo
	s_delay_alu instid0(VALU_DEP_1)
	v_cmpx_eq_u32_e32 0, v4
; %bb.2531:                             ;   in Loop: Header=BB4_2069 Depth=3
	v_clz_i32_u32_e32 v4, v5
	s_delay_alu instid0(VALU_DEP_1) | instskip(NEXT) | instid1(VALU_DEP_1)
	v_min_u32_e32 v4, 32, v4
	v_subrev_nc_u32_e32 v5, 29, v4
	v_sub_nc_u32_e32 v4, 30, v4
	s_delay_alu instid0(VALU_DEP_2) | instskip(NEXT) | instid1(VALU_DEP_1)
	v_lshlrev_b64_e32 v[8:9], v5, v[2:3]
	v_and_b32_e32 v5, 3, v8
; %bb.2532:                             ;   in Loop: Header=BB4_2069 Depth=3
	s_or_b32 exec_lo, exec_lo, s78
	v_and_b32_e32 v2, 0x80000000, v11
                                        ; implicit-def: $vgpr10_vgpr11
	s_delay_alu instid0(VALU_DEP_1) | instskip(NEXT) | instid1(VALU_DEP_1)
	v_lshl_add_u32 v2, v4, 23, v2
	v_lshl_or_b32 v2, v5, 21, v2
                                        ; implicit-def: $vgpr5
	s_delay_alu instid0(VALU_DEP_1)
	v_add_nc_u32_e32 v4, 0x38000000, v2
.LBB4_2533:                             ;   in Loop: Header=BB4_2069 Depth=3
	s_and_not1_saveexec_b32 s77, s77
; %bb.2534:                             ;   in Loop: Header=BB4_2069 Depth=3
	v_cmp_lt_i64_e32 vcc_lo, -1, v[10:11]
	v_cndmask_b32_e32 v2, 0xff800000, v48, vcc_lo
	v_cmp_eq_u32_e32 vcc_lo, 0, v5
	s_delay_alu instid0(VALU_DEP_2)
	v_cndmask_b32_e32 v4, 0x7f800001, v2, vcc_lo
; %bb.2535:                             ;   in Loop: Header=BB4_2069 Depth=3
	s_or_b32 exec_lo, exec_lo, s77
.LBB4_2536:                             ;   in Loop: Header=BB4_2069 Depth=3
	s_delay_alu instid0(SALU_CYCLE_1)
	s_or_b32 exec_lo, exec_lo, s76
.LBB4_2537:                             ;   in Loop: Header=BB4_2069 Depth=3
	s_delay_alu instid0(SALU_CYCLE_1) | instskip(NEXT) | instid1(VALU_DEP_1)
	s_or_b32 exec_lo, exec_lo, s14
	v_dual_mul_f32 v9, s75, v4 :: v_dual_mov_b32 v11, v3
	v_mov_b32_e32 v5, v3
                                        ; implicit-def: $vgpr8
	s_mov_b32 s14, exec_lo
	s_delay_alu instid0(VALU_DEP_2) | instskip(SKIP_2) | instid1(VALU_DEP_3)
	v_and_b32_e32 v10, 0x7f800000, v9
	v_and_b32_e32 v4, 0x7fffff, v9
	v_lshrrev_b32_e32 v2, 24, v9
	v_cmpx_ne_u64_e32 0x7f800000, v[10:11]
	s_xor_b32 s75, exec_lo, s14
	s_cbranch_execz .LBB4_2551
; %bb.2538:                             ;   in Loop: Header=BB4_2069 Depth=3
	v_and_b32_e32 v10, 0x7fffffff, v9
	v_mov_b32_e32 v11, v3
	v_and_b32_e32 v2, 0x80, v2
                                        ; implicit-def: $vgpr8
	s_mov_b32 s14, exec_lo
	s_delay_alu instid0(VALU_DEP_2)
	v_cmpx_gt_u64_e32 0x47600001, v[10:11]
	s_xor_b32 s76, exec_lo, s14
	s_cbranch_execz .LBB4_2548
; %bb.2539:                             ;   in Loop: Header=BB4_2069 Depth=3
	v_mov_b32_e32 v8, 0
	s_mov_b32 s77, exec_lo
	v_cmpx_ne_u32_e32 0, v9
	s_cbranch_execz .LBB4_2547
; %bb.2540:                             ;   in Loop: Header=BB4_2069 Depth=3
	v_bfe_u32 v10, v9, 23, 8
	v_or_b32_e32 v86, 0x800000, v4
	s_delay_alu instid0(VALU_DEP_2) | instskip(SKIP_1) | instid1(VALU_DEP_2)
	v_sub_nc_u32_e32 v8, 0x71, v10
	v_cmp_gt_u32_e32 vcc_lo, 0x72, v10
	v_cndmask_b32_e32 v8, 0, v8, vcc_lo
	v_cmp_eq_u32_e32 vcc_lo, 0, v10
	s_delay_alu instid0(VALU_DEP_2) | instskip(NEXT) | instid1(VALU_DEP_1)
	v_cndmask_b32_e64 v11, v8, 0x70, vcc_lo
	v_dual_cndmask_b32 v4, v86, v4, vcc_lo :: v_dual_add_nc_u32 v8, 21, v11
	v_add_nc_u32_e32 v87, 20, v11
	s_delay_alu instid0(VALU_DEP_2) | instskip(NEXT) | instid1(VALU_DEP_2)
	v_lshlrev_b64_e64 v[8:9], v8, -1
	v_lshlrev_b64_e64 v[86:87], v87, 1
	s_delay_alu instid0(VALU_DEP_2) | instskip(SKIP_1) | instid1(VALU_DEP_4)
	v_bfi_b32 v8, v8, 0, v4
	v_lshrrev_b64 v[4:5], v11, v[4:5]
	v_bfi_b32 v9, v9, 0, 0
	s_delay_alu instid0(VALU_DEP_1) | instskip(NEXT) | instid1(VALU_DEP_3)
	v_cmp_eq_u64_e64 s14, v[8:9], v[86:87]
	v_mov_b64_e32 v[8:9], v[4:5]
	s_and_saveexec_b32 s78, s14
; %bb.2541:                             ;   in Loop: Header=BB4_2069 Depth=3
	v_bfe_u32 v8, v4, 21, 1
	v_mov_b32_e32 v9, v3
	s_delay_alu instid0(VALU_DEP_1) | instskip(NEXT) | instid1(VALU_DEP_1)
	v_add_nc_u64_e32 v[8:9], v[4:5], v[8:9]
	v_add_nc_u64_e32 v[8:9], -1, v[8:9]
; %bb.2542:                             ;   in Loop: Header=BB4_2069 Depth=3
	s_or_b32 exec_lo, exec_lo, s78
	v_add_nc_u32_e32 v5, 0xffffff81, v10
	v_lshrrev_b32_e32 v9, 23, v4
	s_mov_b32 s14, exec_lo
	s_delay_alu instid0(VALU_DEP_2) | instskip(NEXT) | instid1(VALU_DEP_1)
	v_cndmask_b32_e64 v5, v5, 0xffffff82, vcc_lo
	v_add3_u32 v9, v11, v5, v9
	v_and_b32_e32 v5, 0x1fffff, v8
                                        ; implicit-def: $vgpr8
	s_delay_alu instid0(VALU_DEP_1) | instskip(SKIP_1) | instid1(VALU_DEP_2)
	v_dual_add_nc_u32 v10, 14, v9 :: v_dual_add_nc_u32 v4, v5, v4
	v_mov_b32_e32 v5, v3
	v_cmpx_ne_u32_e32 0, v10
	s_xor_b32 s14, exec_lo, s14
; %bb.2543:                             ;   in Loop: Header=BB4_2069 Depth=3
	s_delay_alu instid0(VALU_DEP_2) | instskip(SKIP_2) | instid1(VALU_DEP_2)
	v_cmp_lt_u64_e32 vcc_lo, 0xffffff, v[4:5]
	v_add_nc_u32_e32 v8, 15, v9
	v_cndmask_b32_e64 v9, 0, 1, vcc_lo
	v_cndmask_b32_e32 v8, v10, v8, vcc_lo
	s_delay_alu instid0(VALU_DEP_2)
	v_lshrrev_b64 v[4:5], v9, v[4:5]
; %bb.2544:                             ;   in Loop: Header=BB4_2069 Depth=3
	s_and_not1_saveexec_b32 s14, s14
; %bb.2545:                             ;   in Loop: Header=BB4_2069 Depth=3
	s_delay_alu instid0(VALU_DEP_1)
	v_bfe_u32 v8, v4, 23, 1
; %bb.2546:                             ;   in Loop: Header=BB4_2069 Depth=3
	s_or_b32 exec_lo, exec_lo, s14
	s_delay_alu instid0(VALU_DEP_2) | instskip(NEXT) | instid1(VALU_DEP_2)
	v_lshrrev_b64 v[4:5], 21, v[4:5]
	v_cmp_gt_i32_e32 vcc_lo, 32, v8
	v_min_i32_e32 v9, 31, v8
	v_cmp_eq_u32_e64 s14, 0, v8
	s_delay_alu instid0(VALU_DEP_4) | instskip(NEXT) | instid1(VALU_DEP_3)
	v_cndmask_b32_e32 v5, 0, v5, vcc_lo
	v_dual_cndmask_b32 v4, 3, v4 :: v_dual_lshlrev_b32 v9, 2, v9
	s_delay_alu instid0(VALU_DEP_1) | instskip(NEXT) | instid1(VALU_DEP_2)
	v_and_b32_e32 v9, 0xfc, v9
	v_cmp_eq_u64_e32 vcc_lo, 0, v[4:5]
	s_delay_alu instid0(VALU_DEP_2)
	v_and_or_b32 v4, v4, 3, v9
	s_and_b32 s14, s14, vcc_lo
	s_delay_alu instid0(VALU_DEP_1) | instid1(SALU_CYCLE_1)
	v_cndmask_b32_e64 v4, v4, 0, s14
	s_delay_alu instid0(VALU_DEP_1)
	v_or_b32_e32 v8, v4, v2
.LBB4_2547:                             ;   in Loop: Header=BB4_2069 Depth=3
	s_or_b32 exec_lo, exec_lo, s77
                                        ; implicit-def: $vgpr2
.LBB4_2548:                             ;   in Loop: Header=BB4_2069 Depth=3
	s_and_not1_saveexec_b32 s14, s76
; %bb.2549:                             ;   in Loop: Header=BB4_2069 Depth=3
	v_or_b32_e32 v8, 0x7b, v2
; %bb.2550:                             ;   in Loop: Header=BB4_2069 Depth=3
	s_or_b32 exec_lo, exec_lo, s14
                                        ; implicit-def: $vgpr9
                                        ; implicit-def: $vgpr4_vgpr5
                                        ; implicit-def: $vgpr2
.LBB4_2551:                             ;   in Loop: Header=BB4_2069 Depth=3
	s_and_not1_saveexec_b32 s14, s75
	s_cbranch_execz .LBB4_2068
; %bb.2552:                             ;   in Loop: Header=BB4_2069 Depth=3
	s_mov_b32 s75, exec_lo
                                        ; implicit-def: $vgpr8
	v_cmpx_ne_u64_e32 0, v[4:5]
	s_xor_b32 s75, exec_lo, s75
; %bb.2553:                             ;   in Loop: Header=BB4_2069 Depth=3
	v_or_b32_e32 v8, 0x7f, v2
                                        ; implicit-def: $vgpr9
; %bb.2554:                             ;   in Loop: Header=BB4_2069 Depth=3
	s_and_not1_saveexec_b32 s75, s75
	s_cbranch_execz .LBB4_2067
; %bb.2555:                             ;   in Loop: Header=BB4_2069 Depth=3
	v_cmp_lt_i32_e32 vcc_lo, -1, v9
	v_cndmask_b32_e32 v8, 0xfc, v49, vcc_lo
	s_branch .LBB4_2067
.LBB4_2556:                             ;   in Loop: Header=BB4_57 Depth=2
	s_or_b32 exec_lo, exec_lo, s72
.LBB4_2557:                             ;   in Loop: Header=BB4_57 Depth=2
	s_delay_alu instid0(SALU_CYCLE_1) | instskip(NEXT) | instid1(VALU_DEP_2)
	s_or_b32 exec_lo, exec_lo, s63
	v_cmp_lt_i32_e32 vcc_lo, 0, v50
	v_dual_cndmask_b32 v5, 0, v36, vcc_lo :: v_dual_bitop2_b32 v2, 15, v13 bitop3:0x40
	s_delay_alu instid0(VALU_DEP_1) | instskip(NEXT) | instid1(VALU_DEP_1)
	v_dual_sub_nc_u32 v4, v31, v2 :: v_dual_cndmask_b32 v18, v31, v2, s13
	v_dual_cndmask_b32 v2, 0, v4, s13 :: v_dual_sub_nc_u32 v4, v5, v50
	s_delay_alu instid0(VALU_DEP_2) | instskip(NEXT) | instid1(VALU_DEP_2)
	v_cmp_ne_u32_e32 vcc_lo, 0, v18
	v_add3_u32 v2, v30, v21, v2
	s_delay_alu instid0(VALU_DEP_3)
	v_lshl_add_u32 v19, v4, 5, v15
	s_and_b32 s13, vcc_lo, exec_lo
.LBB4_2558:                             ;   in Loop: Header=BB4_57 Depth=2
	s_or_b32 exec_lo, exec_lo, s15
	s_and_saveexec_b32 s63, s13
	s_cbranch_execz .LBB4_3161
.LBB4_2559:                             ;   in Loop: Header=BB4_57 Depth=2
	v_dual_ashrrev_i32 v4, 31, v19 :: v_dual_ashrrev_i32 v5, 31, v18
	s_mov_b32 s72, exec_lo
	s_delay_alu instid0(VALU_DEP_1) | instskip(NEXT) | instid1(VALU_DEP_1)
	v_dual_lshrrev_b32 v4, 27, v4 :: v_dual_lshrrev_b32 v5, 23, v5
	v_dual_add_nc_u32 v4, v19, v4 :: v_dual_add_nc_u32 v5, v18, v5
	s_delay_alu instid0(VALU_DEP_1) | instskip(NEXT) | instid1(VALU_DEP_1)
	v_dual_ashrrev_i32 v15, 5, v4 :: v_dual_ashrrev_i32 v30, 9, v5
	v_sub_nc_u32_e32 v21, v30, v15
	s_delay_alu instid0(VALU_DEP_1)
	v_cmpx_lt_i32_e32 0, v21
	s_cbranch_execz .LBB4_3115
; %bb.2560:                             ;   in Loop: Header=BB4_57 Depth=2
	v_and_b32_e32 v4, 0xffffffe0, v4
	s_mov_b32 s73, 0
	s_delay_alu instid0(VALU_DEP_1) | instskip(NEXT) | instid1(VALU_DEP_1)
	v_dual_lshlrev_b32 v5, 9, v15 :: v_dual_sub_nc_u32 v4, v19, v4
	v_add3_u32 v8, v2, v4, v5
	s_delay_alu instid0(VALU_DEP_1)
	v_ashrrev_i32_e32 v9, 31, v8
	s_branch .LBB4_2563
.LBB4_2561:                             ;   in Loop: Header=BB4_2563 Depth=3
	s_or_b32 exec_lo, exec_lo, s14
.LBB4_2562:                             ;   in Loop: Header=BB4_2563 Depth=3
	s_delay_alu instid0(SALU_CYCLE_1)
	s_or_b32 exec_lo, exec_lo, s13
	v_sub_nc_u32_e32 v21, v21, v36
	v_add_nc_u64_e32 v[4:5], v[8:9], v[116:117]
	v_add_nc_u64_e32 v[114:115], v[114:115], v[54:55]
	;; [unrolled: 1-line block ×3, first 2 shown]
	s_clause 0x7
	flat_store_b8 v[4:5], v31 th:TH_STORE_NT
	flat_store_b8 v[4:5], v50 offset:32 th:TH_STORE_NT
	flat_store_b8 v[4:5], v51 offset:64 th:TH_STORE_NT
	;; [unrolled: 1-line block ×7, first 2 shown]
	v_cmp_gt_i32_e32 vcc_lo, 1, v21
	s_clause 0x7
	flat_store_b8 v[4:5], v101 offset:256 th:TH_STORE_NT
	flat_store_b8 v[4:5], v102 offset:288 th:TH_STORE_NT
	;; [unrolled: 1-line block ×8, first 2 shown]
	s_or_b32 s73, vcc_lo, s73
	s_wait_xcnt 0x0
	s_and_not1_b32 exec_lo, exec_lo, s73
	s_cbranch_execz .LBB4_3114
.LBB4_2563:                             ;   Parent Loop BB4_47 Depth=1
                                        ;     Parent Loop BB4_57 Depth=2
                                        ; =>    This Inner Loop Header: Depth=3
	s_trap 2
	ds_load_b64 v[4:5], v0
	s_mov_b32 s74, 0
	s_wait_dscnt 0x0
	v_and_b32_e32 v10, 0xff, v4
	v_readfirstlane_b32 s14, v4
	v_readfirstlane_b32 s15, v5
	s_delay_alu instid0(VALU_DEP_3)
	v_cmp_eq_u32_e32 vcc_lo, 0, v10
	s_cbranch_vccnz .LBB4_2571
; %bb.2564:                             ;   in Loop: Header=BB4_2563 Depth=3
	s_bfe_i32 s75, s14, 0x80000
	s_brev_b32 s74, 1
	s_and_b32 s13, 0xffff, s75
	s_delay_alu instid0(SALU_CYCLE_1)
	s_cmp_eq_u32 s13, 0xff80
	s_cbranch_scc1 .LBB4_2571
; %bb.2565:                             ;   in Loop: Header=BB4_2563 Depth=3
	s_and_b32 s74, s14, 0x7c
	s_and_b32 s13, s14, 3
	s_mov_b32 s76, -1
	s_cmp_lg_u32 s74, 0x7c
	s_sext_i32_i16 s75, s75
                                        ; implicit-def: $sgpr74
	s_cbranch_scc0 .LBB4_2569
; %bb.2566:                             ;   in Loop: Header=BB4_2563 Depth=3
	s_bfe_u32 s74, s14, 0x50002
	s_mov_b32 s76, s13
	s_cmp_lg_u32 s74, 0
	s_cbranch_scc1 .LBB4_2568
; %bb.2567:                             ;   in Loop: Header=BB4_2563 Depth=3
	s_clz_i32_u32 s74, s13
	s_delay_alu instid0(SALU_CYCLE_1) | instskip(NEXT) | instid1(SALU_CYCLE_1)
	s_min_u32 s74, s74, 32
	s_sub_co_i32 s76, s74, 29
	s_sub_co_i32 s74, 30, s74
	s_lshl_b64 s[14:15], s[14:15], s76
	s_delay_alu instid0(SALU_CYCLE_1)
	s_and_b32 s76, s14, 3
.LBB4_2568:                             ;   in Loop: Header=BB4_2563 Depth=3
	s_and_b32 s14, s75, 0x80000000
	s_lshl_b32 s15, s74, 23
	s_lshl_b32 s74, s76, 21
	s_add_co_i32 s15, s15, s14
	s_mov_b32 s76, 0
	s_or_b32 s14, s15, s74
	s_delay_alu instid0(SALU_CYCLE_1)
	s_add_co_i32 s74, s14, 0x38000000
.LBB4_2569:                             ;   in Loop: Header=BB4_2563 Depth=3
	s_and_b32 vcc_lo, exec_lo, s76
	s_cbranch_vccz .LBB4_2571
; %bb.2570:                             ;   in Loop: Header=BB4_2563 Depth=3
	s_cmp_gt_i32 s75, -1
	s_cselect_b32 s14, s47, 0xff800000
	s_cmp_eq_u32 s13, 0
	s_cselect_b32 s74, s14, 0x7f800001
.LBB4_2571:                             ;   in Loop: Header=BB4_2563 Depth=3
	v_add_nc_u64_e32 v[10:11], v[8:9], v[114:115]
	v_mov_b32_e32 v16, 0
	s_mov_b32 s13, exec_lo
	flat_load_i8 v4, v[10:11] th:TH_LOAD_NT
	s_wait_loadcnt_dscnt 0x0
	v_cmpx_ne_u16_e32 0, v4
	s_cbranch_execz .LBB4_2581
; %bb.2572:                             ;   in Loop: Header=BB4_2563 Depth=3
	v_bfrev_b32_e32 v16, 1
	s_mov_b32 s14, exec_lo
	v_cmpx_ne_u16_e32 0xff80, v4
	s_cbranch_execz .LBB4_2580
; %bb.2573:                             ;   in Loop: Header=BB4_2563 Depth=3
	v_and_b32_e32 v16, 0x7c, v4
	v_and_b32_e32 v5, 3, v4
	s_delay_alu instid0(VALU_DEP_2) | instskip(SKIP_1) | instid1(SALU_CYCLE_1)
	v_cmp_ne_u32_e32 vcc_lo, 0x7c, v16
                                        ; implicit-def: $vgpr16
	s_and_saveexec_b32 s15, vcc_lo
	s_xor_b32 s15, exec_lo, s15
	s_cbranch_execz .LBB4_2577
; %bb.2574:                             ;   in Loop: Header=BB4_2563 Depth=3
	v_and_b32_e32 v16, 0xff, v4
	s_mov_b32 s75, exec_lo
	s_delay_alu instid0(VALU_DEP_1) | instskip(NEXT) | instid1(VALU_DEP_1)
	v_bfe_u32 v16, v16, 2, 5
	v_cmpx_eq_u32_e32 0, v16
	s_cbranch_execz .LBB4_2576
; %bb.2575:                             ;   in Loop: Header=BB4_2563 Depth=3
	v_clz_i32_u32_e32 v5, v5
	s_delay_alu instid0(VALU_DEP_1) | instskip(SKIP_1) | instid1(VALU_DEP_2)
	v_min_u32_e32 v16, 32, v5
	v_mov_b32_e32 v5, v3
	v_subrev_nc_u32_e32 v17, 29, v16
	v_sub_nc_u32_e32 v16, 30, v16
	s_delay_alu instid0(VALU_DEP_2) | instskip(NEXT) | instid1(VALU_DEP_1)
	v_lshlrev_b64_e32 v[50:51], v17, v[4:5]
	v_and_b32_e32 v5, 3, v50
.LBB4_2576:                             ;   in Loop: Header=BB4_2563 Depth=3
	s_or_b32 exec_lo, exec_lo, s75
	v_bfe_i32 v4, v4, 0, 16
	s_delay_alu instid0(VALU_DEP_1) | instskip(NEXT) | instid1(VALU_DEP_1)
	v_and_b32_e32 v4, 0x80000000, v4
	v_lshl_add_u32 v4, v16, 23, v4
	s_delay_alu instid0(VALU_DEP_1) | instskip(NEXT) | instid1(VALU_DEP_1)
	v_lshl_or_b32 v4, v5, 21, v4
                                        ; implicit-def: $vgpr5
	v_add_nc_u32_e32 v16, 0x38000000, v4
                                        ; implicit-def: $vgpr4
.LBB4_2577:                             ;   in Loop: Header=BB4_2563 Depth=3
	s_and_not1_saveexec_b32 s15, s15
; %bb.2578:                             ;   in Loop: Header=BB4_2563 Depth=3
	v_cmp_lt_i16_e32 vcc_lo, -1, v4
	v_cndmask_b32_e32 v4, 0xff800000, v48, vcc_lo
	v_cmp_eq_u32_e32 vcc_lo, 0, v5
	s_delay_alu instid0(VALU_DEP_2)
	v_cndmask_b32_e32 v16, 0x7f800001, v4, vcc_lo
; %bb.2579:                             ;   in Loop: Header=BB4_2563 Depth=3
	s_or_b32 exec_lo, exec_lo, s15
.LBB4_2580:                             ;   in Loop: Header=BB4_2563 Depth=3
	s_delay_alu instid0(SALU_CYCLE_1)
	s_or_b32 exec_lo, exec_lo, s14
.LBB4_2581:                             ;   in Loop: Header=BB4_2563 Depth=3
	s_delay_alu instid0(SALU_CYCLE_1) | instskip(NEXT) | instid1(VALU_DEP_1)
	s_or_b32 exec_lo, exec_lo, s13
	v_dual_mul_f32 v16, s74, v16 :: v_dual_mov_b32 v5, v3
                                        ; implicit-def: $vgpr31
	s_delay_alu instid0(VALU_DEP_1) | instskip(NEXT) | instid1(VALU_DEP_1)
	v_and_b32_e32 v4, 0x7f800000, v16
	v_cmp_ne_u64_e32 vcc_lo, 0x7f800000, v[4:5]
	v_and_b32_e32 v4, 0x7fffff, v16
	s_and_saveexec_b32 s13, vcc_lo
	s_delay_alu instid0(SALU_CYCLE_1)
	s_xor_b32 s14, exec_lo, s13
	s_cbranch_execz .LBB4_2599
; %bb.2582:                             ;   in Loop: Header=BB4_2563 Depth=3
	v_and_b32_e32 v50, 0x7fffffff, v16
	v_dual_mov_b32 v51, v3 :: v_dual_lshrrev_b32 v17, 24, v16
                                        ; implicit-def: $vgpr31
	s_delay_alu instid0(VALU_DEP_1) | instskip(NEXT) | instid1(VALU_DEP_2)
	v_cmp_gt_u64_e32 vcc_lo, 0x47600001, v[50:51]
	v_and_b32_e32 v50, 0x80, v17
	s_and_saveexec_b32 s13, vcc_lo
	s_delay_alu instid0(SALU_CYCLE_1)
	s_xor_b32 s15, exec_lo, s13
	s_cbranch_execz .LBB4_2596
; %bb.2583:                             ;   in Loop: Header=BB4_2563 Depth=3
	v_mov_b32_e32 v31, 0
	s_mov_b32 s75, exec_lo
	v_cmpx_ne_u32_e32 0, v16
	s_cbranch_execz .LBB4_2595
; %bb.2584:                             ;   in Loop: Header=BB4_2563 Depth=3
	v_bfe_u32 v31, v16, 23, 8
	v_or_b32_e32 v64, 0x800000, v4
	s_delay_alu instid0(VALU_DEP_2) | instskip(SKIP_1) | instid1(VALU_DEP_2)
	v_sub_nc_u32_e32 v16, 0x71, v31
	v_cmp_gt_u32_e32 vcc_lo, 0x72, v31
	v_cndmask_b32_e32 v16, 0, v16, vcc_lo
	v_cmp_eq_u32_e32 vcc_lo, 0, v31
	s_delay_alu instid0(VALU_DEP_2) | instskip(NEXT) | instid1(VALU_DEP_1)
	v_cndmask_b32_e64 v51, v16, 0x70, vcc_lo
	v_dual_cndmask_b32 v4, v64, v4, vcc_lo :: v_dual_add_nc_u32 v16, 21, v51
	v_add_nc_u32_e32 v65, 20, v51
	s_delay_alu instid0(VALU_DEP_2) | instskip(NEXT) | instid1(VALU_DEP_2)
	v_lshlrev_b64_e64 v[16:17], v16, -1
	v_lshlrev_b64_e64 v[64:65], v65, 1
	s_delay_alu instid0(VALU_DEP_2) | instskip(SKIP_1) | instid1(VALU_DEP_4)
	v_bfi_b32 v16, v16, 0, v4
	v_lshrrev_b64 v[4:5], v51, v[4:5]
	v_bfi_b32 v17, v17, 0, 0
	s_delay_alu instid0(VALU_DEP_1) | instskip(NEXT) | instid1(VALU_DEP_3)
	v_cmp_eq_u64_e64 s13, v[16:17], v[64:65]
	v_mov_b64_e32 v[16:17], v[4:5]
	s_and_saveexec_b32 s76, s13
; %bb.2585:                             ;   in Loop: Header=BB4_2563 Depth=3
	v_bfe_u32 v16, v4, 21, 1
	v_mov_b32_e32 v17, v3
	s_delay_alu instid0(VALU_DEP_1) | instskip(NEXT) | instid1(VALU_DEP_1)
	v_add_nc_u64_e32 v[16:17], v[4:5], v[16:17]
	v_add_nc_u64_e32 v[16:17], -1, v[16:17]
; %bb.2586:                             ;   in Loop: Header=BB4_2563 Depth=3
	s_or_b32 exec_lo, exec_lo, s76
	v_add_nc_u32_e32 v5, 0xffffff81, v31
	v_lshrrev_b32_e32 v17, 23, v4
	s_mov_b32 s13, exec_lo
	s_delay_alu instid0(VALU_DEP_2) | instskip(NEXT) | instid1(VALU_DEP_1)
	v_cndmask_b32_e64 v5, v5, 0xffffff82, vcc_lo
	v_add3_u32 v17, v51, v5, v17
	v_and_b32_e32 v5, 0x1fffff, v16
                                        ; implicit-def: $vgpr16
	s_delay_alu instid0(VALU_DEP_1) | instskip(SKIP_1) | instid1(VALU_DEP_2)
	v_dual_add_nc_u32 v31, 14, v17 :: v_dual_add_nc_u32 v4, v5, v4
	v_mov_b32_e32 v5, v3
	v_cmpx_ne_u32_e32 0, v31
	s_xor_b32 s13, exec_lo, s13
; %bb.2587:                             ;   in Loop: Header=BB4_2563 Depth=3
	s_delay_alu instid0(VALU_DEP_2) | instskip(SKIP_2) | instid1(VALU_DEP_2)
	v_cmp_lt_u64_e32 vcc_lo, 0xffffff, v[4:5]
	v_add_nc_u32_e32 v16, 15, v17
	v_cndmask_b32_e64 v17, 0, 1, vcc_lo
	v_cndmask_b32_e32 v16, v31, v16, vcc_lo
	s_delay_alu instid0(VALU_DEP_2)
	v_lshrrev_b64 v[4:5], v17, v[4:5]
; %bb.2588:                             ;   in Loop: Header=BB4_2563 Depth=3
	s_and_not1_saveexec_b32 s13, s13
; %bb.2589:                             ;   in Loop: Header=BB4_2563 Depth=3
	s_delay_alu instid0(VALU_DEP_1)
	v_bfe_u32 v16, v4, 23, 1
; %bb.2590:                             ;   in Loop: Header=BB4_2563 Depth=3
	s_or_b32 exec_lo, exec_lo, s13
	s_delay_alu instid0(VALU_DEP_2) | instskip(NEXT) | instid1(VALU_DEP_2)
	v_lshrrev_b64 v[4:5], 21, v[4:5]
	v_cmp_gt_i32_e32 vcc_lo, 32, v16
	v_cmp_ne_u32_e64 s13, 0, v16
                                        ; implicit-def: $vgpr31
	s_delay_alu instid0(VALU_DEP_3) | instskip(NEXT) | instid1(VALU_DEP_1)
	v_dual_cndmask_b32 v5, 0, v5 :: v_dual_cndmask_b32 v4, 3, v4
	v_cmp_ne_u64_e32 vcc_lo, 0, v[4:5]
	s_or_b32 s13, s13, vcc_lo
	s_delay_alu instid0(SALU_CYCLE_1) | instskip(NEXT) | instid1(SALU_CYCLE_1)
	s_and_saveexec_b32 s76, s13
	s_xor_b32 s13, exec_lo, s76
; %bb.2591:                             ;   in Loop: Header=BB4_2563 Depth=3
	v_min_i32_e32 v5, 31, v16
	s_delay_alu instid0(VALU_DEP_1) | instskip(NEXT) | instid1(VALU_DEP_1)
	v_lshl_or_b32 v5, v5, 2, v50
                                        ; implicit-def: $vgpr50
	v_and_or_b32 v31, v4, 3, v5
; %bb.2592:                             ;   in Loop: Header=BB4_2563 Depth=3
	s_and_not1_saveexec_b32 s13, s13
; %bb.2593:                             ;   in Loop: Header=BB4_2563 Depth=3
	v_mov_b32_e32 v31, v50
; %bb.2594:                             ;   in Loop: Header=BB4_2563 Depth=3
	s_or_b32 exec_lo, exec_lo, s13
.LBB4_2595:                             ;   in Loop: Header=BB4_2563 Depth=3
	s_delay_alu instid0(SALU_CYCLE_1)
	s_or_b32 exec_lo, exec_lo, s75
                                        ; implicit-def: $vgpr50
.LBB4_2596:                             ;   in Loop: Header=BB4_2563 Depth=3
	s_and_not1_saveexec_b32 s13, s15
; %bb.2597:                             ;   in Loop: Header=BB4_2563 Depth=3
	v_or_b32_e32 v31, 0x7b, v50
; %bb.2598:                             ;   in Loop: Header=BB4_2563 Depth=3
	s_or_b32 exec_lo, exec_lo, s13
                                        ; implicit-def: $vgpr16
                                        ; implicit-def: $vgpr4_vgpr5
.LBB4_2599:                             ;   in Loop: Header=BB4_2563 Depth=3
	s_and_not1_saveexec_b32 s13, s14
	s_cbranch_execz .LBB4_2605
; %bb.2600:                             ;   in Loop: Header=BB4_2563 Depth=3
	s_mov_b32 s14, exec_lo
                                        ; implicit-def: $vgpr31
	v_cmpx_ne_u64_e32 0, v[4:5]
	s_xor_b32 s14, exec_lo, s14
; %bb.2601:                             ;   in Loop: Header=BB4_2563 Depth=3
	v_lshrrev_b32_e32 v4, 24, v16
                                        ; implicit-def: $vgpr16
	s_delay_alu instid0(VALU_DEP_1)
	v_or_b32_e32 v31, 0x7f, v4
; %bb.2602:                             ;   in Loop: Header=BB4_2563 Depth=3
	s_and_not1_saveexec_b32 s14, s14
; %bb.2603:                             ;   in Loop: Header=BB4_2563 Depth=3
	v_cmp_lt_i32_e32 vcc_lo, -1, v16
	v_cndmask_b32_e64 v31, -4, 0x7c, vcc_lo
; %bb.2604:                             ;   in Loop: Header=BB4_2563 Depth=3
	s_or_b32 exec_lo, exec_lo, s14
.LBB4_2605:                             ;   in Loop: Header=BB4_2563 Depth=3
	s_delay_alu instid0(SALU_CYCLE_1)
	s_or_b32 exec_lo, exec_lo, s13
	flat_load_i8 v4, v[10:11] offset:32 th:TH_LOAD_NT
	v_mov_b32_e32 v16, 0
	s_mov_b32 s13, exec_lo
	s_wait_loadcnt_dscnt 0x0
	v_cmpx_ne_u16_e32 0, v4
	s_cbranch_execz .LBB4_2615
; %bb.2606:                             ;   in Loop: Header=BB4_2563 Depth=3
	v_bfrev_b32_e32 v16, 1
	s_mov_b32 s14, exec_lo
	v_cmpx_ne_u16_e32 0xff80, v4
	s_cbranch_execz .LBB4_2614
; %bb.2607:                             ;   in Loop: Header=BB4_2563 Depth=3
	v_and_b32_e32 v16, 0x7c, v4
	v_and_b32_e32 v5, 3, v4
	s_delay_alu instid0(VALU_DEP_2) | instskip(SKIP_1) | instid1(SALU_CYCLE_1)
	v_cmp_ne_u32_e32 vcc_lo, 0x7c, v16
                                        ; implicit-def: $vgpr16
	s_and_saveexec_b32 s15, vcc_lo
	s_xor_b32 s15, exec_lo, s15
	s_cbranch_execz .LBB4_2611
; %bb.2608:                             ;   in Loop: Header=BB4_2563 Depth=3
	v_and_b32_e32 v16, 0xff, v4
	s_mov_b32 s75, exec_lo
	s_delay_alu instid0(VALU_DEP_1) | instskip(NEXT) | instid1(VALU_DEP_1)
	v_bfe_u32 v16, v16, 2, 5
	v_cmpx_eq_u32_e32 0, v16
	s_cbranch_execz .LBB4_2610
; %bb.2609:                             ;   in Loop: Header=BB4_2563 Depth=3
	v_clz_i32_u32_e32 v5, v5
	s_delay_alu instid0(VALU_DEP_1) | instskip(SKIP_1) | instid1(VALU_DEP_2)
	v_min_u32_e32 v16, 32, v5
	v_mov_b32_e32 v5, v3
	v_subrev_nc_u32_e32 v17, 29, v16
	v_sub_nc_u32_e32 v16, 30, v16
	s_delay_alu instid0(VALU_DEP_2) | instskip(NEXT) | instid1(VALU_DEP_1)
	v_lshlrev_b64_e32 v[50:51], v17, v[4:5]
	v_and_b32_e32 v5, 3, v50
.LBB4_2610:                             ;   in Loop: Header=BB4_2563 Depth=3
	s_or_b32 exec_lo, exec_lo, s75
	v_bfe_i32 v4, v4, 0, 16
	s_delay_alu instid0(VALU_DEP_1) | instskip(NEXT) | instid1(VALU_DEP_1)
	v_and_b32_e32 v4, 0x80000000, v4
	v_lshl_add_u32 v4, v16, 23, v4
	s_delay_alu instid0(VALU_DEP_1) | instskip(NEXT) | instid1(VALU_DEP_1)
	v_lshl_or_b32 v4, v5, 21, v4
                                        ; implicit-def: $vgpr5
	v_add_nc_u32_e32 v16, 0x38000000, v4
                                        ; implicit-def: $vgpr4
.LBB4_2611:                             ;   in Loop: Header=BB4_2563 Depth=3
	s_and_not1_saveexec_b32 s15, s15
; %bb.2612:                             ;   in Loop: Header=BB4_2563 Depth=3
	v_cmp_lt_i16_e32 vcc_lo, -1, v4
	v_cndmask_b32_e32 v4, 0xff800000, v48, vcc_lo
	v_cmp_eq_u32_e32 vcc_lo, 0, v5
	s_delay_alu instid0(VALU_DEP_2)
	v_cndmask_b32_e32 v16, 0x7f800001, v4, vcc_lo
; %bb.2613:                             ;   in Loop: Header=BB4_2563 Depth=3
	s_or_b32 exec_lo, exec_lo, s15
.LBB4_2614:                             ;   in Loop: Header=BB4_2563 Depth=3
	s_delay_alu instid0(SALU_CYCLE_1)
	s_or_b32 exec_lo, exec_lo, s14
.LBB4_2615:                             ;   in Loop: Header=BB4_2563 Depth=3
	s_delay_alu instid0(SALU_CYCLE_1) | instskip(NEXT) | instid1(VALU_DEP_1)
	s_or_b32 exec_lo, exec_lo, s13
	v_dual_mul_f32 v16, s74, v16 :: v_dual_mov_b32 v5, v3
                                        ; implicit-def: $vgpr50
	s_delay_alu instid0(VALU_DEP_1) | instskip(NEXT) | instid1(VALU_DEP_1)
	v_and_b32_e32 v4, 0x7f800000, v16
	v_cmp_ne_u64_e32 vcc_lo, 0x7f800000, v[4:5]
	v_and_b32_e32 v4, 0x7fffff, v16
	s_and_saveexec_b32 s13, vcc_lo
	s_delay_alu instid0(SALU_CYCLE_1)
	s_xor_b32 s14, exec_lo, s13
	s_cbranch_execz .LBB4_2633
; %bb.2616:                             ;   in Loop: Header=BB4_2563 Depth=3
	v_and_b32_e32 v50, 0x7fffffff, v16
	v_dual_mov_b32 v51, v3 :: v_dual_lshrrev_b32 v17, 24, v16
	s_delay_alu instid0(VALU_DEP_1) | instskip(NEXT) | instid1(VALU_DEP_2)
	v_cmp_gt_u64_e32 vcc_lo, 0x47600001, v[50:51]
	v_and_b32_e32 v51, 0x80, v17
                                        ; implicit-def: $vgpr50
	s_and_saveexec_b32 s13, vcc_lo
	s_delay_alu instid0(SALU_CYCLE_1)
	s_xor_b32 s15, exec_lo, s13
	s_cbranch_execz .LBB4_2630
; %bb.2617:                             ;   in Loop: Header=BB4_2563 Depth=3
	v_mov_b32_e32 v50, 0
	s_mov_b32 s75, exec_lo
	v_cmpx_ne_u32_e32 0, v16
	s_cbranch_execz .LBB4_2629
; %bb.2618:                             ;   in Loop: Header=BB4_2563 Depth=3
	v_bfe_u32 v50, v16, 23, 8
	v_or_b32_e32 v65, 0x800000, v4
	s_delay_alu instid0(VALU_DEP_2) | instskip(SKIP_1) | instid1(VALU_DEP_2)
	v_sub_nc_u32_e32 v16, 0x71, v50
	v_cmp_gt_u32_e32 vcc_lo, 0x72, v50
	v_cndmask_b32_e32 v16, 0, v16, vcc_lo
	v_cmp_eq_u32_e32 vcc_lo, 0, v50
	s_delay_alu instid0(VALU_DEP_2) | instskip(SKIP_1) | instid1(VALU_DEP_2)
	v_cndmask_b32_e64 v64, v16, 0x70, vcc_lo
	v_cndmask_b32_e32 v4, v65, v4, vcc_lo
	v_dual_add_nc_u32 v16, 21, v64 :: v_dual_add_nc_u32 v66, 20, v64
	s_delay_alu instid0(VALU_DEP_1) | instskip(NEXT) | instid1(VALU_DEP_2)
	v_lshlrev_b64_e64 v[16:17], v16, -1
	v_lshlrev_b64_e64 v[66:67], v66, 1
	s_delay_alu instid0(VALU_DEP_2) | instskip(SKIP_1) | instid1(VALU_DEP_4)
	v_bfi_b32 v16, v16, 0, v4
	v_lshrrev_b64 v[4:5], v64, v[4:5]
	v_bfi_b32 v17, v17, 0, 0
	s_delay_alu instid0(VALU_DEP_1) | instskip(NEXT) | instid1(VALU_DEP_3)
	v_cmp_eq_u64_e64 s13, v[16:17], v[66:67]
	v_mov_b64_e32 v[16:17], v[4:5]
	s_and_saveexec_b32 s76, s13
; %bb.2619:                             ;   in Loop: Header=BB4_2563 Depth=3
	v_bfe_u32 v16, v4, 21, 1
	v_mov_b32_e32 v17, v3
	s_delay_alu instid0(VALU_DEP_1) | instskip(NEXT) | instid1(VALU_DEP_1)
	v_add_nc_u64_e32 v[16:17], v[4:5], v[16:17]
	v_add_nc_u64_e32 v[16:17], -1, v[16:17]
; %bb.2620:                             ;   in Loop: Header=BB4_2563 Depth=3
	s_or_b32 exec_lo, exec_lo, s76
	v_add_nc_u32_e32 v5, 0xffffff81, v50
	v_lshrrev_b32_e32 v17, 23, v4
	s_mov_b32 s13, exec_lo
	s_delay_alu instid0(VALU_DEP_2) | instskip(NEXT) | instid1(VALU_DEP_1)
	v_cndmask_b32_e64 v5, v5, 0xffffff82, vcc_lo
	v_add3_u32 v17, v64, v5, v17
	v_and_b32_e32 v5, 0x1fffff, v16
                                        ; implicit-def: $vgpr16
	s_delay_alu instid0(VALU_DEP_1) | instskip(SKIP_1) | instid1(VALU_DEP_2)
	v_dual_add_nc_u32 v50, 14, v17 :: v_dual_add_nc_u32 v4, v5, v4
	v_mov_b32_e32 v5, v3
	v_cmpx_ne_u32_e32 0, v50
	s_xor_b32 s13, exec_lo, s13
; %bb.2621:                             ;   in Loop: Header=BB4_2563 Depth=3
	s_delay_alu instid0(VALU_DEP_2) | instskip(SKIP_2) | instid1(VALU_DEP_2)
	v_cmp_lt_u64_e32 vcc_lo, 0xffffff, v[4:5]
	v_add_nc_u32_e32 v16, 15, v17
	v_cndmask_b32_e64 v17, 0, 1, vcc_lo
	v_cndmask_b32_e32 v16, v50, v16, vcc_lo
	s_delay_alu instid0(VALU_DEP_2)
	v_lshrrev_b64 v[4:5], v17, v[4:5]
; %bb.2622:                             ;   in Loop: Header=BB4_2563 Depth=3
	s_and_not1_saveexec_b32 s13, s13
; %bb.2623:                             ;   in Loop: Header=BB4_2563 Depth=3
	s_delay_alu instid0(VALU_DEP_1)
	v_bfe_u32 v16, v4, 23, 1
; %bb.2624:                             ;   in Loop: Header=BB4_2563 Depth=3
	s_or_b32 exec_lo, exec_lo, s13
	s_delay_alu instid0(VALU_DEP_2) | instskip(NEXT) | instid1(VALU_DEP_2)
	v_lshrrev_b64 v[4:5], 21, v[4:5]
	v_cmp_gt_i32_e32 vcc_lo, 32, v16
	v_cmp_ne_u32_e64 s13, 0, v16
                                        ; implicit-def: $vgpr50
	s_delay_alu instid0(VALU_DEP_3) | instskip(NEXT) | instid1(VALU_DEP_1)
	v_dual_cndmask_b32 v5, 0, v5 :: v_dual_cndmask_b32 v4, 3, v4
	v_cmp_ne_u64_e32 vcc_lo, 0, v[4:5]
	s_or_b32 s13, s13, vcc_lo
	s_delay_alu instid0(SALU_CYCLE_1) | instskip(NEXT) | instid1(SALU_CYCLE_1)
	s_and_saveexec_b32 s76, s13
	s_xor_b32 s13, exec_lo, s76
; %bb.2625:                             ;   in Loop: Header=BB4_2563 Depth=3
	v_min_i32_e32 v5, 31, v16
	s_delay_alu instid0(VALU_DEP_1) | instskip(NEXT) | instid1(VALU_DEP_1)
	v_lshl_or_b32 v5, v5, 2, v51
                                        ; implicit-def: $vgpr51
	v_and_or_b32 v50, v4, 3, v5
; %bb.2626:                             ;   in Loop: Header=BB4_2563 Depth=3
	s_and_not1_saveexec_b32 s13, s13
; %bb.2627:                             ;   in Loop: Header=BB4_2563 Depth=3
	v_mov_b32_e32 v50, v51
; %bb.2628:                             ;   in Loop: Header=BB4_2563 Depth=3
	s_or_b32 exec_lo, exec_lo, s13
.LBB4_2629:                             ;   in Loop: Header=BB4_2563 Depth=3
	s_delay_alu instid0(SALU_CYCLE_1)
	s_or_b32 exec_lo, exec_lo, s75
                                        ; implicit-def: $vgpr51
.LBB4_2630:                             ;   in Loop: Header=BB4_2563 Depth=3
	s_and_not1_saveexec_b32 s13, s15
; %bb.2631:                             ;   in Loop: Header=BB4_2563 Depth=3
	v_or_b32_e32 v50, 0x7b, v51
; %bb.2632:                             ;   in Loop: Header=BB4_2563 Depth=3
	s_or_b32 exec_lo, exec_lo, s13
                                        ; implicit-def: $vgpr16
                                        ; implicit-def: $vgpr4_vgpr5
.LBB4_2633:                             ;   in Loop: Header=BB4_2563 Depth=3
	s_and_not1_saveexec_b32 s13, s14
	s_cbranch_execz .LBB4_2639
; %bb.2634:                             ;   in Loop: Header=BB4_2563 Depth=3
	s_mov_b32 s14, exec_lo
                                        ; implicit-def: $vgpr50
	v_cmpx_ne_u64_e32 0, v[4:5]
	s_xor_b32 s14, exec_lo, s14
; %bb.2635:                             ;   in Loop: Header=BB4_2563 Depth=3
	v_lshrrev_b32_e32 v4, 24, v16
                                        ; implicit-def: $vgpr16
	s_delay_alu instid0(VALU_DEP_1)
	v_or_b32_e32 v50, 0x7f, v4
; %bb.2636:                             ;   in Loop: Header=BB4_2563 Depth=3
	s_and_not1_saveexec_b32 s14, s14
; %bb.2637:                             ;   in Loop: Header=BB4_2563 Depth=3
	v_cmp_lt_i32_e32 vcc_lo, -1, v16
	v_cndmask_b32_e64 v50, -4, 0x7c, vcc_lo
; %bb.2638:                             ;   in Loop: Header=BB4_2563 Depth=3
	s_or_b32 exec_lo, exec_lo, s14
.LBB4_2639:                             ;   in Loop: Header=BB4_2563 Depth=3
	s_delay_alu instid0(SALU_CYCLE_1)
	s_or_b32 exec_lo, exec_lo, s13
	flat_load_i8 v4, v[10:11] offset:64 th:TH_LOAD_NT
	v_mov_b32_e32 v16, 0
	s_mov_b32 s13, exec_lo
	s_wait_loadcnt_dscnt 0x0
	v_cmpx_ne_u16_e32 0, v4
	s_cbranch_execz .LBB4_2649
; %bb.2640:                             ;   in Loop: Header=BB4_2563 Depth=3
	v_bfrev_b32_e32 v16, 1
	s_mov_b32 s14, exec_lo
	v_cmpx_ne_u16_e32 0xff80, v4
	s_cbranch_execz .LBB4_2648
; %bb.2641:                             ;   in Loop: Header=BB4_2563 Depth=3
	v_and_b32_e32 v16, 0x7c, v4
	v_and_b32_e32 v5, 3, v4
	s_delay_alu instid0(VALU_DEP_2) | instskip(SKIP_1) | instid1(SALU_CYCLE_1)
	v_cmp_ne_u32_e32 vcc_lo, 0x7c, v16
                                        ; implicit-def: $vgpr16
	s_and_saveexec_b32 s15, vcc_lo
	s_xor_b32 s15, exec_lo, s15
	s_cbranch_execz .LBB4_2645
; %bb.2642:                             ;   in Loop: Header=BB4_2563 Depth=3
	v_and_b32_e32 v16, 0xff, v4
	s_mov_b32 s75, exec_lo
	s_delay_alu instid0(VALU_DEP_1) | instskip(NEXT) | instid1(VALU_DEP_1)
	v_bfe_u32 v16, v16, 2, 5
	v_cmpx_eq_u32_e32 0, v16
	s_cbranch_execz .LBB4_2644
; %bb.2643:                             ;   in Loop: Header=BB4_2563 Depth=3
	v_clz_i32_u32_e32 v5, v5
	s_delay_alu instid0(VALU_DEP_1) | instskip(SKIP_1) | instid1(VALU_DEP_2)
	v_min_u32_e32 v16, 32, v5
	v_mov_b32_e32 v5, v3
	v_subrev_nc_u32_e32 v17, 29, v16
	v_sub_nc_u32_e32 v16, 30, v16
	s_delay_alu instid0(VALU_DEP_2) | instskip(NEXT) | instid1(VALU_DEP_1)
	v_lshlrev_b64_e32 v[64:65], v17, v[4:5]
	v_and_b32_e32 v5, 3, v64
.LBB4_2644:                             ;   in Loop: Header=BB4_2563 Depth=3
	s_or_b32 exec_lo, exec_lo, s75
	v_bfe_i32 v4, v4, 0, 16
	s_delay_alu instid0(VALU_DEP_1) | instskip(NEXT) | instid1(VALU_DEP_1)
	v_and_b32_e32 v4, 0x80000000, v4
	v_lshl_add_u32 v4, v16, 23, v4
	s_delay_alu instid0(VALU_DEP_1) | instskip(NEXT) | instid1(VALU_DEP_1)
	v_lshl_or_b32 v4, v5, 21, v4
                                        ; implicit-def: $vgpr5
	v_add_nc_u32_e32 v16, 0x38000000, v4
                                        ; implicit-def: $vgpr4
.LBB4_2645:                             ;   in Loop: Header=BB4_2563 Depth=3
	s_and_not1_saveexec_b32 s15, s15
; %bb.2646:                             ;   in Loop: Header=BB4_2563 Depth=3
	v_cmp_lt_i16_e32 vcc_lo, -1, v4
	v_cndmask_b32_e32 v4, 0xff800000, v48, vcc_lo
	v_cmp_eq_u32_e32 vcc_lo, 0, v5
	s_delay_alu instid0(VALU_DEP_2)
	v_cndmask_b32_e32 v16, 0x7f800001, v4, vcc_lo
; %bb.2647:                             ;   in Loop: Header=BB4_2563 Depth=3
	s_or_b32 exec_lo, exec_lo, s15
.LBB4_2648:                             ;   in Loop: Header=BB4_2563 Depth=3
	s_delay_alu instid0(SALU_CYCLE_1)
	s_or_b32 exec_lo, exec_lo, s14
.LBB4_2649:                             ;   in Loop: Header=BB4_2563 Depth=3
	s_delay_alu instid0(SALU_CYCLE_1) | instskip(NEXT) | instid1(VALU_DEP_1)
	s_or_b32 exec_lo, exec_lo, s13
	v_dual_mul_f32 v16, s74, v16 :: v_dual_mov_b32 v5, v3
                                        ; implicit-def: $vgpr51
	s_delay_alu instid0(VALU_DEP_1) | instskip(NEXT) | instid1(VALU_DEP_1)
	v_and_b32_e32 v4, 0x7f800000, v16
	v_cmp_ne_u64_e32 vcc_lo, 0x7f800000, v[4:5]
	v_and_b32_e32 v4, 0x7fffff, v16
	s_and_saveexec_b32 s13, vcc_lo
	s_delay_alu instid0(SALU_CYCLE_1)
	s_xor_b32 s14, exec_lo, s13
	s_cbranch_execz .LBB4_2667
; %bb.2650:                             ;   in Loop: Header=BB4_2563 Depth=3
	v_and_b32_e32 v64, 0x7fffffff, v16
	v_dual_mov_b32 v65, v3 :: v_dual_lshrrev_b32 v17, 24, v16
                                        ; implicit-def: $vgpr51
	s_delay_alu instid0(VALU_DEP_1) | instskip(NEXT) | instid1(VALU_DEP_2)
	v_cmp_gt_u64_e32 vcc_lo, 0x47600001, v[64:65]
	v_and_b32_e32 v64, 0x80, v17
	s_and_saveexec_b32 s13, vcc_lo
	s_delay_alu instid0(SALU_CYCLE_1)
	s_xor_b32 s15, exec_lo, s13
	s_cbranch_execz .LBB4_2664
; %bb.2651:                             ;   in Loop: Header=BB4_2563 Depth=3
	v_mov_b32_e32 v51, 0
	s_mov_b32 s75, exec_lo
	v_cmpx_ne_u32_e32 0, v16
	s_cbranch_execz .LBB4_2663
; %bb.2652:                             ;   in Loop: Header=BB4_2563 Depth=3
	v_bfe_u32 v51, v16, 23, 8
	v_or_b32_e32 v66, 0x800000, v4
	s_delay_alu instid0(VALU_DEP_2) | instskip(SKIP_1) | instid1(VALU_DEP_2)
	v_sub_nc_u32_e32 v16, 0x71, v51
	v_cmp_gt_u32_e32 vcc_lo, 0x72, v51
	v_cndmask_b32_e32 v16, 0, v16, vcc_lo
	v_cmp_eq_u32_e32 vcc_lo, 0, v51
	s_delay_alu instid0(VALU_DEP_2) | instskip(NEXT) | instid1(VALU_DEP_1)
	v_cndmask_b32_e64 v65, v16, 0x70, vcc_lo
	v_dual_cndmask_b32 v4, v66, v4, vcc_lo :: v_dual_add_nc_u32 v16, 21, v65
	v_add_nc_u32_e32 v67, 20, v65
	s_delay_alu instid0(VALU_DEP_2) | instskip(NEXT) | instid1(VALU_DEP_2)
	v_lshlrev_b64_e64 v[16:17], v16, -1
	v_lshlrev_b64_e64 v[66:67], v67, 1
	s_delay_alu instid0(VALU_DEP_2) | instskip(SKIP_1) | instid1(VALU_DEP_4)
	v_bfi_b32 v16, v16, 0, v4
	v_lshrrev_b64 v[4:5], v65, v[4:5]
	v_bfi_b32 v17, v17, 0, 0
	s_delay_alu instid0(VALU_DEP_1) | instskip(NEXT) | instid1(VALU_DEP_3)
	v_cmp_eq_u64_e64 s13, v[16:17], v[66:67]
	v_mov_b64_e32 v[16:17], v[4:5]
	s_and_saveexec_b32 s76, s13
; %bb.2653:                             ;   in Loop: Header=BB4_2563 Depth=3
	v_bfe_u32 v16, v4, 21, 1
	v_mov_b32_e32 v17, v3
	s_delay_alu instid0(VALU_DEP_1) | instskip(NEXT) | instid1(VALU_DEP_1)
	v_add_nc_u64_e32 v[16:17], v[4:5], v[16:17]
	v_add_nc_u64_e32 v[16:17], -1, v[16:17]
; %bb.2654:                             ;   in Loop: Header=BB4_2563 Depth=3
	s_or_b32 exec_lo, exec_lo, s76
	v_add_nc_u32_e32 v5, 0xffffff81, v51
	v_lshrrev_b32_e32 v17, 23, v4
	s_mov_b32 s13, exec_lo
	s_delay_alu instid0(VALU_DEP_2) | instskip(NEXT) | instid1(VALU_DEP_1)
	v_cndmask_b32_e64 v5, v5, 0xffffff82, vcc_lo
	v_add3_u32 v17, v65, v5, v17
	v_and_b32_e32 v5, 0x1fffff, v16
                                        ; implicit-def: $vgpr16
	s_delay_alu instid0(VALU_DEP_1) | instskip(SKIP_1) | instid1(VALU_DEP_2)
	v_dual_add_nc_u32 v51, 14, v17 :: v_dual_add_nc_u32 v4, v5, v4
	v_mov_b32_e32 v5, v3
	v_cmpx_ne_u32_e32 0, v51
	s_xor_b32 s13, exec_lo, s13
; %bb.2655:                             ;   in Loop: Header=BB4_2563 Depth=3
	s_delay_alu instid0(VALU_DEP_2) | instskip(SKIP_2) | instid1(VALU_DEP_2)
	v_cmp_lt_u64_e32 vcc_lo, 0xffffff, v[4:5]
	v_add_nc_u32_e32 v16, 15, v17
	v_cndmask_b32_e64 v17, 0, 1, vcc_lo
	v_cndmask_b32_e32 v16, v51, v16, vcc_lo
	s_delay_alu instid0(VALU_DEP_2)
	v_lshrrev_b64 v[4:5], v17, v[4:5]
; %bb.2656:                             ;   in Loop: Header=BB4_2563 Depth=3
	s_and_not1_saveexec_b32 s13, s13
; %bb.2657:                             ;   in Loop: Header=BB4_2563 Depth=3
	s_delay_alu instid0(VALU_DEP_1)
	v_bfe_u32 v16, v4, 23, 1
; %bb.2658:                             ;   in Loop: Header=BB4_2563 Depth=3
	s_or_b32 exec_lo, exec_lo, s13
	s_delay_alu instid0(VALU_DEP_2) | instskip(NEXT) | instid1(VALU_DEP_2)
	v_lshrrev_b64 v[4:5], 21, v[4:5]
	v_cmp_gt_i32_e32 vcc_lo, 32, v16
	v_cmp_ne_u32_e64 s13, 0, v16
                                        ; implicit-def: $vgpr51
	s_delay_alu instid0(VALU_DEP_3) | instskip(NEXT) | instid1(VALU_DEP_1)
	v_dual_cndmask_b32 v5, 0, v5 :: v_dual_cndmask_b32 v4, 3, v4
	v_cmp_ne_u64_e32 vcc_lo, 0, v[4:5]
	s_or_b32 s13, s13, vcc_lo
	s_delay_alu instid0(SALU_CYCLE_1) | instskip(NEXT) | instid1(SALU_CYCLE_1)
	s_and_saveexec_b32 s76, s13
	s_xor_b32 s13, exec_lo, s76
; %bb.2659:                             ;   in Loop: Header=BB4_2563 Depth=3
	v_min_i32_e32 v5, 31, v16
	s_delay_alu instid0(VALU_DEP_1) | instskip(NEXT) | instid1(VALU_DEP_1)
	v_lshl_or_b32 v5, v5, 2, v64
                                        ; implicit-def: $vgpr64
	v_and_or_b32 v51, v4, 3, v5
; %bb.2660:                             ;   in Loop: Header=BB4_2563 Depth=3
	s_and_not1_saveexec_b32 s13, s13
; %bb.2661:                             ;   in Loop: Header=BB4_2563 Depth=3
	v_mov_b32_e32 v51, v64
; %bb.2662:                             ;   in Loop: Header=BB4_2563 Depth=3
	s_or_b32 exec_lo, exec_lo, s13
.LBB4_2663:                             ;   in Loop: Header=BB4_2563 Depth=3
	s_delay_alu instid0(SALU_CYCLE_1)
	s_or_b32 exec_lo, exec_lo, s75
                                        ; implicit-def: $vgpr64
.LBB4_2664:                             ;   in Loop: Header=BB4_2563 Depth=3
	s_and_not1_saveexec_b32 s13, s15
; %bb.2665:                             ;   in Loop: Header=BB4_2563 Depth=3
	v_or_b32_e32 v51, 0x7b, v64
; %bb.2666:                             ;   in Loop: Header=BB4_2563 Depth=3
	s_or_b32 exec_lo, exec_lo, s13
                                        ; implicit-def: $vgpr16
                                        ; implicit-def: $vgpr4_vgpr5
.LBB4_2667:                             ;   in Loop: Header=BB4_2563 Depth=3
	s_and_not1_saveexec_b32 s13, s14
	s_cbranch_execz .LBB4_2673
; %bb.2668:                             ;   in Loop: Header=BB4_2563 Depth=3
	s_mov_b32 s14, exec_lo
                                        ; implicit-def: $vgpr51
	v_cmpx_ne_u64_e32 0, v[4:5]
	s_xor_b32 s14, exec_lo, s14
; %bb.2669:                             ;   in Loop: Header=BB4_2563 Depth=3
	v_lshrrev_b32_e32 v4, 24, v16
                                        ; implicit-def: $vgpr16
	s_delay_alu instid0(VALU_DEP_1)
	v_or_b32_e32 v51, 0x7f, v4
; %bb.2670:                             ;   in Loop: Header=BB4_2563 Depth=3
	s_and_not1_saveexec_b32 s14, s14
; %bb.2671:                             ;   in Loop: Header=BB4_2563 Depth=3
	v_cmp_lt_i32_e32 vcc_lo, -1, v16
	v_cndmask_b32_e64 v51, -4, 0x7c, vcc_lo
; %bb.2672:                             ;   in Loop: Header=BB4_2563 Depth=3
	s_or_b32 exec_lo, exec_lo, s14
.LBB4_2673:                             ;   in Loop: Header=BB4_2563 Depth=3
	s_delay_alu instid0(SALU_CYCLE_1)
	s_or_b32 exec_lo, exec_lo, s13
	flat_load_i8 v4, v[10:11] offset:96 th:TH_LOAD_NT
	v_mov_b32_e32 v16, 0
	s_mov_b32 s13, exec_lo
	s_wait_loadcnt_dscnt 0x0
	v_cmpx_ne_u16_e32 0, v4
	s_cbranch_execz .LBB4_2683
; %bb.2674:                             ;   in Loop: Header=BB4_2563 Depth=3
	v_bfrev_b32_e32 v16, 1
	s_mov_b32 s14, exec_lo
	v_cmpx_ne_u16_e32 0xff80, v4
	s_cbranch_execz .LBB4_2682
; %bb.2675:                             ;   in Loop: Header=BB4_2563 Depth=3
	v_and_b32_e32 v16, 0x7c, v4
	v_and_b32_e32 v5, 3, v4
	s_delay_alu instid0(VALU_DEP_2) | instskip(SKIP_1) | instid1(SALU_CYCLE_1)
	v_cmp_ne_u32_e32 vcc_lo, 0x7c, v16
                                        ; implicit-def: $vgpr16
	s_and_saveexec_b32 s15, vcc_lo
	s_xor_b32 s15, exec_lo, s15
	s_cbranch_execz .LBB4_2679
; %bb.2676:                             ;   in Loop: Header=BB4_2563 Depth=3
	v_and_b32_e32 v16, 0xff, v4
	s_mov_b32 s75, exec_lo
	s_delay_alu instid0(VALU_DEP_1) | instskip(NEXT) | instid1(VALU_DEP_1)
	v_bfe_u32 v16, v16, 2, 5
	v_cmpx_eq_u32_e32 0, v16
	s_cbranch_execz .LBB4_2678
; %bb.2677:                             ;   in Loop: Header=BB4_2563 Depth=3
	v_clz_i32_u32_e32 v5, v5
	s_delay_alu instid0(VALU_DEP_1) | instskip(SKIP_1) | instid1(VALU_DEP_2)
	v_min_u32_e32 v16, 32, v5
	v_mov_b32_e32 v5, v3
	v_subrev_nc_u32_e32 v17, 29, v16
	v_sub_nc_u32_e32 v16, 30, v16
	s_delay_alu instid0(VALU_DEP_2) | instskip(NEXT) | instid1(VALU_DEP_1)
	v_lshlrev_b64_e32 v[64:65], v17, v[4:5]
	v_and_b32_e32 v5, 3, v64
.LBB4_2678:                             ;   in Loop: Header=BB4_2563 Depth=3
	s_or_b32 exec_lo, exec_lo, s75
	v_bfe_i32 v4, v4, 0, 16
	s_delay_alu instid0(VALU_DEP_1) | instskip(NEXT) | instid1(VALU_DEP_1)
	v_and_b32_e32 v4, 0x80000000, v4
	v_lshl_add_u32 v4, v16, 23, v4
	s_delay_alu instid0(VALU_DEP_1) | instskip(NEXT) | instid1(VALU_DEP_1)
	v_lshl_or_b32 v4, v5, 21, v4
                                        ; implicit-def: $vgpr5
	v_add_nc_u32_e32 v16, 0x38000000, v4
                                        ; implicit-def: $vgpr4
.LBB4_2679:                             ;   in Loop: Header=BB4_2563 Depth=3
	s_and_not1_saveexec_b32 s15, s15
; %bb.2680:                             ;   in Loop: Header=BB4_2563 Depth=3
	v_cmp_lt_i16_e32 vcc_lo, -1, v4
	v_cndmask_b32_e32 v4, 0xff800000, v48, vcc_lo
	v_cmp_eq_u32_e32 vcc_lo, 0, v5
	s_delay_alu instid0(VALU_DEP_2)
	v_cndmask_b32_e32 v16, 0x7f800001, v4, vcc_lo
; %bb.2681:                             ;   in Loop: Header=BB4_2563 Depth=3
	s_or_b32 exec_lo, exec_lo, s15
.LBB4_2682:                             ;   in Loop: Header=BB4_2563 Depth=3
	s_delay_alu instid0(SALU_CYCLE_1)
	s_or_b32 exec_lo, exec_lo, s14
.LBB4_2683:                             ;   in Loop: Header=BB4_2563 Depth=3
	s_delay_alu instid0(SALU_CYCLE_1) | instskip(NEXT) | instid1(VALU_DEP_1)
	s_or_b32 exec_lo, exec_lo, s13
	v_dual_mul_f32 v16, s74, v16 :: v_dual_mov_b32 v5, v3
                                        ; implicit-def: $vgpr64
	s_delay_alu instid0(VALU_DEP_1) | instskip(NEXT) | instid1(VALU_DEP_1)
	v_and_b32_e32 v4, 0x7f800000, v16
	v_cmp_ne_u64_e32 vcc_lo, 0x7f800000, v[4:5]
	v_and_b32_e32 v4, 0x7fffff, v16
	s_and_saveexec_b32 s13, vcc_lo
	s_delay_alu instid0(SALU_CYCLE_1)
	s_xor_b32 s14, exec_lo, s13
	s_cbranch_execz .LBB4_2701
; %bb.2684:                             ;   in Loop: Header=BB4_2563 Depth=3
	v_and_b32_e32 v64, 0x7fffffff, v16
	v_dual_mov_b32 v65, v3 :: v_dual_lshrrev_b32 v17, 24, v16
	s_delay_alu instid0(VALU_DEP_1) | instskip(NEXT) | instid1(VALU_DEP_2)
	v_cmp_gt_u64_e32 vcc_lo, 0x47600001, v[64:65]
	v_and_b32_e32 v65, 0x80, v17
                                        ; implicit-def: $vgpr64
	s_and_saveexec_b32 s13, vcc_lo
	s_delay_alu instid0(SALU_CYCLE_1)
	s_xor_b32 s15, exec_lo, s13
	s_cbranch_execz .LBB4_2698
; %bb.2685:                             ;   in Loop: Header=BB4_2563 Depth=3
	v_mov_b32_e32 v64, 0
	s_mov_b32 s75, exec_lo
	v_cmpx_ne_u32_e32 0, v16
	s_cbranch_execz .LBB4_2697
; %bb.2686:                             ;   in Loop: Header=BB4_2563 Depth=3
	v_bfe_u32 v64, v16, 23, 8
	v_or_b32_e32 v67, 0x800000, v4
	s_delay_alu instid0(VALU_DEP_2) | instskip(SKIP_1) | instid1(VALU_DEP_2)
	v_sub_nc_u32_e32 v16, 0x71, v64
	v_cmp_gt_u32_e32 vcc_lo, 0x72, v64
	v_cndmask_b32_e32 v16, 0, v16, vcc_lo
	v_cmp_eq_u32_e32 vcc_lo, 0, v64
	s_delay_alu instid0(VALU_DEP_2) | instskip(NEXT) | instid1(VALU_DEP_1)
	v_cndmask_b32_e64 v66, v16, 0x70, vcc_lo
	v_dual_cndmask_b32 v4, v67, v4, vcc_lo :: v_dual_add_nc_u32 v16, 21, v66
	v_add_nc_u32_e32 v86, 20, v66
	s_delay_alu instid0(VALU_DEP_2) | instskip(NEXT) | instid1(VALU_DEP_2)
	v_lshlrev_b64_e64 v[16:17], v16, -1
	v_lshlrev_b64_e64 v[86:87], v86, 1
	s_delay_alu instid0(VALU_DEP_2) | instskip(SKIP_1) | instid1(VALU_DEP_4)
	v_bfi_b32 v16, v16, 0, v4
	v_lshrrev_b64 v[4:5], v66, v[4:5]
	v_bfi_b32 v17, v17, 0, 0
	s_delay_alu instid0(VALU_DEP_1) | instskip(NEXT) | instid1(VALU_DEP_3)
	v_cmp_eq_u64_e64 s13, v[16:17], v[86:87]
	v_mov_b64_e32 v[16:17], v[4:5]
	s_and_saveexec_b32 s76, s13
; %bb.2687:                             ;   in Loop: Header=BB4_2563 Depth=3
	v_bfe_u32 v16, v4, 21, 1
	v_mov_b32_e32 v17, v3
	s_delay_alu instid0(VALU_DEP_1) | instskip(NEXT) | instid1(VALU_DEP_1)
	v_add_nc_u64_e32 v[16:17], v[4:5], v[16:17]
	v_add_nc_u64_e32 v[16:17], -1, v[16:17]
; %bb.2688:                             ;   in Loop: Header=BB4_2563 Depth=3
	s_or_b32 exec_lo, exec_lo, s76
	v_add_nc_u32_e32 v5, 0xffffff81, v64
	v_lshrrev_b32_e32 v17, 23, v4
	s_mov_b32 s13, exec_lo
	s_delay_alu instid0(VALU_DEP_2) | instskip(NEXT) | instid1(VALU_DEP_1)
	v_cndmask_b32_e64 v5, v5, 0xffffff82, vcc_lo
	v_add3_u32 v17, v66, v5, v17
	v_and_b32_e32 v5, 0x1fffff, v16
                                        ; implicit-def: $vgpr16
	s_delay_alu instid0(VALU_DEP_1) | instskip(SKIP_1) | instid1(VALU_DEP_2)
	v_dual_add_nc_u32 v64, 14, v17 :: v_dual_add_nc_u32 v4, v5, v4
	v_mov_b32_e32 v5, v3
	v_cmpx_ne_u32_e32 0, v64
	s_xor_b32 s13, exec_lo, s13
; %bb.2689:                             ;   in Loop: Header=BB4_2563 Depth=3
	s_delay_alu instid0(VALU_DEP_2) | instskip(SKIP_2) | instid1(VALU_DEP_2)
	v_cmp_lt_u64_e32 vcc_lo, 0xffffff, v[4:5]
	v_add_nc_u32_e32 v16, 15, v17
	v_cndmask_b32_e64 v17, 0, 1, vcc_lo
	v_cndmask_b32_e32 v16, v64, v16, vcc_lo
	s_delay_alu instid0(VALU_DEP_2)
	v_lshrrev_b64 v[4:5], v17, v[4:5]
; %bb.2690:                             ;   in Loop: Header=BB4_2563 Depth=3
	s_and_not1_saveexec_b32 s13, s13
; %bb.2691:                             ;   in Loop: Header=BB4_2563 Depth=3
	s_delay_alu instid0(VALU_DEP_1)
	v_bfe_u32 v16, v4, 23, 1
; %bb.2692:                             ;   in Loop: Header=BB4_2563 Depth=3
	s_or_b32 exec_lo, exec_lo, s13
	s_delay_alu instid0(VALU_DEP_2) | instskip(NEXT) | instid1(VALU_DEP_2)
	v_lshrrev_b64 v[4:5], 21, v[4:5]
	v_cmp_gt_i32_e32 vcc_lo, 32, v16
	v_cmp_ne_u32_e64 s13, 0, v16
                                        ; implicit-def: $vgpr64
	s_delay_alu instid0(VALU_DEP_3) | instskip(NEXT) | instid1(VALU_DEP_1)
	v_dual_cndmask_b32 v5, 0, v5 :: v_dual_cndmask_b32 v4, 3, v4
	v_cmp_ne_u64_e32 vcc_lo, 0, v[4:5]
	s_or_b32 s13, s13, vcc_lo
	s_delay_alu instid0(SALU_CYCLE_1) | instskip(NEXT) | instid1(SALU_CYCLE_1)
	s_and_saveexec_b32 s76, s13
	s_xor_b32 s13, exec_lo, s76
; %bb.2693:                             ;   in Loop: Header=BB4_2563 Depth=3
	v_min_i32_e32 v5, 31, v16
	s_delay_alu instid0(VALU_DEP_1) | instskip(NEXT) | instid1(VALU_DEP_1)
	v_lshl_or_b32 v5, v5, 2, v65
                                        ; implicit-def: $vgpr65
	v_and_or_b32 v64, v4, 3, v5
; %bb.2694:                             ;   in Loop: Header=BB4_2563 Depth=3
	s_and_not1_saveexec_b32 s13, s13
; %bb.2695:                             ;   in Loop: Header=BB4_2563 Depth=3
	v_mov_b32_e32 v64, v65
; %bb.2696:                             ;   in Loop: Header=BB4_2563 Depth=3
	s_or_b32 exec_lo, exec_lo, s13
.LBB4_2697:                             ;   in Loop: Header=BB4_2563 Depth=3
	s_delay_alu instid0(SALU_CYCLE_1)
	s_or_b32 exec_lo, exec_lo, s75
                                        ; implicit-def: $vgpr65
.LBB4_2698:                             ;   in Loop: Header=BB4_2563 Depth=3
	s_and_not1_saveexec_b32 s13, s15
; %bb.2699:                             ;   in Loop: Header=BB4_2563 Depth=3
	v_or_b32_e32 v64, 0x7b, v65
; %bb.2700:                             ;   in Loop: Header=BB4_2563 Depth=3
	s_or_b32 exec_lo, exec_lo, s13
                                        ; implicit-def: $vgpr16
                                        ; implicit-def: $vgpr4_vgpr5
.LBB4_2701:                             ;   in Loop: Header=BB4_2563 Depth=3
	s_and_not1_saveexec_b32 s13, s14
	s_cbranch_execz .LBB4_2707
; %bb.2702:                             ;   in Loop: Header=BB4_2563 Depth=3
	s_mov_b32 s14, exec_lo
                                        ; implicit-def: $vgpr64
	v_cmpx_ne_u64_e32 0, v[4:5]
	s_xor_b32 s14, exec_lo, s14
; %bb.2703:                             ;   in Loop: Header=BB4_2563 Depth=3
	v_lshrrev_b32_e32 v4, 24, v16
                                        ; implicit-def: $vgpr16
	s_delay_alu instid0(VALU_DEP_1)
	v_or_b32_e32 v64, 0x7f, v4
; %bb.2704:                             ;   in Loop: Header=BB4_2563 Depth=3
	s_and_not1_saveexec_b32 s14, s14
; %bb.2705:                             ;   in Loop: Header=BB4_2563 Depth=3
	v_cmp_lt_i32_e32 vcc_lo, -1, v16
	v_cndmask_b32_e64 v64, -4, 0x7c, vcc_lo
; %bb.2706:                             ;   in Loop: Header=BB4_2563 Depth=3
	s_or_b32 exec_lo, exec_lo, s14
.LBB4_2707:                             ;   in Loop: Header=BB4_2563 Depth=3
	s_delay_alu instid0(SALU_CYCLE_1)
	s_or_b32 exec_lo, exec_lo, s13
	flat_load_i8 v4, v[10:11] offset:128 th:TH_LOAD_NT
	v_mov_b32_e32 v16, 0
	s_mov_b32 s13, exec_lo
	s_wait_loadcnt_dscnt 0x0
	v_cmpx_ne_u16_e32 0, v4
	s_cbranch_execz .LBB4_2717
; %bb.2708:                             ;   in Loop: Header=BB4_2563 Depth=3
	v_bfrev_b32_e32 v16, 1
	s_mov_b32 s14, exec_lo
	v_cmpx_ne_u16_e32 0xff80, v4
	s_cbranch_execz .LBB4_2716
; %bb.2709:                             ;   in Loop: Header=BB4_2563 Depth=3
	v_and_b32_e32 v16, 0x7c, v4
	v_and_b32_e32 v5, 3, v4
	s_delay_alu instid0(VALU_DEP_2) | instskip(SKIP_1) | instid1(SALU_CYCLE_1)
	v_cmp_ne_u32_e32 vcc_lo, 0x7c, v16
                                        ; implicit-def: $vgpr16
	s_and_saveexec_b32 s15, vcc_lo
	s_xor_b32 s15, exec_lo, s15
	s_cbranch_execz .LBB4_2713
; %bb.2710:                             ;   in Loop: Header=BB4_2563 Depth=3
	v_and_b32_e32 v16, 0xff, v4
	s_mov_b32 s75, exec_lo
	s_delay_alu instid0(VALU_DEP_1) | instskip(NEXT) | instid1(VALU_DEP_1)
	v_bfe_u32 v16, v16, 2, 5
	v_cmpx_eq_u32_e32 0, v16
	s_cbranch_execz .LBB4_2712
; %bb.2711:                             ;   in Loop: Header=BB4_2563 Depth=3
	v_clz_i32_u32_e32 v5, v5
	s_delay_alu instid0(VALU_DEP_1) | instskip(SKIP_1) | instid1(VALU_DEP_2)
	v_min_u32_e32 v16, 32, v5
	v_mov_b32_e32 v5, v3
	v_subrev_nc_u32_e32 v17, 29, v16
	v_sub_nc_u32_e32 v16, 30, v16
	s_delay_alu instid0(VALU_DEP_2) | instskip(NEXT) | instid1(VALU_DEP_1)
	v_lshlrev_b64_e32 v[66:67], v17, v[4:5]
	v_and_b32_e32 v5, 3, v66
.LBB4_2712:                             ;   in Loop: Header=BB4_2563 Depth=3
	s_or_b32 exec_lo, exec_lo, s75
	v_bfe_i32 v4, v4, 0, 16
	s_delay_alu instid0(VALU_DEP_1) | instskip(NEXT) | instid1(VALU_DEP_1)
	v_and_b32_e32 v4, 0x80000000, v4
	v_lshl_add_u32 v4, v16, 23, v4
	s_delay_alu instid0(VALU_DEP_1) | instskip(NEXT) | instid1(VALU_DEP_1)
	v_lshl_or_b32 v4, v5, 21, v4
                                        ; implicit-def: $vgpr5
	v_add_nc_u32_e32 v16, 0x38000000, v4
                                        ; implicit-def: $vgpr4
.LBB4_2713:                             ;   in Loop: Header=BB4_2563 Depth=3
	s_and_not1_saveexec_b32 s15, s15
; %bb.2714:                             ;   in Loop: Header=BB4_2563 Depth=3
	v_cmp_lt_i16_e32 vcc_lo, -1, v4
	v_cndmask_b32_e32 v4, 0xff800000, v48, vcc_lo
	v_cmp_eq_u32_e32 vcc_lo, 0, v5
	s_delay_alu instid0(VALU_DEP_2)
	v_cndmask_b32_e32 v16, 0x7f800001, v4, vcc_lo
; %bb.2715:                             ;   in Loop: Header=BB4_2563 Depth=3
	s_or_b32 exec_lo, exec_lo, s15
.LBB4_2716:                             ;   in Loop: Header=BB4_2563 Depth=3
	s_delay_alu instid0(SALU_CYCLE_1)
	s_or_b32 exec_lo, exec_lo, s14
.LBB4_2717:                             ;   in Loop: Header=BB4_2563 Depth=3
	s_delay_alu instid0(SALU_CYCLE_1) | instskip(NEXT) | instid1(VALU_DEP_1)
	s_or_b32 exec_lo, exec_lo, s13
	v_dual_mul_f32 v16, s74, v16 :: v_dual_mov_b32 v5, v3
                                        ; implicit-def: $vgpr65
	s_delay_alu instid0(VALU_DEP_1) | instskip(NEXT) | instid1(VALU_DEP_1)
	v_and_b32_e32 v4, 0x7f800000, v16
	v_cmp_ne_u64_e32 vcc_lo, 0x7f800000, v[4:5]
	v_and_b32_e32 v4, 0x7fffff, v16
	s_and_saveexec_b32 s13, vcc_lo
	s_delay_alu instid0(SALU_CYCLE_1)
	s_xor_b32 s14, exec_lo, s13
	s_cbranch_execz .LBB4_2735
; %bb.2718:                             ;   in Loop: Header=BB4_2563 Depth=3
	v_and_b32_e32 v66, 0x7fffffff, v16
	v_dual_mov_b32 v67, v3 :: v_dual_lshrrev_b32 v17, 24, v16
                                        ; implicit-def: $vgpr65
	s_delay_alu instid0(VALU_DEP_1) | instskip(NEXT) | instid1(VALU_DEP_2)
	v_cmp_gt_u64_e32 vcc_lo, 0x47600001, v[66:67]
	v_and_b32_e32 v66, 0x80, v17
	s_and_saveexec_b32 s13, vcc_lo
	s_delay_alu instid0(SALU_CYCLE_1)
	s_xor_b32 s15, exec_lo, s13
	s_cbranch_execz .LBB4_2732
; %bb.2719:                             ;   in Loop: Header=BB4_2563 Depth=3
	v_mov_b32_e32 v65, 0
	s_mov_b32 s75, exec_lo
	v_cmpx_ne_u32_e32 0, v16
	s_cbranch_execz .LBB4_2731
; %bb.2720:                             ;   in Loop: Header=BB4_2563 Depth=3
	v_bfe_u32 v65, v16, 23, 8
	v_or_b32_e32 v86, 0x800000, v4
	s_delay_alu instid0(VALU_DEP_2) | instskip(SKIP_1) | instid1(VALU_DEP_2)
	v_sub_nc_u32_e32 v16, 0x71, v65
	v_cmp_gt_u32_e32 vcc_lo, 0x72, v65
	v_cndmask_b32_e32 v16, 0, v16, vcc_lo
	v_cmp_eq_u32_e32 vcc_lo, 0, v65
	s_delay_alu instid0(VALU_DEP_2) | instskip(NEXT) | instid1(VALU_DEP_1)
	v_cndmask_b32_e64 v67, v16, 0x70, vcc_lo
	v_dual_cndmask_b32 v4, v86, v4, vcc_lo :: v_dual_add_nc_u32 v16, 21, v67
	v_add_nc_u32_e32 v87, 20, v67
	s_delay_alu instid0(VALU_DEP_2) | instskip(NEXT) | instid1(VALU_DEP_2)
	v_lshlrev_b64_e64 v[16:17], v16, -1
	v_lshlrev_b64_e64 v[86:87], v87, 1
	s_delay_alu instid0(VALU_DEP_2) | instskip(SKIP_1) | instid1(VALU_DEP_4)
	v_bfi_b32 v16, v16, 0, v4
	v_lshrrev_b64 v[4:5], v67, v[4:5]
	v_bfi_b32 v17, v17, 0, 0
	s_delay_alu instid0(VALU_DEP_1) | instskip(NEXT) | instid1(VALU_DEP_3)
	v_cmp_eq_u64_e64 s13, v[16:17], v[86:87]
	v_mov_b64_e32 v[16:17], v[4:5]
	s_and_saveexec_b32 s76, s13
; %bb.2721:                             ;   in Loop: Header=BB4_2563 Depth=3
	v_bfe_u32 v16, v4, 21, 1
	v_mov_b32_e32 v17, v3
	s_delay_alu instid0(VALU_DEP_1) | instskip(NEXT) | instid1(VALU_DEP_1)
	v_add_nc_u64_e32 v[16:17], v[4:5], v[16:17]
	v_add_nc_u64_e32 v[16:17], -1, v[16:17]
; %bb.2722:                             ;   in Loop: Header=BB4_2563 Depth=3
	s_or_b32 exec_lo, exec_lo, s76
	v_add_nc_u32_e32 v5, 0xffffff81, v65
	v_lshrrev_b32_e32 v17, 23, v4
	s_mov_b32 s13, exec_lo
	s_delay_alu instid0(VALU_DEP_2) | instskip(NEXT) | instid1(VALU_DEP_1)
	v_cndmask_b32_e64 v5, v5, 0xffffff82, vcc_lo
	v_add3_u32 v17, v67, v5, v17
	v_and_b32_e32 v5, 0x1fffff, v16
                                        ; implicit-def: $vgpr16
	s_delay_alu instid0(VALU_DEP_1) | instskip(SKIP_1) | instid1(VALU_DEP_2)
	v_dual_add_nc_u32 v65, 14, v17 :: v_dual_add_nc_u32 v4, v5, v4
	v_mov_b32_e32 v5, v3
	v_cmpx_ne_u32_e32 0, v65
	s_xor_b32 s13, exec_lo, s13
; %bb.2723:                             ;   in Loop: Header=BB4_2563 Depth=3
	s_delay_alu instid0(VALU_DEP_2) | instskip(SKIP_2) | instid1(VALU_DEP_2)
	v_cmp_lt_u64_e32 vcc_lo, 0xffffff, v[4:5]
	v_add_nc_u32_e32 v16, 15, v17
	v_cndmask_b32_e64 v17, 0, 1, vcc_lo
	v_cndmask_b32_e32 v16, v65, v16, vcc_lo
	s_delay_alu instid0(VALU_DEP_2)
	v_lshrrev_b64 v[4:5], v17, v[4:5]
; %bb.2724:                             ;   in Loop: Header=BB4_2563 Depth=3
	s_and_not1_saveexec_b32 s13, s13
; %bb.2725:                             ;   in Loop: Header=BB4_2563 Depth=3
	s_delay_alu instid0(VALU_DEP_1)
	v_bfe_u32 v16, v4, 23, 1
; %bb.2726:                             ;   in Loop: Header=BB4_2563 Depth=3
	s_or_b32 exec_lo, exec_lo, s13
	s_delay_alu instid0(VALU_DEP_2) | instskip(NEXT) | instid1(VALU_DEP_2)
	v_lshrrev_b64 v[4:5], 21, v[4:5]
	v_cmp_gt_i32_e32 vcc_lo, 32, v16
	v_cmp_ne_u32_e64 s13, 0, v16
                                        ; implicit-def: $vgpr65
	s_delay_alu instid0(VALU_DEP_3) | instskip(NEXT) | instid1(VALU_DEP_1)
	v_dual_cndmask_b32 v5, 0, v5 :: v_dual_cndmask_b32 v4, 3, v4
	v_cmp_ne_u64_e32 vcc_lo, 0, v[4:5]
	s_or_b32 s13, s13, vcc_lo
	s_delay_alu instid0(SALU_CYCLE_1) | instskip(NEXT) | instid1(SALU_CYCLE_1)
	s_and_saveexec_b32 s76, s13
	s_xor_b32 s13, exec_lo, s76
; %bb.2727:                             ;   in Loop: Header=BB4_2563 Depth=3
	v_min_i32_e32 v5, 31, v16
	s_delay_alu instid0(VALU_DEP_1) | instskip(NEXT) | instid1(VALU_DEP_1)
	v_lshl_or_b32 v5, v5, 2, v66
                                        ; implicit-def: $vgpr66
	v_and_or_b32 v65, v4, 3, v5
; %bb.2728:                             ;   in Loop: Header=BB4_2563 Depth=3
	s_and_not1_saveexec_b32 s13, s13
; %bb.2729:                             ;   in Loop: Header=BB4_2563 Depth=3
	v_mov_b32_e32 v65, v66
; %bb.2730:                             ;   in Loop: Header=BB4_2563 Depth=3
	s_or_b32 exec_lo, exec_lo, s13
.LBB4_2731:                             ;   in Loop: Header=BB4_2563 Depth=3
	s_delay_alu instid0(SALU_CYCLE_1)
	s_or_b32 exec_lo, exec_lo, s75
                                        ; implicit-def: $vgpr66
.LBB4_2732:                             ;   in Loop: Header=BB4_2563 Depth=3
	s_and_not1_saveexec_b32 s13, s15
; %bb.2733:                             ;   in Loop: Header=BB4_2563 Depth=3
	v_or_b32_e32 v65, 0x7b, v66
; %bb.2734:                             ;   in Loop: Header=BB4_2563 Depth=3
	s_or_b32 exec_lo, exec_lo, s13
                                        ; implicit-def: $vgpr16
                                        ; implicit-def: $vgpr4_vgpr5
.LBB4_2735:                             ;   in Loop: Header=BB4_2563 Depth=3
	s_and_not1_saveexec_b32 s13, s14
	s_cbranch_execz .LBB4_2741
; %bb.2736:                             ;   in Loop: Header=BB4_2563 Depth=3
	s_mov_b32 s14, exec_lo
                                        ; implicit-def: $vgpr65
	v_cmpx_ne_u64_e32 0, v[4:5]
	s_xor_b32 s14, exec_lo, s14
; %bb.2737:                             ;   in Loop: Header=BB4_2563 Depth=3
	v_lshrrev_b32_e32 v4, 24, v16
                                        ; implicit-def: $vgpr16
	s_delay_alu instid0(VALU_DEP_1)
	v_or_b32_e32 v65, 0x7f, v4
; %bb.2738:                             ;   in Loop: Header=BB4_2563 Depth=3
	s_and_not1_saveexec_b32 s14, s14
; %bb.2739:                             ;   in Loop: Header=BB4_2563 Depth=3
	v_cmp_lt_i32_e32 vcc_lo, -1, v16
	v_cndmask_b32_e64 v65, -4, 0x7c, vcc_lo
; %bb.2740:                             ;   in Loop: Header=BB4_2563 Depth=3
	s_or_b32 exec_lo, exec_lo, s14
.LBB4_2741:                             ;   in Loop: Header=BB4_2563 Depth=3
	s_delay_alu instid0(SALU_CYCLE_1)
	s_or_b32 exec_lo, exec_lo, s13
	flat_load_i8 v4, v[10:11] offset:160 th:TH_LOAD_NT
	v_mov_b32_e32 v16, 0
	s_mov_b32 s13, exec_lo
	s_wait_loadcnt_dscnt 0x0
	v_cmpx_ne_u16_e32 0, v4
	s_cbranch_execz .LBB4_2751
; %bb.2742:                             ;   in Loop: Header=BB4_2563 Depth=3
	v_bfrev_b32_e32 v16, 1
	s_mov_b32 s14, exec_lo
	v_cmpx_ne_u16_e32 0xff80, v4
	s_cbranch_execz .LBB4_2750
; %bb.2743:                             ;   in Loop: Header=BB4_2563 Depth=3
	v_and_b32_e32 v16, 0x7c, v4
	v_and_b32_e32 v5, 3, v4
	s_delay_alu instid0(VALU_DEP_2) | instskip(SKIP_1) | instid1(SALU_CYCLE_1)
	v_cmp_ne_u32_e32 vcc_lo, 0x7c, v16
                                        ; implicit-def: $vgpr16
	s_and_saveexec_b32 s15, vcc_lo
	s_xor_b32 s15, exec_lo, s15
	s_cbranch_execz .LBB4_2747
; %bb.2744:                             ;   in Loop: Header=BB4_2563 Depth=3
	v_and_b32_e32 v16, 0xff, v4
	s_mov_b32 s75, exec_lo
	s_delay_alu instid0(VALU_DEP_1) | instskip(NEXT) | instid1(VALU_DEP_1)
	v_bfe_u32 v16, v16, 2, 5
	v_cmpx_eq_u32_e32 0, v16
	s_cbranch_execz .LBB4_2746
; %bb.2745:                             ;   in Loop: Header=BB4_2563 Depth=3
	v_clz_i32_u32_e32 v5, v5
	s_delay_alu instid0(VALU_DEP_1) | instskip(SKIP_1) | instid1(VALU_DEP_2)
	v_min_u32_e32 v16, 32, v5
	v_mov_b32_e32 v5, v3
	v_subrev_nc_u32_e32 v17, 29, v16
	v_sub_nc_u32_e32 v16, 30, v16
	s_delay_alu instid0(VALU_DEP_2) | instskip(NEXT) | instid1(VALU_DEP_1)
	v_lshlrev_b64_e32 v[66:67], v17, v[4:5]
	v_and_b32_e32 v5, 3, v66
.LBB4_2746:                             ;   in Loop: Header=BB4_2563 Depth=3
	s_or_b32 exec_lo, exec_lo, s75
	v_bfe_i32 v4, v4, 0, 16
	s_delay_alu instid0(VALU_DEP_1) | instskip(NEXT) | instid1(VALU_DEP_1)
	v_and_b32_e32 v4, 0x80000000, v4
	v_lshl_add_u32 v4, v16, 23, v4
	s_delay_alu instid0(VALU_DEP_1) | instskip(NEXT) | instid1(VALU_DEP_1)
	v_lshl_or_b32 v4, v5, 21, v4
                                        ; implicit-def: $vgpr5
	v_add_nc_u32_e32 v16, 0x38000000, v4
                                        ; implicit-def: $vgpr4
.LBB4_2747:                             ;   in Loop: Header=BB4_2563 Depth=3
	s_and_not1_saveexec_b32 s15, s15
; %bb.2748:                             ;   in Loop: Header=BB4_2563 Depth=3
	v_cmp_lt_i16_e32 vcc_lo, -1, v4
	v_cndmask_b32_e32 v4, 0xff800000, v48, vcc_lo
	v_cmp_eq_u32_e32 vcc_lo, 0, v5
	s_delay_alu instid0(VALU_DEP_2)
	v_cndmask_b32_e32 v16, 0x7f800001, v4, vcc_lo
; %bb.2749:                             ;   in Loop: Header=BB4_2563 Depth=3
	s_or_b32 exec_lo, exec_lo, s15
.LBB4_2750:                             ;   in Loop: Header=BB4_2563 Depth=3
	s_delay_alu instid0(SALU_CYCLE_1)
	s_or_b32 exec_lo, exec_lo, s14
.LBB4_2751:                             ;   in Loop: Header=BB4_2563 Depth=3
	s_delay_alu instid0(SALU_CYCLE_1) | instskip(NEXT) | instid1(VALU_DEP_1)
	s_or_b32 exec_lo, exec_lo, s13
	v_dual_mul_f32 v16, s74, v16 :: v_dual_mov_b32 v5, v3
                                        ; implicit-def: $vgpr66
	s_delay_alu instid0(VALU_DEP_1) | instskip(NEXT) | instid1(VALU_DEP_1)
	v_and_b32_e32 v4, 0x7f800000, v16
	v_cmp_ne_u64_e32 vcc_lo, 0x7f800000, v[4:5]
	v_and_b32_e32 v4, 0x7fffff, v16
	s_and_saveexec_b32 s13, vcc_lo
	s_delay_alu instid0(SALU_CYCLE_1)
	s_xor_b32 s14, exec_lo, s13
	s_cbranch_execz .LBB4_2769
; %bb.2752:                             ;   in Loop: Header=BB4_2563 Depth=3
	v_and_b32_e32 v66, 0x7fffffff, v16
	v_dual_mov_b32 v67, v3 :: v_dual_lshrrev_b32 v17, 24, v16
	s_delay_alu instid0(VALU_DEP_1) | instskip(NEXT) | instid1(VALU_DEP_2)
	v_cmp_gt_u64_e32 vcc_lo, 0x47600001, v[66:67]
	v_and_b32_e32 v67, 0x80, v17
                                        ; implicit-def: $vgpr66
	s_and_saveexec_b32 s13, vcc_lo
	s_delay_alu instid0(SALU_CYCLE_1)
	s_xor_b32 s15, exec_lo, s13
	s_cbranch_execz .LBB4_2766
; %bb.2753:                             ;   in Loop: Header=BB4_2563 Depth=3
	v_mov_b32_e32 v66, 0
	s_mov_b32 s75, exec_lo
	v_cmpx_ne_u32_e32 0, v16
	s_cbranch_execz .LBB4_2765
; %bb.2754:                             ;   in Loop: Header=BB4_2563 Depth=3
	v_bfe_u32 v66, v16, 23, 8
	v_or_b32_e32 v87, 0x800000, v4
	s_delay_alu instid0(VALU_DEP_2) | instskip(SKIP_1) | instid1(VALU_DEP_2)
	v_sub_nc_u32_e32 v16, 0x71, v66
	v_cmp_gt_u32_e32 vcc_lo, 0x72, v66
	v_cndmask_b32_e32 v16, 0, v16, vcc_lo
	v_cmp_eq_u32_e32 vcc_lo, 0, v66
	s_delay_alu instid0(VALU_DEP_2) | instskip(NEXT) | instid1(VALU_DEP_1)
	v_cndmask_b32_e64 v86, v16, 0x70, vcc_lo
	v_dual_cndmask_b32 v4, v87, v4, vcc_lo :: v_dual_add_nc_u32 v16, 21, v86
	v_add_nc_u32_e32 v96, 20, v86
	s_delay_alu instid0(VALU_DEP_2) | instskip(NEXT) | instid1(VALU_DEP_2)
	v_lshlrev_b64_e64 v[16:17], v16, -1
	v_lshlrev_b64_e64 v[96:97], v96, 1
	s_delay_alu instid0(VALU_DEP_2) | instskip(SKIP_1) | instid1(VALU_DEP_4)
	v_bfi_b32 v16, v16, 0, v4
	v_lshrrev_b64 v[4:5], v86, v[4:5]
	v_bfi_b32 v17, v17, 0, 0
	s_delay_alu instid0(VALU_DEP_1) | instskip(NEXT) | instid1(VALU_DEP_3)
	v_cmp_eq_u64_e64 s13, v[16:17], v[96:97]
	v_mov_b64_e32 v[16:17], v[4:5]
	s_and_saveexec_b32 s76, s13
; %bb.2755:                             ;   in Loop: Header=BB4_2563 Depth=3
	v_bfe_u32 v16, v4, 21, 1
	v_mov_b32_e32 v17, v3
	s_delay_alu instid0(VALU_DEP_1) | instskip(NEXT) | instid1(VALU_DEP_1)
	v_add_nc_u64_e32 v[16:17], v[4:5], v[16:17]
	v_add_nc_u64_e32 v[16:17], -1, v[16:17]
; %bb.2756:                             ;   in Loop: Header=BB4_2563 Depth=3
	s_or_b32 exec_lo, exec_lo, s76
	v_add_nc_u32_e32 v5, 0xffffff81, v66
	v_lshrrev_b32_e32 v17, 23, v4
	s_mov_b32 s13, exec_lo
	s_delay_alu instid0(VALU_DEP_2) | instskip(NEXT) | instid1(VALU_DEP_1)
	v_cndmask_b32_e64 v5, v5, 0xffffff82, vcc_lo
	v_add3_u32 v17, v86, v5, v17
	v_and_b32_e32 v5, 0x1fffff, v16
                                        ; implicit-def: $vgpr16
	s_delay_alu instid0(VALU_DEP_1) | instskip(SKIP_1) | instid1(VALU_DEP_2)
	v_dual_add_nc_u32 v66, 14, v17 :: v_dual_add_nc_u32 v4, v5, v4
	v_mov_b32_e32 v5, v3
	v_cmpx_ne_u32_e32 0, v66
	s_xor_b32 s13, exec_lo, s13
; %bb.2757:                             ;   in Loop: Header=BB4_2563 Depth=3
	s_delay_alu instid0(VALU_DEP_2) | instskip(SKIP_2) | instid1(VALU_DEP_2)
	v_cmp_lt_u64_e32 vcc_lo, 0xffffff, v[4:5]
	v_add_nc_u32_e32 v16, 15, v17
	v_cndmask_b32_e64 v17, 0, 1, vcc_lo
	v_cndmask_b32_e32 v16, v66, v16, vcc_lo
	s_delay_alu instid0(VALU_DEP_2)
	v_lshrrev_b64 v[4:5], v17, v[4:5]
; %bb.2758:                             ;   in Loop: Header=BB4_2563 Depth=3
	s_and_not1_saveexec_b32 s13, s13
; %bb.2759:                             ;   in Loop: Header=BB4_2563 Depth=3
	s_delay_alu instid0(VALU_DEP_1)
	v_bfe_u32 v16, v4, 23, 1
; %bb.2760:                             ;   in Loop: Header=BB4_2563 Depth=3
	s_or_b32 exec_lo, exec_lo, s13
	s_delay_alu instid0(VALU_DEP_2) | instskip(NEXT) | instid1(VALU_DEP_2)
	v_lshrrev_b64 v[4:5], 21, v[4:5]
	v_cmp_gt_i32_e32 vcc_lo, 32, v16
	v_cmp_ne_u32_e64 s13, 0, v16
                                        ; implicit-def: $vgpr66
	s_delay_alu instid0(VALU_DEP_3) | instskip(NEXT) | instid1(VALU_DEP_1)
	v_dual_cndmask_b32 v5, 0, v5 :: v_dual_cndmask_b32 v4, 3, v4
	v_cmp_ne_u64_e32 vcc_lo, 0, v[4:5]
	s_or_b32 s13, s13, vcc_lo
	s_delay_alu instid0(SALU_CYCLE_1) | instskip(NEXT) | instid1(SALU_CYCLE_1)
	s_and_saveexec_b32 s76, s13
	s_xor_b32 s13, exec_lo, s76
; %bb.2761:                             ;   in Loop: Header=BB4_2563 Depth=3
	v_min_i32_e32 v5, 31, v16
	s_delay_alu instid0(VALU_DEP_1) | instskip(NEXT) | instid1(VALU_DEP_1)
	v_lshl_or_b32 v5, v5, 2, v67
                                        ; implicit-def: $vgpr67
	v_and_or_b32 v66, v4, 3, v5
; %bb.2762:                             ;   in Loop: Header=BB4_2563 Depth=3
	s_and_not1_saveexec_b32 s13, s13
; %bb.2763:                             ;   in Loop: Header=BB4_2563 Depth=3
	v_mov_b32_e32 v66, v67
; %bb.2764:                             ;   in Loop: Header=BB4_2563 Depth=3
	s_or_b32 exec_lo, exec_lo, s13
.LBB4_2765:                             ;   in Loop: Header=BB4_2563 Depth=3
	s_delay_alu instid0(SALU_CYCLE_1)
	s_or_b32 exec_lo, exec_lo, s75
                                        ; implicit-def: $vgpr67
.LBB4_2766:                             ;   in Loop: Header=BB4_2563 Depth=3
	s_and_not1_saveexec_b32 s13, s15
; %bb.2767:                             ;   in Loop: Header=BB4_2563 Depth=3
	v_or_b32_e32 v66, 0x7b, v67
; %bb.2768:                             ;   in Loop: Header=BB4_2563 Depth=3
	s_or_b32 exec_lo, exec_lo, s13
                                        ; implicit-def: $vgpr16
                                        ; implicit-def: $vgpr4_vgpr5
.LBB4_2769:                             ;   in Loop: Header=BB4_2563 Depth=3
	s_and_not1_saveexec_b32 s13, s14
	s_cbranch_execz .LBB4_2775
; %bb.2770:                             ;   in Loop: Header=BB4_2563 Depth=3
	s_mov_b32 s14, exec_lo
                                        ; implicit-def: $vgpr66
	v_cmpx_ne_u64_e32 0, v[4:5]
	s_xor_b32 s14, exec_lo, s14
; %bb.2771:                             ;   in Loop: Header=BB4_2563 Depth=3
	v_lshrrev_b32_e32 v4, 24, v16
                                        ; implicit-def: $vgpr16
	s_delay_alu instid0(VALU_DEP_1)
	v_or_b32_e32 v66, 0x7f, v4
; %bb.2772:                             ;   in Loop: Header=BB4_2563 Depth=3
	s_and_not1_saveexec_b32 s14, s14
; %bb.2773:                             ;   in Loop: Header=BB4_2563 Depth=3
	v_cmp_lt_i32_e32 vcc_lo, -1, v16
	v_cndmask_b32_e64 v66, -4, 0x7c, vcc_lo
; %bb.2774:                             ;   in Loop: Header=BB4_2563 Depth=3
	s_or_b32 exec_lo, exec_lo, s14
.LBB4_2775:                             ;   in Loop: Header=BB4_2563 Depth=3
	s_delay_alu instid0(SALU_CYCLE_1)
	s_or_b32 exec_lo, exec_lo, s13
	flat_load_i8 v4, v[10:11] offset:192 th:TH_LOAD_NT
	v_mov_b32_e32 v16, 0
	s_mov_b32 s13, exec_lo
	s_wait_loadcnt_dscnt 0x0
	v_cmpx_ne_u16_e32 0, v4
	s_cbranch_execz .LBB4_2785
; %bb.2776:                             ;   in Loop: Header=BB4_2563 Depth=3
	v_bfrev_b32_e32 v16, 1
	s_mov_b32 s14, exec_lo
	v_cmpx_ne_u16_e32 0xff80, v4
	s_cbranch_execz .LBB4_2784
; %bb.2777:                             ;   in Loop: Header=BB4_2563 Depth=3
	v_and_b32_e32 v16, 0x7c, v4
	v_and_b32_e32 v5, 3, v4
	s_delay_alu instid0(VALU_DEP_2) | instskip(SKIP_1) | instid1(SALU_CYCLE_1)
	v_cmp_ne_u32_e32 vcc_lo, 0x7c, v16
                                        ; implicit-def: $vgpr16
	s_and_saveexec_b32 s15, vcc_lo
	s_xor_b32 s15, exec_lo, s15
	s_cbranch_execz .LBB4_2781
; %bb.2778:                             ;   in Loop: Header=BB4_2563 Depth=3
	v_and_b32_e32 v16, 0xff, v4
	s_mov_b32 s75, exec_lo
	s_delay_alu instid0(VALU_DEP_1) | instskip(NEXT) | instid1(VALU_DEP_1)
	v_bfe_u32 v16, v16, 2, 5
	v_cmpx_eq_u32_e32 0, v16
	s_cbranch_execz .LBB4_2780
; %bb.2779:                             ;   in Loop: Header=BB4_2563 Depth=3
	v_clz_i32_u32_e32 v5, v5
	s_delay_alu instid0(VALU_DEP_1) | instskip(SKIP_1) | instid1(VALU_DEP_2)
	v_min_u32_e32 v16, 32, v5
	v_mov_b32_e32 v5, v3
	v_subrev_nc_u32_e32 v17, 29, v16
	v_sub_nc_u32_e32 v16, 30, v16
	s_delay_alu instid0(VALU_DEP_2) | instskip(NEXT) | instid1(VALU_DEP_1)
	v_lshlrev_b64_e32 v[86:87], v17, v[4:5]
	v_and_b32_e32 v5, 3, v86
.LBB4_2780:                             ;   in Loop: Header=BB4_2563 Depth=3
	s_or_b32 exec_lo, exec_lo, s75
	v_bfe_i32 v4, v4, 0, 16
	s_delay_alu instid0(VALU_DEP_1) | instskip(NEXT) | instid1(VALU_DEP_1)
	v_and_b32_e32 v4, 0x80000000, v4
	v_lshl_add_u32 v4, v16, 23, v4
	s_delay_alu instid0(VALU_DEP_1) | instskip(NEXT) | instid1(VALU_DEP_1)
	v_lshl_or_b32 v4, v5, 21, v4
                                        ; implicit-def: $vgpr5
	v_add_nc_u32_e32 v16, 0x38000000, v4
                                        ; implicit-def: $vgpr4
.LBB4_2781:                             ;   in Loop: Header=BB4_2563 Depth=3
	s_and_not1_saveexec_b32 s15, s15
; %bb.2782:                             ;   in Loop: Header=BB4_2563 Depth=3
	v_cmp_lt_i16_e32 vcc_lo, -1, v4
	v_cndmask_b32_e32 v4, 0xff800000, v48, vcc_lo
	v_cmp_eq_u32_e32 vcc_lo, 0, v5
	s_delay_alu instid0(VALU_DEP_2)
	v_cndmask_b32_e32 v16, 0x7f800001, v4, vcc_lo
; %bb.2783:                             ;   in Loop: Header=BB4_2563 Depth=3
	s_or_b32 exec_lo, exec_lo, s15
.LBB4_2784:                             ;   in Loop: Header=BB4_2563 Depth=3
	s_delay_alu instid0(SALU_CYCLE_1)
	s_or_b32 exec_lo, exec_lo, s14
.LBB4_2785:                             ;   in Loop: Header=BB4_2563 Depth=3
	s_delay_alu instid0(SALU_CYCLE_1) | instskip(NEXT) | instid1(VALU_DEP_1)
	s_or_b32 exec_lo, exec_lo, s13
	v_dual_mul_f32 v16, s74, v16 :: v_dual_mov_b32 v5, v3
                                        ; implicit-def: $vgpr67
	s_delay_alu instid0(VALU_DEP_1) | instskip(NEXT) | instid1(VALU_DEP_1)
	v_and_b32_e32 v4, 0x7f800000, v16
	v_cmp_ne_u64_e32 vcc_lo, 0x7f800000, v[4:5]
	v_and_b32_e32 v4, 0x7fffff, v16
	s_and_saveexec_b32 s13, vcc_lo
	s_delay_alu instid0(SALU_CYCLE_1)
	s_xor_b32 s14, exec_lo, s13
	s_cbranch_execz .LBB4_2803
; %bb.2786:                             ;   in Loop: Header=BB4_2563 Depth=3
	v_dual_mov_b32 v87, v3 :: v_dual_lshrrev_b32 v17, 24, v16
	v_and_b32_e32 v86, 0x7fffffff, v16
                                        ; implicit-def: $vgpr67
	s_mov_b32 s13, exec_lo
	s_delay_alu instid0(VALU_DEP_2) | instskip(NEXT) | instid1(VALU_DEP_2)
	v_and_b32_e32 v100, 0x80, v17
	v_cmpx_gt_u64_e32 0x47600001, v[86:87]
	s_xor_b32 s15, exec_lo, s13
	s_cbranch_execz .LBB4_2800
; %bb.2787:                             ;   in Loop: Header=BB4_2563 Depth=3
	v_mov_b32_e32 v67, 0
	s_mov_b32 s75, exec_lo
	v_cmpx_ne_u32_e32 0, v16
	s_cbranch_execz .LBB4_2799
; %bb.2788:                             ;   in Loop: Header=BB4_2563 Depth=3
	v_bfe_u32 v67, v16, 23, 8
	v_or_b32_e32 v87, 0x800000, v4
	s_delay_alu instid0(VALU_DEP_2) | instskip(SKIP_1) | instid1(VALU_DEP_2)
	v_sub_nc_u32_e32 v16, 0x71, v67
	v_cmp_gt_u32_e32 vcc_lo, 0x72, v67
	v_cndmask_b32_e32 v16, 0, v16, vcc_lo
	v_cmp_eq_u32_e32 vcc_lo, 0, v67
	s_delay_alu instid0(VALU_DEP_2) | instskip(NEXT) | instid1(VALU_DEP_1)
	v_cndmask_b32_e64 v86, v16, 0x70, vcc_lo
	v_dual_cndmask_b32 v4, v87, v4, vcc_lo :: v_dual_add_nc_u32 v16, 21, v86
	v_add_nc_u32_e32 v96, 20, v86
	s_delay_alu instid0(VALU_DEP_2) | instskip(NEXT) | instid1(VALU_DEP_2)
	v_lshlrev_b64_e64 v[16:17], v16, -1
	v_lshlrev_b64_e64 v[96:97], v96, 1
	s_delay_alu instid0(VALU_DEP_2) | instskip(SKIP_1) | instid1(VALU_DEP_4)
	v_bfi_b32 v16, v16, 0, v4
	v_lshrrev_b64 v[4:5], v86, v[4:5]
	v_bfi_b32 v17, v17, 0, 0
	s_delay_alu instid0(VALU_DEP_1) | instskip(NEXT) | instid1(VALU_DEP_3)
	v_cmp_eq_u64_e64 s13, v[16:17], v[96:97]
	v_mov_b64_e32 v[16:17], v[4:5]
	s_and_saveexec_b32 s76, s13
; %bb.2789:                             ;   in Loop: Header=BB4_2563 Depth=3
	v_bfe_u32 v16, v4, 21, 1
	v_mov_b32_e32 v17, v3
	s_delay_alu instid0(VALU_DEP_1) | instskip(NEXT) | instid1(VALU_DEP_1)
	v_add_nc_u64_e32 v[16:17], v[4:5], v[16:17]
	v_add_nc_u64_e32 v[16:17], -1, v[16:17]
; %bb.2790:                             ;   in Loop: Header=BB4_2563 Depth=3
	s_or_b32 exec_lo, exec_lo, s76
	v_add_nc_u32_e32 v5, 0xffffff81, v67
	v_lshrrev_b32_e32 v17, 23, v4
	s_mov_b32 s13, exec_lo
	s_delay_alu instid0(VALU_DEP_2) | instskip(NEXT) | instid1(VALU_DEP_1)
	v_cndmask_b32_e64 v5, v5, 0xffffff82, vcc_lo
	v_add3_u32 v17, v86, v5, v17
	v_and_b32_e32 v5, 0x1fffff, v16
                                        ; implicit-def: $vgpr16
	s_delay_alu instid0(VALU_DEP_1) | instskip(SKIP_1) | instid1(VALU_DEP_2)
	v_dual_add_nc_u32 v67, 14, v17 :: v_dual_add_nc_u32 v4, v5, v4
	v_mov_b32_e32 v5, v3
	v_cmpx_ne_u32_e32 0, v67
	s_xor_b32 s13, exec_lo, s13
; %bb.2791:                             ;   in Loop: Header=BB4_2563 Depth=3
	s_delay_alu instid0(VALU_DEP_2) | instskip(SKIP_2) | instid1(VALU_DEP_2)
	v_cmp_lt_u64_e32 vcc_lo, 0xffffff, v[4:5]
	v_add_nc_u32_e32 v16, 15, v17
	v_cndmask_b32_e64 v17, 0, 1, vcc_lo
	v_cndmask_b32_e32 v16, v67, v16, vcc_lo
	s_delay_alu instid0(VALU_DEP_2)
	v_lshrrev_b64 v[4:5], v17, v[4:5]
; %bb.2792:                             ;   in Loop: Header=BB4_2563 Depth=3
	s_and_not1_saveexec_b32 s13, s13
; %bb.2793:                             ;   in Loop: Header=BB4_2563 Depth=3
	s_delay_alu instid0(VALU_DEP_1)
	v_bfe_u32 v16, v4, 23, 1
; %bb.2794:                             ;   in Loop: Header=BB4_2563 Depth=3
	s_or_b32 exec_lo, exec_lo, s13
	s_delay_alu instid0(VALU_DEP_2) | instskip(NEXT) | instid1(VALU_DEP_2)
	v_lshrrev_b64 v[4:5], 21, v[4:5]
	v_cmp_gt_i32_e32 vcc_lo, 32, v16
	v_cmp_ne_u32_e64 s13, 0, v16
                                        ; implicit-def: $vgpr67
	s_delay_alu instid0(VALU_DEP_3) | instskip(NEXT) | instid1(VALU_DEP_1)
	v_dual_cndmask_b32 v5, 0, v5 :: v_dual_cndmask_b32 v4, 3, v4
	v_cmp_ne_u64_e32 vcc_lo, 0, v[4:5]
	s_or_b32 s13, s13, vcc_lo
	s_delay_alu instid0(SALU_CYCLE_1) | instskip(NEXT) | instid1(SALU_CYCLE_1)
	s_and_saveexec_b32 s76, s13
	s_xor_b32 s13, exec_lo, s76
; %bb.2795:                             ;   in Loop: Header=BB4_2563 Depth=3
	v_min_i32_e32 v5, 31, v16
	s_delay_alu instid0(VALU_DEP_1) | instskip(NEXT) | instid1(VALU_DEP_1)
	v_lshl_or_b32 v5, v5, 2, v100
                                        ; implicit-def: $vgpr100
	v_and_or_b32 v67, v4, 3, v5
; %bb.2796:                             ;   in Loop: Header=BB4_2563 Depth=3
	s_and_not1_saveexec_b32 s13, s13
; %bb.2797:                             ;   in Loop: Header=BB4_2563 Depth=3
	v_mov_b32_e32 v67, v100
; %bb.2798:                             ;   in Loop: Header=BB4_2563 Depth=3
	s_or_b32 exec_lo, exec_lo, s13
.LBB4_2799:                             ;   in Loop: Header=BB4_2563 Depth=3
	s_delay_alu instid0(SALU_CYCLE_1)
	s_or_b32 exec_lo, exec_lo, s75
                                        ; implicit-def: $vgpr100
.LBB4_2800:                             ;   in Loop: Header=BB4_2563 Depth=3
	s_and_not1_saveexec_b32 s13, s15
; %bb.2801:                             ;   in Loop: Header=BB4_2563 Depth=3
	v_or_b32_e32 v67, 0x7b, v100
; %bb.2802:                             ;   in Loop: Header=BB4_2563 Depth=3
	s_or_b32 exec_lo, exec_lo, s13
                                        ; implicit-def: $vgpr16
                                        ; implicit-def: $vgpr4_vgpr5
.LBB4_2803:                             ;   in Loop: Header=BB4_2563 Depth=3
	s_and_not1_saveexec_b32 s13, s14
	s_cbranch_execz .LBB4_2809
; %bb.2804:                             ;   in Loop: Header=BB4_2563 Depth=3
	s_mov_b32 s14, exec_lo
                                        ; implicit-def: $vgpr67
	v_cmpx_ne_u64_e32 0, v[4:5]
	s_xor_b32 s14, exec_lo, s14
; %bb.2805:                             ;   in Loop: Header=BB4_2563 Depth=3
	v_lshrrev_b32_e32 v4, 24, v16
                                        ; implicit-def: $vgpr16
	s_delay_alu instid0(VALU_DEP_1)
	v_or_b32_e32 v67, 0x7f, v4
; %bb.2806:                             ;   in Loop: Header=BB4_2563 Depth=3
	s_and_not1_saveexec_b32 s14, s14
; %bb.2807:                             ;   in Loop: Header=BB4_2563 Depth=3
	v_cmp_lt_i32_e32 vcc_lo, -1, v16
	v_cndmask_b32_e64 v67, -4, 0x7c, vcc_lo
; %bb.2808:                             ;   in Loop: Header=BB4_2563 Depth=3
	s_or_b32 exec_lo, exec_lo, s14
.LBB4_2809:                             ;   in Loop: Header=BB4_2563 Depth=3
	s_delay_alu instid0(SALU_CYCLE_1)
	s_or_b32 exec_lo, exec_lo, s13
	flat_load_i8 v4, v[10:11] offset:224 th:TH_LOAD_NT
	v_mov_b32_e32 v16, 0
	s_mov_b32 s13, exec_lo
	s_wait_loadcnt_dscnt 0x0
	v_cmpx_ne_u16_e32 0, v4
	s_cbranch_execz .LBB4_2819
; %bb.2810:                             ;   in Loop: Header=BB4_2563 Depth=3
	v_bfrev_b32_e32 v16, 1
	s_mov_b32 s14, exec_lo
	v_cmpx_ne_u16_e32 0xff80, v4
	s_cbranch_execz .LBB4_2818
; %bb.2811:                             ;   in Loop: Header=BB4_2563 Depth=3
	v_and_b32_e32 v16, 0x7c, v4
	v_and_b32_e32 v5, 3, v4
	s_delay_alu instid0(VALU_DEP_2) | instskip(SKIP_1) | instid1(SALU_CYCLE_1)
	v_cmp_ne_u32_e32 vcc_lo, 0x7c, v16
                                        ; implicit-def: $vgpr16
	s_and_saveexec_b32 s15, vcc_lo
	s_xor_b32 s15, exec_lo, s15
	s_cbranch_execz .LBB4_2815
; %bb.2812:                             ;   in Loop: Header=BB4_2563 Depth=3
	v_and_b32_e32 v16, 0xff, v4
	s_mov_b32 s75, exec_lo
	s_delay_alu instid0(VALU_DEP_1) | instskip(NEXT) | instid1(VALU_DEP_1)
	v_bfe_u32 v16, v16, 2, 5
	v_cmpx_eq_u32_e32 0, v16
	s_cbranch_execz .LBB4_2814
; %bb.2813:                             ;   in Loop: Header=BB4_2563 Depth=3
	v_clz_i32_u32_e32 v5, v5
	s_delay_alu instid0(VALU_DEP_1) | instskip(SKIP_1) | instid1(VALU_DEP_2)
	v_min_u32_e32 v16, 32, v5
	v_mov_b32_e32 v5, v3
	v_subrev_nc_u32_e32 v17, 29, v16
	v_sub_nc_u32_e32 v16, 30, v16
	s_delay_alu instid0(VALU_DEP_2) | instskip(NEXT) | instid1(VALU_DEP_1)
	v_lshlrev_b64_e32 v[86:87], v17, v[4:5]
	v_and_b32_e32 v5, 3, v86
.LBB4_2814:                             ;   in Loop: Header=BB4_2563 Depth=3
	s_or_b32 exec_lo, exec_lo, s75
	v_bfe_i32 v4, v4, 0, 16
	s_delay_alu instid0(VALU_DEP_1) | instskip(NEXT) | instid1(VALU_DEP_1)
	v_and_b32_e32 v4, 0x80000000, v4
	v_lshl_add_u32 v4, v16, 23, v4
	s_delay_alu instid0(VALU_DEP_1) | instskip(NEXT) | instid1(VALU_DEP_1)
	v_lshl_or_b32 v4, v5, 21, v4
                                        ; implicit-def: $vgpr5
	v_add_nc_u32_e32 v16, 0x38000000, v4
                                        ; implicit-def: $vgpr4
.LBB4_2815:                             ;   in Loop: Header=BB4_2563 Depth=3
	s_and_not1_saveexec_b32 s15, s15
; %bb.2816:                             ;   in Loop: Header=BB4_2563 Depth=3
	v_cmp_lt_i16_e32 vcc_lo, -1, v4
	v_cndmask_b32_e32 v4, 0xff800000, v48, vcc_lo
	v_cmp_eq_u32_e32 vcc_lo, 0, v5
	s_delay_alu instid0(VALU_DEP_2)
	v_cndmask_b32_e32 v16, 0x7f800001, v4, vcc_lo
; %bb.2817:                             ;   in Loop: Header=BB4_2563 Depth=3
	s_or_b32 exec_lo, exec_lo, s15
.LBB4_2818:                             ;   in Loop: Header=BB4_2563 Depth=3
	s_delay_alu instid0(SALU_CYCLE_1)
	s_or_b32 exec_lo, exec_lo, s14
.LBB4_2819:                             ;   in Loop: Header=BB4_2563 Depth=3
	s_delay_alu instid0(SALU_CYCLE_1) | instskip(NEXT) | instid1(VALU_DEP_1)
	s_or_b32 exec_lo, exec_lo, s13
	v_dual_mul_f32 v16, s74, v16 :: v_dual_mov_b32 v5, v3
                                        ; implicit-def: $vgpr100
	s_delay_alu instid0(VALU_DEP_1) | instskip(NEXT) | instid1(VALU_DEP_1)
	v_and_b32_e32 v4, 0x7f800000, v16
	v_cmp_ne_u64_e32 vcc_lo, 0x7f800000, v[4:5]
	v_and_b32_e32 v4, 0x7fffff, v16
	s_and_saveexec_b32 s13, vcc_lo
	s_delay_alu instid0(SALU_CYCLE_1)
	s_xor_b32 s14, exec_lo, s13
	s_cbranch_execz .LBB4_2837
; %bb.2820:                             ;   in Loop: Header=BB4_2563 Depth=3
	v_dual_mov_b32 v87, v3 :: v_dual_lshrrev_b32 v17, 24, v16
	v_and_b32_e32 v86, 0x7fffffff, v16
                                        ; implicit-def: $vgpr100
	s_mov_b32 s13, exec_lo
	s_delay_alu instid0(VALU_DEP_2) | instskip(NEXT) | instid1(VALU_DEP_2)
	v_and_b32_e32 v101, 0x80, v17
	v_cmpx_gt_u64_e32 0x47600001, v[86:87]
	s_xor_b32 s15, exec_lo, s13
	s_cbranch_execz .LBB4_2834
; %bb.2821:                             ;   in Loop: Header=BB4_2563 Depth=3
	v_mov_b32_e32 v100, 0
	s_mov_b32 s75, exec_lo
	v_cmpx_ne_u32_e32 0, v16
	s_cbranch_execz .LBB4_2833
; %bb.2822:                             ;   in Loop: Header=BB4_2563 Depth=3
	v_bfe_u32 v86, v16, 23, 8
	v_or_b32_e32 v96, 0x800000, v4
	s_delay_alu instid0(VALU_DEP_2) | instskip(SKIP_1) | instid1(VALU_DEP_2)
	v_sub_nc_u32_e32 v16, 0x71, v86
	v_cmp_gt_u32_e32 vcc_lo, 0x72, v86
	v_cndmask_b32_e32 v16, 0, v16, vcc_lo
	v_cmp_eq_u32_e32 vcc_lo, 0, v86
	s_delay_alu instid0(VALU_DEP_2) | instskip(NEXT) | instid1(VALU_DEP_1)
	v_cndmask_b32_e64 v87, v16, 0x70, vcc_lo
	v_dual_cndmask_b32 v4, v96, v4, vcc_lo :: v_dual_add_nc_u32 v16, 21, v87
	v_add_nc_u32_e32 v97, 20, v87
	s_delay_alu instid0(VALU_DEP_2) | instskip(NEXT) | instid1(VALU_DEP_2)
	v_lshlrev_b64_e64 v[16:17], v16, -1
	v_lshlrev_b64_e64 v[96:97], v97, 1
	s_delay_alu instid0(VALU_DEP_2) | instskip(SKIP_1) | instid1(VALU_DEP_4)
	v_bfi_b32 v16, v16, 0, v4
	v_lshrrev_b64 v[4:5], v87, v[4:5]
	v_bfi_b32 v17, v17, 0, 0
	s_delay_alu instid0(VALU_DEP_1) | instskip(NEXT) | instid1(VALU_DEP_3)
	v_cmp_eq_u64_e64 s13, v[16:17], v[96:97]
	v_mov_b64_e32 v[16:17], v[4:5]
	s_and_saveexec_b32 s76, s13
; %bb.2823:                             ;   in Loop: Header=BB4_2563 Depth=3
	v_bfe_u32 v16, v4, 21, 1
	v_mov_b32_e32 v17, v3
	s_delay_alu instid0(VALU_DEP_1) | instskip(NEXT) | instid1(VALU_DEP_1)
	v_add_nc_u64_e32 v[16:17], v[4:5], v[16:17]
	v_add_nc_u64_e32 v[16:17], -1, v[16:17]
; %bb.2824:                             ;   in Loop: Header=BB4_2563 Depth=3
	s_or_b32 exec_lo, exec_lo, s76
	v_add_nc_u32_e32 v5, 0xffffff81, v86
	v_lshrrev_b32_e32 v17, 23, v4
	s_mov_b32 s13, exec_lo
	s_delay_alu instid0(VALU_DEP_2) | instskip(NEXT) | instid1(VALU_DEP_1)
	v_cndmask_b32_e64 v5, v5, 0xffffff82, vcc_lo
	v_add3_u32 v17, v87, v5, v17
	v_and_b32_e32 v5, 0x1fffff, v16
                                        ; implicit-def: $vgpr16
	s_delay_alu instid0(VALU_DEP_1) | instskip(SKIP_1) | instid1(VALU_DEP_2)
	v_dual_add_nc_u32 v86, 14, v17 :: v_dual_add_nc_u32 v4, v5, v4
	v_mov_b32_e32 v5, v3
	v_cmpx_ne_u32_e32 0, v86
	s_xor_b32 s13, exec_lo, s13
; %bb.2825:                             ;   in Loop: Header=BB4_2563 Depth=3
	s_delay_alu instid0(VALU_DEP_2) | instskip(SKIP_2) | instid1(VALU_DEP_2)
	v_cmp_lt_u64_e32 vcc_lo, 0xffffff, v[4:5]
	v_add_nc_u32_e32 v16, 15, v17
	v_cndmask_b32_e64 v17, 0, 1, vcc_lo
	v_cndmask_b32_e32 v16, v86, v16, vcc_lo
	s_delay_alu instid0(VALU_DEP_2)
	v_lshrrev_b64 v[4:5], v17, v[4:5]
; %bb.2826:                             ;   in Loop: Header=BB4_2563 Depth=3
	s_and_not1_saveexec_b32 s13, s13
; %bb.2827:                             ;   in Loop: Header=BB4_2563 Depth=3
	s_delay_alu instid0(VALU_DEP_1)
	v_bfe_u32 v16, v4, 23, 1
; %bb.2828:                             ;   in Loop: Header=BB4_2563 Depth=3
	s_or_b32 exec_lo, exec_lo, s13
	s_delay_alu instid0(VALU_DEP_2) | instskip(NEXT) | instid1(VALU_DEP_2)
	v_lshrrev_b64 v[4:5], 21, v[4:5]
	v_cmp_gt_i32_e32 vcc_lo, 32, v16
	v_cmp_ne_u32_e64 s13, 0, v16
                                        ; implicit-def: $vgpr100
	s_delay_alu instid0(VALU_DEP_3) | instskip(NEXT) | instid1(VALU_DEP_1)
	v_dual_cndmask_b32 v5, 0, v5 :: v_dual_cndmask_b32 v4, 3, v4
	v_cmp_ne_u64_e32 vcc_lo, 0, v[4:5]
	s_or_b32 s13, s13, vcc_lo
	s_delay_alu instid0(SALU_CYCLE_1) | instskip(NEXT) | instid1(SALU_CYCLE_1)
	s_and_saveexec_b32 s76, s13
	s_xor_b32 s13, exec_lo, s76
; %bb.2829:                             ;   in Loop: Header=BB4_2563 Depth=3
	v_min_i32_e32 v5, 31, v16
	s_delay_alu instid0(VALU_DEP_1) | instskip(NEXT) | instid1(VALU_DEP_1)
	v_lshl_or_b32 v5, v5, 2, v101
                                        ; implicit-def: $vgpr101
	v_and_or_b32 v100, v4, 3, v5
; %bb.2830:                             ;   in Loop: Header=BB4_2563 Depth=3
	s_and_not1_saveexec_b32 s13, s13
; %bb.2831:                             ;   in Loop: Header=BB4_2563 Depth=3
	v_mov_b32_e32 v100, v101
; %bb.2832:                             ;   in Loop: Header=BB4_2563 Depth=3
	s_or_b32 exec_lo, exec_lo, s13
.LBB4_2833:                             ;   in Loop: Header=BB4_2563 Depth=3
	s_delay_alu instid0(SALU_CYCLE_1)
	s_or_b32 exec_lo, exec_lo, s75
                                        ; implicit-def: $vgpr101
.LBB4_2834:                             ;   in Loop: Header=BB4_2563 Depth=3
	s_and_not1_saveexec_b32 s13, s15
; %bb.2835:                             ;   in Loop: Header=BB4_2563 Depth=3
	v_or_b32_e32 v100, 0x7b, v101
; %bb.2836:                             ;   in Loop: Header=BB4_2563 Depth=3
	s_or_b32 exec_lo, exec_lo, s13
                                        ; implicit-def: $vgpr16
                                        ; implicit-def: $vgpr4_vgpr5
.LBB4_2837:                             ;   in Loop: Header=BB4_2563 Depth=3
	s_and_not1_saveexec_b32 s13, s14
	s_cbranch_execz .LBB4_2843
; %bb.2838:                             ;   in Loop: Header=BB4_2563 Depth=3
	s_mov_b32 s14, exec_lo
                                        ; implicit-def: $vgpr100
	v_cmpx_ne_u64_e32 0, v[4:5]
	s_xor_b32 s14, exec_lo, s14
; %bb.2839:                             ;   in Loop: Header=BB4_2563 Depth=3
	v_lshrrev_b32_e32 v4, 24, v16
                                        ; implicit-def: $vgpr16
	s_delay_alu instid0(VALU_DEP_1)
	v_or_b32_e32 v100, 0x7f, v4
; %bb.2840:                             ;   in Loop: Header=BB4_2563 Depth=3
	s_and_not1_saveexec_b32 s14, s14
; %bb.2841:                             ;   in Loop: Header=BB4_2563 Depth=3
	v_cmp_lt_i32_e32 vcc_lo, -1, v16
	v_cndmask_b32_e64 v100, -4, 0x7c, vcc_lo
; %bb.2842:                             ;   in Loop: Header=BB4_2563 Depth=3
	s_or_b32 exec_lo, exec_lo, s14
.LBB4_2843:                             ;   in Loop: Header=BB4_2563 Depth=3
	s_delay_alu instid0(SALU_CYCLE_1)
	s_or_b32 exec_lo, exec_lo, s13
	flat_load_i8 v4, v[10:11] offset:256 th:TH_LOAD_NT
	v_mov_b32_e32 v16, 0
	s_mov_b32 s13, exec_lo
	s_wait_loadcnt_dscnt 0x0
	v_cmpx_ne_u16_e32 0, v4
	s_cbranch_execz .LBB4_2853
; %bb.2844:                             ;   in Loop: Header=BB4_2563 Depth=3
	v_bfrev_b32_e32 v16, 1
	s_mov_b32 s14, exec_lo
	v_cmpx_ne_u16_e32 0xff80, v4
	s_cbranch_execz .LBB4_2852
; %bb.2845:                             ;   in Loop: Header=BB4_2563 Depth=3
	v_and_b32_e32 v16, 0x7c, v4
	v_and_b32_e32 v5, 3, v4
	s_delay_alu instid0(VALU_DEP_2) | instskip(SKIP_1) | instid1(SALU_CYCLE_1)
	v_cmp_ne_u32_e32 vcc_lo, 0x7c, v16
                                        ; implicit-def: $vgpr16
	s_and_saveexec_b32 s15, vcc_lo
	s_xor_b32 s15, exec_lo, s15
	s_cbranch_execz .LBB4_2849
; %bb.2846:                             ;   in Loop: Header=BB4_2563 Depth=3
	v_and_b32_e32 v16, 0xff, v4
	s_mov_b32 s75, exec_lo
	s_delay_alu instid0(VALU_DEP_1) | instskip(NEXT) | instid1(VALU_DEP_1)
	v_bfe_u32 v16, v16, 2, 5
	v_cmpx_eq_u32_e32 0, v16
	s_cbranch_execz .LBB4_2848
; %bb.2847:                             ;   in Loop: Header=BB4_2563 Depth=3
	v_clz_i32_u32_e32 v5, v5
	s_delay_alu instid0(VALU_DEP_1) | instskip(SKIP_1) | instid1(VALU_DEP_2)
	v_min_u32_e32 v16, 32, v5
	v_mov_b32_e32 v5, v3
	v_subrev_nc_u32_e32 v17, 29, v16
	v_sub_nc_u32_e32 v16, 30, v16
	s_delay_alu instid0(VALU_DEP_2) | instskip(NEXT) | instid1(VALU_DEP_1)
	v_lshlrev_b64_e32 v[86:87], v17, v[4:5]
	v_and_b32_e32 v5, 3, v86
.LBB4_2848:                             ;   in Loop: Header=BB4_2563 Depth=3
	s_or_b32 exec_lo, exec_lo, s75
	v_bfe_i32 v4, v4, 0, 16
	s_delay_alu instid0(VALU_DEP_1) | instskip(NEXT) | instid1(VALU_DEP_1)
	v_and_b32_e32 v4, 0x80000000, v4
	v_lshl_add_u32 v4, v16, 23, v4
	s_delay_alu instid0(VALU_DEP_1) | instskip(NEXT) | instid1(VALU_DEP_1)
	v_lshl_or_b32 v4, v5, 21, v4
                                        ; implicit-def: $vgpr5
	v_add_nc_u32_e32 v16, 0x38000000, v4
                                        ; implicit-def: $vgpr4
.LBB4_2849:                             ;   in Loop: Header=BB4_2563 Depth=3
	s_and_not1_saveexec_b32 s15, s15
; %bb.2850:                             ;   in Loop: Header=BB4_2563 Depth=3
	v_cmp_lt_i16_e32 vcc_lo, -1, v4
	v_cndmask_b32_e32 v4, 0xff800000, v48, vcc_lo
	v_cmp_eq_u32_e32 vcc_lo, 0, v5
	s_delay_alu instid0(VALU_DEP_2)
	v_cndmask_b32_e32 v16, 0x7f800001, v4, vcc_lo
; %bb.2851:                             ;   in Loop: Header=BB4_2563 Depth=3
	s_or_b32 exec_lo, exec_lo, s15
.LBB4_2852:                             ;   in Loop: Header=BB4_2563 Depth=3
	s_delay_alu instid0(SALU_CYCLE_1)
	s_or_b32 exec_lo, exec_lo, s14
.LBB4_2853:                             ;   in Loop: Header=BB4_2563 Depth=3
	s_delay_alu instid0(SALU_CYCLE_1) | instskip(NEXT) | instid1(VALU_DEP_1)
	s_or_b32 exec_lo, exec_lo, s13
	v_dual_mul_f32 v16, s74, v16 :: v_dual_mov_b32 v5, v3
                                        ; implicit-def: $vgpr101
	s_delay_alu instid0(VALU_DEP_1) | instskip(NEXT) | instid1(VALU_DEP_1)
	v_and_b32_e32 v4, 0x7f800000, v16
	v_cmp_ne_u64_e32 vcc_lo, 0x7f800000, v[4:5]
	v_and_b32_e32 v4, 0x7fffff, v16
	s_and_saveexec_b32 s13, vcc_lo
	s_delay_alu instid0(SALU_CYCLE_1)
	s_xor_b32 s14, exec_lo, s13
	s_cbranch_execz .LBB4_2871
; %bb.2854:                             ;   in Loop: Header=BB4_2563 Depth=3
	v_dual_mov_b32 v87, v3 :: v_dual_lshrrev_b32 v17, 24, v16
	v_and_b32_e32 v86, 0x7fffffff, v16
                                        ; implicit-def: $vgpr101
	s_mov_b32 s13, exec_lo
	s_delay_alu instid0(VALU_DEP_2) | instskip(NEXT) | instid1(VALU_DEP_2)
	v_and_b32_e32 v102, 0x80, v17
	v_cmpx_gt_u64_e32 0x47600001, v[86:87]
	s_xor_b32 s15, exec_lo, s13
	s_cbranch_execz .LBB4_2868
; %bb.2855:                             ;   in Loop: Header=BB4_2563 Depth=3
	v_mov_b32_e32 v101, 0
	s_mov_b32 s75, exec_lo
	v_cmpx_ne_u32_e32 0, v16
	s_cbranch_execz .LBB4_2867
; %bb.2856:                             ;   in Loop: Header=BB4_2563 Depth=3
	v_bfe_u32 v86, v16, 23, 8
	v_or_b32_e32 v96, 0x800000, v4
	s_delay_alu instid0(VALU_DEP_2) | instskip(SKIP_1) | instid1(VALU_DEP_2)
	v_sub_nc_u32_e32 v16, 0x71, v86
	v_cmp_gt_u32_e32 vcc_lo, 0x72, v86
	v_cndmask_b32_e32 v16, 0, v16, vcc_lo
	v_cmp_eq_u32_e32 vcc_lo, 0, v86
	s_delay_alu instid0(VALU_DEP_2) | instskip(NEXT) | instid1(VALU_DEP_1)
	v_cndmask_b32_e64 v87, v16, 0x70, vcc_lo
	v_dual_cndmask_b32 v4, v96, v4, vcc_lo :: v_dual_add_nc_u32 v16, 21, v87
	v_add_nc_u32_e32 v97, 20, v87
	s_delay_alu instid0(VALU_DEP_2) | instskip(NEXT) | instid1(VALU_DEP_2)
	v_lshlrev_b64_e64 v[16:17], v16, -1
	v_lshlrev_b64_e64 v[96:97], v97, 1
	s_delay_alu instid0(VALU_DEP_2) | instskip(SKIP_1) | instid1(VALU_DEP_4)
	v_bfi_b32 v16, v16, 0, v4
	v_lshrrev_b64 v[4:5], v87, v[4:5]
	v_bfi_b32 v17, v17, 0, 0
	s_delay_alu instid0(VALU_DEP_1) | instskip(NEXT) | instid1(VALU_DEP_3)
	v_cmp_eq_u64_e64 s13, v[16:17], v[96:97]
	v_mov_b64_e32 v[16:17], v[4:5]
	s_and_saveexec_b32 s76, s13
; %bb.2857:                             ;   in Loop: Header=BB4_2563 Depth=3
	v_bfe_u32 v16, v4, 21, 1
	v_mov_b32_e32 v17, v3
	s_delay_alu instid0(VALU_DEP_1) | instskip(NEXT) | instid1(VALU_DEP_1)
	v_add_nc_u64_e32 v[16:17], v[4:5], v[16:17]
	v_add_nc_u64_e32 v[16:17], -1, v[16:17]
; %bb.2858:                             ;   in Loop: Header=BB4_2563 Depth=3
	s_or_b32 exec_lo, exec_lo, s76
	v_add_nc_u32_e32 v5, 0xffffff81, v86
	v_lshrrev_b32_e32 v17, 23, v4
	s_mov_b32 s13, exec_lo
	s_delay_alu instid0(VALU_DEP_2) | instskip(NEXT) | instid1(VALU_DEP_1)
	v_cndmask_b32_e64 v5, v5, 0xffffff82, vcc_lo
	v_add3_u32 v17, v87, v5, v17
	v_and_b32_e32 v5, 0x1fffff, v16
                                        ; implicit-def: $vgpr16
	s_delay_alu instid0(VALU_DEP_1) | instskip(SKIP_1) | instid1(VALU_DEP_2)
	v_dual_add_nc_u32 v86, 14, v17 :: v_dual_add_nc_u32 v4, v5, v4
	v_mov_b32_e32 v5, v3
	v_cmpx_ne_u32_e32 0, v86
	s_xor_b32 s13, exec_lo, s13
; %bb.2859:                             ;   in Loop: Header=BB4_2563 Depth=3
	s_delay_alu instid0(VALU_DEP_2) | instskip(SKIP_2) | instid1(VALU_DEP_2)
	v_cmp_lt_u64_e32 vcc_lo, 0xffffff, v[4:5]
	v_add_nc_u32_e32 v16, 15, v17
	v_cndmask_b32_e64 v17, 0, 1, vcc_lo
	v_cndmask_b32_e32 v16, v86, v16, vcc_lo
	s_delay_alu instid0(VALU_DEP_2)
	v_lshrrev_b64 v[4:5], v17, v[4:5]
; %bb.2860:                             ;   in Loop: Header=BB4_2563 Depth=3
	s_and_not1_saveexec_b32 s13, s13
; %bb.2861:                             ;   in Loop: Header=BB4_2563 Depth=3
	s_delay_alu instid0(VALU_DEP_1)
	v_bfe_u32 v16, v4, 23, 1
; %bb.2862:                             ;   in Loop: Header=BB4_2563 Depth=3
	s_or_b32 exec_lo, exec_lo, s13
	s_delay_alu instid0(VALU_DEP_2) | instskip(NEXT) | instid1(VALU_DEP_2)
	v_lshrrev_b64 v[4:5], 21, v[4:5]
	v_cmp_gt_i32_e32 vcc_lo, 32, v16
	v_cmp_ne_u32_e64 s13, 0, v16
                                        ; implicit-def: $vgpr101
	s_delay_alu instid0(VALU_DEP_3) | instskip(NEXT) | instid1(VALU_DEP_1)
	v_dual_cndmask_b32 v5, 0, v5 :: v_dual_cndmask_b32 v4, 3, v4
	v_cmp_ne_u64_e32 vcc_lo, 0, v[4:5]
	s_or_b32 s13, s13, vcc_lo
	s_delay_alu instid0(SALU_CYCLE_1) | instskip(NEXT) | instid1(SALU_CYCLE_1)
	s_and_saveexec_b32 s76, s13
	s_xor_b32 s13, exec_lo, s76
; %bb.2863:                             ;   in Loop: Header=BB4_2563 Depth=3
	v_min_i32_e32 v5, 31, v16
	s_delay_alu instid0(VALU_DEP_1) | instskip(NEXT) | instid1(VALU_DEP_1)
	v_lshl_or_b32 v5, v5, 2, v102
                                        ; implicit-def: $vgpr102
	v_and_or_b32 v101, v4, 3, v5
; %bb.2864:                             ;   in Loop: Header=BB4_2563 Depth=3
	s_and_not1_saveexec_b32 s13, s13
; %bb.2865:                             ;   in Loop: Header=BB4_2563 Depth=3
	v_mov_b32_e32 v101, v102
; %bb.2866:                             ;   in Loop: Header=BB4_2563 Depth=3
	s_or_b32 exec_lo, exec_lo, s13
.LBB4_2867:                             ;   in Loop: Header=BB4_2563 Depth=3
	s_delay_alu instid0(SALU_CYCLE_1)
	s_or_b32 exec_lo, exec_lo, s75
                                        ; implicit-def: $vgpr102
.LBB4_2868:                             ;   in Loop: Header=BB4_2563 Depth=3
	s_and_not1_saveexec_b32 s13, s15
; %bb.2869:                             ;   in Loop: Header=BB4_2563 Depth=3
	v_or_b32_e32 v101, 0x7b, v102
; %bb.2870:                             ;   in Loop: Header=BB4_2563 Depth=3
	s_or_b32 exec_lo, exec_lo, s13
                                        ; implicit-def: $vgpr16
                                        ; implicit-def: $vgpr4_vgpr5
.LBB4_2871:                             ;   in Loop: Header=BB4_2563 Depth=3
	s_and_not1_saveexec_b32 s13, s14
	s_cbranch_execz .LBB4_2877
; %bb.2872:                             ;   in Loop: Header=BB4_2563 Depth=3
	s_mov_b32 s14, exec_lo
                                        ; implicit-def: $vgpr101
	v_cmpx_ne_u64_e32 0, v[4:5]
	s_xor_b32 s14, exec_lo, s14
; %bb.2873:                             ;   in Loop: Header=BB4_2563 Depth=3
	v_lshrrev_b32_e32 v4, 24, v16
                                        ; implicit-def: $vgpr16
	s_delay_alu instid0(VALU_DEP_1)
	v_or_b32_e32 v101, 0x7f, v4
; %bb.2874:                             ;   in Loop: Header=BB4_2563 Depth=3
	s_and_not1_saveexec_b32 s14, s14
; %bb.2875:                             ;   in Loop: Header=BB4_2563 Depth=3
	v_cmp_lt_i32_e32 vcc_lo, -1, v16
	v_cndmask_b32_e64 v101, -4, 0x7c, vcc_lo
; %bb.2876:                             ;   in Loop: Header=BB4_2563 Depth=3
	s_or_b32 exec_lo, exec_lo, s14
.LBB4_2877:                             ;   in Loop: Header=BB4_2563 Depth=3
	s_delay_alu instid0(SALU_CYCLE_1)
	s_or_b32 exec_lo, exec_lo, s13
	flat_load_i8 v4, v[10:11] offset:288 th:TH_LOAD_NT
	v_mov_b32_e32 v16, 0
	s_mov_b32 s13, exec_lo
	s_wait_loadcnt_dscnt 0x0
	v_cmpx_ne_u16_e32 0, v4
	s_cbranch_execz .LBB4_2887
; %bb.2878:                             ;   in Loop: Header=BB4_2563 Depth=3
	v_bfrev_b32_e32 v16, 1
	s_mov_b32 s14, exec_lo
	v_cmpx_ne_u16_e32 0xff80, v4
	s_cbranch_execz .LBB4_2886
; %bb.2879:                             ;   in Loop: Header=BB4_2563 Depth=3
	v_and_b32_e32 v16, 0x7c, v4
	v_and_b32_e32 v5, 3, v4
	s_delay_alu instid0(VALU_DEP_2) | instskip(SKIP_1) | instid1(SALU_CYCLE_1)
	v_cmp_ne_u32_e32 vcc_lo, 0x7c, v16
                                        ; implicit-def: $vgpr16
	s_and_saveexec_b32 s15, vcc_lo
	s_xor_b32 s15, exec_lo, s15
	s_cbranch_execz .LBB4_2883
; %bb.2880:                             ;   in Loop: Header=BB4_2563 Depth=3
	v_and_b32_e32 v16, 0xff, v4
	s_mov_b32 s75, exec_lo
	s_delay_alu instid0(VALU_DEP_1) | instskip(NEXT) | instid1(VALU_DEP_1)
	v_bfe_u32 v16, v16, 2, 5
	v_cmpx_eq_u32_e32 0, v16
	s_cbranch_execz .LBB4_2882
; %bb.2881:                             ;   in Loop: Header=BB4_2563 Depth=3
	v_clz_i32_u32_e32 v5, v5
	s_delay_alu instid0(VALU_DEP_1) | instskip(SKIP_1) | instid1(VALU_DEP_2)
	v_min_u32_e32 v16, 32, v5
	v_mov_b32_e32 v5, v3
	v_subrev_nc_u32_e32 v17, 29, v16
	v_sub_nc_u32_e32 v16, 30, v16
	s_delay_alu instid0(VALU_DEP_2) | instskip(NEXT) | instid1(VALU_DEP_1)
	v_lshlrev_b64_e32 v[86:87], v17, v[4:5]
	v_and_b32_e32 v5, 3, v86
.LBB4_2882:                             ;   in Loop: Header=BB4_2563 Depth=3
	s_or_b32 exec_lo, exec_lo, s75
	v_bfe_i32 v4, v4, 0, 16
	s_delay_alu instid0(VALU_DEP_1) | instskip(NEXT) | instid1(VALU_DEP_1)
	v_and_b32_e32 v4, 0x80000000, v4
	v_lshl_add_u32 v4, v16, 23, v4
	s_delay_alu instid0(VALU_DEP_1) | instskip(NEXT) | instid1(VALU_DEP_1)
	v_lshl_or_b32 v4, v5, 21, v4
                                        ; implicit-def: $vgpr5
	v_add_nc_u32_e32 v16, 0x38000000, v4
                                        ; implicit-def: $vgpr4
.LBB4_2883:                             ;   in Loop: Header=BB4_2563 Depth=3
	s_and_not1_saveexec_b32 s15, s15
; %bb.2884:                             ;   in Loop: Header=BB4_2563 Depth=3
	v_cmp_lt_i16_e32 vcc_lo, -1, v4
	v_cndmask_b32_e32 v4, 0xff800000, v48, vcc_lo
	v_cmp_eq_u32_e32 vcc_lo, 0, v5
	s_delay_alu instid0(VALU_DEP_2)
	v_cndmask_b32_e32 v16, 0x7f800001, v4, vcc_lo
; %bb.2885:                             ;   in Loop: Header=BB4_2563 Depth=3
	s_or_b32 exec_lo, exec_lo, s15
.LBB4_2886:                             ;   in Loop: Header=BB4_2563 Depth=3
	s_delay_alu instid0(SALU_CYCLE_1)
	s_or_b32 exec_lo, exec_lo, s14
.LBB4_2887:                             ;   in Loop: Header=BB4_2563 Depth=3
	s_delay_alu instid0(SALU_CYCLE_1) | instskip(NEXT) | instid1(VALU_DEP_1)
	s_or_b32 exec_lo, exec_lo, s13
	v_dual_mul_f32 v16, s74, v16 :: v_dual_mov_b32 v5, v3
                                        ; implicit-def: $vgpr102
	s_delay_alu instid0(VALU_DEP_1) | instskip(NEXT) | instid1(VALU_DEP_1)
	v_and_b32_e32 v4, 0x7f800000, v16
	v_cmp_ne_u64_e32 vcc_lo, 0x7f800000, v[4:5]
	v_and_b32_e32 v4, 0x7fffff, v16
	s_and_saveexec_b32 s13, vcc_lo
	s_delay_alu instid0(SALU_CYCLE_1)
	s_xor_b32 s14, exec_lo, s13
	s_cbranch_execz .LBB4_2905
; %bb.2888:                             ;   in Loop: Header=BB4_2563 Depth=3
	v_dual_mov_b32 v87, v3 :: v_dual_lshrrev_b32 v17, 24, v16
	v_and_b32_e32 v86, 0x7fffffff, v16
                                        ; implicit-def: $vgpr102
	s_mov_b32 s13, exec_lo
	s_delay_alu instid0(VALU_DEP_2) | instskip(NEXT) | instid1(VALU_DEP_2)
	v_and_b32_e32 v103, 0x80, v17
	v_cmpx_gt_u64_e32 0x47600001, v[86:87]
	s_xor_b32 s15, exec_lo, s13
	s_cbranch_execz .LBB4_2902
; %bb.2889:                             ;   in Loop: Header=BB4_2563 Depth=3
	v_mov_b32_e32 v102, 0
	s_mov_b32 s75, exec_lo
	v_cmpx_ne_u32_e32 0, v16
	s_cbranch_execz .LBB4_2901
; %bb.2890:                             ;   in Loop: Header=BB4_2563 Depth=3
	v_bfe_u32 v86, v16, 23, 8
	v_or_b32_e32 v96, 0x800000, v4
	s_delay_alu instid0(VALU_DEP_2) | instskip(SKIP_1) | instid1(VALU_DEP_2)
	v_sub_nc_u32_e32 v16, 0x71, v86
	v_cmp_gt_u32_e32 vcc_lo, 0x72, v86
	v_cndmask_b32_e32 v16, 0, v16, vcc_lo
	v_cmp_eq_u32_e32 vcc_lo, 0, v86
	s_delay_alu instid0(VALU_DEP_2) | instskip(NEXT) | instid1(VALU_DEP_1)
	v_cndmask_b32_e64 v87, v16, 0x70, vcc_lo
	v_dual_cndmask_b32 v4, v96, v4, vcc_lo :: v_dual_add_nc_u32 v16, 21, v87
	v_add_nc_u32_e32 v97, 20, v87
	s_delay_alu instid0(VALU_DEP_2) | instskip(NEXT) | instid1(VALU_DEP_2)
	v_lshlrev_b64_e64 v[16:17], v16, -1
	v_lshlrev_b64_e64 v[96:97], v97, 1
	s_delay_alu instid0(VALU_DEP_2) | instskip(SKIP_1) | instid1(VALU_DEP_4)
	v_bfi_b32 v16, v16, 0, v4
	v_lshrrev_b64 v[4:5], v87, v[4:5]
	v_bfi_b32 v17, v17, 0, 0
	s_delay_alu instid0(VALU_DEP_1) | instskip(NEXT) | instid1(VALU_DEP_3)
	v_cmp_eq_u64_e64 s13, v[16:17], v[96:97]
	v_mov_b64_e32 v[16:17], v[4:5]
	s_and_saveexec_b32 s76, s13
; %bb.2891:                             ;   in Loop: Header=BB4_2563 Depth=3
	v_bfe_u32 v16, v4, 21, 1
	v_mov_b32_e32 v17, v3
	s_delay_alu instid0(VALU_DEP_1) | instskip(NEXT) | instid1(VALU_DEP_1)
	v_add_nc_u64_e32 v[16:17], v[4:5], v[16:17]
	v_add_nc_u64_e32 v[16:17], -1, v[16:17]
; %bb.2892:                             ;   in Loop: Header=BB4_2563 Depth=3
	s_or_b32 exec_lo, exec_lo, s76
	v_add_nc_u32_e32 v5, 0xffffff81, v86
	v_lshrrev_b32_e32 v17, 23, v4
	s_mov_b32 s13, exec_lo
	s_delay_alu instid0(VALU_DEP_2) | instskip(NEXT) | instid1(VALU_DEP_1)
	v_cndmask_b32_e64 v5, v5, 0xffffff82, vcc_lo
	v_add3_u32 v17, v87, v5, v17
	v_and_b32_e32 v5, 0x1fffff, v16
                                        ; implicit-def: $vgpr16
	s_delay_alu instid0(VALU_DEP_1) | instskip(SKIP_1) | instid1(VALU_DEP_2)
	v_dual_add_nc_u32 v86, 14, v17 :: v_dual_add_nc_u32 v4, v5, v4
	v_mov_b32_e32 v5, v3
	v_cmpx_ne_u32_e32 0, v86
	s_xor_b32 s13, exec_lo, s13
; %bb.2893:                             ;   in Loop: Header=BB4_2563 Depth=3
	s_delay_alu instid0(VALU_DEP_2) | instskip(SKIP_2) | instid1(VALU_DEP_2)
	v_cmp_lt_u64_e32 vcc_lo, 0xffffff, v[4:5]
	v_add_nc_u32_e32 v16, 15, v17
	v_cndmask_b32_e64 v17, 0, 1, vcc_lo
	v_cndmask_b32_e32 v16, v86, v16, vcc_lo
	s_delay_alu instid0(VALU_DEP_2)
	v_lshrrev_b64 v[4:5], v17, v[4:5]
; %bb.2894:                             ;   in Loop: Header=BB4_2563 Depth=3
	s_and_not1_saveexec_b32 s13, s13
; %bb.2895:                             ;   in Loop: Header=BB4_2563 Depth=3
	s_delay_alu instid0(VALU_DEP_1)
	v_bfe_u32 v16, v4, 23, 1
; %bb.2896:                             ;   in Loop: Header=BB4_2563 Depth=3
	s_or_b32 exec_lo, exec_lo, s13
	s_delay_alu instid0(VALU_DEP_2) | instskip(NEXT) | instid1(VALU_DEP_2)
	v_lshrrev_b64 v[4:5], 21, v[4:5]
	v_cmp_gt_i32_e32 vcc_lo, 32, v16
	v_cmp_ne_u32_e64 s13, 0, v16
                                        ; implicit-def: $vgpr102
	s_delay_alu instid0(VALU_DEP_3) | instskip(NEXT) | instid1(VALU_DEP_1)
	v_dual_cndmask_b32 v5, 0, v5 :: v_dual_cndmask_b32 v4, 3, v4
	v_cmp_ne_u64_e32 vcc_lo, 0, v[4:5]
	s_or_b32 s13, s13, vcc_lo
	s_delay_alu instid0(SALU_CYCLE_1) | instskip(NEXT) | instid1(SALU_CYCLE_1)
	s_and_saveexec_b32 s76, s13
	s_xor_b32 s13, exec_lo, s76
; %bb.2897:                             ;   in Loop: Header=BB4_2563 Depth=3
	v_min_i32_e32 v5, 31, v16
	s_delay_alu instid0(VALU_DEP_1) | instskip(NEXT) | instid1(VALU_DEP_1)
	v_lshl_or_b32 v5, v5, 2, v103
                                        ; implicit-def: $vgpr103
	v_and_or_b32 v102, v4, 3, v5
; %bb.2898:                             ;   in Loop: Header=BB4_2563 Depth=3
	s_and_not1_saveexec_b32 s13, s13
; %bb.2899:                             ;   in Loop: Header=BB4_2563 Depth=3
	v_mov_b32_e32 v102, v103
; %bb.2900:                             ;   in Loop: Header=BB4_2563 Depth=3
	s_or_b32 exec_lo, exec_lo, s13
.LBB4_2901:                             ;   in Loop: Header=BB4_2563 Depth=3
	s_delay_alu instid0(SALU_CYCLE_1)
	s_or_b32 exec_lo, exec_lo, s75
                                        ; implicit-def: $vgpr103
.LBB4_2902:                             ;   in Loop: Header=BB4_2563 Depth=3
	s_and_not1_saveexec_b32 s13, s15
; %bb.2903:                             ;   in Loop: Header=BB4_2563 Depth=3
	v_or_b32_e32 v102, 0x7b, v103
; %bb.2904:                             ;   in Loop: Header=BB4_2563 Depth=3
	s_or_b32 exec_lo, exec_lo, s13
                                        ; implicit-def: $vgpr16
                                        ; implicit-def: $vgpr4_vgpr5
.LBB4_2905:                             ;   in Loop: Header=BB4_2563 Depth=3
	s_and_not1_saveexec_b32 s13, s14
	s_cbranch_execz .LBB4_2911
; %bb.2906:                             ;   in Loop: Header=BB4_2563 Depth=3
	s_mov_b32 s14, exec_lo
                                        ; implicit-def: $vgpr102
	v_cmpx_ne_u64_e32 0, v[4:5]
	s_xor_b32 s14, exec_lo, s14
; %bb.2907:                             ;   in Loop: Header=BB4_2563 Depth=3
	v_lshrrev_b32_e32 v4, 24, v16
                                        ; implicit-def: $vgpr16
	s_delay_alu instid0(VALU_DEP_1)
	v_or_b32_e32 v102, 0x7f, v4
; %bb.2908:                             ;   in Loop: Header=BB4_2563 Depth=3
	s_and_not1_saveexec_b32 s14, s14
; %bb.2909:                             ;   in Loop: Header=BB4_2563 Depth=3
	v_cmp_lt_i32_e32 vcc_lo, -1, v16
	v_cndmask_b32_e64 v102, -4, 0x7c, vcc_lo
; %bb.2910:                             ;   in Loop: Header=BB4_2563 Depth=3
	s_or_b32 exec_lo, exec_lo, s14
.LBB4_2911:                             ;   in Loop: Header=BB4_2563 Depth=3
	s_delay_alu instid0(SALU_CYCLE_1)
	s_or_b32 exec_lo, exec_lo, s13
	flat_load_i8 v4, v[10:11] offset:320 th:TH_LOAD_NT
	v_mov_b32_e32 v16, 0
	s_mov_b32 s13, exec_lo
	s_wait_loadcnt_dscnt 0x0
	v_cmpx_ne_u16_e32 0, v4
	s_cbranch_execz .LBB4_2921
; %bb.2912:                             ;   in Loop: Header=BB4_2563 Depth=3
	v_bfrev_b32_e32 v16, 1
	s_mov_b32 s14, exec_lo
	v_cmpx_ne_u16_e32 0xff80, v4
	s_cbranch_execz .LBB4_2920
; %bb.2913:                             ;   in Loop: Header=BB4_2563 Depth=3
	v_and_b32_e32 v16, 0x7c, v4
	v_and_b32_e32 v5, 3, v4
	s_delay_alu instid0(VALU_DEP_2) | instskip(SKIP_1) | instid1(SALU_CYCLE_1)
	v_cmp_ne_u32_e32 vcc_lo, 0x7c, v16
                                        ; implicit-def: $vgpr16
	s_and_saveexec_b32 s15, vcc_lo
	s_xor_b32 s15, exec_lo, s15
	s_cbranch_execz .LBB4_2917
; %bb.2914:                             ;   in Loop: Header=BB4_2563 Depth=3
	v_and_b32_e32 v16, 0xff, v4
	s_mov_b32 s75, exec_lo
	s_delay_alu instid0(VALU_DEP_1) | instskip(NEXT) | instid1(VALU_DEP_1)
	v_bfe_u32 v16, v16, 2, 5
	v_cmpx_eq_u32_e32 0, v16
	s_cbranch_execz .LBB4_2916
; %bb.2915:                             ;   in Loop: Header=BB4_2563 Depth=3
	v_clz_i32_u32_e32 v5, v5
	s_delay_alu instid0(VALU_DEP_1) | instskip(SKIP_1) | instid1(VALU_DEP_2)
	v_min_u32_e32 v16, 32, v5
	v_mov_b32_e32 v5, v3
	v_subrev_nc_u32_e32 v17, 29, v16
	v_sub_nc_u32_e32 v16, 30, v16
	s_delay_alu instid0(VALU_DEP_2) | instskip(NEXT) | instid1(VALU_DEP_1)
	v_lshlrev_b64_e32 v[86:87], v17, v[4:5]
	v_and_b32_e32 v5, 3, v86
.LBB4_2916:                             ;   in Loop: Header=BB4_2563 Depth=3
	s_or_b32 exec_lo, exec_lo, s75
	v_bfe_i32 v4, v4, 0, 16
	s_delay_alu instid0(VALU_DEP_1) | instskip(NEXT) | instid1(VALU_DEP_1)
	v_and_b32_e32 v4, 0x80000000, v4
	v_lshl_add_u32 v4, v16, 23, v4
	s_delay_alu instid0(VALU_DEP_1) | instskip(NEXT) | instid1(VALU_DEP_1)
	v_lshl_or_b32 v4, v5, 21, v4
                                        ; implicit-def: $vgpr5
	v_add_nc_u32_e32 v16, 0x38000000, v4
                                        ; implicit-def: $vgpr4
.LBB4_2917:                             ;   in Loop: Header=BB4_2563 Depth=3
	s_and_not1_saveexec_b32 s15, s15
; %bb.2918:                             ;   in Loop: Header=BB4_2563 Depth=3
	v_cmp_lt_i16_e32 vcc_lo, -1, v4
	v_cndmask_b32_e32 v4, 0xff800000, v48, vcc_lo
	v_cmp_eq_u32_e32 vcc_lo, 0, v5
	s_delay_alu instid0(VALU_DEP_2)
	v_cndmask_b32_e32 v16, 0x7f800001, v4, vcc_lo
; %bb.2919:                             ;   in Loop: Header=BB4_2563 Depth=3
	s_or_b32 exec_lo, exec_lo, s15
.LBB4_2920:                             ;   in Loop: Header=BB4_2563 Depth=3
	s_delay_alu instid0(SALU_CYCLE_1)
	s_or_b32 exec_lo, exec_lo, s14
.LBB4_2921:                             ;   in Loop: Header=BB4_2563 Depth=3
	s_delay_alu instid0(SALU_CYCLE_1) | instskip(NEXT) | instid1(VALU_DEP_1)
	s_or_b32 exec_lo, exec_lo, s13
	v_dual_mul_f32 v16, s74, v16 :: v_dual_mov_b32 v5, v3
                                        ; implicit-def: $vgpr103
	s_delay_alu instid0(VALU_DEP_1) | instskip(NEXT) | instid1(VALU_DEP_1)
	v_and_b32_e32 v4, 0x7f800000, v16
	v_cmp_ne_u64_e32 vcc_lo, 0x7f800000, v[4:5]
	v_and_b32_e32 v4, 0x7fffff, v16
	s_and_saveexec_b32 s13, vcc_lo
	s_delay_alu instid0(SALU_CYCLE_1)
	s_xor_b32 s14, exec_lo, s13
	s_cbranch_execz .LBB4_2939
; %bb.2922:                             ;   in Loop: Header=BB4_2563 Depth=3
	v_dual_mov_b32 v87, v3 :: v_dual_lshrrev_b32 v17, 24, v16
	v_and_b32_e32 v86, 0x7fffffff, v16
                                        ; implicit-def: $vgpr103
	s_mov_b32 s13, exec_lo
	s_delay_alu instid0(VALU_DEP_2) | instskip(NEXT) | instid1(VALU_DEP_2)
	v_and_b32_e32 v112, 0x80, v17
	v_cmpx_gt_u64_e32 0x47600001, v[86:87]
	s_xor_b32 s15, exec_lo, s13
	s_cbranch_execz .LBB4_2936
; %bb.2923:                             ;   in Loop: Header=BB4_2563 Depth=3
	v_mov_b32_e32 v103, 0
	s_mov_b32 s75, exec_lo
	v_cmpx_ne_u32_e32 0, v16
	s_cbranch_execz .LBB4_2935
; %bb.2924:                             ;   in Loop: Header=BB4_2563 Depth=3
	v_bfe_u32 v86, v16, 23, 8
	v_or_b32_e32 v96, 0x800000, v4
	s_delay_alu instid0(VALU_DEP_2) | instskip(SKIP_1) | instid1(VALU_DEP_2)
	v_sub_nc_u32_e32 v16, 0x71, v86
	v_cmp_gt_u32_e32 vcc_lo, 0x72, v86
	v_cndmask_b32_e32 v16, 0, v16, vcc_lo
	v_cmp_eq_u32_e32 vcc_lo, 0, v86
	s_delay_alu instid0(VALU_DEP_2) | instskip(NEXT) | instid1(VALU_DEP_1)
	v_cndmask_b32_e64 v87, v16, 0x70, vcc_lo
	v_dual_cndmask_b32 v4, v96, v4, vcc_lo :: v_dual_add_nc_u32 v16, 21, v87
	v_add_nc_u32_e32 v97, 20, v87
	s_delay_alu instid0(VALU_DEP_2) | instskip(NEXT) | instid1(VALU_DEP_2)
	v_lshlrev_b64_e64 v[16:17], v16, -1
	v_lshlrev_b64_e64 v[96:97], v97, 1
	s_delay_alu instid0(VALU_DEP_2) | instskip(SKIP_1) | instid1(VALU_DEP_4)
	v_bfi_b32 v16, v16, 0, v4
	v_lshrrev_b64 v[4:5], v87, v[4:5]
	v_bfi_b32 v17, v17, 0, 0
	s_delay_alu instid0(VALU_DEP_1) | instskip(NEXT) | instid1(VALU_DEP_3)
	v_cmp_eq_u64_e64 s13, v[16:17], v[96:97]
	v_mov_b64_e32 v[16:17], v[4:5]
	s_and_saveexec_b32 s76, s13
; %bb.2925:                             ;   in Loop: Header=BB4_2563 Depth=3
	v_bfe_u32 v16, v4, 21, 1
	v_mov_b32_e32 v17, v3
	s_delay_alu instid0(VALU_DEP_1) | instskip(NEXT) | instid1(VALU_DEP_1)
	v_add_nc_u64_e32 v[16:17], v[4:5], v[16:17]
	v_add_nc_u64_e32 v[16:17], -1, v[16:17]
; %bb.2926:                             ;   in Loop: Header=BB4_2563 Depth=3
	s_or_b32 exec_lo, exec_lo, s76
	v_add_nc_u32_e32 v5, 0xffffff81, v86
	v_lshrrev_b32_e32 v17, 23, v4
	s_mov_b32 s13, exec_lo
	s_delay_alu instid0(VALU_DEP_2) | instskip(NEXT) | instid1(VALU_DEP_1)
	v_cndmask_b32_e64 v5, v5, 0xffffff82, vcc_lo
	v_add3_u32 v17, v87, v5, v17
	v_and_b32_e32 v5, 0x1fffff, v16
                                        ; implicit-def: $vgpr16
	s_delay_alu instid0(VALU_DEP_1) | instskip(SKIP_1) | instid1(VALU_DEP_2)
	v_dual_add_nc_u32 v86, 14, v17 :: v_dual_add_nc_u32 v4, v5, v4
	v_mov_b32_e32 v5, v3
	v_cmpx_ne_u32_e32 0, v86
	s_xor_b32 s13, exec_lo, s13
; %bb.2927:                             ;   in Loop: Header=BB4_2563 Depth=3
	s_delay_alu instid0(VALU_DEP_2) | instskip(SKIP_2) | instid1(VALU_DEP_2)
	v_cmp_lt_u64_e32 vcc_lo, 0xffffff, v[4:5]
	v_add_nc_u32_e32 v16, 15, v17
	v_cndmask_b32_e64 v17, 0, 1, vcc_lo
	v_cndmask_b32_e32 v16, v86, v16, vcc_lo
	s_delay_alu instid0(VALU_DEP_2)
	v_lshrrev_b64 v[4:5], v17, v[4:5]
; %bb.2928:                             ;   in Loop: Header=BB4_2563 Depth=3
	s_and_not1_saveexec_b32 s13, s13
; %bb.2929:                             ;   in Loop: Header=BB4_2563 Depth=3
	s_delay_alu instid0(VALU_DEP_1)
	v_bfe_u32 v16, v4, 23, 1
; %bb.2930:                             ;   in Loop: Header=BB4_2563 Depth=3
	s_or_b32 exec_lo, exec_lo, s13
	s_delay_alu instid0(VALU_DEP_2) | instskip(NEXT) | instid1(VALU_DEP_2)
	v_lshrrev_b64 v[4:5], 21, v[4:5]
	v_cmp_gt_i32_e32 vcc_lo, 32, v16
	v_cmp_ne_u32_e64 s13, 0, v16
                                        ; implicit-def: $vgpr103
	s_delay_alu instid0(VALU_DEP_3) | instskip(NEXT) | instid1(VALU_DEP_1)
	v_dual_cndmask_b32 v5, 0, v5 :: v_dual_cndmask_b32 v4, 3, v4
	v_cmp_ne_u64_e32 vcc_lo, 0, v[4:5]
	s_or_b32 s13, s13, vcc_lo
	s_delay_alu instid0(SALU_CYCLE_1) | instskip(NEXT) | instid1(SALU_CYCLE_1)
	s_and_saveexec_b32 s76, s13
	s_xor_b32 s13, exec_lo, s76
; %bb.2931:                             ;   in Loop: Header=BB4_2563 Depth=3
	v_min_i32_e32 v5, 31, v16
	s_delay_alu instid0(VALU_DEP_1) | instskip(NEXT) | instid1(VALU_DEP_1)
	v_lshl_or_b32 v5, v5, 2, v112
                                        ; implicit-def: $vgpr112
	v_and_or_b32 v103, v4, 3, v5
; %bb.2932:                             ;   in Loop: Header=BB4_2563 Depth=3
	s_and_not1_saveexec_b32 s13, s13
; %bb.2933:                             ;   in Loop: Header=BB4_2563 Depth=3
	v_mov_b32_e32 v103, v112
; %bb.2934:                             ;   in Loop: Header=BB4_2563 Depth=3
	s_or_b32 exec_lo, exec_lo, s13
.LBB4_2935:                             ;   in Loop: Header=BB4_2563 Depth=3
	s_delay_alu instid0(SALU_CYCLE_1)
	s_or_b32 exec_lo, exec_lo, s75
                                        ; implicit-def: $vgpr112
.LBB4_2936:                             ;   in Loop: Header=BB4_2563 Depth=3
	s_and_not1_saveexec_b32 s13, s15
; %bb.2937:                             ;   in Loop: Header=BB4_2563 Depth=3
	v_or_b32_e32 v103, 0x7b, v112
; %bb.2938:                             ;   in Loop: Header=BB4_2563 Depth=3
	s_or_b32 exec_lo, exec_lo, s13
                                        ; implicit-def: $vgpr16
                                        ; implicit-def: $vgpr4_vgpr5
.LBB4_2939:                             ;   in Loop: Header=BB4_2563 Depth=3
	s_and_not1_saveexec_b32 s13, s14
	s_cbranch_execz .LBB4_2945
; %bb.2940:                             ;   in Loop: Header=BB4_2563 Depth=3
	s_mov_b32 s14, exec_lo
                                        ; implicit-def: $vgpr103
	v_cmpx_ne_u64_e32 0, v[4:5]
	s_xor_b32 s14, exec_lo, s14
; %bb.2941:                             ;   in Loop: Header=BB4_2563 Depth=3
	v_lshrrev_b32_e32 v4, 24, v16
                                        ; implicit-def: $vgpr16
	s_delay_alu instid0(VALU_DEP_1)
	v_or_b32_e32 v103, 0x7f, v4
; %bb.2942:                             ;   in Loop: Header=BB4_2563 Depth=3
	s_and_not1_saveexec_b32 s14, s14
; %bb.2943:                             ;   in Loop: Header=BB4_2563 Depth=3
	v_cmp_lt_i32_e32 vcc_lo, -1, v16
	v_cndmask_b32_e64 v103, -4, 0x7c, vcc_lo
; %bb.2944:                             ;   in Loop: Header=BB4_2563 Depth=3
	s_or_b32 exec_lo, exec_lo, s14
.LBB4_2945:                             ;   in Loop: Header=BB4_2563 Depth=3
	s_delay_alu instid0(SALU_CYCLE_1)
	s_or_b32 exec_lo, exec_lo, s13
	flat_load_i8 v4, v[10:11] offset:352 th:TH_LOAD_NT
	v_mov_b32_e32 v16, 0
	s_mov_b32 s13, exec_lo
	s_wait_loadcnt_dscnt 0x0
	v_cmpx_ne_u16_e32 0, v4
	s_cbranch_execz .LBB4_2955
; %bb.2946:                             ;   in Loop: Header=BB4_2563 Depth=3
	v_bfrev_b32_e32 v16, 1
	s_mov_b32 s14, exec_lo
	v_cmpx_ne_u16_e32 0xff80, v4
	s_cbranch_execz .LBB4_2954
; %bb.2947:                             ;   in Loop: Header=BB4_2563 Depth=3
	v_and_b32_e32 v16, 0x7c, v4
	v_and_b32_e32 v5, 3, v4
	s_delay_alu instid0(VALU_DEP_2) | instskip(SKIP_1) | instid1(SALU_CYCLE_1)
	v_cmp_ne_u32_e32 vcc_lo, 0x7c, v16
                                        ; implicit-def: $vgpr16
	s_and_saveexec_b32 s15, vcc_lo
	s_xor_b32 s15, exec_lo, s15
	s_cbranch_execz .LBB4_2951
; %bb.2948:                             ;   in Loop: Header=BB4_2563 Depth=3
	v_and_b32_e32 v16, 0xff, v4
	s_mov_b32 s75, exec_lo
	s_delay_alu instid0(VALU_DEP_1) | instskip(NEXT) | instid1(VALU_DEP_1)
	v_bfe_u32 v16, v16, 2, 5
	v_cmpx_eq_u32_e32 0, v16
	s_cbranch_execz .LBB4_2950
; %bb.2949:                             ;   in Loop: Header=BB4_2563 Depth=3
	v_clz_i32_u32_e32 v5, v5
	s_delay_alu instid0(VALU_DEP_1) | instskip(SKIP_1) | instid1(VALU_DEP_2)
	v_min_u32_e32 v16, 32, v5
	v_mov_b32_e32 v5, v3
	v_subrev_nc_u32_e32 v17, 29, v16
	v_sub_nc_u32_e32 v16, 30, v16
	s_delay_alu instid0(VALU_DEP_2) | instskip(NEXT) | instid1(VALU_DEP_1)
	v_lshlrev_b64_e32 v[86:87], v17, v[4:5]
	v_and_b32_e32 v5, 3, v86
.LBB4_2950:                             ;   in Loop: Header=BB4_2563 Depth=3
	s_or_b32 exec_lo, exec_lo, s75
	v_bfe_i32 v4, v4, 0, 16
	s_delay_alu instid0(VALU_DEP_1) | instskip(NEXT) | instid1(VALU_DEP_1)
	v_and_b32_e32 v4, 0x80000000, v4
	v_lshl_add_u32 v4, v16, 23, v4
	s_delay_alu instid0(VALU_DEP_1) | instskip(NEXT) | instid1(VALU_DEP_1)
	v_lshl_or_b32 v4, v5, 21, v4
                                        ; implicit-def: $vgpr5
	v_add_nc_u32_e32 v16, 0x38000000, v4
                                        ; implicit-def: $vgpr4
.LBB4_2951:                             ;   in Loop: Header=BB4_2563 Depth=3
	s_and_not1_saveexec_b32 s15, s15
; %bb.2952:                             ;   in Loop: Header=BB4_2563 Depth=3
	v_cmp_lt_i16_e32 vcc_lo, -1, v4
	v_cndmask_b32_e32 v4, 0xff800000, v48, vcc_lo
	v_cmp_eq_u32_e32 vcc_lo, 0, v5
	s_delay_alu instid0(VALU_DEP_2)
	v_cndmask_b32_e32 v16, 0x7f800001, v4, vcc_lo
; %bb.2953:                             ;   in Loop: Header=BB4_2563 Depth=3
	s_or_b32 exec_lo, exec_lo, s15
.LBB4_2954:                             ;   in Loop: Header=BB4_2563 Depth=3
	s_delay_alu instid0(SALU_CYCLE_1)
	s_or_b32 exec_lo, exec_lo, s14
.LBB4_2955:                             ;   in Loop: Header=BB4_2563 Depth=3
	s_delay_alu instid0(SALU_CYCLE_1) | instskip(NEXT) | instid1(VALU_DEP_1)
	s_or_b32 exec_lo, exec_lo, s13
	v_dual_mul_f32 v16, s74, v16 :: v_dual_mov_b32 v5, v3
                                        ; implicit-def: $vgpr112
	s_delay_alu instid0(VALU_DEP_1) | instskip(NEXT) | instid1(VALU_DEP_1)
	v_and_b32_e32 v4, 0x7f800000, v16
	v_cmp_ne_u64_e32 vcc_lo, 0x7f800000, v[4:5]
	v_and_b32_e32 v4, 0x7fffff, v16
	s_and_saveexec_b32 s13, vcc_lo
	s_delay_alu instid0(SALU_CYCLE_1)
	s_xor_b32 s14, exec_lo, s13
	s_cbranch_execz .LBB4_2973
; %bb.2956:                             ;   in Loop: Header=BB4_2563 Depth=3
	v_dual_mov_b32 v87, v3 :: v_dual_lshrrev_b32 v17, 24, v16
	v_and_b32_e32 v86, 0x7fffffff, v16
                                        ; implicit-def: $vgpr112
	s_mov_b32 s13, exec_lo
	s_delay_alu instid0(VALU_DEP_2) | instskip(NEXT) | instid1(VALU_DEP_2)
	v_and_b32_e32 v113, 0x80, v17
	v_cmpx_gt_u64_e32 0x47600001, v[86:87]
	s_xor_b32 s15, exec_lo, s13
	s_cbranch_execz .LBB4_2970
; %bb.2957:                             ;   in Loop: Header=BB4_2563 Depth=3
	v_mov_b32_e32 v112, 0
	s_mov_b32 s75, exec_lo
	v_cmpx_ne_u32_e32 0, v16
	s_cbranch_execz .LBB4_2969
; %bb.2958:                             ;   in Loop: Header=BB4_2563 Depth=3
	v_bfe_u32 v86, v16, 23, 8
	v_or_b32_e32 v96, 0x800000, v4
	s_delay_alu instid0(VALU_DEP_2) | instskip(SKIP_1) | instid1(VALU_DEP_2)
	v_sub_nc_u32_e32 v16, 0x71, v86
	v_cmp_gt_u32_e32 vcc_lo, 0x72, v86
	v_cndmask_b32_e32 v16, 0, v16, vcc_lo
	v_cmp_eq_u32_e32 vcc_lo, 0, v86
	s_delay_alu instid0(VALU_DEP_2) | instskip(NEXT) | instid1(VALU_DEP_1)
	v_cndmask_b32_e64 v87, v16, 0x70, vcc_lo
	v_dual_cndmask_b32 v4, v96, v4, vcc_lo :: v_dual_add_nc_u32 v16, 21, v87
	v_add_nc_u32_e32 v97, 20, v87
	s_delay_alu instid0(VALU_DEP_2) | instskip(NEXT) | instid1(VALU_DEP_2)
	v_lshlrev_b64_e64 v[16:17], v16, -1
	v_lshlrev_b64_e64 v[96:97], v97, 1
	s_delay_alu instid0(VALU_DEP_2) | instskip(SKIP_1) | instid1(VALU_DEP_4)
	v_bfi_b32 v16, v16, 0, v4
	v_lshrrev_b64 v[4:5], v87, v[4:5]
	v_bfi_b32 v17, v17, 0, 0
	s_delay_alu instid0(VALU_DEP_1) | instskip(NEXT) | instid1(VALU_DEP_3)
	v_cmp_eq_u64_e64 s13, v[16:17], v[96:97]
	v_mov_b64_e32 v[16:17], v[4:5]
	s_and_saveexec_b32 s76, s13
; %bb.2959:                             ;   in Loop: Header=BB4_2563 Depth=3
	v_bfe_u32 v16, v4, 21, 1
	v_mov_b32_e32 v17, v3
	s_delay_alu instid0(VALU_DEP_1) | instskip(NEXT) | instid1(VALU_DEP_1)
	v_add_nc_u64_e32 v[16:17], v[4:5], v[16:17]
	v_add_nc_u64_e32 v[16:17], -1, v[16:17]
; %bb.2960:                             ;   in Loop: Header=BB4_2563 Depth=3
	s_or_b32 exec_lo, exec_lo, s76
	v_add_nc_u32_e32 v5, 0xffffff81, v86
	v_lshrrev_b32_e32 v17, 23, v4
	s_mov_b32 s13, exec_lo
	s_delay_alu instid0(VALU_DEP_2) | instskip(NEXT) | instid1(VALU_DEP_1)
	v_cndmask_b32_e64 v5, v5, 0xffffff82, vcc_lo
	v_add3_u32 v17, v87, v5, v17
	v_and_b32_e32 v5, 0x1fffff, v16
                                        ; implicit-def: $vgpr16
	s_delay_alu instid0(VALU_DEP_1) | instskip(SKIP_1) | instid1(VALU_DEP_2)
	v_dual_add_nc_u32 v86, 14, v17 :: v_dual_add_nc_u32 v4, v5, v4
	v_mov_b32_e32 v5, v3
	v_cmpx_ne_u32_e32 0, v86
	s_xor_b32 s13, exec_lo, s13
; %bb.2961:                             ;   in Loop: Header=BB4_2563 Depth=3
	s_delay_alu instid0(VALU_DEP_2) | instskip(SKIP_2) | instid1(VALU_DEP_2)
	v_cmp_lt_u64_e32 vcc_lo, 0xffffff, v[4:5]
	v_add_nc_u32_e32 v16, 15, v17
	v_cndmask_b32_e64 v17, 0, 1, vcc_lo
	v_cndmask_b32_e32 v16, v86, v16, vcc_lo
	s_delay_alu instid0(VALU_DEP_2)
	v_lshrrev_b64 v[4:5], v17, v[4:5]
; %bb.2962:                             ;   in Loop: Header=BB4_2563 Depth=3
	s_and_not1_saveexec_b32 s13, s13
; %bb.2963:                             ;   in Loop: Header=BB4_2563 Depth=3
	s_delay_alu instid0(VALU_DEP_1)
	v_bfe_u32 v16, v4, 23, 1
; %bb.2964:                             ;   in Loop: Header=BB4_2563 Depth=3
	s_or_b32 exec_lo, exec_lo, s13
	s_delay_alu instid0(VALU_DEP_2) | instskip(NEXT) | instid1(VALU_DEP_2)
	v_lshrrev_b64 v[4:5], 21, v[4:5]
	v_cmp_gt_i32_e32 vcc_lo, 32, v16
	v_cmp_ne_u32_e64 s13, 0, v16
                                        ; implicit-def: $vgpr112
	s_delay_alu instid0(VALU_DEP_3) | instskip(NEXT) | instid1(VALU_DEP_1)
	v_dual_cndmask_b32 v5, 0, v5 :: v_dual_cndmask_b32 v4, 3, v4
	v_cmp_ne_u64_e32 vcc_lo, 0, v[4:5]
	s_or_b32 s13, s13, vcc_lo
	s_delay_alu instid0(SALU_CYCLE_1) | instskip(NEXT) | instid1(SALU_CYCLE_1)
	s_and_saveexec_b32 s76, s13
	s_xor_b32 s13, exec_lo, s76
; %bb.2965:                             ;   in Loop: Header=BB4_2563 Depth=3
	v_min_i32_e32 v5, 31, v16
	s_delay_alu instid0(VALU_DEP_1) | instskip(NEXT) | instid1(VALU_DEP_1)
	v_lshl_or_b32 v5, v5, 2, v113
                                        ; implicit-def: $vgpr113
	v_and_or_b32 v112, v4, 3, v5
; %bb.2966:                             ;   in Loop: Header=BB4_2563 Depth=3
	s_and_not1_saveexec_b32 s13, s13
; %bb.2967:                             ;   in Loop: Header=BB4_2563 Depth=3
	v_mov_b32_e32 v112, v113
; %bb.2968:                             ;   in Loop: Header=BB4_2563 Depth=3
	s_or_b32 exec_lo, exec_lo, s13
.LBB4_2969:                             ;   in Loop: Header=BB4_2563 Depth=3
	s_delay_alu instid0(SALU_CYCLE_1)
	s_or_b32 exec_lo, exec_lo, s75
                                        ; implicit-def: $vgpr113
.LBB4_2970:                             ;   in Loop: Header=BB4_2563 Depth=3
	s_and_not1_saveexec_b32 s13, s15
; %bb.2971:                             ;   in Loop: Header=BB4_2563 Depth=3
	v_or_b32_e32 v112, 0x7b, v113
; %bb.2972:                             ;   in Loop: Header=BB4_2563 Depth=3
	s_or_b32 exec_lo, exec_lo, s13
                                        ; implicit-def: $vgpr16
                                        ; implicit-def: $vgpr4_vgpr5
.LBB4_2973:                             ;   in Loop: Header=BB4_2563 Depth=3
	s_and_not1_saveexec_b32 s13, s14
	s_cbranch_execz .LBB4_2979
; %bb.2974:                             ;   in Loop: Header=BB4_2563 Depth=3
	s_mov_b32 s14, exec_lo
                                        ; implicit-def: $vgpr112
	v_cmpx_ne_u64_e32 0, v[4:5]
	s_xor_b32 s14, exec_lo, s14
; %bb.2975:                             ;   in Loop: Header=BB4_2563 Depth=3
	v_lshrrev_b32_e32 v4, 24, v16
                                        ; implicit-def: $vgpr16
	s_delay_alu instid0(VALU_DEP_1)
	v_or_b32_e32 v112, 0x7f, v4
; %bb.2976:                             ;   in Loop: Header=BB4_2563 Depth=3
	s_and_not1_saveexec_b32 s14, s14
; %bb.2977:                             ;   in Loop: Header=BB4_2563 Depth=3
	v_cmp_lt_i32_e32 vcc_lo, -1, v16
	v_cndmask_b32_e64 v112, -4, 0x7c, vcc_lo
; %bb.2978:                             ;   in Loop: Header=BB4_2563 Depth=3
	s_or_b32 exec_lo, exec_lo, s14
.LBB4_2979:                             ;   in Loop: Header=BB4_2563 Depth=3
	s_delay_alu instid0(SALU_CYCLE_1)
	s_or_b32 exec_lo, exec_lo, s13
	flat_load_i8 v4, v[10:11] offset:384 th:TH_LOAD_NT
	v_mov_b32_e32 v16, 0
	s_mov_b32 s13, exec_lo
	s_wait_loadcnt_dscnt 0x0
	v_cmpx_ne_u16_e32 0, v4
	s_cbranch_execz .LBB4_2989
; %bb.2980:                             ;   in Loop: Header=BB4_2563 Depth=3
	v_bfrev_b32_e32 v16, 1
	s_mov_b32 s14, exec_lo
	v_cmpx_ne_u16_e32 0xff80, v4
	s_cbranch_execz .LBB4_2988
; %bb.2981:                             ;   in Loop: Header=BB4_2563 Depth=3
	v_and_b32_e32 v16, 0x7c, v4
	v_and_b32_e32 v5, 3, v4
	s_delay_alu instid0(VALU_DEP_2) | instskip(SKIP_1) | instid1(SALU_CYCLE_1)
	v_cmp_ne_u32_e32 vcc_lo, 0x7c, v16
                                        ; implicit-def: $vgpr16
	s_and_saveexec_b32 s15, vcc_lo
	s_xor_b32 s15, exec_lo, s15
	s_cbranch_execz .LBB4_2985
; %bb.2982:                             ;   in Loop: Header=BB4_2563 Depth=3
	v_and_b32_e32 v16, 0xff, v4
	s_mov_b32 s75, exec_lo
	s_delay_alu instid0(VALU_DEP_1) | instskip(NEXT) | instid1(VALU_DEP_1)
	v_bfe_u32 v16, v16, 2, 5
	v_cmpx_eq_u32_e32 0, v16
	s_cbranch_execz .LBB4_2984
; %bb.2983:                             ;   in Loop: Header=BB4_2563 Depth=3
	v_clz_i32_u32_e32 v5, v5
	s_delay_alu instid0(VALU_DEP_1) | instskip(SKIP_1) | instid1(VALU_DEP_2)
	v_min_u32_e32 v16, 32, v5
	v_mov_b32_e32 v5, v3
	v_subrev_nc_u32_e32 v17, 29, v16
	v_sub_nc_u32_e32 v16, 30, v16
	s_delay_alu instid0(VALU_DEP_2) | instskip(NEXT) | instid1(VALU_DEP_1)
	v_lshlrev_b64_e32 v[86:87], v17, v[4:5]
	v_and_b32_e32 v5, 3, v86
.LBB4_2984:                             ;   in Loop: Header=BB4_2563 Depth=3
	s_or_b32 exec_lo, exec_lo, s75
	v_bfe_i32 v4, v4, 0, 16
	s_delay_alu instid0(VALU_DEP_1) | instskip(NEXT) | instid1(VALU_DEP_1)
	v_and_b32_e32 v4, 0x80000000, v4
	v_lshl_add_u32 v4, v16, 23, v4
	s_delay_alu instid0(VALU_DEP_1) | instskip(NEXT) | instid1(VALU_DEP_1)
	v_lshl_or_b32 v4, v5, 21, v4
                                        ; implicit-def: $vgpr5
	v_add_nc_u32_e32 v16, 0x38000000, v4
                                        ; implicit-def: $vgpr4
.LBB4_2985:                             ;   in Loop: Header=BB4_2563 Depth=3
	s_and_not1_saveexec_b32 s15, s15
; %bb.2986:                             ;   in Loop: Header=BB4_2563 Depth=3
	v_cmp_lt_i16_e32 vcc_lo, -1, v4
	v_cndmask_b32_e32 v4, 0xff800000, v48, vcc_lo
	v_cmp_eq_u32_e32 vcc_lo, 0, v5
	s_delay_alu instid0(VALU_DEP_2)
	v_cndmask_b32_e32 v16, 0x7f800001, v4, vcc_lo
; %bb.2987:                             ;   in Loop: Header=BB4_2563 Depth=3
	s_or_b32 exec_lo, exec_lo, s15
.LBB4_2988:                             ;   in Loop: Header=BB4_2563 Depth=3
	s_delay_alu instid0(SALU_CYCLE_1)
	s_or_b32 exec_lo, exec_lo, s14
.LBB4_2989:                             ;   in Loop: Header=BB4_2563 Depth=3
	s_delay_alu instid0(SALU_CYCLE_1) | instskip(NEXT) | instid1(VALU_DEP_1)
	s_or_b32 exec_lo, exec_lo, s13
	v_dual_mul_f32 v16, s74, v16 :: v_dual_mov_b32 v5, v3
                                        ; implicit-def: $vgpr113
	s_delay_alu instid0(VALU_DEP_1) | instskip(NEXT) | instid1(VALU_DEP_1)
	v_and_b32_e32 v4, 0x7f800000, v16
	v_cmp_ne_u64_e32 vcc_lo, 0x7f800000, v[4:5]
	v_and_b32_e32 v4, 0x7fffff, v16
	s_and_saveexec_b32 s13, vcc_lo
	s_delay_alu instid0(SALU_CYCLE_1)
	s_xor_b32 s14, exec_lo, s13
	s_cbranch_execz .LBB4_3007
; %bb.2990:                             ;   in Loop: Header=BB4_2563 Depth=3
	v_dual_mov_b32 v87, v3 :: v_dual_lshrrev_b32 v17, 24, v16
	v_and_b32_e32 v86, 0x7fffffff, v16
                                        ; implicit-def: $vgpr113
	s_mov_b32 s13, exec_lo
	s_delay_alu instid0(VALU_DEP_2) | instskip(NEXT) | instid1(VALU_DEP_2)
	v_and_b32_e32 v118, 0x80, v17
	v_cmpx_gt_u64_e32 0x47600001, v[86:87]
	s_xor_b32 s15, exec_lo, s13
	s_cbranch_execz .LBB4_3004
; %bb.2991:                             ;   in Loop: Header=BB4_2563 Depth=3
	v_mov_b32_e32 v113, 0
	s_mov_b32 s75, exec_lo
	v_cmpx_ne_u32_e32 0, v16
	s_cbranch_execz .LBB4_3003
; %bb.2992:                             ;   in Loop: Header=BB4_2563 Depth=3
	v_bfe_u32 v86, v16, 23, 8
	v_or_b32_e32 v96, 0x800000, v4
	s_delay_alu instid0(VALU_DEP_2) | instskip(SKIP_1) | instid1(VALU_DEP_2)
	v_sub_nc_u32_e32 v16, 0x71, v86
	v_cmp_gt_u32_e32 vcc_lo, 0x72, v86
	v_cndmask_b32_e32 v16, 0, v16, vcc_lo
	v_cmp_eq_u32_e32 vcc_lo, 0, v86
	s_delay_alu instid0(VALU_DEP_2) | instskip(NEXT) | instid1(VALU_DEP_1)
	v_cndmask_b32_e64 v87, v16, 0x70, vcc_lo
	v_dual_cndmask_b32 v4, v96, v4, vcc_lo :: v_dual_add_nc_u32 v16, 21, v87
	v_add_nc_u32_e32 v97, 20, v87
	s_delay_alu instid0(VALU_DEP_2) | instskip(NEXT) | instid1(VALU_DEP_2)
	v_lshlrev_b64_e64 v[16:17], v16, -1
	v_lshlrev_b64_e64 v[96:97], v97, 1
	s_delay_alu instid0(VALU_DEP_2) | instskip(SKIP_1) | instid1(VALU_DEP_4)
	v_bfi_b32 v16, v16, 0, v4
	v_lshrrev_b64 v[4:5], v87, v[4:5]
	v_bfi_b32 v17, v17, 0, 0
	s_delay_alu instid0(VALU_DEP_1) | instskip(NEXT) | instid1(VALU_DEP_3)
	v_cmp_eq_u64_e64 s13, v[16:17], v[96:97]
	v_mov_b64_e32 v[16:17], v[4:5]
	s_and_saveexec_b32 s76, s13
; %bb.2993:                             ;   in Loop: Header=BB4_2563 Depth=3
	v_bfe_u32 v16, v4, 21, 1
	v_mov_b32_e32 v17, v3
	s_delay_alu instid0(VALU_DEP_1) | instskip(NEXT) | instid1(VALU_DEP_1)
	v_add_nc_u64_e32 v[16:17], v[4:5], v[16:17]
	v_add_nc_u64_e32 v[16:17], -1, v[16:17]
; %bb.2994:                             ;   in Loop: Header=BB4_2563 Depth=3
	s_or_b32 exec_lo, exec_lo, s76
	v_add_nc_u32_e32 v5, 0xffffff81, v86
	v_lshrrev_b32_e32 v17, 23, v4
	s_mov_b32 s13, exec_lo
	s_delay_alu instid0(VALU_DEP_2) | instskip(NEXT) | instid1(VALU_DEP_1)
	v_cndmask_b32_e64 v5, v5, 0xffffff82, vcc_lo
	v_add3_u32 v17, v87, v5, v17
	v_and_b32_e32 v5, 0x1fffff, v16
                                        ; implicit-def: $vgpr16
	s_delay_alu instid0(VALU_DEP_1) | instskip(SKIP_1) | instid1(VALU_DEP_2)
	v_dual_add_nc_u32 v86, 14, v17 :: v_dual_add_nc_u32 v4, v5, v4
	v_mov_b32_e32 v5, v3
	v_cmpx_ne_u32_e32 0, v86
	s_xor_b32 s13, exec_lo, s13
; %bb.2995:                             ;   in Loop: Header=BB4_2563 Depth=3
	s_delay_alu instid0(VALU_DEP_2) | instskip(SKIP_2) | instid1(VALU_DEP_2)
	v_cmp_lt_u64_e32 vcc_lo, 0xffffff, v[4:5]
	v_add_nc_u32_e32 v16, 15, v17
	v_cndmask_b32_e64 v17, 0, 1, vcc_lo
	v_cndmask_b32_e32 v16, v86, v16, vcc_lo
	s_delay_alu instid0(VALU_DEP_2)
	v_lshrrev_b64 v[4:5], v17, v[4:5]
; %bb.2996:                             ;   in Loop: Header=BB4_2563 Depth=3
	s_and_not1_saveexec_b32 s13, s13
; %bb.2997:                             ;   in Loop: Header=BB4_2563 Depth=3
	s_delay_alu instid0(VALU_DEP_1)
	v_bfe_u32 v16, v4, 23, 1
; %bb.2998:                             ;   in Loop: Header=BB4_2563 Depth=3
	s_or_b32 exec_lo, exec_lo, s13
	s_delay_alu instid0(VALU_DEP_2) | instskip(NEXT) | instid1(VALU_DEP_2)
	v_lshrrev_b64 v[4:5], 21, v[4:5]
	v_cmp_gt_i32_e32 vcc_lo, 32, v16
	v_cmp_ne_u32_e64 s13, 0, v16
                                        ; implicit-def: $vgpr113
	s_delay_alu instid0(VALU_DEP_3) | instskip(NEXT) | instid1(VALU_DEP_1)
	v_dual_cndmask_b32 v5, 0, v5 :: v_dual_cndmask_b32 v4, 3, v4
	v_cmp_ne_u64_e32 vcc_lo, 0, v[4:5]
	s_or_b32 s13, s13, vcc_lo
	s_delay_alu instid0(SALU_CYCLE_1) | instskip(NEXT) | instid1(SALU_CYCLE_1)
	s_and_saveexec_b32 s76, s13
	s_xor_b32 s13, exec_lo, s76
; %bb.2999:                             ;   in Loop: Header=BB4_2563 Depth=3
	v_min_i32_e32 v5, 31, v16
	s_delay_alu instid0(VALU_DEP_1) | instskip(NEXT) | instid1(VALU_DEP_1)
	v_lshl_or_b32 v5, v5, 2, v118
                                        ; implicit-def: $vgpr118
	v_and_or_b32 v113, v4, 3, v5
; %bb.3000:                             ;   in Loop: Header=BB4_2563 Depth=3
	s_and_not1_saveexec_b32 s13, s13
; %bb.3001:                             ;   in Loop: Header=BB4_2563 Depth=3
	v_mov_b32_e32 v113, v118
; %bb.3002:                             ;   in Loop: Header=BB4_2563 Depth=3
	s_or_b32 exec_lo, exec_lo, s13
.LBB4_3003:                             ;   in Loop: Header=BB4_2563 Depth=3
	s_delay_alu instid0(SALU_CYCLE_1)
	s_or_b32 exec_lo, exec_lo, s75
                                        ; implicit-def: $vgpr118
.LBB4_3004:                             ;   in Loop: Header=BB4_2563 Depth=3
	s_and_not1_saveexec_b32 s13, s15
; %bb.3005:                             ;   in Loop: Header=BB4_2563 Depth=3
	v_or_b32_e32 v113, 0x7b, v118
; %bb.3006:                             ;   in Loop: Header=BB4_2563 Depth=3
	s_or_b32 exec_lo, exec_lo, s13
                                        ; implicit-def: $vgpr16
                                        ; implicit-def: $vgpr4_vgpr5
.LBB4_3007:                             ;   in Loop: Header=BB4_2563 Depth=3
	s_and_not1_saveexec_b32 s13, s14
	s_cbranch_execz .LBB4_3013
; %bb.3008:                             ;   in Loop: Header=BB4_2563 Depth=3
	s_mov_b32 s14, exec_lo
                                        ; implicit-def: $vgpr113
	v_cmpx_ne_u64_e32 0, v[4:5]
	s_xor_b32 s14, exec_lo, s14
; %bb.3009:                             ;   in Loop: Header=BB4_2563 Depth=3
	v_lshrrev_b32_e32 v4, 24, v16
                                        ; implicit-def: $vgpr16
	s_delay_alu instid0(VALU_DEP_1)
	v_or_b32_e32 v113, 0x7f, v4
; %bb.3010:                             ;   in Loop: Header=BB4_2563 Depth=3
	s_and_not1_saveexec_b32 s14, s14
; %bb.3011:                             ;   in Loop: Header=BB4_2563 Depth=3
	v_cmp_lt_i32_e32 vcc_lo, -1, v16
	v_cndmask_b32_e64 v113, -4, 0x7c, vcc_lo
; %bb.3012:                             ;   in Loop: Header=BB4_2563 Depth=3
	s_or_b32 exec_lo, exec_lo, s14
.LBB4_3013:                             ;   in Loop: Header=BB4_2563 Depth=3
	s_delay_alu instid0(SALU_CYCLE_1)
	s_or_b32 exec_lo, exec_lo, s13
	flat_load_i8 v4, v[10:11] offset:416 th:TH_LOAD_NT
	v_mov_b32_e32 v16, 0
	s_mov_b32 s13, exec_lo
	s_wait_loadcnt_dscnt 0x0
	v_cmpx_ne_u16_e32 0, v4
	s_cbranch_execz .LBB4_3023
; %bb.3014:                             ;   in Loop: Header=BB4_2563 Depth=3
	v_bfrev_b32_e32 v16, 1
	s_mov_b32 s14, exec_lo
	v_cmpx_ne_u16_e32 0xff80, v4
	s_cbranch_execz .LBB4_3022
; %bb.3015:                             ;   in Loop: Header=BB4_2563 Depth=3
	v_and_b32_e32 v16, 0x7c, v4
	v_and_b32_e32 v5, 3, v4
	s_delay_alu instid0(VALU_DEP_2) | instskip(SKIP_1) | instid1(SALU_CYCLE_1)
	v_cmp_ne_u32_e32 vcc_lo, 0x7c, v16
                                        ; implicit-def: $vgpr16
	s_and_saveexec_b32 s15, vcc_lo
	s_xor_b32 s15, exec_lo, s15
	s_cbranch_execz .LBB4_3019
; %bb.3016:                             ;   in Loop: Header=BB4_2563 Depth=3
	v_and_b32_e32 v16, 0xff, v4
	s_mov_b32 s75, exec_lo
	s_delay_alu instid0(VALU_DEP_1) | instskip(NEXT) | instid1(VALU_DEP_1)
	v_bfe_u32 v16, v16, 2, 5
	v_cmpx_eq_u32_e32 0, v16
	s_cbranch_execz .LBB4_3018
; %bb.3017:                             ;   in Loop: Header=BB4_2563 Depth=3
	v_clz_i32_u32_e32 v5, v5
	s_delay_alu instid0(VALU_DEP_1) | instskip(SKIP_1) | instid1(VALU_DEP_2)
	v_min_u32_e32 v16, 32, v5
	v_mov_b32_e32 v5, v3
	v_subrev_nc_u32_e32 v17, 29, v16
	v_sub_nc_u32_e32 v16, 30, v16
	s_delay_alu instid0(VALU_DEP_2) | instskip(NEXT) | instid1(VALU_DEP_1)
	v_lshlrev_b64_e32 v[86:87], v17, v[4:5]
	v_and_b32_e32 v5, 3, v86
.LBB4_3018:                             ;   in Loop: Header=BB4_2563 Depth=3
	s_or_b32 exec_lo, exec_lo, s75
	v_bfe_i32 v4, v4, 0, 16
	s_delay_alu instid0(VALU_DEP_1) | instskip(NEXT) | instid1(VALU_DEP_1)
	v_and_b32_e32 v4, 0x80000000, v4
	v_lshl_add_u32 v4, v16, 23, v4
	s_delay_alu instid0(VALU_DEP_1) | instskip(NEXT) | instid1(VALU_DEP_1)
	v_lshl_or_b32 v4, v5, 21, v4
                                        ; implicit-def: $vgpr5
	v_add_nc_u32_e32 v16, 0x38000000, v4
                                        ; implicit-def: $vgpr4
.LBB4_3019:                             ;   in Loop: Header=BB4_2563 Depth=3
	s_and_not1_saveexec_b32 s15, s15
; %bb.3020:                             ;   in Loop: Header=BB4_2563 Depth=3
	v_cmp_lt_i16_e32 vcc_lo, -1, v4
	v_cndmask_b32_e32 v4, 0xff800000, v48, vcc_lo
	v_cmp_eq_u32_e32 vcc_lo, 0, v5
	s_delay_alu instid0(VALU_DEP_2)
	v_cndmask_b32_e32 v16, 0x7f800001, v4, vcc_lo
; %bb.3021:                             ;   in Loop: Header=BB4_2563 Depth=3
	s_or_b32 exec_lo, exec_lo, s15
.LBB4_3022:                             ;   in Loop: Header=BB4_2563 Depth=3
	s_delay_alu instid0(SALU_CYCLE_1)
	s_or_b32 exec_lo, exec_lo, s14
.LBB4_3023:                             ;   in Loop: Header=BB4_2563 Depth=3
	s_delay_alu instid0(SALU_CYCLE_1) | instskip(NEXT) | instid1(VALU_DEP_1)
	s_or_b32 exec_lo, exec_lo, s13
	v_dual_mul_f32 v16, s74, v16 :: v_dual_mov_b32 v5, v3
                                        ; implicit-def: $vgpr118
	s_delay_alu instid0(VALU_DEP_1) | instskip(NEXT) | instid1(VALU_DEP_1)
	v_and_b32_e32 v4, 0x7f800000, v16
	v_cmp_ne_u64_e32 vcc_lo, 0x7f800000, v[4:5]
	v_and_b32_e32 v4, 0x7fffff, v16
	s_and_saveexec_b32 s13, vcc_lo
	s_delay_alu instid0(SALU_CYCLE_1)
	s_xor_b32 s14, exec_lo, s13
	s_cbranch_execz .LBB4_3041
; %bb.3024:                             ;   in Loop: Header=BB4_2563 Depth=3
	v_dual_mov_b32 v87, v3 :: v_dual_lshrrev_b32 v17, 24, v16
	v_and_b32_e32 v86, 0x7fffffff, v16
                                        ; implicit-def: $vgpr118
	s_mov_b32 s13, exec_lo
	s_delay_alu instid0(VALU_DEP_2) | instskip(NEXT) | instid1(VALU_DEP_2)
	v_and_b32_e32 v119, 0x80, v17
	v_cmpx_gt_u64_e32 0x47600001, v[86:87]
	s_xor_b32 s15, exec_lo, s13
	s_cbranch_execz .LBB4_3038
; %bb.3025:                             ;   in Loop: Header=BB4_2563 Depth=3
	v_mov_b32_e32 v118, 0
	s_mov_b32 s75, exec_lo
	v_cmpx_ne_u32_e32 0, v16
	s_cbranch_execz .LBB4_3037
; %bb.3026:                             ;   in Loop: Header=BB4_2563 Depth=3
	v_bfe_u32 v86, v16, 23, 8
	v_or_b32_e32 v96, 0x800000, v4
	s_delay_alu instid0(VALU_DEP_2) | instskip(SKIP_1) | instid1(VALU_DEP_2)
	v_sub_nc_u32_e32 v16, 0x71, v86
	v_cmp_gt_u32_e32 vcc_lo, 0x72, v86
	v_cndmask_b32_e32 v16, 0, v16, vcc_lo
	v_cmp_eq_u32_e32 vcc_lo, 0, v86
	s_delay_alu instid0(VALU_DEP_2) | instskip(NEXT) | instid1(VALU_DEP_1)
	v_cndmask_b32_e64 v87, v16, 0x70, vcc_lo
	v_dual_cndmask_b32 v4, v96, v4, vcc_lo :: v_dual_add_nc_u32 v16, 21, v87
	v_add_nc_u32_e32 v97, 20, v87
	s_delay_alu instid0(VALU_DEP_2) | instskip(NEXT) | instid1(VALU_DEP_2)
	v_lshlrev_b64_e64 v[16:17], v16, -1
	v_lshlrev_b64_e64 v[96:97], v97, 1
	s_delay_alu instid0(VALU_DEP_2) | instskip(SKIP_1) | instid1(VALU_DEP_4)
	v_bfi_b32 v16, v16, 0, v4
	v_lshrrev_b64 v[4:5], v87, v[4:5]
	v_bfi_b32 v17, v17, 0, 0
	s_delay_alu instid0(VALU_DEP_1) | instskip(NEXT) | instid1(VALU_DEP_3)
	v_cmp_eq_u64_e64 s13, v[16:17], v[96:97]
	v_mov_b64_e32 v[16:17], v[4:5]
	s_and_saveexec_b32 s76, s13
; %bb.3027:                             ;   in Loop: Header=BB4_2563 Depth=3
	v_bfe_u32 v16, v4, 21, 1
	v_mov_b32_e32 v17, v3
	s_delay_alu instid0(VALU_DEP_1) | instskip(NEXT) | instid1(VALU_DEP_1)
	v_add_nc_u64_e32 v[16:17], v[4:5], v[16:17]
	v_add_nc_u64_e32 v[16:17], -1, v[16:17]
; %bb.3028:                             ;   in Loop: Header=BB4_2563 Depth=3
	s_or_b32 exec_lo, exec_lo, s76
	v_add_nc_u32_e32 v5, 0xffffff81, v86
	v_lshrrev_b32_e32 v17, 23, v4
	s_mov_b32 s13, exec_lo
	s_delay_alu instid0(VALU_DEP_2) | instskip(NEXT) | instid1(VALU_DEP_1)
	v_cndmask_b32_e64 v5, v5, 0xffffff82, vcc_lo
	v_add3_u32 v17, v87, v5, v17
	v_and_b32_e32 v5, 0x1fffff, v16
                                        ; implicit-def: $vgpr16
	s_delay_alu instid0(VALU_DEP_1) | instskip(SKIP_1) | instid1(VALU_DEP_2)
	v_dual_add_nc_u32 v86, 14, v17 :: v_dual_add_nc_u32 v4, v5, v4
	v_mov_b32_e32 v5, v3
	v_cmpx_ne_u32_e32 0, v86
	s_xor_b32 s13, exec_lo, s13
; %bb.3029:                             ;   in Loop: Header=BB4_2563 Depth=3
	s_delay_alu instid0(VALU_DEP_2) | instskip(SKIP_2) | instid1(VALU_DEP_2)
	v_cmp_lt_u64_e32 vcc_lo, 0xffffff, v[4:5]
	v_add_nc_u32_e32 v16, 15, v17
	v_cndmask_b32_e64 v17, 0, 1, vcc_lo
	v_cndmask_b32_e32 v16, v86, v16, vcc_lo
	s_delay_alu instid0(VALU_DEP_2)
	v_lshrrev_b64 v[4:5], v17, v[4:5]
; %bb.3030:                             ;   in Loop: Header=BB4_2563 Depth=3
	s_and_not1_saveexec_b32 s13, s13
; %bb.3031:                             ;   in Loop: Header=BB4_2563 Depth=3
	s_delay_alu instid0(VALU_DEP_1)
	v_bfe_u32 v16, v4, 23, 1
; %bb.3032:                             ;   in Loop: Header=BB4_2563 Depth=3
	s_or_b32 exec_lo, exec_lo, s13
	s_delay_alu instid0(VALU_DEP_2) | instskip(NEXT) | instid1(VALU_DEP_2)
	v_lshrrev_b64 v[4:5], 21, v[4:5]
	v_cmp_gt_i32_e32 vcc_lo, 32, v16
	v_cmp_ne_u32_e64 s13, 0, v16
                                        ; implicit-def: $vgpr118
	s_delay_alu instid0(VALU_DEP_3) | instskip(NEXT) | instid1(VALU_DEP_1)
	v_dual_cndmask_b32 v5, 0, v5 :: v_dual_cndmask_b32 v4, 3, v4
	v_cmp_ne_u64_e32 vcc_lo, 0, v[4:5]
	s_or_b32 s13, s13, vcc_lo
	s_delay_alu instid0(SALU_CYCLE_1) | instskip(NEXT) | instid1(SALU_CYCLE_1)
	s_and_saveexec_b32 s76, s13
	s_xor_b32 s13, exec_lo, s76
; %bb.3033:                             ;   in Loop: Header=BB4_2563 Depth=3
	v_min_i32_e32 v5, 31, v16
	s_delay_alu instid0(VALU_DEP_1) | instskip(NEXT) | instid1(VALU_DEP_1)
	v_lshl_or_b32 v5, v5, 2, v119
                                        ; implicit-def: $vgpr119
	v_and_or_b32 v118, v4, 3, v5
; %bb.3034:                             ;   in Loop: Header=BB4_2563 Depth=3
	s_and_not1_saveexec_b32 s13, s13
; %bb.3035:                             ;   in Loop: Header=BB4_2563 Depth=3
	v_mov_b32_e32 v118, v119
; %bb.3036:                             ;   in Loop: Header=BB4_2563 Depth=3
	s_or_b32 exec_lo, exec_lo, s13
.LBB4_3037:                             ;   in Loop: Header=BB4_2563 Depth=3
	s_delay_alu instid0(SALU_CYCLE_1)
	s_or_b32 exec_lo, exec_lo, s75
                                        ; implicit-def: $vgpr119
.LBB4_3038:                             ;   in Loop: Header=BB4_2563 Depth=3
	s_and_not1_saveexec_b32 s13, s15
; %bb.3039:                             ;   in Loop: Header=BB4_2563 Depth=3
	v_or_b32_e32 v118, 0x7b, v119
; %bb.3040:                             ;   in Loop: Header=BB4_2563 Depth=3
	s_or_b32 exec_lo, exec_lo, s13
                                        ; implicit-def: $vgpr16
                                        ; implicit-def: $vgpr4_vgpr5
.LBB4_3041:                             ;   in Loop: Header=BB4_2563 Depth=3
	s_and_not1_saveexec_b32 s13, s14
	s_cbranch_execz .LBB4_3047
; %bb.3042:                             ;   in Loop: Header=BB4_2563 Depth=3
	s_mov_b32 s14, exec_lo
                                        ; implicit-def: $vgpr118
	v_cmpx_ne_u64_e32 0, v[4:5]
	s_xor_b32 s14, exec_lo, s14
; %bb.3043:                             ;   in Loop: Header=BB4_2563 Depth=3
	v_lshrrev_b32_e32 v4, 24, v16
                                        ; implicit-def: $vgpr16
	s_delay_alu instid0(VALU_DEP_1)
	v_or_b32_e32 v118, 0x7f, v4
; %bb.3044:                             ;   in Loop: Header=BB4_2563 Depth=3
	s_and_not1_saveexec_b32 s14, s14
; %bb.3045:                             ;   in Loop: Header=BB4_2563 Depth=3
	v_cmp_lt_i32_e32 vcc_lo, -1, v16
	v_cndmask_b32_e64 v118, -4, 0x7c, vcc_lo
; %bb.3046:                             ;   in Loop: Header=BB4_2563 Depth=3
	s_or_b32 exec_lo, exec_lo, s14
.LBB4_3047:                             ;   in Loop: Header=BB4_2563 Depth=3
	s_delay_alu instid0(SALU_CYCLE_1)
	s_or_b32 exec_lo, exec_lo, s13
	flat_load_i8 v4, v[10:11] offset:448 th:TH_LOAD_NT
	v_mov_b32_e32 v16, 0
	s_mov_b32 s13, exec_lo
	s_wait_loadcnt_dscnt 0x0
	v_cmpx_ne_u16_e32 0, v4
	s_cbranch_execz .LBB4_3057
; %bb.3048:                             ;   in Loop: Header=BB4_2563 Depth=3
	v_bfrev_b32_e32 v16, 1
	s_mov_b32 s14, exec_lo
	v_cmpx_ne_u16_e32 0xff80, v4
	s_cbranch_execz .LBB4_3056
; %bb.3049:                             ;   in Loop: Header=BB4_2563 Depth=3
	v_and_b32_e32 v16, 0x7c, v4
	v_and_b32_e32 v5, 3, v4
	s_delay_alu instid0(VALU_DEP_2) | instskip(SKIP_1) | instid1(SALU_CYCLE_1)
	v_cmp_ne_u32_e32 vcc_lo, 0x7c, v16
                                        ; implicit-def: $vgpr16
	s_and_saveexec_b32 s15, vcc_lo
	s_xor_b32 s15, exec_lo, s15
	s_cbranch_execz .LBB4_3053
; %bb.3050:                             ;   in Loop: Header=BB4_2563 Depth=3
	v_and_b32_e32 v16, 0xff, v4
	s_mov_b32 s75, exec_lo
	s_delay_alu instid0(VALU_DEP_1) | instskip(NEXT) | instid1(VALU_DEP_1)
	v_bfe_u32 v16, v16, 2, 5
	v_cmpx_eq_u32_e32 0, v16
	s_cbranch_execz .LBB4_3052
; %bb.3051:                             ;   in Loop: Header=BB4_2563 Depth=3
	v_clz_i32_u32_e32 v5, v5
	s_delay_alu instid0(VALU_DEP_1) | instskip(SKIP_1) | instid1(VALU_DEP_2)
	v_min_u32_e32 v16, 32, v5
	v_mov_b32_e32 v5, v3
	v_subrev_nc_u32_e32 v17, 29, v16
	v_sub_nc_u32_e32 v16, 30, v16
	s_delay_alu instid0(VALU_DEP_2) | instskip(NEXT) | instid1(VALU_DEP_1)
	v_lshlrev_b64_e32 v[86:87], v17, v[4:5]
	v_and_b32_e32 v5, 3, v86
.LBB4_3052:                             ;   in Loop: Header=BB4_2563 Depth=3
	s_or_b32 exec_lo, exec_lo, s75
	v_bfe_i32 v4, v4, 0, 16
	s_delay_alu instid0(VALU_DEP_1) | instskip(NEXT) | instid1(VALU_DEP_1)
	v_and_b32_e32 v4, 0x80000000, v4
	v_lshl_add_u32 v4, v16, 23, v4
	s_delay_alu instid0(VALU_DEP_1) | instskip(NEXT) | instid1(VALU_DEP_1)
	v_lshl_or_b32 v4, v5, 21, v4
                                        ; implicit-def: $vgpr5
	v_add_nc_u32_e32 v16, 0x38000000, v4
                                        ; implicit-def: $vgpr4
.LBB4_3053:                             ;   in Loop: Header=BB4_2563 Depth=3
	s_and_not1_saveexec_b32 s15, s15
; %bb.3054:                             ;   in Loop: Header=BB4_2563 Depth=3
	v_cmp_lt_i16_e32 vcc_lo, -1, v4
	v_cndmask_b32_e32 v4, 0xff800000, v48, vcc_lo
	v_cmp_eq_u32_e32 vcc_lo, 0, v5
	s_delay_alu instid0(VALU_DEP_2)
	v_cndmask_b32_e32 v16, 0x7f800001, v4, vcc_lo
; %bb.3055:                             ;   in Loop: Header=BB4_2563 Depth=3
	s_or_b32 exec_lo, exec_lo, s15
.LBB4_3056:                             ;   in Loop: Header=BB4_2563 Depth=3
	s_delay_alu instid0(SALU_CYCLE_1)
	s_or_b32 exec_lo, exec_lo, s14
.LBB4_3057:                             ;   in Loop: Header=BB4_2563 Depth=3
	s_delay_alu instid0(SALU_CYCLE_1) | instskip(NEXT) | instid1(VALU_DEP_1)
	s_or_b32 exec_lo, exec_lo, s13
	v_dual_mul_f32 v17, s74, v16 :: v_dual_mov_b32 v5, v3
                                        ; implicit-def: $vgpr16
	s_delay_alu instid0(VALU_DEP_1) | instskip(NEXT) | instid1(VALU_DEP_1)
	v_and_b32_e32 v4, 0x7f800000, v17
	v_cmp_ne_u64_e32 vcc_lo, 0x7f800000, v[4:5]
	v_and_b32_e32 v4, 0x7fffff, v17
	s_and_saveexec_b32 s13, vcc_lo
	s_delay_alu instid0(SALU_CYCLE_1)
	s_xor_b32 s14, exec_lo, s13
	s_cbranch_execz .LBB4_3075
; %bb.3058:                             ;   in Loop: Header=BB4_2563 Depth=3
	v_dual_mov_b32 v87, v3 :: v_dual_lshrrev_b32 v16, 24, v17
	v_and_b32_e32 v86, 0x7fffffff, v17
	s_mov_b32 s13, exec_lo
	s_delay_alu instid0(VALU_DEP_2) | instskip(NEXT) | instid1(VALU_DEP_2)
	v_and_b32_e32 v119, 0x80, v16
                                        ; implicit-def: $vgpr16
	v_cmpx_gt_u64_e32 0x47600001, v[86:87]
	s_xor_b32 s15, exec_lo, s13
	s_cbranch_execz .LBB4_3072
; %bb.3059:                             ;   in Loop: Header=BB4_2563 Depth=3
	v_mov_b32_e32 v16, 0
	s_mov_b32 s75, exec_lo
	v_cmpx_ne_u32_e32 0, v17
	s_cbranch_execz .LBB4_3071
; %bb.3060:                             ;   in Loop: Header=BB4_2563 Depth=3
	v_bfe_u32 v86, v17, 23, 8
	v_or_b32_e32 v96, 0x800000, v4
	s_delay_alu instid0(VALU_DEP_2) | instskip(SKIP_1) | instid1(VALU_DEP_2)
	v_sub_nc_u32_e32 v16, 0x71, v86
	v_cmp_gt_u32_e32 vcc_lo, 0x72, v86
	v_cndmask_b32_e32 v16, 0, v16, vcc_lo
	v_cmp_eq_u32_e32 vcc_lo, 0, v86
	s_delay_alu instid0(VALU_DEP_2) | instskip(NEXT) | instid1(VALU_DEP_1)
	v_cndmask_b32_e64 v87, v16, 0x70, vcc_lo
	v_dual_cndmask_b32 v4, v96, v4, vcc_lo :: v_dual_add_nc_u32 v16, 21, v87
	v_add_nc_u32_e32 v97, 20, v87
	s_delay_alu instid0(VALU_DEP_2) | instskip(NEXT) | instid1(VALU_DEP_2)
	v_lshlrev_b64_e64 v[16:17], v16, -1
	v_lshlrev_b64_e64 v[96:97], v97, 1
	s_delay_alu instid0(VALU_DEP_2) | instskip(SKIP_1) | instid1(VALU_DEP_4)
	v_bfi_b32 v16, v16, 0, v4
	v_lshrrev_b64 v[4:5], v87, v[4:5]
	v_bfi_b32 v17, v17, 0, 0
	s_delay_alu instid0(VALU_DEP_1) | instskip(NEXT) | instid1(VALU_DEP_3)
	v_cmp_eq_u64_e64 s13, v[16:17], v[96:97]
	v_mov_b64_e32 v[16:17], v[4:5]
	s_and_saveexec_b32 s76, s13
; %bb.3061:                             ;   in Loop: Header=BB4_2563 Depth=3
	v_bfe_u32 v16, v4, 21, 1
	v_mov_b32_e32 v17, v3
	s_delay_alu instid0(VALU_DEP_1) | instskip(NEXT) | instid1(VALU_DEP_1)
	v_add_nc_u64_e32 v[16:17], v[4:5], v[16:17]
	v_add_nc_u64_e32 v[16:17], -1, v[16:17]
; %bb.3062:                             ;   in Loop: Header=BB4_2563 Depth=3
	s_or_b32 exec_lo, exec_lo, s76
	v_add_nc_u32_e32 v5, 0xffffff81, v86
	v_lshrrev_b32_e32 v17, 23, v4
	s_mov_b32 s13, exec_lo
	s_delay_alu instid0(VALU_DEP_2) | instskip(NEXT) | instid1(VALU_DEP_1)
	v_cndmask_b32_e64 v5, v5, 0xffffff82, vcc_lo
	v_add3_u32 v86, v87, v5, v17
	v_and_b32_e32 v5, 0x1fffff, v16
                                        ; implicit-def: $vgpr17
	s_delay_alu instid0(VALU_DEP_1) | instskip(SKIP_1) | instid1(VALU_DEP_2)
	v_dual_add_nc_u32 v16, 14, v86 :: v_dual_add_nc_u32 v4, v5, v4
	v_mov_b32_e32 v5, v3
	v_cmpx_ne_u32_e32 0, v16
	s_xor_b32 s13, exec_lo, s13
; %bb.3063:                             ;   in Loop: Header=BB4_2563 Depth=3
	s_delay_alu instid0(VALU_DEP_2) | instskip(SKIP_1) | instid1(VALU_DEP_1)
	v_cmp_lt_u64_e32 vcc_lo, 0xffffff, v[4:5]
	v_add_nc_u32_e32 v17, 15, v86
	v_cndmask_b32_e32 v17, v16, v17, vcc_lo
	v_cndmask_b32_e64 v16, 0, 1, vcc_lo
	s_delay_alu instid0(VALU_DEP_1)
	v_lshrrev_b64 v[4:5], v16, v[4:5]
; %bb.3064:                             ;   in Loop: Header=BB4_2563 Depth=3
	s_and_not1_saveexec_b32 s13, s13
; %bb.3065:                             ;   in Loop: Header=BB4_2563 Depth=3
	s_delay_alu instid0(VALU_DEP_1)
	v_bfe_u32 v17, v4, 23, 1
; %bb.3066:                             ;   in Loop: Header=BB4_2563 Depth=3
	s_or_b32 exec_lo, exec_lo, s13
	s_delay_alu instid0(VALU_DEP_2) | instskip(NEXT) | instid1(VALU_DEP_2)
	v_lshrrev_b64 v[4:5], 21, v[4:5]
	v_cmp_gt_i32_e32 vcc_lo, 32, v17
	v_cmp_ne_u32_e64 s13, 0, v17
                                        ; implicit-def: $vgpr16
	s_delay_alu instid0(VALU_DEP_3) | instskip(NEXT) | instid1(VALU_DEP_1)
	v_dual_cndmask_b32 v5, 0, v5 :: v_dual_cndmask_b32 v4, 3, v4
	v_cmp_ne_u64_e32 vcc_lo, 0, v[4:5]
	s_or_b32 s13, s13, vcc_lo
	s_delay_alu instid0(SALU_CYCLE_1) | instskip(NEXT) | instid1(SALU_CYCLE_1)
	s_and_saveexec_b32 s76, s13
	s_xor_b32 s13, exec_lo, s76
; %bb.3067:                             ;   in Loop: Header=BB4_2563 Depth=3
	v_min_i32_e32 v5, 31, v17
	s_delay_alu instid0(VALU_DEP_1) | instskip(NEXT) | instid1(VALU_DEP_1)
	v_lshl_or_b32 v5, v5, 2, v119
                                        ; implicit-def: $vgpr119
	v_and_or_b32 v16, v4, 3, v5
; %bb.3068:                             ;   in Loop: Header=BB4_2563 Depth=3
	s_and_not1_saveexec_b32 s13, s13
; %bb.3069:                             ;   in Loop: Header=BB4_2563 Depth=3
	v_mov_b32_e32 v16, v119
; %bb.3070:                             ;   in Loop: Header=BB4_2563 Depth=3
	s_or_b32 exec_lo, exec_lo, s13
.LBB4_3071:                             ;   in Loop: Header=BB4_2563 Depth=3
	s_delay_alu instid0(SALU_CYCLE_1)
	s_or_b32 exec_lo, exec_lo, s75
                                        ; implicit-def: $vgpr119
.LBB4_3072:                             ;   in Loop: Header=BB4_2563 Depth=3
	s_and_not1_saveexec_b32 s13, s15
; %bb.3073:                             ;   in Loop: Header=BB4_2563 Depth=3
	v_or_b32_e32 v16, 0x7b, v119
; %bb.3074:                             ;   in Loop: Header=BB4_2563 Depth=3
	s_or_b32 exec_lo, exec_lo, s13
                                        ; implicit-def: $vgpr17
                                        ; implicit-def: $vgpr4_vgpr5
.LBB4_3075:                             ;   in Loop: Header=BB4_2563 Depth=3
	s_and_not1_saveexec_b32 s13, s14
	s_cbranch_execz .LBB4_3081
; %bb.3076:                             ;   in Loop: Header=BB4_2563 Depth=3
	s_mov_b32 s14, exec_lo
                                        ; implicit-def: $vgpr16
	v_cmpx_ne_u64_e32 0, v[4:5]
	s_xor_b32 s14, exec_lo, s14
; %bb.3077:                             ;   in Loop: Header=BB4_2563 Depth=3
	v_lshrrev_b32_e32 v4, 24, v17
                                        ; implicit-def: $vgpr17
	s_delay_alu instid0(VALU_DEP_1)
	v_or_b32_e32 v16, 0x7f, v4
; %bb.3078:                             ;   in Loop: Header=BB4_2563 Depth=3
	s_and_not1_saveexec_b32 s14, s14
; %bb.3079:                             ;   in Loop: Header=BB4_2563 Depth=3
	v_cmp_lt_i32_e32 vcc_lo, -1, v17
	v_cndmask_b32_e64 v16, -4, 0x7c, vcc_lo
; %bb.3080:                             ;   in Loop: Header=BB4_2563 Depth=3
	s_or_b32 exec_lo, exec_lo, s14
.LBB4_3081:                             ;   in Loop: Header=BB4_2563 Depth=3
	s_delay_alu instid0(SALU_CYCLE_1)
	s_or_b32 exec_lo, exec_lo, s13
	flat_load_i8 v4, v[10:11] offset:480 th:TH_LOAD_NT
	s_wait_xcnt 0x0
	v_mov_b32_e32 v10, 0
	s_mov_b32 s13, exec_lo
	s_wait_loadcnt_dscnt 0x0
	v_cmpx_ne_u16_e32 0, v4
	s_cbranch_execz .LBB4_3091
; %bb.3082:                             ;   in Loop: Header=BB4_2563 Depth=3
	v_bfrev_b32_e32 v10, 1
	s_mov_b32 s14, exec_lo
	v_cmpx_ne_u16_e32 0xff80, v4
	s_cbranch_execz .LBB4_3090
; %bb.3083:                             ;   in Loop: Header=BB4_2563 Depth=3
	v_and_b32_e32 v10, 0x7c, v4
	v_and_b32_e32 v5, 3, v4
	s_delay_alu instid0(VALU_DEP_2) | instskip(SKIP_1) | instid1(SALU_CYCLE_1)
	v_cmp_ne_u32_e32 vcc_lo, 0x7c, v10
                                        ; implicit-def: $vgpr10
	s_and_saveexec_b32 s15, vcc_lo
	s_xor_b32 s15, exec_lo, s15
	s_cbranch_execz .LBB4_3087
; %bb.3084:                             ;   in Loop: Header=BB4_2563 Depth=3
	v_and_b32_e32 v10, 0xff, v4
	s_mov_b32 s75, exec_lo
	s_delay_alu instid0(VALU_DEP_1) | instskip(NEXT) | instid1(VALU_DEP_1)
	v_bfe_u32 v10, v10, 2, 5
	v_cmpx_eq_u32_e32 0, v10
	s_cbranch_execz .LBB4_3086
; %bb.3085:                             ;   in Loop: Header=BB4_2563 Depth=3
	v_clz_i32_u32_e32 v5, v5
	s_delay_alu instid0(VALU_DEP_1) | instskip(SKIP_1) | instid1(VALU_DEP_2)
	v_min_u32_e32 v10, 32, v5
	v_mov_b32_e32 v5, v3
	v_subrev_nc_u32_e32 v11, 29, v10
	v_sub_nc_u32_e32 v10, 30, v10
	s_delay_alu instid0(VALU_DEP_2) | instskip(NEXT) | instid1(VALU_DEP_1)
	v_lshlrev_b64_e32 v[86:87], v11, v[4:5]
	v_and_b32_e32 v5, 3, v86
.LBB4_3086:                             ;   in Loop: Header=BB4_2563 Depth=3
	s_or_b32 exec_lo, exec_lo, s75
	v_bfe_i32 v4, v4, 0, 16
	s_delay_alu instid0(VALU_DEP_1) | instskip(NEXT) | instid1(VALU_DEP_1)
	v_and_b32_e32 v4, 0x80000000, v4
	v_lshl_add_u32 v4, v10, 23, v4
	s_delay_alu instid0(VALU_DEP_1) | instskip(NEXT) | instid1(VALU_DEP_1)
	v_lshl_or_b32 v4, v5, 21, v4
                                        ; implicit-def: $vgpr5
	v_add_nc_u32_e32 v10, 0x38000000, v4
                                        ; implicit-def: $vgpr4
.LBB4_3087:                             ;   in Loop: Header=BB4_2563 Depth=3
	s_and_not1_saveexec_b32 s15, s15
; %bb.3088:                             ;   in Loop: Header=BB4_2563 Depth=3
	v_cmp_lt_i16_e32 vcc_lo, -1, v4
	v_cndmask_b32_e32 v4, 0xff800000, v48, vcc_lo
	v_cmp_eq_u32_e32 vcc_lo, 0, v5
	s_delay_alu instid0(VALU_DEP_2)
	v_cndmask_b32_e32 v10, 0x7f800001, v4, vcc_lo
; %bb.3089:                             ;   in Loop: Header=BB4_2563 Depth=3
	s_or_b32 exec_lo, exec_lo, s15
.LBB4_3090:                             ;   in Loop: Header=BB4_2563 Depth=3
	s_delay_alu instid0(SALU_CYCLE_1)
	s_or_b32 exec_lo, exec_lo, s14
.LBB4_3091:                             ;   in Loop: Header=BB4_2563 Depth=3
	s_delay_alu instid0(SALU_CYCLE_1) | instskip(NEXT) | instid1(VALU_DEP_1)
	s_or_b32 exec_lo, exec_lo, s13
	v_dual_mul_f32 v11, s74, v10 :: v_dual_mov_b32 v5, v3
                                        ; implicit-def: $vgpr10
	s_delay_alu instid0(VALU_DEP_1) | instskip(NEXT) | instid1(VALU_DEP_1)
	v_and_b32_e32 v4, 0x7f800000, v11
	v_cmp_ne_u64_e32 vcc_lo, 0x7f800000, v[4:5]
	v_and_b32_e32 v4, 0x7fffff, v11
	s_and_saveexec_b32 s13, vcc_lo
	s_delay_alu instid0(SALU_CYCLE_1)
	s_xor_b32 s14, exec_lo, s13
	s_cbranch_execz .LBB4_3109
; %bb.3092:                             ;   in Loop: Header=BB4_2563 Depth=3
	v_dual_mov_b32 v87, v3 :: v_dual_lshrrev_b32 v10, 24, v11
	v_and_b32_e32 v86, 0x7fffffff, v11
	s_mov_b32 s13, exec_lo
	s_delay_alu instid0(VALU_DEP_2) | instskip(NEXT) | instid1(VALU_DEP_2)
	v_and_b32_e32 v17, 0x80, v10
                                        ; implicit-def: $vgpr10
	v_cmpx_gt_u64_e32 0x47600001, v[86:87]
	s_xor_b32 s15, exec_lo, s13
	s_cbranch_execz .LBB4_3106
; %bb.3093:                             ;   in Loop: Header=BB4_2563 Depth=3
	v_mov_b32_e32 v10, 0
	s_mov_b32 s74, exec_lo
	v_cmpx_ne_u32_e32 0, v11
	s_cbranch_execz .LBB4_3105
; %bb.3094:                             ;   in Loop: Header=BB4_2563 Depth=3
	v_bfe_u32 v86, v11, 23, 8
	v_or_b32_e32 v96, 0x800000, v4
	s_delay_alu instid0(VALU_DEP_2) | instskip(SKIP_1) | instid1(VALU_DEP_2)
	v_sub_nc_u32_e32 v10, 0x71, v86
	v_cmp_gt_u32_e32 vcc_lo, 0x72, v86
	v_cndmask_b32_e32 v10, 0, v10, vcc_lo
	v_cmp_eq_u32_e32 vcc_lo, 0, v86
	s_delay_alu instid0(VALU_DEP_2) | instskip(NEXT) | instid1(VALU_DEP_1)
	v_cndmask_b32_e64 v87, v10, 0x70, vcc_lo
	v_dual_cndmask_b32 v4, v96, v4, vcc_lo :: v_dual_add_nc_u32 v10, 21, v87
	v_add_nc_u32_e32 v97, 20, v87
	s_delay_alu instid0(VALU_DEP_2) | instskip(NEXT) | instid1(VALU_DEP_2)
	v_lshlrev_b64_e64 v[10:11], v10, -1
	v_lshlrev_b64_e64 v[96:97], v97, 1
	s_delay_alu instid0(VALU_DEP_2) | instskip(SKIP_1) | instid1(VALU_DEP_4)
	v_bfi_b32 v10, v10, 0, v4
	v_lshrrev_b64 v[4:5], v87, v[4:5]
	v_bfi_b32 v11, v11, 0, 0
	s_delay_alu instid0(VALU_DEP_1) | instskip(NEXT) | instid1(VALU_DEP_3)
	v_cmp_eq_u64_e64 s13, v[10:11], v[96:97]
	v_mov_b64_e32 v[10:11], v[4:5]
	s_and_saveexec_b32 s75, s13
; %bb.3095:                             ;   in Loop: Header=BB4_2563 Depth=3
	v_bfe_u32 v10, v4, 21, 1
	v_mov_b32_e32 v11, v3
	s_delay_alu instid0(VALU_DEP_1) | instskip(NEXT) | instid1(VALU_DEP_1)
	v_add_nc_u64_e32 v[10:11], v[4:5], v[10:11]
	v_add_nc_u64_e32 v[10:11], -1, v[10:11]
; %bb.3096:                             ;   in Loop: Header=BB4_2563 Depth=3
	s_or_b32 exec_lo, exec_lo, s75
	v_add_nc_u32_e32 v5, 0xffffff81, v86
	v_lshrrev_b32_e32 v11, 23, v4
	s_mov_b32 s13, exec_lo
	s_delay_alu instid0(VALU_DEP_2) | instskip(NEXT) | instid1(VALU_DEP_1)
	v_cndmask_b32_e64 v5, v5, 0xffffff82, vcc_lo
	v_add3_u32 v86, v87, v5, v11
	v_and_b32_e32 v5, 0x1fffff, v10
                                        ; implicit-def: $vgpr11
	s_delay_alu instid0(VALU_DEP_1) | instskip(SKIP_1) | instid1(VALU_DEP_2)
	v_dual_add_nc_u32 v10, 14, v86 :: v_dual_add_nc_u32 v4, v5, v4
	v_mov_b32_e32 v5, v3
	v_cmpx_ne_u32_e32 0, v10
	s_xor_b32 s13, exec_lo, s13
; %bb.3097:                             ;   in Loop: Header=BB4_2563 Depth=3
	s_delay_alu instid0(VALU_DEP_2) | instskip(SKIP_1) | instid1(VALU_DEP_1)
	v_cmp_lt_u64_e32 vcc_lo, 0xffffff, v[4:5]
	v_add_nc_u32_e32 v11, 15, v86
	v_cndmask_b32_e32 v11, v10, v11, vcc_lo
	v_cndmask_b32_e64 v10, 0, 1, vcc_lo
	s_delay_alu instid0(VALU_DEP_1)
	v_lshrrev_b64 v[4:5], v10, v[4:5]
; %bb.3098:                             ;   in Loop: Header=BB4_2563 Depth=3
	s_and_not1_saveexec_b32 s13, s13
; %bb.3099:                             ;   in Loop: Header=BB4_2563 Depth=3
	s_delay_alu instid0(VALU_DEP_1)
	v_bfe_u32 v11, v4, 23, 1
; %bb.3100:                             ;   in Loop: Header=BB4_2563 Depth=3
	s_or_b32 exec_lo, exec_lo, s13
	s_delay_alu instid0(VALU_DEP_2) | instskip(NEXT) | instid1(VALU_DEP_2)
	v_lshrrev_b64 v[4:5], 21, v[4:5]
	v_cmp_gt_i32_e32 vcc_lo, 32, v11
	v_cmp_ne_u32_e64 s13, 0, v11
                                        ; implicit-def: $vgpr10
	s_delay_alu instid0(VALU_DEP_3) | instskip(NEXT) | instid1(VALU_DEP_1)
	v_dual_cndmask_b32 v5, 0, v5 :: v_dual_cndmask_b32 v4, 3, v4
	v_cmp_ne_u64_e32 vcc_lo, 0, v[4:5]
	s_or_b32 s13, s13, vcc_lo
	s_delay_alu instid0(SALU_CYCLE_1) | instskip(NEXT) | instid1(SALU_CYCLE_1)
	s_and_saveexec_b32 s75, s13
	s_xor_b32 s13, exec_lo, s75
; %bb.3101:                             ;   in Loop: Header=BB4_2563 Depth=3
	v_min_i32_e32 v5, 31, v11
	s_delay_alu instid0(VALU_DEP_1) | instskip(NEXT) | instid1(VALU_DEP_1)
	v_lshl_or_b32 v5, v5, 2, v17
                                        ; implicit-def: $vgpr17
	v_and_or_b32 v10, v4, 3, v5
; %bb.3102:                             ;   in Loop: Header=BB4_2563 Depth=3
	s_and_not1_saveexec_b32 s13, s13
; %bb.3103:                             ;   in Loop: Header=BB4_2563 Depth=3
	v_mov_b32_e32 v10, v17
; %bb.3104:                             ;   in Loop: Header=BB4_2563 Depth=3
	s_or_b32 exec_lo, exec_lo, s13
.LBB4_3105:                             ;   in Loop: Header=BB4_2563 Depth=3
	s_delay_alu instid0(SALU_CYCLE_1)
	s_or_b32 exec_lo, exec_lo, s74
                                        ; implicit-def: $vgpr17
.LBB4_3106:                             ;   in Loop: Header=BB4_2563 Depth=3
	s_and_not1_saveexec_b32 s13, s15
; %bb.3107:                             ;   in Loop: Header=BB4_2563 Depth=3
	v_or_b32_e32 v10, 0x7b, v17
; %bb.3108:                             ;   in Loop: Header=BB4_2563 Depth=3
	s_or_b32 exec_lo, exec_lo, s13
                                        ; implicit-def: $vgpr11
                                        ; implicit-def: $vgpr4_vgpr5
.LBB4_3109:                             ;   in Loop: Header=BB4_2563 Depth=3
	s_and_not1_saveexec_b32 s13, s14
	s_cbranch_execz .LBB4_2562
; %bb.3110:                             ;   in Loop: Header=BB4_2563 Depth=3
	s_mov_b32 s14, exec_lo
                                        ; implicit-def: $vgpr10
	v_cmpx_ne_u64_e32 0, v[4:5]
	s_xor_b32 s14, exec_lo, s14
; %bb.3111:                             ;   in Loop: Header=BB4_2563 Depth=3
	v_lshrrev_b32_e32 v4, 24, v11
                                        ; implicit-def: $vgpr11
	s_delay_alu instid0(VALU_DEP_1)
	v_or_b32_e32 v10, 0x7f, v4
; %bb.3112:                             ;   in Loop: Header=BB4_2563 Depth=3
	s_and_not1_saveexec_b32 s14, s14
	s_cbranch_execz .LBB4_2561
; %bb.3113:                             ;   in Loop: Header=BB4_2563 Depth=3
	v_cmp_lt_i32_e32 vcc_lo, -1, v11
	v_cndmask_b32_e64 v10, -4, 0x7c, vcc_lo
	s_branch .LBB4_2561
.LBB4_3114:                             ;   in Loop: Header=BB4_57 Depth=2
	s_or_b32 exec_lo, exec_lo, s73
.LBB4_3115:                             ;   in Loop: Header=BB4_57 Depth=2
	s_delay_alu instid0(SALU_CYCLE_1) | instskip(SKIP_1) | instid1(VALU_DEP_1)
	s_or_b32 exec_lo, exec_lo, s72
	v_lshlrev_b32_e32 v4, 9, v30
	v_cmp_ne_u32_e32 vcc_lo, v18, v4
	s_and_b32 exec_lo, exec_lo, vcc_lo
	s_cbranch_execz .LBB4_3161
; %bb.3116:                             ;   in Loop: Header=BB4_57 Depth=2
	v_dual_lshlrev_b32 v5, 5, v15 :: v_dual_lshlrev_b32 v8, 5, v21
	s_delay_alu instid0(VALU_DEP_1) | instskip(NEXT) | instid1(VALU_DEP_1)
	v_sub_nc_u32_e32 v5, v19, v5
	v_sub_nc_u32_e32 v5, v5, v8
	s_delay_alu instid0(VALU_DEP_1) | instskip(NEXT) | instid1(VALU_DEP_1)
	v_add_nc_u32_e32 v8, v4, v5
	v_sub_nc_u32_e32 v15, v18, v8
	s_delay_alu instid0(VALU_DEP_1)
	v_cmp_lt_i32_e32 vcc_lo, 0, v15
	s_and_b32 exec_lo, exec_lo, vcc_lo
	s_cbranch_execz .LBB4_3161
; %bb.3117:                             ;   in Loop: Header=BB4_57 Depth=2
	s_trap 2
	ds_load_b64 v[4:5], v0
	v_add_nc_u32_e32 v8, v8, v2
	s_mov_b32 s72, 0
	s_delay_alu instid0(VALU_DEP_1)
	v_ashrrev_i32_e32 v9, 31, v8
	s_branch .LBB4_3120
.LBB4_3118:                             ;   in Loop: Header=BB4_3120 Depth=3
	s_or_b32 exec_lo, exec_lo, s14
.LBB4_3119:                             ;   in Loop: Header=BB4_3120 Depth=3
	s_delay_alu instid0(SALU_CYCLE_1)
	s_or_b32 exec_lo, exec_lo, s13
	v_sub_nc_u32_e32 v15, v15, v38
	v_add_nc_u64_e32 v[8:9], v[8:9], v[38:39]
	flat_store_b8 v[10:11], v18 th:TH_STORE_NT
	v_cmp_gt_i32_e32 vcc_lo, 1, v15
	s_or_b32 s72, vcc_lo, s72
	s_wait_xcnt 0x0
	s_and_not1_b32 exec_lo, exec_lo, s72
	s_cbranch_execz .LBB4_3161
.LBB4_3120:                             ;   Parent Loop BB4_47 Depth=1
                                        ;     Parent Loop BB4_57 Depth=2
                                        ; =>    This Inner Loop Header: Depth=3
	s_trap 2
	ds_load_b64 v[10:11], v0
	s_mov_b32 s13, 0
	s_wait_dscnt 0x0
	v_and_b32_e32 v2, 0xff, v10
	v_readfirstlane_b32 s14, v10
	v_readfirstlane_b32 s15, v11
	s_delay_alu instid0(VALU_DEP_3)
	v_cmp_eq_u32_e32 vcc_lo, 0, v2
	s_cbranch_vccnz .LBB4_3128
; %bb.3121:                             ;   in Loop: Header=BB4_3120 Depth=3
	s_bfe_i32 s74, s14, 0x80000
	s_delay_alu instid0(SALU_CYCLE_1) | instskip(NEXT) | instid1(SALU_CYCLE_1)
	s_and_b32 s13, 0xffff, s74
	s_cmp_eq_u32 s13, 0xff80
	s_brev_b32 s13, 1
	s_cbranch_scc1 .LBB4_3128
; %bb.3122:                             ;   in Loop: Header=BB4_3120 Depth=3
	s_and_b32 s13, s14, 0x7c
	s_and_b32 s73, s14, 3
	s_mov_b32 s75, -1
	s_cmp_lg_u32 s13, 0x7c
	s_sext_i32_i16 s74, s74
                                        ; implicit-def: $sgpr13
	s_cbranch_scc0 .LBB4_3126
; %bb.3123:                             ;   in Loop: Header=BB4_3120 Depth=3
	s_bfe_u32 s13, s14, 0x50002
	s_mov_b32 s75, s73
	s_cmp_lg_u32 s13, 0
	s_cbranch_scc1 .LBB4_3125
; %bb.3124:                             ;   in Loop: Header=BB4_3120 Depth=3
	s_clz_i32_u32 s13, s73
	s_delay_alu instid0(SALU_CYCLE_1) | instskip(NEXT) | instid1(SALU_CYCLE_1)
	s_min_u32 s13, s13, 32
	s_sub_co_i32 s75, s13, 29
	s_sub_co_i32 s13, 30, s13
	s_lshl_b64 s[14:15], s[14:15], s75
	s_delay_alu instid0(SALU_CYCLE_1)
	s_and_b32 s75, s14, 3
.LBB4_3125:                             ;   in Loop: Header=BB4_3120 Depth=3
	s_and_b32 s14, s74, 0x80000000
	s_lshl_b32 s13, s13, 23
	s_lshl_b32 s15, s75, 21
	s_add_co_i32 s13, s13, s14
	s_mov_b32 s75, 0
	s_or_b32 s13, s13, s15
	s_delay_alu instid0(SALU_CYCLE_1)
	s_add_co_i32 s13, s13, 0x38000000
.LBB4_3126:                             ;   in Loop: Header=BB4_3120 Depth=3
	s_and_b32 vcc_lo, exec_lo, s75
	s_cbranch_vccz .LBB4_3128
; %bb.3127:                             ;   in Loop: Header=BB4_3120 Depth=3
	s_cmp_gt_i32 s74, -1
	s_cselect_b32 s13, s47, 0xff800000
	s_cmp_eq_u32 s73, 0
	s_cselect_b32 s13, s13, 0x7f800001
.LBB4_3128:                             ;   in Loop: Header=BB4_3120 Depth=3
	v_add_nc_u64_e32 v[10:11], v[4:5], v[8:9]
	v_mov_b32_e32 v17, 0
	s_mov_b32 s14, exec_lo
	flat_load_i8 v16, v[10:11] th:TH_LOAD_NT
	s_wait_loadcnt_dscnt 0x0
	v_cmpx_ne_u16_e32 0, v16
	s_cbranch_execz .LBB4_3138
; %bb.3129:                             ;   in Loop: Header=BB4_3120 Depth=3
	v_bfrev_b32_e32 v17, 1
	s_mov_b32 s15, exec_lo
	v_cmpx_ne_u16_e32 0xff80, v16
	s_cbranch_execz .LBB4_3137
; %bb.3130:                             ;   in Loop: Header=BB4_3120 Depth=3
	v_and_b32_e32 v17, 0x7c, v16
	v_and_b32_e32 v2, 3, v16
	s_delay_alu instid0(VALU_DEP_2) | instskip(SKIP_1) | instid1(SALU_CYCLE_1)
	v_cmp_ne_u32_e32 vcc_lo, 0x7c, v17
                                        ; implicit-def: $vgpr17
	s_and_saveexec_b32 s73, vcc_lo
	s_xor_b32 s73, exec_lo, s73
	s_cbranch_execz .LBB4_3134
; %bb.3131:                             ;   in Loop: Header=BB4_3120 Depth=3
	v_and_b32_e32 v17, 0xff, v16
	s_mov_b32 s74, exec_lo
	s_delay_alu instid0(VALU_DEP_1) | instskip(NEXT) | instid1(VALU_DEP_1)
	v_bfe_u32 v17, v17, 2, 5
	v_cmpx_eq_u32_e32 0, v17
	s_cbranch_execz .LBB4_3133
; %bb.3132:                             ;   in Loop: Header=BB4_3120 Depth=3
	v_clz_i32_u32_e32 v2, v2
	v_mov_b32_e32 v17, v3
	s_delay_alu instid0(VALU_DEP_2) | instskip(NEXT) | instid1(VALU_DEP_1)
	v_min_u32_e32 v2, 32, v2
	v_subrev_nc_u32_e32 v18, 29, v2
	s_delay_alu instid0(VALU_DEP_1) | instskip(SKIP_1) | instid1(VALU_DEP_2)
	v_lshlrev_b64_e32 v[18:19], v18, v[16:17]
	v_sub_nc_u32_e32 v17, 30, v2
	v_and_b32_e32 v2, 3, v18
.LBB4_3133:                             ;   in Loop: Header=BB4_3120 Depth=3
	s_or_b32 exec_lo, exec_lo, s74
	v_bfe_i32 v16, v16, 0, 16
	s_delay_alu instid0(VALU_DEP_1) | instskip(NEXT) | instid1(VALU_DEP_1)
	v_and_b32_e32 v16, 0x80000000, v16
	v_lshl_add_u32 v16, v17, 23, v16
	s_delay_alu instid0(VALU_DEP_1) | instskip(NEXT) | instid1(VALU_DEP_1)
	v_lshl_or_b32 v2, v2, 21, v16
                                        ; implicit-def: $vgpr16
	v_add_nc_u32_e32 v17, 0x38000000, v2
                                        ; implicit-def: $vgpr2
.LBB4_3134:                             ;   in Loop: Header=BB4_3120 Depth=3
	s_and_not1_saveexec_b32 s73, s73
; %bb.3135:                             ;   in Loop: Header=BB4_3120 Depth=3
	v_cmp_lt_i16_e32 vcc_lo, -1, v16
	v_cndmask_b32_e32 v16, 0xff800000, v48, vcc_lo
	v_cmp_eq_u32_e32 vcc_lo, 0, v2
	s_delay_alu instid0(VALU_DEP_2)
	v_cndmask_b32_e32 v17, 0x7f800001, v16, vcc_lo
; %bb.3136:                             ;   in Loop: Header=BB4_3120 Depth=3
	s_or_b32 exec_lo, exec_lo, s73
.LBB4_3137:                             ;   in Loop: Header=BB4_3120 Depth=3
	s_delay_alu instid0(SALU_CYCLE_1)
	s_or_b32 exec_lo, exec_lo, s15
.LBB4_3138:                             ;   in Loop: Header=BB4_3120 Depth=3
	s_delay_alu instid0(SALU_CYCLE_1) | instskip(NEXT) | instid1(VALU_DEP_1)
	s_or_b32 exec_lo, exec_lo, s14
	v_dual_mul_f32 v19, s13, v17 :: v_dual_mov_b32 v17, v3
                                        ; implicit-def: $vgpr18
	s_delay_alu instid0(VALU_DEP_1) | instskip(NEXT) | instid1(VALU_DEP_1)
	v_and_b32_e32 v16, 0x7f800000, v19
	v_cmp_ne_u64_e32 vcc_lo, 0x7f800000, v[16:17]
	v_and_b32_e32 v16, 0x7fffff, v19
	s_and_saveexec_b32 s13, vcc_lo
	s_delay_alu instid0(SALU_CYCLE_1)
	s_xor_b32 s14, exec_lo, s13
	s_cbranch_execz .LBB4_3156
; %bb.3139:                             ;   in Loop: Header=BB4_3120 Depth=3
	v_dual_mov_b32 v31, v3 :: v_dual_lshrrev_b32 v2, 24, v19
	v_and_b32_e32 v30, 0x7fffffff, v19
                                        ; implicit-def: $vgpr18
	s_mov_b32 s13, exec_lo
	s_delay_alu instid0(VALU_DEP_2) | instskip(NEXT) | instid1(VALU_DEP_2)
	v_and_b32_e32 v2, 0x80, v2
	v_cmpx_gt_u64_e32 0x47600001, v[30:31]
	s_xor_b32 s15, exec_lo, s13
	s_cbranch_execz .LBB4_3153
; %bb.3140:                             ;   in Loop: Header=BB4_3120 Depth=3
	v_mov_b32_e32 v18, 0
	s_mov_b32 s73, exec_lo
	v_cmpx_ne_u32_e32 0, v19
	s_cbranch_execz .LBB4_3152
; %bb.3141:                             ;   in Loop: Header=BB4_3120 Depth=3
	v_bfe_u32 v21, v19, 23, 8
	v_or_b32_e32 v31, 0x800000, v16
	s_delay_alu instid0(VALU_DEP_2) | instskip(SKIP_1) | instid1(VALU_DEP_2)
	v_sub_nc_u32_e32 v18, 0x71, v21
	v_cmp_gt_u32_e32 vcc_lo, 0x72, v21
	v_cndmask_b32_e32 v18, 0, v18, vcc_lo
	v_cmp_eq_u32_e32 vcc_lo, 0, v21
	v_cndmask_b32_e32 v16, v31, v16, vcc_lo
	s_delay_alu instid0(VALU_DEP_3) | instskip(NEXT) | instid1(VALU_DEP_1)
	v_cndmask_b32_e64 v30, v18, 0x70, vcc_lo
	v_dual_add_nc_u32 v18, 21, v30 :: v_dual_add_nc_u32 v50, 20, v30
	s_delay_alu instid0(VALU_DEP_1) | instskip(NEXT) | instid1(VALU_DEP_2)
	v_lshlrev_b64_e64 v[18:19], v18, -1
	v_lshlrev_b64_e64 v[50:51], v50, 1
	s_delay_alu instid0(VALU_DEP_2) | instskip(SKIP_1) | instid1(VALU_DEP_4)
	v_bfi_b32 v18, v18, 0, v16
	v_lshrrev_b64 v[16:17], v30, v[16:17]
	v_bfi_b32 v19, v19, 0, 0
	s_delay_alu instid0(VALU_DEP_1) | instskip(NEXT) | instid1(VALU_DEP_3)
	v_cmp_eq_u64_e64 s13, v[18:19], v[50:51]
	v_mov_b64_e32 v[18:19], v[16:17]
	s_and_saveexec_b32 s74, s13
; %bb.3142:                             ;   in Loop: Header=BB4_3120 Depth=3
	v_bfe_u32 v18, v16, 21, 1
	v_mov_b32_e32 v19, v3
	s_delay_alu instid0(VALU_DEP_1) | instskip(NEXT) | instid1(VALU_DEP_1)
	v_add_nc_u64_e32 v[18:19], v[16:17], v[18:19]
	v_add_nc_u64_e32 v[18:19], -1, v[18:19]
; %bb.3143:                             ;   in Loop: Header=BB4_3120 Depth=3
	s_or_b32 exec_lo, exec_lo, s74
	v_add_nc_u32_e32 v17, 0xffffff81, v21
	v_lshrrev_b32_e32 v19, 23, v16
	s_mov_b32 s13, exec_lo
	s_delay_alu instid0(VALU_DEP_2) | instskip(NEXT) | instid1(VALU_DEP_1)
	v_cndmask_b32_e64 v17, v17, 0xffffff82, vcc_lo
	v_add3_u32 v21, v30, v17, v19
	v_and_b32_e32 v17, 0x1fffff, v18
                                        ; implicit-def: $vgpr19
	s_delay_alu instid0(VALU_DEP_1) | instskip(SKIP_1) | instid1(VALU_DEP_2)
	v_dual_add_nc_u32 v18, 14, v21 :: v_dual_add_nc_u32 v16, v17, v16
	v_mov_b32_e32 v17, v3
	v_cmpx_ne_u32_e32 0, v18
	s_xor_b32 s13, exec_lo, s13
; %bb.3144:                             ;   in Loop: Header=BB4_3120 Depth=3
	s_delay_alu instid0(VALU_DEP_2) | instskip(SKIP_1) | instid1(VALU_DEP_1)
	v_cmp_lt_u64_e32 vcc_lo, 0xffffff, v[16:17]
	v_add_nc_u32_e32 v19, 15, v21
	v_cndmask_b32_e32 v19, v18, v19, vcc_lo
	v_cndmask_b32_e64 v18, 0, 1, vcc_lo
	s_delay_alu instid0(VALU_DEP_1)
	v_lshrrev_b64 v[16:17], v18, v[16:17]
; %bb.3145:                             ;   in Loop: Header=BB4_3120 Depth=3
	s_and_not1_saveexec_b32 s13, s13
; %bb.3146:                             ;   in Loop: Header=BB4_3120 Depth=3
	s_delay_alu instid0(VALU_DEP_1)
	v_bfe_u32 v19, v16, 23, 1
; %bb.3147:                             ;   in Loop: Header=BB4_3120 Depth=3
	s_or_b32 exec_lo, exec_lo, s13
	s_delay_alu instid0(VALU_DEP_2) | instskip(NEXT) | instid1(VALU_DEP_2)
	v_lshrrev_b64 v[16:17], 21, v[16:17]
	v_cmp_gt_i32_e32 vcc_lo, 32, v19
	v_cmp_ne_u32_e64 s13, 0, v19
                                        ; implicit-def: $vgpr18
	s_delay_alu instid0(VALU_DEP_3) | instskip(NEXT) | instid1(VALU_DEP_1)
	v_dual_cndmask_b32 v17, 0, v17 :: v_dual_cndmask_b32 v16, 3, v16
	v_cmp_ne_u64_e32 vcc_lo, 0, v[16:17]
	s_or_b32 s13, s13, vcc_lo
	s_delay_alu instid0(SALU_CYCLE_1) | instskip(NEXT) | instid1(SALU_CYCLE_1)
	s_and_saveexec_b32 s74, s13
	s_xor_b32 s13, exec_lo, s74
; %bb.3148:                             ;   in Loop: Header=BB4_3120 Depth=3
	v_min_i32_e32 v17, 31, v19
	s_delay_alu instid0(VALU_DEP_1) | instskip(NEXT) | instid1(VALU_DEP_1)
	v_lshl_or_b32 v2, v17, 2, v2
	v_and_or_b32 v18, v16, 3, v2
                                        ; implicit-def: $vgpr2
; %bb.3149:                             ;   in Loop: Header=BB4_3120 Depth=3
	s_and_not1_saveexec_b32 s13, s13
; %bb.3150:                             ;   in Loop: Header=BB4_3120 Depth=3
	v_mov_b32_e32 v18, v2
; %bb.3151:                             ;   in Loop: Header=BB4_3120 Depth=3
	s_or_b32 exec_lo, exec_lo, s13
.LBB4_3152:                             ;   in Loop: Header=BB4_3120 Depth=3
	s_delay_alu instid0(SALU_CYCLE_1)
	s_or_b32 exec_lo, exec_lo, s73
                                        ; implicit-def: $vgpr2
.LBB4_3153:                             ;   in Loop: Header=BB4_3120 Depth=3
	s_and_not1_saveexec_b32 s13, s15
; %bb.3154:                             ;   in Loop: Header=BB4_3120 Depth=3
	v_or_b32_e32 v18, 0x7b, v2
; %bb.3155:                             ;   in Loop: Header=BB4_3120 Depth=3
	s_or_b32 exec_lo, exec_lo, s13
                                        ; implicit-def: $vgpr19
                                        ; implicit-def: $vgpr16_vgpr17
.LBB4_3156:                             ;   in Loop: Header=BB4_3120 Depth=3
	s_and_not1_saveexec_b32 s13, s14
	s_cbranch_execz .LBB4_3119
; %bb.3157:                             ;   in Loop: Header=BB4_3120 Depth=3
	s_mov_b32 s14, exec_lo
                                        ; implicit-def: $vgpr18
	v_cmpx_ne_u64_e32 0, v[16:17]
	s_xor_b32 s14, exec_lo, s14
; %bb.3158:                             ;   in Loop: Header=BB4_3120 Depth=3
	v_lshrrev_b32_e32 v2, 24, v19
                                        ; implicit-def: $vgpr19
	s_delay_alu instid0(VALU_DEP_1)
	v_or_b32_e32 v18, 0x7f, v2
; %bb.3159:                             ;   in Loop: Header=BB4_3120 Depth=3
	s_and_not1_saveexec_b32 s14, s14
	s_cbranch_execz .LBB4_3118
; %bb.3160:                             ;   in Loop: Header=BB4_3120 Depth=3
	v_cmp_lt_i32_e32 vcc_lo, -1, v19
	v_cndmask_b32_e64 v18, -4, 0x7c, vcc_lo
	s_branch .LBB4_3118
.LBB4_3161:                             ;   in Loop: Header=BB4_57 Depth=2
	s_or_b32 exec_lo, exec_lo, s63
	v_cmp_lt_i32_e64 s13, 0, v13
	s_and_saveexec_b32 s14, s2
	s_cbranch_execz .LBB4_128
.LBB4_3162:                             ;   in Loop: Header=BB4_57 Depth=2
	s_and_saveexec_b32 s15, s3
	s_delay_alu instid0(SALU_CYCLE_1)
	s_xor_b32 s15, exec_lo, s15
	s_cbranch_execz .LBB4_3177
; %bb.3163:                             ;   in Loop: Header=BB4_57 Depth=2
	s_and_saveexec_b32 s63, s6
	s_cbranch_execz .LBB4_3176
; %bb.3164:                             ;   in Loop: Header=BB4_57 Depth=2
	s_mov_b32 s73, exec_lo
	s_mov_b32 s72, exec_lo
	v_mbcnt_lo_u32_b32 v2, s73, 0
	global_wb scope:SCOPE_DEV
	s_wait_storecnt 0x0
	s_wait_loadcnt_dscnt 0x0
	global_inv scope:SCOPE_DEV
	v_cmpx_eq_u32_e32 0, v2
	s_cbranch_execz .LBB4_3166
; %bb.3165:                             ;   in Loop: Header=BB4_57 Depth=2
	s_bcnt1_i32_b32 s73, s73
	s_delay_alu instid0(SALU_CYCLE_1)
	v_dual_mov_b32 v5, v3 :: v_dual_mov_b32 v4, s73
	s_wait_loadcnt 0x0
	ds_add_u64 v0, v[4:5]
	s_trap 2
.LBB4_3166:                             ;   in Loop: Header=BB4_57 Depth=2
	s_or_b32 exec_lo, exec_lo, s72
	s_trap 2
	ds_load_b64 v[4:5], v0
	s_wait_dscnt 0x0
	v_add_nc_u64_e32 v[32:33], v[32:33], v[36:37]
	s_mov_b32 s72, exec_lo
	s_delay_alu instid0(VALU_DEP_1)
	v_cmpx_lt_u64_e64 v[4:5], v[32:33]
	s_cbranch_execz .LBB4_3175
; %bb.3167:                             ;   in Loop: Header=BB4_57 Depth=2
	s_mov_b32 s73, 0
	s_mov_b32 s76, 0
                                        ; implicit-def: $sgpr74
                                        ; implicit-def: $sgpr75
	s_branch .LBB4_3169
.LBB4_3168:                             ;   in Loop: Header=BB4_3169 Depth=3
	s_or_b32 exec_lo, exec_lo, s78
	s_delay_alu instid0(SALU_CYCLE_1) | instskip(NEXT) | instid1(SALU_CYCLE_1)
	s_and_b32 s77, exec_lo, s79
	s_or_b32 s73, s77, s73
	s_and_not1_b32 s74, s74, exec_lo
	s_and_b32 s77, s75, exec_lo
	s_delay_alu instid0(SALU_CYCLE_1)
	s_or_b32 s74, s74, s77
	s_and_not1_b32 exec_lo, exec_lo, s73
	s_cbranch_execz .LBB4_3173
.LBB4_3169:                             ;   Parent Loop BB4_47 Depth=1
                                        ;     Parent Loop BB4_57 Depth=2
                                        ; =>    This Inner Loop Header: Depth=3
	s_add_co_i32 s76, s76, 1
	s_delay_alu instid0(SALU_CYCLE_1) | instskip(SKIP_1) | instid1(SALU_CYCLE_1)
	s_cmp_lg_u32 s76, 0x2710
	s_cselect_b32 s77, -1, 0
	s_and_b32 vcc_lo, exec_lo, s77
	s_cbranch_vccz .LBB4_3171
; %bb.3170:                             ;   in Loop: Header=BB4_3169 Depth=3
	s_mov_b32 s79, -1
	s_or_b32 s75, s75, exec_lo
	s_and_saveexec_b32 s78, s77
	s_cbranch_execz .LBB4_3168
	s_branch .LBB4_3172
.LBB4_3171:                             ;   in Loop: Header=BB4_3169 Depth=3
	s_trap 2
	ds_load_b64 v[4:5], v0
	s_and_not1_b32 s77, s77, exec_lo
	s_mov_b32 s76, 0
	s_wait_loadcnt_dscnt 0x0
	flat_load_b32 v2, v[4:5] scope:SCOPE_SYS
	s_wait_loadcnt_dscnt 0x0
	global_inv scope:SCOPE_SYS
	v_cmp_eq_u32_e32 vcc_lo, 0, v2
	s_and_b32 s78, vcc_lo, exec_lo
	s_delay_alu instid0(SALU_CYCLE_1)
	s_or_b32 s77, s77, s78
	s_mov_b32 s79, -1
	s_or_b32 s75, s75, exec_lo
	s_and_saveexec_b32 s78, s77
	s_cbranch_execz .LBB4_3168
.LBB4_3172:                             ;   in Loop: Header=BB4_3169 Depth=3
	s_sleep 1
	s_trap 2
	ds_load_b64 v[4:5], v0
	s_wait_dscnt 0x0
	s_and_not1_b32 s75, s75, exec_lo
	v_cmp_ge_u64_e32 vcc_lo, v[4:5], v[32:33]
	s_or_not1_b32 s79, vcc_lo, exec_lo
	s_branch .LBB4_3168
.LBB4_3173:                             ;   in Loop: Header=BB4_57 Depth=2
	s_or_b32 exec_lo, exec_lo, s73
	s_and_saveexec_b32 s73, s74
	s_delay_alu instid0(SALU_CYCLE_1)
	s_xor_b32 s73, exec_lo, s73
	s_cbranch_execz .LBB4_3175
; %bb.3174:                             ;   in Loop: Header=BB4_57 Depth=2
	ds_store_b32 v0, v1
	s_trap 2
.LBB4_3175:                             ;   in Loop: Header=BB4_57 Depth=2
	s_or_b32 exec_lo, exec_lo, s72
	;;#ASMSTART
	s_wakeup
	;;#ASMEND
.LBB4_3176:                             ;   in Loop: Header=BB4_57 Depth=2
	s_or_b32 exec_lo, exec_lo, s63
.LBB4_3177:                             ;   in Loop: Header=BB4_57 Depth=2
	s_and_not1_saveexec_b32 s15, s15
	s_cbranch_execz .LBB4_3179
; %bb.3178:                             ;   in Loop: Header=BB4_57 Depth=2
	global_wb scope:SCOPE_DEV
	s_wait_storecnt 0x0
	s_wait_loadcnt_dscnt 0x0
	global_inv scope:SCOPE_DEV
	s_barrier_signal -1
	s_barrier_wait -1
.LBB4_3179:                             ;   in Loop: Header=BB4_57 Depth=2
	s_or_b32 exec_lo, exec_lo, s15
	s_delay_alu instid0(SALU_CYCLE_1) | instskip(SKIP_1) | instid1(SALU_CYCLE_1)
	s_or_b32 exec_lo, exec_lo, s14
                                        ; implicit-def: $vgpr2
	s_and_saveexec_b32 s14, s12
	s_xor_b32 s14, exec_lo, s14
	s_cbranch_execnz .LBB4_129
.LBB4_3180:                             ;   in Loop: Header=BB4_57 Depth=2
	s_and_not1_saveexec_b32 s13, s14
	s_cbranch_execz .LBB4_3199
.LBB4_3181:                             ;   in Loop: Header=BB4_57 Depth=2
	s_and_saveexec_b32 s14, s3
	s_delay_alu instid0(SALU_CYCLE_1)
	s_xor_b32 s14, exec_lo, s14
	s_cbranch_execz .LBB4_3196
; %bb.3182:                             ;   in Loop: Header=BB4_57 Depth=2
	s_and_saveexec_b32 s15, s6
	s_cbranch_execz .LBB4_3195
; %bb.3183:                             ;   in Loop: Header=BB4_57 Depth=2
	s_mov_b32 s72, exec_lo
	s_mov_b32 s63, exec_lo
	v_mbcnt_lo_u32_b32 v2, s72, 0
	;;#ASMSTART
	s_waitcnt lgkmcnt(0) vmcnt(0)
	;;#ASMEND
	s_delay_alu instid0(VALU_DEP_1)
	v_cmpx_eq_u32_e32 0, v2
	s_cbranch_execz .LBB4_3185
; %bb.3184:                             ;   in Loop: Header=BB4_57 Depth=2
	s_bcnt1_i32_b32 s72, s72
	s_delay_alu instid0(SALU_CYCLE_1)
	v_dual_mov_b32 v5, v3 :: v_dual_mov_b32 v4, s72
	s_wait_storecnt 0x0
	s_wait_loadcnt_dscnt 0x0
	ds_add_u64 v0, v[4:5]
	s_trap 2
.LBB4_3185:                             ;   in Loop: Header=BB4_57 Depth=2
	s_or_b32 exec_lo, exec_lo, s63
	s_trap 2
	ds_load_b64 v[4:5], v0
	s_wait_dscnt 0x0
	v_add_nc_u64_e32 v[32:33], v[32:33], v[36:37]
	s_mov_b32 s63, exec_lo
	s_delay_alu instid0(VALU_DEP_1)
	v_cmpx_lt_u64_e64 v[4:5], v[32:33]
	s_cbranch_execz .LBB4_3194
; %bb.3186:                             ;   in Loop: Header=BB4_57 Depth=2
	s_mov_b32 s72, 0
	s_mov_b32 s75, 0
                                        ; implicit-def: $sgpr73
                                        ; implicit-def: $sgpr74
	s_branch .LBB4_3188
.LBB4_3187:                             ;   in Loop: Header=BB4_3188 Depth=3
	s_or_b32 exec_lo, exec_lo, s77
	s_delay_alu instid0(SALU_CYCLE_1) | instskip(NEXT) | instid1(SALU_CYCLE_1)
	s_and_b32 s76, exec_lo, s78
	s_or_b32 s72, s76, s72
	s_and_not1_b32 s73, s73, exec_lo
	s_and_b32 s76, s74, exec_lo
	s_delay_alu instid0(SALU_CYCLE_1)
	s_or_b32 s73, s73, s76
	s_and_not1_b32 exec_lo, exec_lo, s72
	s_cbranch_execz .LBB4_3192
.LBB4_3188:                             ;   Parent Loop BB4_47 Depth=1
                                        ;     Parent Loop BB4_57 Depth=2
                                        ; =>    This Inner Loop Header: Depth=3
	s_add_co_i32 s75, s75, 1
	s_delay_alu instid0(SALU_CYCLE_1) | instskip(SKIP_1) | instid1(SALU_CYCLE_1)
	s_cmp_lg_u32 s75, 0x2710
	s_cselect_b32 s76, -1, 0
	s_and_b32 vcc_lo, exec_lo, s76
	s_cbranch_vccz .LBB4_3190
; %bb.3189:                             ;   in Loop: Header=BB4_3188 Depth=3
	s_mov_b32 s78, -1
	s_or_b32 s74, s74, exec_lo
	s_and_saveexec_b32 s77, s76
	s_cbranch_execz .LBB4_3187
	s_branch .LBB4_3191
.LBB4_3190:                             ;   in Loop: Header=BB4_3188 Depth=3
	s_trap 2
	ds_load_b64 v[4:5], v0
	s_and_not1_b32 s76, s76, exec_lo
	s_mov_b32 s75, 0
	s_wait_storecnt 0x0
	s_wait_loadcnt_dscnt 0x0
	flat_load_b32 v2, v[4:5] scope:SCOPE_SYS
	s_wait_loadcnt_dscnt 0x0
	global_inv scope:SCOPE_SYS
	v_cmp_eq_u32_e32 vcc_lo, 0, v2
	s_and_b32 s77, vcc_lo, exec_lo
	s_delay_alu instid0(SALU_CYCLE_1)
	s_or_b32 s76, s76, s77
	s_mov_b32 s78, -1
	s_or_b32 s74, s74, exec_lo
	s_and_saveexec_b32 s77, s76
	s_cbranch_execz .LBB4_3187
.LBB4_3191:                             ;   in Loop: Header=BB4_3188 Depth=3
	s_sleep 1
	s_trap 2
	ds_load_b64 v[4:5], v0
	s_wait_dscnt 0x0
	s_and_not1_b32 s74, s74, exec_lo
	v_cmp_ge_u64_e32 vcc_lo, v[4:5], v[32:33]
	s_or_not1_b32 s78, vcc_lo, exec_lo
	s_branch .LBB4_3187
.LBB4_3192:                             ;   in Loop: Header=BB4_57 Depth=2
	s_or_b32 exec_lo, exec_lo, s72
	s_and_saveexec_b32 s72, s73
	s_delay_alu instid0(SALU_CYCLE_1)
	s_xor_b32 s72, exec_lo, s72
	s_cbranch_execz .LBB4_3194
; %bb.3193:                             ;   in Loop: Header=BB4_57 Depth=2
	ds_store_b32 v0, v1
	s_trap 2
.LBB4_3194:                             ;   in Loop: Header=BB4_57 Depth=2
	s_or_b32 exec_lo, exec_lo, s63
	;;#ASMSTART
	s_wakeup
	;;#ASMEND
.LBB4_3195:                             ;   in Loop: Header=BB4_57 Depth=2
	s_or_b32 exec_lo, exec_lo, s15
.LBB4_3196:                             ;   in Loop: Header=BB4_57 Depth=2
	s_and_not1_saveexec_b32 s14, s14
	s_cbranch_execz .LBB4_3198
; %bb.3197:                             ;   in Loop: Header=BB4_57 Depth=2
	;;#ASMSTART
	s_waitcnt lgkmcnt(0) vmcnt(0)
	;;#ASMEND
	s_barrier_signal -1
	s_barrier_wait -1
.LBB4_3198:                             ;   in Loop: Header=BB4_57 Depth=2
	s_or_b32 exec_lo, exec_lo, s14
	v_and_b32_e32 v2, 16, v126
.LBB4_3199:                             ;   in Loop: Header=BB4_57 Depth=2
	s_or_b32 exec_lo, exec_lo, s13
	s_delay_alu instid0(SALU_CYCLE_1) | instskip(NEXT) | instid1(VALU_DEP_1)
	s_mov_b32 s13, exec_lo
	v_cmpx_ne_u32_e32 0, v2
	s_cbranch_execz .LBB4_56
; %bb.3200:                             ;   in Loop: Header=BB4_57 Depth=2
	s_and_saveexec_b32 s14, s5
	s_cbranch_execz .LBB4_55
; %bb.3201:                             ;   in Loop: Header=BB4_57 Depth=2
	global_wb scope:SCOPE_SYS
	s_wait_storecnt 0x0
	s_wait_loadcnt_dscnt 0x0
	flat_store_b32 v[28:29], v1 scope:SCOPE_SYS
	s_branch .LBB4_55
.LBB4_3202:                             ;   in Loop: Header=BB4_47 Depth=1
	s_or_b32 exec_lo, exec_lo, s29
.LBB4_3203:                             ;   in Loop: Header=BB4_47 Depth=1
	s_delay_alu instid0(SALU_CYCLE_1) | instskip(NEXT) | instid1(SALU_CYCLE_1)
	s_or_b32 exec_lo, exec_lo, s18
	s_mov_b32 s14, exec_lo
	v_cmpx_gt_i32_e32 2, v2
	s_cbranch_execz .LBB4_3275
; %bb.3204:                             ;   in Loop: Header=BB4_47 Depth=1
	v_cmp_eq_u32_e64 s18, 0, v2
	s_mov_b32 s15, 0
	s_branch .LBB4_3207
.LBB4_3205:                             ;   in Loop: Header=BB4_3207 Depth=2
	s_wait_xcnt 0x0
	s_or_b32 exec_lo, exec_lo, s18
	v_add_nc_u64_e32 v[98:99], 2, v[98:99]
	global_wb scope:SCOPE_SYS
	s_wait_storecnt 0x0
	s_wait_loadcnt_dscnt 0x0
	flat_store_b64 v[22:23], v[98:99] scope:SCOPE_SYS
.LBB4_3206:                             ;   in Loop: Header=BB4_3207 Depth=2
	s_wait_xcnt 0x0
	s_or_b32 exec_lo, exec_lo, s13
	v_add_nc_u32_e32 v14, v12, v14
	s_mov_b32 s18, 0
	s_and_not1_b32 exec_lo, exec_lo, s15
	s_cbranch_execz .LBB4_3274
.LBB4_3207:                             ;   Parent Loop BB4_47 Depth=1
                                        ; =>  This Loop Header: Depth=2
                                        ;       Child Loop BB4_3213 Depth 3
                                        ;       Child Loop BB4_3237 Depth 3
	;; [unrolled: 1-line block ×3, first 2 shown]
	s_delay_alu instid0(VALU_DEP_1) | instskip(SKIP_2) | instid1(VALU_DEP_2)
	v_sub_nc_u32_e32 v2, v20, v14
	v_and_b32_e32 v4, 8, v126
	s_mov_b32 s29, exec_lo
	v_min_i32_e32 v12, v12, v2
	s_delay_alu instid0(VALU_DEP_2)
	v_cmpx_ne_u32_e32 0, v4
	s_cbranch_execz .LBB4_3229
; %bb.3208:                             ;   in Loop: Header=BB4_3207 Depth=2
	s_wait_loadcnt_dscnt 0x1
	v_add_nc_u64_e32 v[8:9], 8, v[34:35]
	v_add_nc_u64_e32 v[4:5], 2, v[98:99]
	s_mov_b32 s42, exec_lo
	s_delay_alu instid0(VALU_DEP_1)
	v_cmpx_lt_u64_e64 v[8:9], v[4:5]
	s_cbranch_execz .LBB4_3220
; %bb.3209:                             ;   in Loop: Header=BB4_3207 Depth=2
	v_and_b32_e32 v2, 64, v126
	s_mov_b32 s43, 0
	s_mov_b32 s74, 0
                                        ; implicit-def: $sgpr63
                                        ; implicit-def: $sgpr72
                                        ; implicit-def: $sgpr73
	s_delay_alu instid0(VALU_DEP_1)
	v_cmp_eq_u32_e32 vcc_lo, 0, v2
	s_branch .LBB4_3213
.LBB4_3210:                             ;   in Loop: Header=BB4_3213 Depth=3
	s_wait_loadcnt_dscnt 0x0
	v_add_nc_u64_e32 v[8:9], 8, v[34:35]
	s_or_b32 s77, s77, exec_lo
	s_delay_alu instid0(VALU_DEP_1)
	v_cmp_ge_u64_e64 s13, v[8:9], v[4:5]
	s_or_not1_b32 s76, s13, exec_lo
.LBB4_3211:                             ;   in Loop: Header=BB4_3213 Depth=3
	s_or_b32 exec_lo, exec_lo, s79
	s_delay_alu instid0(SALU_CYCLE_1)
	s_and_not1_b32 s13, s73, exec_lo
	s_and_b32 s73, s77, exec_lo
	s_and_not1_b32 s72, s72, exec_lo
	s_and_b32 s76, s76, exec_lo
	s_or_b32 s73, s13, s73
	s_or_b32 s72, s72, s76
.LBB4_3212:                             ;   in Loop: Header=BB4_3213 Depth=3
	s_or_b32 exec_lo, exec_lo, s75
	s_delay_alu instid0(SALU_CYCLE_1) | instskip(NEXT) | instid1(SALU_CYCLE_1)
	s_and_b32 s13, exec_lo, s72
	s_or_b32 s43, s13, s43
	s_and_not1_b32 s13, s63, exec_lo
	s_and_b32 s63, s73, exec_lo
	s_delay_alu instid0(SALU_CYCLE_1)
	s_or_b32 s63, s13, s63
	s_and_not1_b32 exec_lo, exec_lo, s43
	s_cbranch_execz .LBB4_3217
.LBB4_3213:                             ;   Parent Loop BB4_47 Depth=1
                                        ;     Parent Loop BB4_3207 Depth=2
                                        ; =>    This Inner Loop Header: Depth=3
	s_sleep 1
	s_wait_loadcnt_dscnt 0x0
	flat_load_b64 v[34:35], v[22:23] scope:SCOPE_SYS
	s_or_b32 s73, s73, exec_lo
	s_or_b32 s72, s72, exec_lo
                                        ; implicit-def: $vgpr2
	s_wait_xcnt 0x0
	s_and_saveexec_b32 s75, vcc_lo
	s_cbranch_execz .LBB4_3212
; %bb.3214:                             ;   in Loop: Header=BB4_3213 Depth=3
	s_cmp_lt_i32 s74, 0x270f
	s_mov_b32 s76, -1
	s_cselect_b32 s78, -1, 0
	s_cmp_gt_i32 s74, 0x270e
	s_cbranch_scc0 .LBB4_3216
; %bb.3215:                             ;   in Loop: Header=BB4_3213 Depth=3
	s_trap 2
	ds_load_b64 v[8:9], v0
	s_and_not1_b32 s74, s78, exec_lo
	s_mov_b32 s77, 0
	s_wait_storecnt 0x0
	s_wait_loadcnt_dscnt 0x0
	flat_load_b32 v2, v[8:9] scope:SCOPE_SYS
	s_wait_loadcnt_dscnt 0x0
	global_inv scope:SCOPE_SYS
	v_cmp_eq_u32_e64 s13, 0, v2
	s_and_b32 s13, s13, exec_lo
	s_delay_alu instid0(SALU_CYCLE_1)
	s_or_b32 s78, s74, s13
	s_mov_b32 s74, 0
	s_and_saveexec_b32 s79, s78
	s_cbranch_execz .LBB4_3211
	s_branch .LBB4_3210
.LBB4_3216:                             ;   in Loop: Header=BB4_3213 Depth=3
	s_add_co_i32 s74, s74, 1
	s_mov_b32 s77, -1
                                        ; implicit-def: $vgpr2
	s_and_saveexec_b32 s79, s78
	s_cbranch_execz .LBB4_3211
	s_branch .LBB4_3210
.LBB4_3217:                             ;   in Loop: Header=BB4_3207 Depth=2
	s_or_b32 exec_lo, exec_lo, s43
	s_xor_b32 s13, s63, -1
	s_delay_alu instid0(SALU_CYCLE_1) | instskip(NEXT) | instid1(SALU_CYCLE_1)
	s_and_saveexec_b32 s43, s13
	s_xor_b32 s13, exec_lo, s43
	s_cbranch_execz .LBB4_3219
; %bb.3218:                             ;   in Loop: Header=BB4_3207 Depth=2
	v_or_b32_e32 v126, 64, v126
	s_wait_storecnt 0x0
	s_wait_loadcnt_dscnt 0x0
	ds_store_b32 v0, v2
	s_trap 2
.LBB4_3219:                             ;   in Loop: Header=BB4_3207 Depth=2
	s_or_b32 exec_lo, exec_lo, s13
.LBB4_3220:                             ;   in Loop: Header=BB4_3207 Depth=2
	s_delay_alu instid0(SALU_CYCLE_1)
	s_or_b32 exec_lo, exec_lo, s42
	v_and_b32_e32 v2, 0x100, v126
	v_dual_mov_b32 v9, v3 :: v_dual_bitop2_b32 v8, 7, v98 bitop3:0x40
	s_mov_b32 s13, -1
	s_mov_b32 s42, exec_lo
	;;#ASMSTART
	s_wakeup
	;;#ASMEND
                                        ; implicit-def: $vgpr10_vgpr11
	v_cmpx_ne_u32_e32 0, v2
	s_cbranch_execz .LBB4_3224
; %bb.3221:                             ;   in Loop: Header=BB4_3207 Depth=2
	v_mad_nc_u64_u32 v[16:17], v8, 24, v[6:7]
	v_ashrrev_i32_e32 v13, 31, v12
	s_mov_b32 s43, exec_lo
                                        ; implicit-def: $vgpr10_vgpr11
	s_clause 0x1
	flat_load_b32 v2, v[16:17]
	flat_store_b64 v[16:17], v[12:13] offset:8
	s_wait_loadcnt_dscnt 0x1
	v_cmp_ne_u32_e32 vcc_lo, 1, v2
	s_wait_xcnt 0x0
	v_cmpx_eq_u32_e32 1, v2
	s_cbranch_execz .LBB4_3223
; %bb.3222:                             ;   in Loop: Header=BB4_3207 Depth=2
	flat_load_b32 v10, v[16:17] offset:4 scope:SCOPE_SYS
	s_wait_loadcnt_dscnt 0x0
	v_ashrrev_i32_e32 v11, 31, v10
.LBB4_3223:                             ;   in Loop: Header=BB4_3207 Depth=2
	s_wait_xcnt 0x0
	s_or_b32 exec_lo, exec_lo, s43
	s_delay_alu instid0(SALU_CYCLE_1)
	s_or_not1_b32 s13, vcc_lo, exec_lo
.LBB4_3224:                             ;   in Loop: Header=BB4_3207 Depth=2
	s_or_b32 exec_lo, exec_lo, s42
	s_and_saveexec_b32 s42, s13
; %bb.3225:                             ;   in Loop: Header=BB4_3207 Depth=2
	v_mul_u64_e32 v[10:11], v[8:9], v[24:25]
; %bb.3226:                             ;   in Loop: Header=BB4_3207 Depth=2
	s_or_b32 exec_lo, exec_lo, s42
	s_delay_alu instid0(VALU_DEP_1)
	v_add_nc_u64_e32 v[8:9], v[26:27], v[10:11]
	v_and_b32_e32 v2, 0x2000, v126
	s_mov_b32 s13, exec_lo
	ds_store_b64 v0, v[8:9] offset:784
	v_cmpx_ne_u32_e32 0, v2
	s_cbranch_execz .LBB4_3228
; %bb.3227:                             ;   in Loop: Header=BB4_3207 Depth=2
	ds_load_b64 v[8:9], v0 offset:872
	s_wait_dscnt 0x0
	v_add_nc_u64_e32 v[8:9], 1, v[8:9]
	ds_store_b64 v0, v[8:9] offset:872
.LBB4_3228:                             ;   in Loop: Header=BB4_3207 Depth=2
	s_or_b32 exec_lo, exec_lo, s13
	v_mov_b64_e32 v[98:99], v[4:5]
.LBB4_3229:                             ;   in Loop: Header=BB4_3207 Depth=2
	s_or_b32 exec_lo, exec_lo, s29
	s_xor_b32 s13, s18, -1
	s_delay_alu instid0(SALU_CYCLE_1) | instskip(NEXT) | instid1(SALU_CYCLE_1)
	s_and_b32 s13, exec_lo, s13
	s_or_b32 s15, s13, s15
	s_and_saveexec_b32 s13, s2
	s_cbranch_execz .LBB4_3248
; %bb.3230:                             ;   in Loop: Header=BB4_3207 Depth=2
	s_and_saveexec_b32 s18, s3
	s_delay_alu instid0(SALU_CYCLE_1)
	s_xor_b32 s18, exec_lo, s18
	s_cbranch_execz .LBB4_3245
; %bb.3231:                             ;   in Loop: Header=BB4_3207 Depth=2
	s_and_saveexec_b32 s29, s6
	s_cbranch_execz .LBB4_3244
; %bb.3232:                             ;   in Loop: Header=BB4_3207 Depth=2
	s_mov_b32 s43, exec_lo
	s_mov_b32 s42, exec_lo
	v_mbcnt_lo_u32_b32 v2, s43, 0
	global_wb scope:SCOPE_DEV
	s_wait_storecnt 0x0
	s_wait_loadcnt_dscnt 0x0
	global_inv scope:SCOPE_DEV
	v_cmpx_eq_u32_e32 0, v2
	s_cbranch_execz .LBB4_3234
; %bb.3233:                             ;   in Loop: Header=BB4_3207 Depth=2
	s_bcnt1_i32_b32 s43, s43
	s_delay_alu instid0(SALU_CYCLE_1)
	v_dual_mov_b32 v5, v3 :: v_dual_mov_b32 v4, s43
	s_wait_loadcnt 0x0
	ds_add_u64 v0, v[4:5]
	s_trap 2
.LBB4_3234:                             ;   in Loop: Header=BB4_3207 Depth=2
	s_or_b32 exec_lo, exec_lo, s42
	s_trap 2
	ds_load_b64 v[4:5], v0
	s_wait_dscnt 0x0
	v_add_nc_u64_e32 v[32:33], v[32:33], v[36:37]
	s_mov_b32 s42, exec_lo
	s_delay_alu instid0(VALU_DEP_1)
	v_cmpx_lt_u64_e64 v[4:5], v[32:33]
	s_cbranch_execz .LBB4_3243
; %bb.3235:                             ;   in Loop: Header=BB4_3207 Depth=2
	s_mov_b32 s43, 0
	s_mov_b32 s73, 0
                                        ; implicit-def: $sgpr63
                                        ; implicit-def: $sgpr72
	s_branch .LBB4_3237
.LBB4_3236:                             ;   in Loop: Header=BB4_3237 Depth=3
	s_or_b32 exec_lo, exec_lo, s75
	s_delay_alu instid0(SALU_CYCLE_1) | instskip(NEXT) | instid1(SALU_CYCLE_1)
	s_and_b32 s74, exec_lo, s76
	s_or_b32 s43, s74, s43
	s_and_not1_b32 s63, s63, exec_lo
	s_and_b32 s74, s72, exec_lo
	s_delay_alu instid0(SALU_CYCLE_1)
	s_or_b32 s63, s63, s74
	s_and_not1_b32 exec_lo, exec_lo, s43
	s_cbranch_execz .LBB4_3241
.LBB4_3237:                             ;   Parent Loop BB4_47 Depth=1
                                        ;     Parent Loop BB4_3207 Depth=2
                                        ; =>    This Inner Loop Header: Depth=3
	s_add_co_i32 s73, s73, 1
	s_delay_alu instid0(SALU_CYCLE_1) | instskip(SKIP_1) | instid1(SALU_CYCLE_1)
	s_cmp_lg_u32 s73, 0x2710
	s_cselect_b32 s74, -1, 0
	s_and_b32 vcc_lo, exec_lo, s74
	s_cbranch_vccz .LBB4_3239
; %bb.3238:                             ;   in Loop: Header=BB4_3237 Depth=3
	s_mov_b32 s76, -1
	s_or_b32 s72, s72, exec_lo
	s_and_saveexec_b32 s75, s74
	s_cbranch_execz .LBB4_3236
	s_branch .LBB4_3240
.LBB4_3239:                             ;   in Loop: Header=BB4_3237 Depth=3
	s_trap 2
	ds_load_b64 v[4:5], v0
	s_and_not1_b32 s74, s74, exec_lo
	s_mov_b32 s73, 0
	s_wait_loadcnt_dscnt 0x0
	flat_load_b32 v2, v[4:5] scope:SCOPE_SYS
	s_wait_loadcnt_dscnt 0x0
	global_inv scope:SCOPE_SYS
	v_cmp_eq_u32_e32 vcc_lo, 0, v2
	s_and_b32 s75, vcc_lo, exec_lo
	s_delay_alu instid0(SALU_CYCLE_1)
	s_or_b32 s74, s74, s75
	s_mov_b32 s76, -1
	s_or_b32 s72, s72, exec_lo
	s_and_saveexec_b32 s75, s74
	s_cbranch_execz .LBB4_3236
.LBB4_3240:                             ;   in Loop: Header=BB4_3237 Depth=3
	s_sleep 1
	s_trap 2
	ds_load_b64 v[4:5], v0
	s_wait_dscnt 0x0
	s_and_not1_b32 s72, s72, exec_lo
	v_cmp_ge_u64_e32 vcc_lo, v[4:5], v[32:33]
	s_or_not1_b32 s76, vcc_lo, exec_lo
	s_branch .LBB4_3236
.LBB4_3241:                             ;   in Loop: Header=BB4_3207 Depth=2
	s_or_b32 exec_lo, exec_lo, s43
	s_and_saveexec_b32 s43, s63
	s_delay_alu instid0(SALU_CYCLE_1)
	s_xor_b32 s43, exec_lo, s43
	s_cbranch_execz .LBB4_3243
; %bb.3242:                             ;   in Loop: Header=BB4_3207 Depth=2
	ds_store_b32 v0, v1
	s_trap 2
.LBB4_3243:                             ;   in Loop: Header=BB4_3207 Depth=2
	s_or_b32 exec_lo, exec_lo, s42
	;;#ASMSTART
	s_wakeup
	;;#ASMEND
.LBB4_3244:                             ;   in Loop: Header=BB4_3207 Depth=2
	s_or_b32 exec_lo, exec_lo, s29
.LBB4_3245:                             ;   in Loop: Header=BB4_3207 Depth=2
	s_and_not1_saveexec_b32 s18, s18
	s_cbranch_execz .LBB4_3247
; %bb.3246:                             ;   in Loop: Header=BB4_3207 Depth=2
	global_wb scope:SCOPE_DEV
	s_wait_storecnt 0x0
	s_wait_loadcnt_dscnt 0x0
	global_inv scope:SCOPE_DEV
	s_barrier_signal -1
	s_barrier_wait -1
.LBB4_3247:                             ;   in Loop: Header=BB4_3207 Depth=2
	s_or_b32 exec_lo, exec_lo, s18
.LBB4_3248:                             ;   in Loop: Header=BB4_3207 Depth=2
	s_delay_alu instid0(SALU_CYCLE_1) | instskip(SKIP_1) | instid1(SALU_CYCLE_1)
	s_or_b32 exec_lo, exec_lo, s13
                                        ; implicit-def: $vgpr2
	s_and_saveexec_b32 s13, s12
	s_xor_b32 s18, exec_lo, s13
	s_cbranch_execz .LBB4_3252
; %bb.3249:                             ;   in Loop: Header=BB4_3207 Depth=2
	s_trap 2
	ds_load_b32 v2, v0
	v_cmp_lt_i32_e32 vcc_lo, 0, v12
	s_wait_dscnt 0x0
	v_readfirstlane_b32 s13, v2
	v_and_b32_e32 v2, 16, v126
	s_cmp_eq_u32 s13, 0
	s_delay_alu instid0(VALU_DEP_1) | instskip(SKIP_3) | instid1(SALU_CYCLE_1)
	v_cmp_ne_u32_e64 s13, 0, v2
	s_cselect_b32 s29, -1, 0
	v_and_b32_e32 v2, 16, v126
	s_and_b32 s29, vcc_lo, s29
	s_and_b32 s29, s13, s29
	s_delay_alu instid0(SALU_CYCLE_1)
	s_and_saveexec_b32 s13, s29
	s_cbranch_execz .LBB4_3251
; %bb.3250:                             ;   in Loop: Header=BB4_3207 Depth=2
	v_mov_b32_e32 v2, 1
	global_wb scope:SCOPE_SYS
	s_wait_loadcnt 0x0
	s_wait_storecnt 0x0
	global_inv scope:SCOPE_SYS
.LBB4_3251:                             ;   in Loop: Header=BB4_3207 Depth=2
	s_or_b32 exec_lo, exec_lo, s13
	s_and_not1_saveexec_b32 s13, s18
	s_cbranch_execz .LBB4_3271
	s_branch .LBB4_3253
.LBB4_3252:                             ;   in Loop: Header=BB4_3207 Depth=2
	s_and_not1_saveexec_b32 s13, s18
	s_cbranch_execz .LBB4_3271
.LBB4_3253:                             ;   in Loop: Header=BB4_3207 Depth=2
	s_and_saveexec_b32 s18, s3
	s_delay_alu instid0(SALU_CYCLE_1)
	s_xor_b32 s18, exec_lo, s18
	s_cbranch_execz .LBB4_3268
; %bb.3254:                             ;   in Loop: Header=BB4_3207 Depth=2
	s_and_saveexec_b32 s29, s6
	s_cbranch_execz .LBB4_3267
; %bb.3255:                             ;   in Loop: Header=BB4_3207 Depth=2
	s_mov_b32 s43, exec_lo
	s_mov_b32 s42, exec_lo
	v_mbcnt_lo_u32_b32 v2, s43, 0
	;;#ASMSTART
	s_waitcnt lgkmcnt(0) vmcnt(0)
	;;#ASMEND
	s_delay_alu instid0(VALU_DEP_1)
	v_cmpx_eq_u32_e32 0, v2
	s_cbranch_execz .LBB4_3257
; %bb.3256:                             ;   in Loop: Header=BB4_3207 Depth=2
	s_bcnt1_i32_b32 s43, s43
	s_delay_alu instid0(SALU_CYCLE_1)
	v_dual_mov_b32 v5, v3 :: v_dual_mov_b32 v4, s43
	s_wait_storecnt 0x0
	s_wait_loadcnt_dscnt 0x0
	ds_add_u64 v0, v[4:5]
	s_trap 2
.LBB4_3257:                             ;   in Loop: Header=BB4_3207 Depth=2
	s_or_b32 exec_lo, exec_lo, s42
	s_trap 2
	ds_load_b64 v[4:5], v0
	s_wait_dscnt 0x0
	v_add_nc_u64_e32 v[32:33], v[32:33], v[36:37]
	s_mov_b32 s42, exec_lo
	s_delay_alu instid0(VALU_DEP_1)
	v_cmpx_lt_u64_e64 v[4:5], v[32:33]
	s_cbranch_execz .LBB4_3266
; %bb.3258:                             ;   in Loop: Header=BB4_3207 Depth=2
	s_mov_b32 s43, 0
	s_mov_b32 s73, 0
                                        ; implicit-def: $sgpr63
                                        ; implicit-def: $sgpr72
	s_branch .LBB4_3260
.LBB4_3259:                             ;   in Loop: Header=BB4_3260 Depth=3
	s_or_b32 exec_lo, exec_lo, s75
	s_delay_alu instid0(SALU_CYCLE_1) | instskip(NEXT) | instid1(SALU_CYCLE_1)
	s_and_b32 s74, exec_lo, s76
	s_or_b32 s43, s74, s43
	s_and_not1_b32 s63, s63, exec_lo
	s_and_b32 s74, s72, exec_lo
	s_delay_alu instid0(SALU_CYCLE_1)
	s_or_b32 s63, s63, s74
	s_and_not1_b32 exec_lo, exec_lo, s43
	s_cbranch_execz .LBB4_3264
.LBB4_3260:                             ;   Parent Loop BB4_47 Depth=1
                                        ;     Parent Loop BB4_3207 Depth=2
                                        ; =>    This Inner Loop Header: Depth=3
	s_add_co_i32 s73, s73, 1
	s_delay_alu instid0(SALU_CYCLE_1) | instskip(SKIP_1) | instid1(SALU_CYCLE_1)
	s_cmp_lg_u32 s73, 0x2710
	s_cselect_b32 s74, -1, 0
	s_and_b32 vcc_lo, exec_lo, s74
	s_cbranch_vccz .LBB4_3262
; %bb.3261:                             ;   in Loop: Header=BB4_3260 Depth=3
	s_mov_b32 s76, -1
	s_or_b32 s72, s72, exec_lo
	s_and_saveexec_b32 s75, s74
	s_cbranch_execz .LBB4_3259
	s_branch .LBB4_3263
.LBB4_3262:                             ;   in Loop: Header=BB4_3260 Depth=3
	s_trap 2
	ds_load_b64 v[4:5], v0
	s_and_not1_b32 s74, s74, exec_lo
	s_mov_b32 s73, 0
	s_wait_storecnt 0x0
	s_wait_loadcnt_dscnt 0x0
	flat_load_b32 v2, v[4:5] scope:SCOPE_SYS
	s_wait_loadcnt_dscnt 0x0
	global_inv scope:SCOPE_SYS
	v_cmp_eq_u32_e32 vcc_lo, 0, v2
	s_and_b32 s75, vcc_lo, exec_lo
	s_delay_alu instid0(SALU_CYCLE_1)
	s_or_b32 s74, s74, s75
	s_mov_b32 s76, -1
	s_or_b32 s72, s72, exec_lo
	s_and_saveexec_b32 s75, s74
	s_cbranch_execz .LBB4_3259
.LBB4_3263:                             ;   in Loop: Header=BB4_3260 Depth=3
	s_sleep 1
	s_trap 2
	ds_load_b64 v[4:5], v0
	s_wait_dscnt 0x0
	s_and_not1_b32 s72, s72, exec_lo
	v_cmp_ge_u64_e32 vcc_lo, v[4:5], v[32:33]
	s_or_not1_b32 s76, vcc_lo, exec_lo
	s_branch .LBB4_3259
.LBB4_3264:                             ;   in Loop: Header=BB4_3207 Depth=2
	s_or_b32 exec_lo, exec_lo, s43
	s_and_saveexec_b32 s43, s63
	s_delay_alu instid0(SALU_CYCLE_1)
	s_xor_b32 s43, exec_lo, s43
	s_cbranch_execz .LBB4_3266
; %bb.3265:                             ;   in Loop: Header=BB4_3207 Depth=2
	ds_store_b32 v0, v1
	s_trap 2
.LBB4_3266:                             ;   in Loop: Header=BB4_3207 Depth=2
	s_or_b32 exec_lo, exec_lo, s42
	;;#ASMSTART
	s_wakeup
	;;#ASMEND
.LBB4_3267:                             ;   in Loop: Header=BB4_3207 Depth=2
	s_or_b32 exec_lo, exec_lo, s29
.LBB4_3268:                             ;   in Loop: Header=BB4_3207 Depth=2
	s_and_not1_saveexec_b32 s18, s18
	s_cbranch_execz .LBB4_3270
; %bb.3269:                             ;   in Loop: Header=BB4_3207 Depth=2
	;;#ASMSTART
	s_waitcnt lgkmcnt(0) vmcnt(0)
	;;#ASMEND
	s_barrier_signal -1
	s_barrier_wait -1
.LBB4_3270:                             ;   in Loop: Header=BB4_3207 Depth=2
	s_or_b32 exec_lo, exec_lo, s18
	v_and_b32_e32 v2, 16, v126
.LBB4_3271:                             ;   in Loop: Header=BB4_3207 Depth=2
	s_or_b32 exec_lo, exec_lo, s13
	s_delay_alu instid0(SALU_CYCLE_1) | instskip(NEXT) | instid1(VALU_DEP_1)
	s_mov_b32 s13, exec_lo
	v_cmpx_ne_u32_e32 0, v2
	s_cbranch_execz .LBB4_3206
; %bb.3272:                             ;   in Loop: Header=BB4_3207 Depth=2
	s_and_saveexec_b32 s18, s5
	s_cbranch_execz .LBB4_3205
; %bb.3273:                             ;   in Loop: Header=BB4_3207 Depth=2
	global_wb scope:SCOPE_SYS
	s_wait_storecnt 0x0
	s_wait_loadcnt_dscnt 0x0
	flat_store_b32 v[28:29], v1 scope:SCOPE_SYS
	s_branch .LBB4_3205
.LBB4_3274:                             ;   in Loop: Header=BB4_47 Depth=1
	s_or_b32 exec_lo, exec_lo, s15
.LBB4_3275:                             ;   in Loop: Header=BB4_47 Depth=1
	s_delay_alu instid0(SALU_CYCLE_1) | instskip(NEXT) | instid1(SALU_CYCLE_1)
	s_or_b32 exec_lo, exec_lo, s14
	s_and_not1_b32 vcc_lo, exec_lo, s57
	s_cbranch_vccz .LBB4_3276
; %bb.18231:                            ;   in Loop: Header=BB4_47 Depth=1
	s_add_pc_i64 .LBB4_8152-.Lpost_addpc19
.Lpost_addpc19:
.LBB4_3276:                             ;   in Loop: Header=BB4_47 Depth=1
	s_mov_b32 s18, 2
	s_branch .LBB4_3279
.LBB4_3277:                             ;   in Loop: Header=BB4_3279 Depth=2
	s_or_b32 exec_lo, exec_lo, s15
.LBB4_3278:                             ;   in Loop: Header=BB4_3279 Depth=2
	s_delay_alu instid0(SALU_CYCLE_1) | instskip(SKIP_1) | instid1(SALU_CYCLE_1)
	s_or_b32 exec_lo, exec_lo, s14
	s_add_co_i32 s18, s18, 1
	s_cmp_eq_u32 s18, s16
	s_cbranch_scc0 .LBB4_3279
; %bb.18233:                            ;   in Loop: Header=BB4_47 Depth=1
	s_add_pc_i64 .LBB4_8152-.Lpost_addpc20
.Lpost_addpc20:
.LBB4_3279:                             ;   Parent Loop BB4_47 Depth=1
                                        ; =>  This Loop Header: Depth=2
                                        ;       Child Loop BB4_3282 Depth 3
                                        ;         Child Loop BB4_3290 Depth 4
                                        ;         Child Loop BB4_3318 Depth 4
	;; [unrolled: 1-line block ×9, first 2 shown]
                                        ;       Child Loop BB4_8080 Depth 3
                                        ;         Child Loop BB4_8086 Depth 4
                                        ;         Child Loop BB4_8114 Depth 4
	;; [unrolled: 1-line block ×3, first 2 shown]
	s_clause 0x1
	scratch_load_b64 v[8:9], off, s33 offset:204
	scratch_load_b64 v[4:5], off, s33 offset:196
	s_sub_co_i32 s13, s46, s18
	s_mov_b32 s42, 0
	s_cmp_ge_i32 s13, s16
	v_mov_b32_e32 v114, 0
	s_cselect_b32 s14, s16, 0
	s_delay_alu instid0(SALU_CYCLE_1) | instskip(NEXT) | instid1(SALU_CYCLE_1)
	s_sub_co_i32 s14, s13, s14
	s_ashr_i32 s15, s14, 31
	s_wait_loadcnt 0x1
	v_mul_u64_e32 v[116:117], s[14:15], v[8:9]
	s_wait_loadcnt 0x0
	s_delay_alu instid0(VALU_DEP_1) | instskip(NEXT) | instid1(VALU_DEP_1)
	v_sub_nc_u64_e32 v[4:5], v[4:5], v[116:117]
	v_min_i64 v[4:5], v[8:9], v[4:5]
	s_delay_alu instid0(VALU_DEP_1) | instskip(SKIP_1) | instid1(VALU_DEP_2)
	v_max_i32_e32 v102, 0, v4
	v_cmp_lt_i32_e32 vcc_lo, 0, v4
	v_add_nc_u32_e32 v2, 31, v102
	s_and_b32 s13, s60, vcc_lo
	s_delay_alu instid0(VALU_DEP_1) | instskip(NEXT) | instid1(VALU_DEP_1)
	v_lshrrev_b32_e32 v2, 1, v2
	v_and_b32_e32 v5, 0x3ffffff0, v2
	s_delay_alu instid0(VALU_DEP_1)
	v_dual_mov_b32 v2, 0 :: v_dual_max_i32 v112, s56, v5
	s_wait_xcnt 0x0
	s_and_saveexec_b32 s29, s13
	s_cbranch_execnz .LBB4_3280
; %bb.18235:                            ;   in Loop: Header=BB4_3279 Depth=2
	s_add_pc_i64 .LBB4_8077-.Lpost_addpc21
.Lpost_addpc21:
.LBB4_3280:                             ;   in Loop: Header=BB4_3279 Depth=2
	v_mov_b32_e32 v114, 0
	s_mov_b32 s63, 1
	s_mov_b32 s43, -1
	s_branch .LBB4_3282
.LBB4_3281:                             ;   in Loop: Header=BB4_3282 Depth=3
	s_wait_xcnt 0x0
	s_or_b32 exec_lo, exec_lo, s13
	v_dual_add_nc_u32 v114, v112, v114 :: v_dual_mov_b32 v2, s63
	s_xor_b32 s13, s43, -1
	s_mov_b32 s43, 0
	s_mov_b32 s63, 2
	s_delay_alu instid0(VALU_DEP_1) | instskip(SKIP_1) | instid1(SALU_CYCLE_1)
	v_cmp_ge_i32_e32 vcc_lo, v114, v102
	s_or_b32 s13, s13, vcc_lo
	s_and_b32 s13, exec_lo, s13
	s_delay_alu instid0(SALU_CYCLE_1) | instskip(NEXT) | instid1(SALU_CYCLE_1)
	s_or_b32 s42, s13, s42
	s_and_not1_b32 exec_lo, exec_lo, s42
	s_cbranch_execnz .LBB4_3282
; %bb.18237:                            ;   in Loop: Header=BB4_3279 Depth=2
	s_add_pc_i64 .LBB4_8076-.Lpost_addpc22
.Lpost_addpc22:
.LBB4_3282:                             ;   Parent Loop BB4_47 Depth=1
                                        ;     Parent Loop BB4_3279 Depth=2
                                        ; =>    This Loop Header: Depth=3
                                        ;         Child Loop BB4_3290 Depth 4
                                        ;         Child Loop BB4_3318 Depth 4
	;; [unrolled: 1-line block ×9, first 2 shown]
	s_and_saveexec_b32 s13, s0
	s_cbranch_execz .LBB4_3284
; %bb.3283:                             ;   in Loop: Header=BB4_3282 Depth=3
	s_trap 2
	scratch_load_b64 v[8:9], off, s33 offset:188 ; 8-byte Folded Reload
	ds_load_b64 v[4:5], v0
	v_ashrrev_i32_e32 v115, 31, v114
	s_wait_loadcnt_dscnt 0x0
	v_add_nc_u64_e32 v[4:5], v[4:5], v[8:9]
	s_delay_alu instid0(VALU_DEP_1) | instskip(NEXT) | instid1(VALU_DEP_1)
	v_add_nc_u64_e32 v[4:5], v[4:5], v[116:117]
	v_add_nc_u64_e32 v[4:5], v[4:5], v[114:115]
	ds_store_b64 v0, v[4:5]
	v_mov_b64_e32 v[4:5], 0
	ds_store_b64 v0, v[4:5]
.LBB4_3284:                             ;   in Loop: Header=BB4_3282 Depth=3
	s_wait_xcnt 0x0
	s_or_b32 exec_lo, exec_lo, s13
	v_sub_nc_u32_e32 v2, v102, v114
	v_and_b32_e32 v4, 12, v126
	s_mov_b32 s14, exec_lo
	s_delay_alu instid0(VALU_DEP_2) | instskip(NEXT) | instid1(VALU_DEP_2)
	v_min_i32_e32 v112, v112, v2
	v_cmpx_ne_u32_e32 0, v4
	s_cbranch_execz .LBB4_3310
; %bb.3285:                             ;   in Loop: Header=BB4_3282 Depth=3
	v_dual_mov_b32 v9, v3 :: v_dual_bitop2_b32 v8, 8, v126 bitop3:0x40
	v_add_nc_u64_e32 v[4:5], 2, v[98:99]
	s_mov_b32 s15, exec_lo
	s_wait_loadcnt_dscnt 0x1
	s_delay_alu instid0(VALU_DEP_2) | instskip(NEXT) | instid1(VALU_DEP_1)
	v_add_nc_u64_e32 v[10:11], v[34:35], v[8:9]
	v_cmpx_lt_u64_e64 v[10:11], v[4:5]
	s_cbranch_execz .LBB4_3297
; %bb.3286:                             ;   in Loop: Header=BB4_3282 Depth=3
	v_and_b32_e32 v2, 64, v126
	s_mov_b32 s72, 0
	s_mov_b32 s76, 0
                                        ; implicit-def: $sgpr73
                                        ; implicit-def: $sgpr74
                                        ; implicit-def: $sgpr75
	s_delay_alu instid0(VALU_DEP_1)
	v_cmp_eq_u32_e32 vcc_lo, 0, v2
	s_branch .LBB4_3290
.LBB4_3287:                             ;   in Loop: Header=BB4_3290 Depth=4
	s_wait_loadcnt_dscnt 0x0
	v_add_nc_u64_e32 v[10:11], v[34:35], v[8:9]
	s_or_b32 s79, s79, exec_lo
	s_delay_alu instid0(VALU_DEP_1)
	v_cmp_ge_u64_e64 s13, v[10:11], v[4:5]
	s_or_not1_b32 s78, s13, exec_lo
.LBB4_3288:                             ;   in Loop: Header=BB4_3290 Depth=4
	s_or_b32 exec_lo, exec_lo, s89
	s_delay_alu instid0(SALU_CYCLE_1)
	s_and_not1_b32 s13, s75, exec_lo
	s_and_b32 s75, s79, exec_lo
	s_and_not1_b32 s74, s74, exec_lo
	s_and_b32 s78, s78, exec_lo
	s_or_b32 s75, s13, s75
	s_or_b32 s74, s74, s78
.LBB4_3289:                             ;   in Loop: Header=BB4_3290 Depth=4
	s_or_b32 exec_lo, exec_lo, s77
	s_delay_alu instid0(SALU_CYCLE_1) | instskip(NEXT) | instid1(SALU_CYCLE_1)
	s_and_b32 s13, exec_lo, s74
	s_or_b32 s72, s13, s72
	s_and_not1_b32 s13, s73, exec_lo
	s_and_b32 s73, s75, exec_lo
	s_delay_alu instid0(SALU_CYCLE_1)
	s_or_b32 s73, s13, s73
	s_and_not1_b32 exec_lo, exec_lo, s72
	s_cbranch_execz .LBB4_3294
.LBB4_3290:                             ;   Parent Loop BB4_47 Depth=1
                                        ;     Parent Loop BB4_3279 Depth=2
                                        ;       Parent Loop BB4_3282 Depth=3
                                        ; =>      This Inner Loop Header: Depth=4
	s_sleep 1
	s_wait_loadcnt_dscnt 0x0
	flat_load_b64 v[34:35], v[22:23] scope:SCOPE_SYS
	s_or_b32 s75, s75, exec_lo
	s_or_b32 s74, s74, exec_lo
                                        ; implicit-def: $vgpr2
	s_wait_xcnt 0x0
	s_and_saveexec_b32 s77, vcc_lo
	s_cbranch_execz .LBB4_3289
; %bb.3291:                             ;   in Loop: Header=BB4_3290 Depth=4
	s_cmp_lt_i32 s76, 0x270f
	s_mov_b32 s78, -1
	s_cselect_b32 s88, -1, 0
	s_cmp_gt_i32 s76, 0x270e
	s_cbranch_scc0 .LBB4_3293
; %bb.3292:                             ;   in Loop: Header=BB4_3290 Depth=4
	s_trap 2
	ds_load_b64 v[10:11], v0
	s_and_not1_b32 s76, s88, exec_lo
	s_mov_b32 s79, 0
	s_wait_storecnt 0x0
	s_wait_loadcnt_dscnt 0x0
	flat_load_b32 v2, v[10:11] scope:SCOPE_SYS
	s_wait_loadcnt_dscnt 0x0
	global_inv scope:SCOPE_SYS
	v_cmp_eq_u32_e64 s13, 0, v2
	s_and_b32 s13, s13, exec_lo
	s_delay_alu instid0(SALU_CYCLE_1)
	s_or_b32 s88, s76, s13
	s_mov_b32 s76, 0
	s_and_saveexec_b32 s89, s88
	s_cbranch_execz .LBB4_3288
	s_branch .LBB4_3287
.LBB4_3293:                             ;   in Loop: Header=BB4_3290 Depth=4
	s_add_co_i32 s76, s76, 1
	s_mov_b32 s79, -1
                                        ; implicit-def: $vgpr2
	s_and_saveexec_b32 s89, s88
	s_cbranch_execz .LBB4_3288
	s_branch .LBB4_3287
.LBB4_3294:                             ;   in Loop: Header=BB4_3282 Depth=3
	s_or_b32 exec_lo, exec_lo, s72
	s_xor_b32 s13, s73, -1
	s_delay_alu instid0(SALU_CYCLE_1) | instskip(NEXT) | instid1(SALU_CYCLE_1)
	s_and_saveexec_b32 s72, s13
	s_xor_b32 s13, exec_lo, s72
	s_cbranch_execz .LBB4_3296
; %bb.3295:                             ;   in Loop: Header=BB4_3282 Depth=3
	v_or_b32_e32 v126, 64, v126
	s_wait_storecnt 0x0
	s_wait_loadcnt_dscnt 0x0
	ds_store_b32 v0, v2
	s_trap 2
.LBB4_3296:                             ;   in Loop: Header=BB4_3282 Depth=3
	s_or_b32 exec_lo, exec_lo, s13
.LBB4_3297:                             ;   in Loop: Header=BB4_3282 Depth=3
	s_delay_alu instid0(SALU_CYCLE_1) | instskip(SKIP_3) | instid1(VALU_DEP_1)
	s_or_b32 exec_lo, exec_lo, s15
	v_and_b32_e32 v2, 0x108, v126
	s_mov_b32 s13, exec_lo
	;;#ASMSTART
	s_wakeup
	;;#ASMEND
                                        ; implicit-def: $vgpr10_vgpr11
	v_cmpx_ne_u32_e32 0x108, v2
	s_xor_b32 s13, exec_lo, s13
; %bb.3298:                             ;   in Loop: Header=BB4_3282 Depth=3
	v_dual_mov_b32 v11, v3 :: v_dual_bitop2_b32 v10, 7, v98 bitop3:0x40
                                        ; implicit-def: $vgpr98_vgpr99
; %bb.3299:                             ;   in Loop: Header=BB4_3282 Depth=3
	s_and_not1_saveexec_b32 s13, s13
	s_cbranch_execz .LBB4_3301
; %bb.3300:                             ;   in Loop: Header=BB4_3282 Depth=3
	v_dual_ashrrev_i32 v113, 31, v112 :: v_dual_bitop2_b32 v10, 7, v98 bitop3:0x40
	v_mov_b32_e32 v11, v3
	s_delay_alu instid0(VALU_DEP_2)
	v_mad_nc_u64_u32 v[12:13], v10, 24, v[6:7]
	flat_store_b64 v[12:13], v[112:113] offset:8
.LBB4_3301:                             ;   in Loop: Header=BB4_3282 Depth=3
	s_wait_xcnt 0x0
	s_or_b32 exec_lo, exec_lo, s13
	v_and_b32_e32 v2, 0x100, v126
	s_mov_b32 s13, -1
	s_mov_b32 s15, exec_lo
                                        ; implicit-def: $vgpr12_vgpr13
	s_delay_alu instid0(VALU_DEP_1)
	v_cmpx_ne_u32_e32 0, v2
	s_cbranch_execz .LBB4_3305
; %bb.3302:                             ;   in Loop: Header=BB4_3282 Depth=3
	v_mad_nc_u64_u32 v[14:15], v10, 24, v[6:7]
	s_mov_b32 s72, exec_lo
                                        ; implicit-def: $vgpr12_vgpr13
	s_delay_alu instid0(VALU_DEP_1)
	v_mad_u32 v15, v11, 24, v15
	flat_load_b32 v2, v[14:15]
	s_wait_loadcnt_dscnt 0x0
	v_cmp_ne_u32_e32 vcc_lo, 1, v2
	s_wait_xcnt 0x0
	v_cmpx_eq_u32_e32 1, v2
	s_cbranch_execz .LBB4_3304
; %bb.3303:                             ;   in Loop: Header=BB4_3282 Depth=3
	flat_load_b32 v12, v[14:15] offset:4 scope:SCOPE_SYS
	s_wait_loadcnt_dscnt 0x0
	v_ashrrev_i32_e32 v13, 31, v12
.LBB4_3304:                             ;   in Loop: Header=BB4_3282 Depth=3
	s_wait_xcnt 0x0
	s_or_b32 exec_lo, exec_lo, s72
	s_delay_alu instid0(SALU_CYCLE_1)
	s_or_not1_b32 s13, vcc_lo, exec_lo
.LBB4_3305:                             ;   in Loop: Header=BB4_3282 Depth=3
	s_or_b32 exec_lo, exec_lo, s15
	s_and_saveexec_b32 s15, s13
; %bb.3306:                             ;   in Loop: Header=BB4_3282 Depth=3
	v_mul_u64_e32 v[12:13], v[10:11], v[24:25]
; %bb.3307:                             ;   in Loop: Header=BB4_3282 Depth=3
	s_or_b32 exec_lo, exec_lo, s15
	v_cmp_eq_u32_e32 vcc_lo, 0, v8
	v_mov_b32_e32 v2, 0x90
	s_delay_alu instid0(VALU_DEP_3) | instskip(SKIP_2) | instid1(VALU_DEP_3)
	v_add_nc_u64_e32 v[8:9], v[26:27], v[12:13]
	v_and_b32_e32 v10, 0x2000, v126
	s_mov_b32 s13, exec_lo
	v_cndmask_b32_e32 v2, 0xc8, v2, vcc_lo
	s_delay_alu instid0(VALU_DEP_1)
	v_add_nc_u32_e32 v2, v0, v2
	ds_store_b64 v2, v[8:9] offset:584
	v_cmpx_ne_u32_e32 0, v10
	s_cbranch_execz .LBB4_3309
; %bb.3308:                             ;   in Loop: Header=BB4_3282 Depth=3
	ds_load_b64 v[8:9], v0 offset:872
	s_wait_dscnt 0x0
	v_add_nc_u64_e32 v[8:9], 1, v[8:9]
	ds_store_b64 v0, v[8:9] offset:872
.LBB4_3309:                             ;   in Loop: Header=BB4_3282 Depth=3
	s_or_b32 exec_lo, exec_lo, s13
	v_mov_b64_e32 v[98:99], v[4:5]
.LBB4_3310:                             ;   in Loop: Header=BB4_3282 Depth=3
	s_or_b32 exec_lo, exec_lo, s14
	s_and_saveexec_b32 s13, s2
	s_cbranch_execz .LBB4_3329
; %bb.3311:                             ;   in Loop: Header=BB4_3282 Depth=3
	s_and_saveexec_b32 s14, s3
	s_delay_alu instid0(SALU_CYCLE_1)
	s_xor_b32 s14, exec_lo, s14
	s_cbranch_execz .LBB4_3326
; %bb.3312:                             ;   in Loop: Header=BB4_3282 Depth=3
	s_and_saveexec_b32 s15, s6
	s_cbranch_execz .LBB4_3325
; %bb.3313:                             ;   in Loop: Header=BB4_3282 Depth=3
	s_mov_b32 s73, exec_lo
	s_mov_b32 s72, exec_lo
	v_mbcnt_lo_u32_b32 v2, s73, 0
	global_wb scope:SCOPE_DEV
	s_wait_storecnt 0x0
	s_wait_loadcnt_dscnt 0x0
	global_inv scope:SCOPE_DEV
	v_cmpx_eq_u32_e32 0, v2
	s_cbranch_execz .LBB4_3315
; %bb.3314:                             ;   in Loop: Header=BB4_3282 Depth=3
	s_bcnt1_i32_b32 s73, s73
	s_delay_alu instid0(SALU_CYCLE_1)
	v_dual_mov_b32 v5, v3 :: v_dual_mov_b32 v4, s73
	s_wait_loadcnt 0x0
	ds_add_u64 v0, v[4:5]
	s_trap 2
.LBB4_3315:                             ;   in Loop: Header=BB4_3282 Depth=3
	s_or_b32 exec_lo, exec_lo, s72
	s_trap 2
	ds_load_b64 v[4:5], v0
	s_wait_dscnt 0x0
	v_add_nc_u64_e32 v[32:33], v[32:33], v[36:37]
	s_mov_b32 s72, exec_lo
	s_delay_alu instid0(VALU_DEP_1)
	v_cmpx_lt_u64_e64 v[4:5], v[32:33]
	s_cbranch_execz .LBB4_3324
; %bb.3316:                             ;   in Loop: Header=BB4_3282 Depth=3
	s_mov_b32 s73, 0
	s_mov_b32 s76, 0
                                        ; implicit-def: $sgpr74
                                        ; implicit-def: $sgpr75
	s_branch .LBB4_3318
.LBB4_3317:                             ;   in Loop: Header=BB4_3318 Depth=4
	s_or_b32 exec_lo, exec_lo, s78
	s_delay_alu instid0(SALU_CYCLE_1) | instskip(NEXT) | instid1(SALU_CYCLE_1)
	s_and_b32 s77, exec_lo, s79
	s_or_b32 s73, s77, s73
	s_and_not1_b32 s74, s74, exec_lo
	s_and_b32 s77, s75, exec_lo
	s_delay_alu instid0(SALU_CYCLE_1)
	s_or_b32 s74, s74, s77
	s_and_not1_b32 exec_lo, exec_lo, s73
	s_cbranch_execz .LBB4_3322
.LBB4_3318:                             ;   Parent Loop BB4_47 Depth=1
                                        ;     Parent Loop BB4_3279 Depth=2
                                        ;       Parent Loop BB4_3282 Depth=3
                                        ; =>      This Inner Loop Header: Depth=4
	s_add_co_i32 s76, s76, 1
	s_delay_alu instid0(SALU_CYCLE_1) | instskip(SKIP_1) | instid1(SALU_CYCLE_1)
	s_cmp_lg_u32 s76, 0x2710
	s_cselect_b32 s77, -1, 0
	s_and_b32 vcc_lo, exec_lo, s77
	s_cbranch_vccz .LBB4_3320
; %bb.3319:                             ;   in Loop: Header=BB4_3318 Depth=4
	s_mov_b32 s79, -1
	s_or_b32 s75, s75, exec_lo
	s_and_saveexec_b32 s78, s77
	s_cbranch_execz .LBB4_3317
	s_branch .LBB4_3321
.LBB4_3320:                             ;   in Loop: Header=BB4_3318 Depth=4
	s_trap 2
	ds_load_b64 v[4:5], v0
	s_and_not1_b32 s77, s77, exec_lo
	s_mov_b32 s76, 0
	s_wait_loadcnt_dscnt 0x0
	flat_load_b32 v2, v[4:5] scope:SCOPE_SYS
	s_wait_loadcnt_dscnt 0x0
	global_inv scope:SCOPE_SYS
	v_cmp_eq_u32_e32 vcc_lo, 0, v2
	s_and_b32 s78, vcc_lo, exec_lo
	s_delay_alu instid0(SALU_CYCLE_1)
	s_or_b32 s77, s77, s78
	s_mov_b32 s79, -1
	s_or_b32 s75, s75, exec_lo
	s_and_saveexec_b32 s78, s77
	s_cbranch_execz .LBB4_3317
.LBB4_3321:                             ;   in Loop: Header=BB4_3318 Depth=4
	s_sleep 1
	s_trap 2
	ds_load_b64 v[4:5], v0
	s_wait_dscnt 0x0
	s_and_not1_b32 s75, s75, exec_lo
	v_cmp_ge_u64_e32 vcc_lo, v[4:5], v[32:33]
	s_or_not1_b32 s79, vcc_lo, exec_lo
	s_branch .LBB4_3317
.LBB4_3322:                             ;   in Loop: Header=BB4_3282 Depth=3
	s_or_b32 exec_lo, exec_lo, s73
	s_and_saveexec_b32 s73, s74
	s_delay_alu instid0(SALU_CYCLE_1)
	s_xor_b32 s73, exec_lo, s73
	s_cbranch_execz .LBB4_3324
; %bb.3323:                             ;   in Loop: Header=BB4_3282 Depth=3
	ds_store_b32 v0, v1
	s_trap 2
.LBB4_3324:                             ;   in Loop: Header=BB4_3282 Depth=3
	s_or_b32 exec_lo, exec_lo, s72
	;;#ASMSTART
	s_wakeup
	;;#ASMEND
.LBB4_3325:                             ;   in Loop: Header=BB4_3282 Depth=3
	s_or_b32 exec_lo, exec_lo, s15
.LBB4_3326:                             ;   in Loop: Header=BB4_3282 Depth=3
	s_and_not1_saveexec_b32 s14, s14
	s_cbranch_execz .LBB4_3328
; %bb.3327:                             ;   in Loop: Header=BB4_3282 Depth=3
	global_wb scope:SCOPE_DEV
	s_wait_storecnt 0x0
	s_wait_loadcnt_dscnt 0x0
	global_inv scope:SCOPE_DEV
	s_barrier_signal -1
	s_barrier_wait -1
.LBB4_3328:                             ;   in Loop: Header=BB4_3282 Depth=3
	s_or_b32 exec_lo, exec_lo, s14
.LBB4_3329:                             ;   in Loop: Header=BB4_3282 Depth=3
	s_delay_alu instid0(SALU_CYCLE_1) | instskip(SKIP_4) | instid1(VALU_DEP_1)
	s_or_b32 exec_lo, exec_lo, s13
	s_trap 2
	ds_load_b32 v2, v0
	v_and_b32_e32 v4, 0x4000, v126
	s_xor_b32 s13, s1, -1
	v_cmp_ne_u32_e32 vcc_lo, 0, v4
	s_and_b32 s14, s13, vcc_lo
	s_delay_alu instid0(SALU_CYCLE_1)
	s_and_saveexec_b32 s13, s14
	s_cbranch_execz .LBB4_3348
; %bb.3330:                             ;   in Loop: Header=BB4_3282 Depth=3
	s_and_saveexec_b32 s14, s3
	s_delay_alu instid0(SALU_CYCLE_1)
	s_xor_b32 s14, exec_lo, s14
	s_cbranch_execz .LBB4_3345
; %bb.3331:                             ;   in Loop: Header=BB4_3282 Depth=3
	s_and_saveexec_b32 s15, s6
	s_cbranch_execz .LBB4_3344
; %bb.3332:                             ;   in Loop: Header=BB4_3282 Depth=3
	s_mov_b32 s73, exec_lo
	s_mov_b32 s72, exec_lo
	v_mbcnt_lo_u32_b32 v4, s73, 0
	global_wb scope:SCOPE_DEV
	s_wait_storecnt 0x0
	s_wait_loadcnt_dscnt 0x0
	global_inv scope:SCOPE_DEV
	v_cmpx_eq_u32_e32 0, v4
	s_cbranch_execz .LBB4_3334
; %bb.3333:                             ;   in Loop: Header=BB4_3282 Depth=3
	s_bcnt1_i32_b32 s73, s73
	s_delay_alu instid0(SALU_CYCLE_1)
	v_dual_mov_b32 v5, v3 :: v_dual_mov_b32 v4, s73
	s_wait_loadcnt 0x0
	ds_add_u64 v0, v[4:5]
	s_trap 2
.LBB4_3334:                             ;   in Loop: Header=BB4_3282 Depth=3
	s_or_b32 exec_lo, exec_lo, s72
	s_trap 2
	ds_load_b64 v[4:5], v0
	s_wait_dscnt 0x0
	v_add_nc_u64_e32 v[32:33], v[32:33], v[36:37]
	s_mov_b32 s72, exec_lo
	s_delay_alu instid0(VALU_DEP_1)
	v_cmpx_lt_u64_e64 v[4:5], v[32:33]
	s_cbranch_execz .LBB4_3343
; %bb.3335:                             ;   in Loop: Header=BB4_3282 Depth=3
	s_mov_b32 s73, 0
	s_mov_b32 s76, 0
                                        ; implicit-def: $sgpr74
                                        ; implicit-def: $sgpr75
	s_branch .LBB4_3337
.LBB4_3336:                             ;   in Loop: Header=BB4_3337 Depth=4
	s_or_b32 exec_lo, exec_lo, s78
	s_delay_alu instid0(SALU_CYCLE_1) | instskip(NEXT) | instid1(SALU_CYCLE_1)
	s_and_b32 s77, exec_lo, s79
	s_or_b32 s73, s77, s73
	s_and_not1_b32 s74, s74, exec_lo
	s_and_b32 s77, s75, exec_lo
	s_delay_alu instid0(SALU_CYCLE_1)
	s_or_b32 s74, s74, s77
	s_and_not1_b32 exec_lo, exec_lo, s73
	s_cbranch_execz .LBB4_3341
.LBB4_3337:                             ;   Parent Loop BB4_47 Depth=1
                                        ;     Parent Loop BB4_3279 Depth=2
                                        ;       Parent Loop BB4_3282 Depth=3
                                        ; =>      This Inner Loop Header: Depth=4
	s_add_co_i32 s76, s76, 1
	s_delay_alu instid0(SALU_CYCLE_1) | instskip(SKIP_1) | instid1(SALU_CYCLE_1)
	s_cmp_lg_u32 s76, 0x2710
	s_cselect_b32 s77, -1, 0
	s_and_b32 vcc_lo, exec_lo, s77
	s_cbranch_vccz .LBB4_3339
; %bb.3338:                             ;   in Loop: Header=BB4_3337 Depth=4
	s_mov_b32 s79, -1
	s_or_b32 s75, s75, exec_lo
	s_and_saveexec_b32 s78, s77
	s_cbranch_execz .LBB4_3336
	s_branch .LBB4_3340
.LBB4_3339:                             ;   in Loop: Header=BB4_3337 Depth=4
	s_trap 2
	ds_load_b64 v[4:5], v0
	s_and_not1_b32 s77, s77, exec_lo
	s_mov_b32 s76, 0
	s_wait_loadcnt_dscnt 0x0
	flat_load_b32 v4, v[4:5] scope:SCOPE_SYS
	s_wait_loadcnt_dscnt 0x0
	global_inv scope:SCOPE_SYS
	v_cmp_eq_u32_e32 vcc_lo, 0, v4
	s_and_b32 s78, vcc_lo, exec_lo
	s_delay_alu instid0(SALU_CYCLE_1)
	s_or_b32 s77, s77, s78
	s_mov_b32 s79, -1
	s_or_b32 s75, s75, exec_lo
	s_and_saveexec_b32 s78, s77
	s_cbranch_execz .LBB4_3336
.LBB4_3340:                             ;   in Loop: Header=BB4_3337 Depth=4
	s_sleep 1
	s_trap 2
	ds_load_b64 v[4:5], v0
	s_wait_dscnt 0x0
	s_and_not1_b32 s75, s75, exec_lo
	v_cmp_ge_u64_e32 vcc_lo, v[4:5], v[32:33]
	s_or_not1_b32 s79, vcc_lo, exec_lo
	s_branch .LBB4_3336
.LBB4_3341:                             ;   in Loop: Header=BB4_3282 Depth=3
	s_or_b32 exec_lo, exec_lo, s73
	s_and_saveexec_b32 s73, s74
	s_delay_alu instid0(SALU_CYCLE_1)
	s_xor_b32 s73, exec_lo, s73
	s_cbranch_execz .LBB4_3343
; %bb.3342:                             ;   in Loop: Header=BB4_3282 Depth=3
	ds_store_b32 v0, v1
	s_trap 2
.LBB4_3343:                             ;   in Loop: Header=BB4_3282 Depth=3
	s_or_b32 exec_lo, exec_lo, s72
	;;#ASMSTART
	s_wakeup
	;;#ASMEND
.LBB4_3344:                             ;   in Loop: Header=BB4_3282 Depth=3
	s_or_b32 exec_lo, exec_lo, s15
.LBB4_3345:                             ;   in Loop: Header=BB4_3282 Depth=3
	s_and_not1_saveexec_b32 s14, s14
	s_cbranch_execz .LBB4_3347
; %bb.3346:                             ;   in Loop: Header=BB4_3282 Depth=3
	global_wb scope:SCOPE_DEV
	s_wait_storecnt 0x0
	s_wait_loadcnt_dscnt 0x0
	global_inv scope:SCOPE_DEV
	s_barrier_signal -1
	s_barrier_wait -1
.LBB4_3347:                             ;   in Loop: Header=BB4_3282 Depth=3
	s_or_b32 exec_lo, exec_lo, s14
.LBB4_3348:                             ;   in Loop: Header=BB4_3282 Depth=3
	s_delay_alu instid0(SALU_CYCLE_1)
	s_or_b32 exec_lo, exec_lo, s13
	s_trap 2
	ds_load_b64 v[118:119], v0
	s_wait_dscnt 0x0
	v_cmp_eq_u64_e32 vcc_lo, 0, v[118:119]
	s_cbranch_vccnz .LBB4_3356
; %bb.3349:                             ;   in Loop: Header=BB4_3282 Depth=3
	s_trap 2
	ds_load_b64 v[40:41], v0
	s_wait_dscnt 0x0
	v_cmp_eq_u64_e32 vcc_lo, 0, v[40:41]
	s_cbranch_vccnz .LBB4_3356
; %bb.3350:                             ;   in Loop: Header=BB4_3282 Depth=3
	s_mov_b32 s13, -1
	s_and_saveexec_b32 s14, s11
	s_cbranch_execz .LBB4_3352
; %bb.3351:                             ;   in Loop: Header=BB4_3282 Depth=3
	ds_load_b32 v4, v0 offset:720
	s_wait_dscnt 0x0
	v_and_b32_e32 v4, 15, v4
	s_delay_alu instid0(VALU_DEP_1)
	v_cmp_eq_u32_e32 vcc_lo, 0, v4
	s_or_not1_b32 s13, vcc_lo, exec_lo
.LBB4_3352:                             ;   in Loop: Header=BB4_3282 Depth=3
	s_or_b32 exec_lo, exec_lo, s14
	s_and_saveexec_b32 s14, s10
	s_cbranch_execz .LBB4_3354
; %bb.3353:                             ;   in Loop: Header=BB4_3282 Depth=3
	ds_load_b32 v4, v0 offset:784
	s_wait_dscnt 0x0
	v_and_b32_e32 v4, 15, v4
	s_delay_alu instid0(VALU_DEP_1) | instskip(SKIP_3) | instid1(SALU_CYCLE_1)
	v_cmp_eq_u32_e32 vcc_lo, 0, v4
	s_and_b32 s15, s13, vcc_lo
	s_and_not1_b32 s13, s13, exec_lo
	s_and_b32 s15, s15, exec_lo
	s_or_b32 s13, s13, s15
.LBB4_3354:                             ;   in Loop: Header=BB4_3282 Depth=3
	s_or_b32 exec_lo, exec_lo, s14
	v_cmp_eq_u32_e32 vcc_lo, 0, v2
	s_xor_b32 s13, s13, -1
	v_mov_b32_e32 v113, 0
	v_cndmask_b32_e64 v4, 0, 1, s13
	s_mov_b32 s13, -1
	v_dual_cndmask_b32 v103, 0, v112 :: v_dual_mov_b32 v124, v0
	s_delay_alu instid0(VALU_DEP_2) | instskip(NEXT) | instid1(VALU_DEP_2)
	v_cmp_ne_u32_e32 vcc_lo, 0, v4
	v_mov_b32_e32 v115, v103
	s_cbranch_vccz .LBB4_3361
; %bb.3355:                             ;   in Loop: Header=BB4_3282 Depth=3
	s_and_saveexec_b32 s72, s13
	s_cbranch_execnz .LBB4_6684
	s_branch .LBB4_8034
.LBB4_3356:                             ;   in Loop: Header=BB4_3282 Depth=3
	s_mov_b32 s13, 0
	s_and_saveexec_b32 s14, s2
	s_cbranch_execnz .LBB4_8035
.LBB4_3357:                             ;   in Loop: Header=BB4_3282 Depth=3
	s_or_b32 exec_lo, exec_lo, s14
                                        ; implicit-def: $vgpr2
	s_and_saveexec_b32 s14, s12
	s_delay_alu instid0(SALU_CYCLE_1)
	s_xor_b32 s14, exec_lo, s14
	s_cbranch_execnz .LBB4_3358
; %bb.18239:                            ;   in Loop: Header=BB4_3282 Depth=3
	s_add_pc_i64 .LBB4_8053-.Lpost_addpc23
.Lpost_addpc23:
.LBB4_3358:                             ;   in Loop: Header=BB4_3282 Depth=3
	v_and_b32_e32 v2, 16, v126
	s_delay_alu instid0(VALU_DEP_1) | instskip(SKIP_2) | instid1(SALU_CYCLE_1)
	v_cmp_ne_u32_e32 vcc_lo, 0, v2
	v_and_b32_e32 v2, 16, v126
	s_and_b32 s15, vcc_lo, s13
	s_and_saveexec_b32 s13, s15
	s_cbranch_execz .LBB4_3360
; %bb.3359:                             ;   in Loop: Header=BB4_3282 Depth=3
	v_mov_b32_e32 v2, 1
	global_wb scope:SCOPE_SYS
	s_wait_storecnt 0x0
	s_wait_loadcnt_dscnt 0x0
	global_inv scope:SCOPE_SYS
.LBB4_3360:                             ;   in Loop: Header=BB4_3282 Depth=3
	s_or_b32 exec_lo, exec_lo, s13
	s_and_not1_saveexec_b32 s13, s14
	s_cbranch_execnz .LBB4_18215
; %bb.18241:                            ;   in Loop: Header=BB4_3282 Depth=3
	s_add_pc_i64 .LBB4_8072-.Lpost_addpc24
.Lpost_addpc24:
.LBB4_18215:                            ;   in Loop: Header=BB4_3282 Depth=3
	s_add_pc_i64 .LBB4_8054-.Lpost_addpc11
.Lpost_addpc11:
.LBB4_3361:                             ;   in Loop: Header=BB4_3282 Depth=3
	v_ashrrev_i32_e32 v2, 31, v103
	s_mov_b32 s14, exec_lo
	s_delay_alu instid0(VALU_DEP_1) | instskip(NEXT) | instid1(VALU_DEP_1)
	v_lshrrev_b32_e32 v2, 22, v2
	v_add_nc_u32_e32 v2, v103, v2
	s_delay_alu instid0(VALU_DEP_1) | instskip(NEXT) | instid1(VALU_DEP_1)
	v_dual_ashrrev_i32 v19, 10, v2 :: v_dual_lshrrev_b32 v2, 5, v0
	v_sub_nc_u32_e32 v18, v19, v2
	s_delay_alu instid0(VALU_DEP_1)
	v_cmpx_lt_i32_e32 0, v18
	s_cbranch_execz .LBB4_5613
; %bb.3362:                             ;   in Loop: Header=BB4_3282 Depth=3
	s_trap 2
	scratch_load_b64 v[8:9], off, s33 offset:212 ; 8-byte Folded Reload
	ds_load_b64 v[4:5], v0
	s_wait_dscnt 0x0
	v_readfirstlane_b32 s72, v4
	v_readfirstlane_b32 s73, v5
	s_and_b32 s15, s72, 3
	s_bfe_i32 s13, s72, 0x80000
	s_clz_i32_u32 s76, s15
	s_bfe_u32 s74, s72, 0x50002
	s_min_u32 s76, s76, 32
	s_and_b32 s75, s72, 0x7c
	s_sub_co_i32 s79, s76, 29
	s_lshl_b32 s77, s72, 24
	s_sext_i32_i8 s78, s72
	s_lshl_b64 s[72:73], s[72:73], s79
	s_and_b32 s77, s77, 0x80000000
	s_sub_co_i32 s73, 30, s76
	s_and_b32 s72, s72, 3
	s_cmp_gt_i32 s78, -1
	s_cselect_b32 s76, s47, 0xff800000
	s_cmp_eq_u32 s15, 0
	s_cselect_b32 s76, s76, 0x7f800001
	s_cmp_eq_u32 s74, 0
	s_cselect_b32 s73, s73, s74
	s_cselect_b32 s15, s72, s15
	s_lshl_b32 s72, s73, 23
	s_lshl_b32 s15, s15, 21
	s_add_co_i32 s72, s72, s77
	s_delay_alu instid0(SALU_CYCLE_1) | instskip(NEXT) | instid1(SALU_CYCLE_1)
	s_or_b32 s15, s72, s15
	s_add_co_i32 s72, s15, 0x38000000
	s_cmp_eq_u32 s75, 0x7c
	s_mov_b32 s15, 0
	s_cselect_b32 s72, s76, s72
	s_and_b32 s73, s13, 0xff
	s_wait_loadcnt 0x0
	v_add_nc_u64_e32 v[42:43], v[118:119], v[8:9]
	v_add_nc_u64_e32 v[44:45], v[40:41], v[8:9]
	;; [unrolled: 1-line block ×3, first 2 shown]
	s_branch .LBB4_3365
.LBB4_3363:                             ;   in Loop: Header=BB4_3365 Depth=4
	s_or_b32 exec_lo, exec_lo, s74
.LBB4_3364:                             ;   in Loop: Header=BB4_3365 Depth=4
	s_delay_alu instid0(SALU_CYCLE_1)
	s_or_b32 exec_lo, exec_lo, s13
	v_lshl_or_b32 v2, v62, 8, v58
	v_dual_lshlrev_b32 v5, 16, v16 :: v_dual_lshlrev_b32 v8, 24, v17
	v_lshl_or_b32 v10, v30, 8, v20
	v_dual_lshlrev_b32 v11, 16, v51 :: v_dual_lshlrev_b32 v20, 16, v78
	v_lshlrev_b32_e32 v16, 24, v115
	v_lshl_or_b32 v17, v76, 8, v74
	v_dual_lshlrev_b32 v30, 24, v79 :: v_dual_lshlrev_b32 v12, 16, v12
	v_or3_b32 v9, v2, v5, v8
	v_lshlrev_b32_e32 v2, 24, v14
	v_or3_b32 v8, v10, v11, v16
	v_dual_lshlrev_b32 v5, 16, v75 :: v_dual_lshlrev_b32 v13, 24, v13
	v_lshl_or_b32 v11, v72, 8, v61
	v_or3_b32 v10, v17, v20, v30
	v_lshl_or_b32 v14, v56, 8, v100
	v_lshl_or_b32 v15, v66, 8, v15
	v_lshlrev_b32_e32 v16, 16, v59
	v_dual_lshlrev_b32 v17, 24, v63 :: v_dual_lshlrev_b32 v4, 24, v4
	v_lshl_or_b32 v20, v65, 8, v31
	v_dual_lshlrev_b32 v30, 16, v67 :: v_dual_lshlrev_b32 v51, 16, v64
	v_lshlrev_b32_e32 v31, 24, v113
	v_lshl_or_b32 v21, v50, 8, v21
	v_or3_b32 v11, v11, v5, v2
	v_sub_nc_u32_e32 v18, v18, v36
	v_or3_b32 v13, v14, v12, v13
	v_or3_b32 v12, v15, v16, v17
	;; [unrolled: 1-line block ×4, first 2 shown]
	s_clause 0x1
	global_store_b128 v[44:45], v[8:11], off th:TH_STORE_NT
	global_store_b128 v[44:45], v[12:15], off offset:512 th:TH_STORE_NT
	v_add_nc_u64_e32 v[42:43], v[42:43], v[68:69]
	v_add_nc_u64_e32 v[46:47], v[46:47], v[68:69]
	v_cmp_gt_i32_e32 vcc_lo, 1, v18
	s_wait_xcnt 0x0
	v_add_nc_u64_e32 v[44:45], v[44:45], v[68:69]
	s_or_b32 s15, vcc_lo, s15
	s_delay_alu instid0(SALU_CYCLE_1)
	s_and_not1_b32 exec_lo, exec_lo, s15
	s_cbranch_execz .LBB4_5612
.LBB4_3365:                             ;   Parent Loop BB4_47 Depth=1
                                        ;     Parent Loop BB4_3279 Depth=2
                                        ;       Parent Loop BB4_3282 Depth=3
                                        ; =>      This Inner Loop Header: Depth=4
	s_cmp_lt_i32 s73, 0x80
	s_cbranch_scc1 .LBB4_3369
; %bb.3366:                             ;   in Loop: Header=BB4_3365 Depth=4
	s_and_b32 s13, 0xffff, s73
	s_delay_alu instid0(SALU_CYCLE_1)
	s_cmp_eq_u32 s13, 0x80
	s_mov_b32 s13, -1
	s_cbranch_scc0 .LBB4_3368
; %bb.3367:                             ;   in Loop: Header=BB4_3365 Depth=4
	s_mov_b32 s13, 0
.LBB4_3368:                             ;   in Loop: Header=BB4_3365 Depth=4
	s_brev_b32 s74, 1
	s_branch .LBB4_3371
.LBB4_3369:                             ;   in Loop: Header=BB4_3365 Depth=4
	s_mov_b32 s13, 0
	s_brev_b32 s74, 1
	s_cbranch_execz .LBB4_3371
; %bb.3370:                             ;   in Loop: Header=BB4_3365 Depth=4
	s_and_b32 s13, 0xffff, s73
	s_mov_b32 s74, 0
	s_cmp_lg_u32 s13, 0
	s_cselect_b32 s13, -1, 0
.LBB4_3371:                             ;   in Loop: Header=BB4_3365 Depth=4
	s_delay_alu instid0(SALU_CYCLE_1)
	s_and_not1_b32 vcc_lo, exec_lo, s13
	s_cbranch_vccnz .LBB4_3373
; %bb.3372:                             ;   in Loop: Header=BB4_3365 Depth=4
	s_mov_b32 s74, s72
.LBB4_3373:                             ;   in Loop: Header=BB4_3365 Depth=4
	global_load_b128 v[8:11], v[42:43], off th:TH_LOAD_NT
	s_wait_loadcnt 0x0
	v_and_b32_e32 v2, 0xff, v8
	s_delay_alu instid0(VALU_DEP_1)
	v_cmp_ne_u16_e32 vcc_lo, 0, v2
	v_mov_b32_e32 v2, 0
	s_wait_xcnt 0x0
	s_and_saveexec_b32 s13, vcc_lo
	s_cbranch_execz .LBB4_3383
; %bb.3374:                             ;   in Loop: Header=BB4_3365 Depth=4
	v_bfe_i32 v5, v8, 0, 8
	v_bfrev_b32_e32 v2, 1
	s_mov_b32 s75, exec_lo
	s_delay_alu instid0(VALU_DEP_2)
	v_cmpx_ne_u16_e32 0xff80, v5
	s_cbranch_execz .LBB4_3382
; %bb.3375:                             ;   in Loop: Header=BB4_3365 Depth=4
	v_and_b32_e32 v2, 0x7c, v8
	v_and_b32_e32 v4, 3, v8
	s_delay_alu instid0(VALU_DEP_2) | instskip(SKIP_1) | instid1(SALU_CYCLE_1)
	v_cmp_ne_u32_e32 vcc_lo, 0x7c, v2
                                        ; implicit-def: $vgpr2
	s_and_saveexec_b32 s76, vcc_lo
	s_xor_b32 s76, exec_lo, s76
	s_cbranch_execz .LBB4_3379
; %bb.3376:                             ;   in Loop: Header=BB4_3365 Depth=4
	v_bfe_u32 v2, v8, 2, 5
	s_mov_b32 s77, exec_lo
	s_delay_alu instid0(VALU_DEP_1)
	v_cmpx_eq_u32_e32 0, v2
; %bb.3377:                             ;   in Loop: Header=BB4_3365 Depth=4
	v_clz_i32_u32_e32 v2, v4
	s_delay_alu instid0(VALU_DEP_1) | instskip(NEXT) | instid1(VALU_DEP_1)
	v_min_u32_e32 v2, 32, v2
	v_subrev_nc_u32_e32 v4, 29, v2
	s_delay_alu instid0(VALU_DEP_1) | instskip(NEXT) | instid1(VALU_DEP_1)
	v_lshlrev_b64_e32 v[4:5], v4, v[8:9]
	v_dual_sub_nc_u32 v2, 30, v2 :: v_dual_bitop2_b32 v4, 3, v4 bitop3:0x40
; %bb.3378:                             ;   in Loop: Header=BB4_3365 Depth=4
	s_or_b32 exec_lo, exec_lo, s77
	v_lshlrev_b32_e32 v5, 24, v8
	s_delay_alu instid0(VALU_DEP_1) | instskip(NEXT) | instid1(VALU_DEP_1)
	v_and_b32_e32 v5, 0x80000000, v5
	v_lshl_add_u32 v2, v2, 23, v5
                                        ; implicit-def: $vgpr5
	s_delay_alu instid0(VALU_DEP_1) | instskip(NEXT) | instid1(VALU_DEP_1)
	v_lshl_or_b32 v2, v4, 21, v2
                                        ; implicit-def: $vgpr4
	v_add_nc_u32_e32 v2, 0x38000000, v2
.LBB4_3379:                             ;   in Loop: Header=BB4_3365 Depth=4
	s_and_not1_saveexec_b32 s76, s76
; %bb.3380:                             ;   in Loop: Header=BB4_3365 Depth=4
	v_cmp_lt_i16_e32 vcc_lo, -1, v5
	v_cndmask_b32_e32 v2, 0xff800000, v48, vcc_lo
	v_cmp_eq_u32_e32 vcc_lo, 0, v4
	s_delay_alu instid0(VALU_DEP_2)
	v_cndmask_b32_e32 v2, 0x7f800001, v2, vcc_lo
; %bb.3381:                             ;   in Loop: Header=BB4_3365 Depth=4
	s_or_b32 exec_lo, exec_lo, s76
.LBB4_3382:                             ;   in Loop: Header=BB4_3365 Depth=4
	s_delay_alu instid0(SALU_CYCLE_1)
	s_or_b32 exec_lo, exec_lo, s75
.LBB4_3383:                             ;   in Loop: Header=BB4_3365 Depth=4
	s_delay_alu instid0(SALU_CYCLE_1) | instskip(NEXT) | instid1(VALU_DEP_1)
	s_or_b32 exec_lo, exec_lo, s13
	v_dual_mul_f32 v4, s74, v2 :: v_dual_mov_b32 v13, v3
                                        ; implicit-def: $vgpr16
	s_mov_b32 s13, exec_lo
	s_delay_alu instid0(VALU_DEP_1) | instskip(SKIP_2) | instid1(VALU_DEP_3)
	v_and_b32_e32 v12, 0x7f800000, v4
	v_and_b32_e32 v2, 0x7fffff, v4
	v_lshrrev_b32_e32 v5, 24, v4
	v_cmpx_ne_u64_e32 0x7f800000, v[12:13]
	s_xor_b32 s75, exec_lo, s13
	s_cbranch_execz .LBB4_3397
; %bb.3384:                             ;   in Loop: Header=BB4_3365 Depth=4
	v_and_b32_e32 v12, 0x7fffffff, v4
	v_mov_b32_e32 v13, v3
	v_and_b32_e32 v14, 0x80, v5
                                        ; implicit-def: $vgpr16
	s_mov_b32 s13, exec_lo
	s_delay_alu instid0(VALU_DEP_2)
	v_cmpx_gt_u64_e32 0x47600001, v[12:13]
	s_xor_b32 s76, exec_lo, s13
	s_cbranch_execz .LBB4_3394
; %bb.3385:                             ;   in Loop: Header=BB4_3365 Depth=4
	v_mov_b32_e32 v16, 0
	s_mov_b32 s77, exec_lo
	v_cmpx_ne_u32_e32 0, v4
	s_cbranch_execz .LBB4_3393
; %bb.3386:                             ;   in Loop: Header=BB4_3365 Depth=4
	v_bfe_u32 v15, v4, 23, 8
	v_or_b32_e32 v12, 0x800000, v2
	s_mov_b32 s78, exec_lo
	s_delay_alu instid0(VALU_DEP_2) | instskip(SKIP_1) | instid1(VALU_DEP_2)
	v_dual_mov_b32 v13, v3 :: v_dual_sub_nc_u32 v4, 0x71, v15
	v_cmp_gt_u32_e32 vcc_lo, 0x72, v15
	v_cndmask_b32_e32 v4, 0, v4, vcc_lo
	v_cmp_eq_u32_e32 vcc_lo, 0, v15
	v_cndmask_b32_e32 v12, v12, v2, vcc_lo
	s_delay_alu instid0(VALU_DEP_3) | instskip(NEXT) | instid1(VALU_DEP_1)
	v_cndmask_b32_e64 v16, v4, 0x70, vcc_lo
	v_dual_add_nc_u32 v4, 21, v16 :: v_dual_add_nc_u32 v17, 20, v16
	s_delay_alu instid0(VALU_DEP_1) | instskip(NEXT) | instid1(VALU_DEP_2)
	v_lshlrev_b64_e64 v[4:5], v4, -1
	v_lshlrev_b64_e64 v[20:21], v17, 1
	s_delay_alu instid0(VALU_DEP_2) | instskip(NEXT) | instid1(VALU_DEP_3)
	v_bfi_b32 v31, v5, 0, 0
	v_bfi_b32 v30, v4, 0, v12
	v_lshrrev_b64 v[4:5], v16, v[12:13]
	s_delay_alu instid0(VALU_DEP_1) | instskip(NEXT) | instid1(VALU_DEP_3)
	v_mov_b64_e32 v[12:13], v[4:5]
	v_cmpx_eq_u64_e64 v[30:31], v[20:21]
; %bb.3387:                             ;   in Loop: Header=BB4_3365 Depth=4
	v_bfe_u32 v12, v4, 21, 1
	v_mov_b32_e32 v13, v3
	s_delay_alu instid0(VALU_DEP_1) | instskip(NEXT) | instid1(VALU_DEP_1)
	v_add_nc_u64_e32 v[12:13], v[4:5], v[12:13]
	v_add_nc_u64_e32 v[12:13], -1, v[12:13]
; %bb.3388:                             ;   in Loop: Header=BB4_3365 Depth=4
	s_or_b32 exec_lo, exec_lo, s78
	v_add_nc_u32_e32 v2, 0xffffff81, v15
	v_lshrrev_b32_e32 v5, 23, v4
	s_mov_b32 s13, exec_lo
	s_delay_alu instid0(VALU_DEP_2) | instskip(NEXT) | instid1(VALU_DEP_1)
	v_cndmask_b32_e64 v2, v2, 0xffffff82, vcc_lo
	v_add3_u32 v13, v16, v2, v5
	v_and_b32_e32 v2, 0x1fffff, v12
                                        ; implicit-def: $vgpr12
	s_delay_alu instid0(VALU_DEP_1) | instskip(NEXT) | instid1(VALU_DEP_1)
	v_dual_add_nc_u32 v15, 14, v13 :: v_dual_add_nc_u32 v2, v2, v4
                                        ; implicit-def: $vgpr4_vgpr5
	v_cmpx_ne_u32_e32 0, v15
	s_xor_b32 s13, exec_lo, s13
; %bb.3389:                             ;   in Loop: Header=BB4_3365 Depth=4
	s_delay_alu instid0(VALU_DEP_2) | instskip(SKIP_1) | instid1(VALU_DEP_1)
	v_cmp_lt_u64_e32 vcc_lo, 0xffffff, v[2:3]
	v_add_nc_u32_e32 v4, 15, v13
	v_cndmask_b32_e32 v12, v15, v4, vcc_lo
	v_cndmask_b32_e64 v4, 0, 1, vcc_lo
	s_delay_alu instid0(VALU_DEP_1)
	v_lshrrev_b64 v[4:5], v4, v[2:3]
; %bb.3390:                             ;   in Loop: Header=BB4_3365 Depth=4
	s_and_not1_saveexec_b32 s13, s13
; %bb.3391:                             ;   in Loop: Header=BB4_3365 Depth=4
	v_mov_b64_e32 v[4:5], v[2:3]
	v_bfe_u32 v12, v2, 23, 1
; %bb.3392:                             ;   in Loop: Header=BB4_3365 Depth=4
	s_or_b32 exec_lo, exec_lo, s13
	s_delay_alu instid0(VALU_DEP_2) | instskip(NEXT) | instid1(VALU_DEP_2)
	v_lshrrev_b64 v[4:5], 21, v[4:5]
	v_cmp_gt_i32_e32 vcc_lo, 32, v12
	v_min_i32_e32 v2, 31, v12
	v_cmp_eq_u32_e64 s13, 0, v12
	s_delay_alu instid0(VALU_DEP_2) | instskip(SKIP_1) | instid1(VALU_DEP_2)
	v_dual_cndmask_b32 v5, 0, v5 :: v_dual_lshlrev_b32 v2, 2, v2
	v_cndmask_b32_e32 v4, 3, v4, vcc_lo
	v_and_b32_e32 v2, 0xfc, v2
	s_delay_alu instid0(VALU_DEP_2) | instskip(NEXT) | instid1(VALU_DEP_2)
	v_cmp_eq_u64_e32 vcc_lo, 0, v[4:5]
	v_and_or_b32 v2, v4, 3, v2
	s_and_b32 s13, s13, vcc_lo
	s_delay_alu instid0(VALU_DEP_1) | instid1(SALU_CYCLE_1)
	v_cndmask_b32_e64 v2, v2, 0, s13
	s_delay_alu instid0(VALU_DEP_1)
	v_or_b32_e32 v16, v2, v14
.LBB4_3393:                             ;   in Loop: Header=BB4_3365 Depth=4
	s_or_b32 exec_lo, exec_lo, s77
                                        ; implicit-def: $vgpr14
.LBB4_3394:                             ;   in Loop: Header=BB4_3365 Depth=4
	s_and_not1_saveexec_b32 s13, s76
; %bb.3395:                             ;   in Loop: Header=BB4_3365 Depth=4
	v_or_b32_e32 v16, 0x7b, v14
; %bb.3396:                             ;   in Loop: Header=BB4_3365 Depth=4
	s_or_b32 exec_lo, exec_lo, s13
                                        ; implicit-def: $vgpr4
                                        ; implicit-def: $vgpr5
.LBB4_3397:                             ;   in Loop: Header=BB4_3365 Depth=4
	s_and_not1_saveexec_b32 s13, s75
	s_cbranch_execz .LBB4_3403
; %bb.3398:                             ;   in Loop: Header=BB4_3365 Depth=4
	s_mov_b32 s75, exec_lo
                                        ; implicit-def: $vgpr16
	v_cmpx_ne_u64_e32 0, v[2:3]
	s_xor_b32 s75, exec_lo, s75
; %bb.3399:                             ;   in Loop: Header=BB4_3365 Depth=4
	v_or_b32_e32 v16, 0x7f, v5
                                        ; implicit-def: $vgpr4
; %bb.3400:                             ;   in Loop: Header=BB4_3365 Depth=4
	s_and_not1_saveexec_b32 s75, s75
; %bb.3401:                             ;   in Loop: Header=BB4_3365 Depth=4
	v_cmp_lt_i32_e32 vcc_lo, -1, v4
	v_cndmask_b32_e32 v16, 0xfc, v49, vcc_lo
; %bb.3402:                             ;   in Loop: Header=BB4_3365 Depth=4
	s_or_b32 exec_lo, exec_lo, s75
.LBB4_3403:                             ;   in Loop: Header=BB4_3365 Depth=4
	s_delay_alu instid0(SALU_CYCLE_1) | instskip(SKIP_3) | instid1(VALU_DEP_2)
	s_or_b32 exec_lo, exec_lo, s13
	v_lshrrev_b16 v4, 8, v8
	v_mov_b32_e32 v5, 0
	s_mov_b32 s13, exec_lo
	v_cmpx_ne_u16_e32 0, v4
	s_cbranch_execz .LBB4_3413
; %bb.3404:                             ;   in Loop: Header=BB4_3365 Depth=4
	v_bfrev_b32_e32 v5, 1
	s_mov_b32 s75, exec_lo
	v_cmpx_ne_u16_e32 0x80, v4
	s_cbranch_execz .LBB4_3412
; %bb.3405:                             ;   in Loop: Header=BB4_3365 Depth=4
	v_and_b32_e32 v12, 0xffff, v4
	s_delay_alu instid0(VALU_DEP_1) | instskip(SKIP_1) | instid1(VALU_DEP_2)
	v_and_b32_e32 v5, 0x7c, v12
	v_and_b32_e32 v2, 3, v12
	v_cmp_ne_u32_e32 vcc_lo, 0x7c, v5
                                        ; implicit-def: $vgpr5
	s_and_saveexec_b32 s76, vcc_lo
	s_delay_alu instid0(SALU_CYCLE_1)
	s_xor_b32 s76, exec_lo, s76
	s_cbranch_execz .LBB4_3409
; %bb.3406:                             ;   in Loop: Header=BB4_3365 Depth=4
	v_bfe_u32 v5, v12, 2, 5
	s_mov_b32 s77, exec_lo
	s_delay_alu instid0(VALU_DEP_1)
	v_cmpx_eq_u32_e32 0, v5
; %bb.3407:                             ;   in Loop: Header=BB4_3365 Depth=4
	v_clz_i32_u32_e32 v2, v2
	v_mov_b32_e32 v5, v3
	s_delay_alu instid0(VALU_DEP_2) | instskip(NEXT) | instid1(VALU_DEP_1)
	v_min_u32_e32 v2, 32, v2
	v_subrev_nc_u32_e32 v12, 29, v2
	s_delay_alu instid0(VALU_DEP_1) | instskip(NEXT) | instid1(VALU_DEP_1)
	v_lshlrev_b64_e32 v[4:5], v12, v[4:5]
	v_dual_sub_nc_u32 v5, 30, v2 :: v_dual_bitop2_b32 v2, 3, v4 bitop3:0x40
; %bb.3408:                             ;   in Loop: Header=BB4_3365 Depth=4
	s_or_b32 exec_lo, exec_lo, s77
	v_lshlrev_b32_e32 v4, 16, v8
	s_delay_alu instid0(VALU_DEP_1) | instskip(NEXT) | instid1(VALU_DEP_1)
	v_and_b32_e32 v4, 0x80000000, v4
	v_lshl_add_u32 v4, v5, 23, v4
	s_delay_alu instid0(VALU_DEP_1) | instskip(NEXT) | instid1(VALU_DEP_1)
	v_lshl_or_b32 v2, v2, 21, v4
	v_add_nc_u32_e32 v5, 0x38000000, v2
                                        ; implicit-def: $vgpr2
.LBB4_3409:                             ;   in Loop: Header=BB4_3365 Depth=4
	s_and_not1_saveexec_b32 s76, s76
; %bb.3410:                             ;   in Loop: Header=BB4_3365 Depth=4
	v_cmp_lt_i16_e32 vcc_lo, -1, v8
	v_cndmask_b32_e32 v4, 0xff800000, v48, vcc_lo
	v_cmp_eq_u32_e32 vcc_lo, 0, v2
	s_delay_alu instid0(VALU_DEP_2)
	v_cndmask_b32_e32 v5, 0x7f800001, v4, vcc_lo
; %bb.3411:                             ;   in Loop: Header=BB4_3365 Depth=4
	s_or_b32 exec_lo, exec_lo, s76
.LBB4_3412:                             ;   in Loop: Header=BB4_3365 Depth=4
	s_delay_alu instid0(SALU_CYCLE_1)
	s_or_b32 exec_lo, exec_lo, s75
.LBB4_3413:                             ;   in Loop: Header=BB4_3365 Depth=4
	s_delay_alu instid0(SALU_CYCLE_1) | instskip(NEXT) | instid1(VALU_DEP_1)
	s_or_b32 exec_lo, exec_lo, s13
	v_dual_mul_f32 v4, s74, v5 :: v_dual_mov_b32 v13, v3
                                        ; implicit-def: $vgpr17
	s_mov_b32 s13, exec_lo
	s_delay_alu instid0(VALU_DEP_1) | instskip(SKIP_2) | instid1(VALU_DEP_3)
	v_and_b32_e32 v12, 0x7f800000, v4
	v_and_b32_e32 v2, 0x7fffff, v4
	v_lshrrev_b32_e32 v5, 24, v4
	v_cmpx_ne_u64_e32 0x7f800000, v[12:13]
	s_xor_b32 s75, exec_lo, s13
	s_cbranch_execz .LBB4_3427
; %bb.3414:                             ;   in Loop: Header=BB4_3365 Depth=4
	v_and_b32_e32 v12, 0x7fffffff, v4
	v_mov_b32_e32 v13, v3
	v_and_b32_e32 v14, 0x80, v5
                                        ; implicit-def: $vgpr17
	s_mov_b32 s13, exec_lo
	s_delay_alu instid0(VALU_DEP_2)
	v_cmpx_gt_u64_e32 0x47600001, v[12:13]
	s_xor_b32 s76, exec_lo, s13
	s_cbranch_execz .LBB4_3424
; %bb.3415:                             ;   in Loop: Header=BB4_3365 Depth=4
	v_mov_b32_e32 v17, 0
	s_mov_b32 s77, exec_lo
	v_cmpx_ne_u32_e32 0, v4
	s_cbranch_execz .LBB4_3423
; %bb.3416:                             ;   in Loop: Header=BB4_3365 Depth=4
	v_bfe_u32 v15, v4, 23, 8
	v_or_b32_e32 v12, 0x800000, v2
	s_mov_b32 s78, exec_lo
	s_delay_alu instid0(VALU_DEP_2) | instskip(SKIP_1) | instid1(VALU_DEP_2)
	v_dual_mov_b32 v13, v3 :: v_dual_sub_nc_u32 v4, 0x71, v15
	v_cmp_gt_u32_e32 vcc_lo, 0x72, v15
	v_cndmask_b32_e32 v4, 0, v4, vcc_lo
	v_cmp_eq_u32_e32 vcc_lo, 0, v15
	s_delay_alu instid0(VALU_DEP_2) | instskip(NEXT) | instid1(VALU_DEP_1)
	v_cndmask_b32_e64 v17, v4, 0x70, vcc_lo
	v_dual_cndmask_b32 v12, v12, v2, vcc_lo :: v_dual_add_nc_u32 v4, 21, v17
	v_add_nc_u32_e32 v20, 20, v17
	s_delay_alu instid0(VALU_DEP_2) | instskip(NEXT) | instid1(VALU_DEP_2)
	v_lshlrev_b64_e64 v[4:5], v4, -1
	v_lshlrev_b64_e64 v[20:21], v20, 1
	s_delay_alu instid0(VALU_DEP_2) | instskip(NEXT) | instid1(VALU_DEP_3)
	v_bfi_b32 v31, v5, 0, 0
	v_bfi_b32 v30, v4, 0, v12
	v_lshrrev_b64 v[4:5], v17, v[12:13]
	s_delay_alu instid0(VALU_DEP_1) | instskip(NEXT) | instid1(VALU_DEP_3)
	v_mov_b64_e32 v[12:13], v[4:5]
	v_cmpx_eq_u64_e64 v[30:31], v[20:21]
; %bb.3417:                             ;   in Loop: Header=BB4_3365 Depth=4
	v_bfe_u32 v12, v4, 21, 1
	v_mov_b32_e32 v13, v3
	s_delay_alu instid0(VALU_DEP_1) | instskip(NEXT) | instid1(VALU_DEP_1)
	v_add_nc_u64_e32 v[12:13], v[4:5], v[12:13]
	v_add_nc_u64_e32 v[12:13], -1, v[12:13]
; %bb.3418:                             ;   in Loop: Header=BB4_3365 Depth=4
	s_or_b32 exec_lo, exec_lo, s78
	v_add_nc_u32_e32 v2, 0xffffff81, v15
	v_lshrrev_b32_e32 v5, 23, v4
	s_mov_b32 s13, exec_lo
	s_delay_alu instid0(VALU_DEP_2) | instskip(NEXT) | instid1(VALU_DEP_1)
	v_cndmask_b32_e64 v2, v2, 0xffffff82, vcc_lo
	v_add3_u32 v13, v17, v2, v5
	v_and_b32_e32 v2, 0x1fffff, v12
                                        ; implicit-def: $vgpr12
	s_delay_alu instid0(VALU_DEP_1) | instskip(NEXT) | instid1(VALU_DEP_1)
	v_dual_add_nc_u32 v15, 14, v13 :: v_dual_add_nc_u32 v2, v2, v4
                                        ; implicit-def: $vgpr4_vgpr5
	v_cmpx_ne_u32_e32 0, v15
	s_xor_b32 s13, exec_lo, s13
; %bb.3419:                             ;   in Loop: Header=BB4_3365 Depth=4
	s_delay_alu instid0(VALU_DEP_2) | instskip(SKIP_1) | instid1(VALU_DEP_1)
	v_cmp_lt_u64_e32 vcc_lo, 0xffffff, v[2:3]
	v_add_nc_u32_e32 v4, 15, v13
	v_cndmask_b32_e32 v12, v15, v4, vcc_lo
	v_cndmask_b32_e64 v4, 0, 1, vcc_lo
	s_delay_alu instid0(VALU_DEP_1)
	v_lshrrev_b64 v[4:5], v4, v[2:3]
; %bb.3420:                             ;   in Loop: Header=BB4_3365 Depth=4
	s_and_not1_saveexec_b32 s13, s13
; %bb.3421:                             ;   in Loop: Header=BB4_3365 Depth=4
	v_mov_b64_e32 v[4:5], v[2:3]
	v_bfe_u32 v12, v2, 23, 1
; %bb.3422:                             ;   in Loop: Header=BB4_3365 Depth=4
	s_or_b32 exec_lo, exec_lo, s13
	s_delay_alu instid0(VALU_DEP_2) | instskip(NEXT) | instid1(VALU_DEP_2)
	v_lshrrev_b64 v[4:5], 21, v[4:5]
	v_cmp_gt_i32_e32 vcc_lo, 32, v12
	v_min_i32_e32 v2, 31, v12
	v_cmp_eq_u32_e64 s13, 0, v12
	s_delay_alu instid0(VALU_DEP_2) | instskip(SKIP_1) | instid1(VALU_DEP_2)
	v_dual_cndmask_b32 v5, 0, v5 :: v_dual_lshlrev_b32 v2, 2, v2
	v_cndmask_b32_e32 v4, 3, v4, vcc_lo
	v_and_b32_e32 v2, 0xfc, v2
	s_delay_alu instid0(VALU_DEP_2) | instskip(NEXT) | instid1(VALU_DEP_2)
	v_cmp_eq_u64_e32 vcc_lo, 0, v[4:5]
	v_and_or_b32 v2, v4, 3, v2
	s_and_b32 s13, s13, vcc_lo
	s_delay_alu instid0(VALU_DEP_1) | instid1(SALU_CYCLE_1)
	v_cndmask_b32_e64 v2, v2, 0, s13
	s_delay_alu instid0(VALU_DEP_1)
	v_or_b32_e32 v17, v2, v14
.LBB4_3423:                             ;   in Loop: Header=BB4_3365 Depth=4
	s_or_b32 exec_lo, exec_lo, s77
                                        ; implicit-def: $vgpr14
.LBB4_3424:                             ;   in Loop: Header=BB4_3365 Depth=4
	s_and_not1_saveexec_b32 s13, s76
; %bb.3425:                             ;   in Loop: Header=BB4_3365 Depth=4
	v_or_b32_e32 v17, 0x7b, v14
; %bb.3426:                             ;   in Loop: Header=BB4_3365 Depth=4
	s_or_b32 exec_lo, exec_lo, s13
                                        ; implicit-def: $vgpr4
                                        ; implicit-def: $vgpr5
.LBB4_3427:                             ;   in Loop: Header=BB4_3365 Depth=4
	s_and_not1_saveexec_b32 s13, s75
	s_cbranch_execz .LBB4_3433
; %bb.3428:                             ;   in Loop: Header=BB4_3365 Depth=4
	s_mov_b32 s75, exec_lo
                                        ; implicit-def: $vgpr17
	v_cmpx_ne_u64_e32 0, v[2:3]
	s_xor_b32 s75, exec_lo, s75
; %bb.3429:                             ;   in Loop: Header=BB4_3365 Depth=4
	v_or_b32_e32 v17, 0x7f, v5
                                        ; implicit-def: $vgpr4
; %bb.3430:                             ;   in Loop: Header=BB4_3365 Depth=4
	s_and_not1_saveexec_b32 s75, s75
; %bb.3431:                             ;   in Loop: Header=BB4_3365 Depth=4
	v_cmp_lt_i32_e32 vcc_lo, -1, v4
	v_cndmask_b32_e32 v17, 0xfc, v49, vcc_lo
; %bb.3432:                             ;   in Loop: Header=BB4_3365 Depth=4
	s_or_b32 exec_lo, exec_lo, s75
.LBB4_3433:                             ;   in Loop: Header=BB4_3365 Depth=4
	s_delay_alu instid0(SALU_CYCLE_1) | instskip(SKIP_2) | instid1(VALU_DEP_1)
	s_or_b32 exec_lo, exec_lo, s13
	v_dual_lshrrev_b32 v2, 16, v8 :: v_dual_mov_b32 v4, 0
	s_mov_b32 s13, exec_lo
	v_and_b32_e32 v5, 0xff, v2
	s_delay_alu instid0(VALU_DEP_1)
	v_cmpx_ne_u16_e32 0, v5
	s_cbranch_execz .LBB4_3443
; %bb.3434:                             ;   in Loop: Header=BB4_3365 Depth=4
	v_bfrev_b32_e32 v4, 1
	s_mov_b32 s75, exec_lo
	v_cmpx_ne_u16_e32 0x80, v5
	s_cbranch_execz .LBB4_3442
; %bb.3435:                             ;   in Loop: Header=BB4_3365 Depth=4
	v_and_b32_e32 v4, 0x7c0000, v8
	v_bfe_u32 v5, v8, 16, 2
	s_delay_alu instid0(VALU_DEP_2) | instskip(SKIP_1) | instid1(SALU_CYCLE_1)
	v_cmp_ne_u32_e32 vcc_lo, 0x7c0000, v4
                                        ; implicit-def: $vgpr4
	s_and_saveexec_b32 s76, vcc_lo
	s_xor_b32 s76, exec_lo, s76
	s_cbranch_execz .LBB4_3439
; %bb.3436:                             ;   in Loop: Header=BB4_3365 Depth=4
	v_bfe_u32 v4, v8, 18, 5
	s_mov_b32 s77, exec_lo
	s_delay_alu instid0(VALU_DEP_1)
	v_cmpx_eq_u32_e32 0, v4
; %bb.3437:                             ;   in Loop: Header=BB4_3365 Depth=4
	v_clz_i32_u32_e32 v4, v5
	s_delay_alu instid0(VALU_DEP_1) | instskip(NEXT) | instid1(VALU_DEP_1)
	v_min_u32_e32 v4, 32, v4
	v_subrev_nc_u32_e32 v5, 29, v4
	v_sub_nc_u32_e32 v4, 30, v4
	s_delay_alu instid0(VALU_DEP_2) | instskip(NEXT) | instid1(VALU_DEP_1)
	v_lshlrev_b64_e32 v[12:13], v5, v[2:3]
	v_and_b32_e32 v5, 3, v12
; %bb.3438:                             ;   in Loop: Header=BB4_3365 Depth=4
	s_or_b32 exec_lo, exec_lo, s77
	v_lshlrev_b32_e32 v2, 24, v2
	s_delay_alu instid0(VALU_DEP_1) | instskip(NEXT) | instid1(VALU_DEP_1)
	v_and_b32_e32 v2, 0x80000000, v2
	v_lshl_add_u32 v2, v4, 23, v2
	s_delay_alu instid0(VALU_DEP_1) | instskip(NEXT) | instid1(VALU_DEP_1)
	v_lshl_or_b32 v2, v5, 21, v2
                                        ; implicit-def: $vgpr5
	v_add_nc_u32_e32 v4, 0x38000000, v2
                                        ; implicit-def: $vgpr2
.LBB4_3439:                             ;   in Loop: Header=BB4_3365 Depth=4
	s_and_not1_saveexec_b32 s76, s76
; %bb.3440:                             ;   in Loop: Header=BB4_3365 Depth=4
	v_bfe_i32 v2, v2, 0, 8
	s_delay_alu instid0(VALU_DEP_1) | instskip(SKIP_2) | instid1(VALU_DEP_2)
	v_cmp_lt_i16_e32 vcc_lo, -1, v2
	v_cndmask_b32_e32 v2, 0xff800000, v48, vcc_lo
	v_cmp_eq_u32_e32 vcc_lo, 0, v5
	v_cndmask_b32_e32 v4, 0x7f800001, v2, vcc_lo
; %bb.3441:                             ;   in Loop: Header=BB4_3365 Depth=4
	s_or_b32 exec_lo, exec_lo, s76
.LBB4_3442:                             ;   in Loop: Header=BB4_3365 Depth=4
	s_delay_alu instid0(SALU_CYCLE_1)
	s_or_b32 exec_lo, exec_lo, s75
.LBB4_3443:                             ;   in Loop: Header=BB4_3365 Depth=4
	s_delay_alu instid0(SALU_CYCLE_1) | instskip(NEXT) | instid1(VALU_DEP_1)
	s_or_b32 exec_lo, exec_lo, s13
	v_dual_mul_f32 v4, s74, v4 :: v_dual_mov_b32 v13, v3
                                        ; implicit-def: $vgpr20
	s_mov_b32 s13, exec_lo
	s_delay_alu instid0(VALU_DEP_1) | instskip(SKIP_2) | instid1(VALU_DEP_3)
	v_and_b32_e32 v12, 0x7f800000, v4
	v_and_b32_e32 v2, 0x7fffff, v4
	v_lshrrev_b32_e32 v5, 24, v4
	v_cmpx_ne_u64_e32 0x7f800000, v[12:13]
	s_xor_b32 s75, exec_lo, s13
	s_cbranch_execz .LBB4_3457
; %bb.3444:                             ;   in Loop: Header=BB4_3365 Depth=4
	v_and_b32_e32 v12, 0x7fffffff, v4
	v_mov_b32_e32 v13, v3
	v_and_b32_e32 v14, 0x80, v5
                                        ; implicit-def: $vgpr20
	s_mov_b32 s13, exec_lo
	s_delay_alu instid0(VALU_DEP_2)
	v_cmpx_gt_u64_e32 0x47600001, v[12:13]
	s_xor_b32 s76, exec_lo, s13
	s_cbranch_execz .LBB4_3454
; %bb.3445:                             ;   in Loop: Header=BB4_3365 Depth=4
	v_mov_b32_e32 v20, 0
	s_mov_b32 s77, exec_lo
	v_cmpx_ne_u32_e32 0, v4
	s_cbranch_execz .LBB4_3453
; %bb.3446:                             ;   in Loop: Header=BB4_3365 Depth=4
	v_bfe_u32 v15, v4, 23, 8
	v_or_b32_e32 v12, 0x800000, v2
	s_mov_b32 s78, exec_lo
	s_delay_alu instid0(VALU_DEP_2) | instskip(SKIP_1) | instid1(VALU_DEP_2)
	v_dual_mov_b32 v13, v3 :: v_dual_sub_nc_u32 v4, 0x71, v15
	v_cmp_gt_u32_e32 vcc_lo, 0x72, v15
	v_cndmask_b32_e32 v4, 0, v4, vcc_lo
	v_cmp_eq_u32_e32 vcc_lo, 0, v15
	v_cndmask_b32_e32 v12, v12, v2, vcc_lo
	s_delay_alu instid0(VALU_DEP_3) | instskip(NEXT) | instid1(VALU_DEP_1)
	v_cndmask_b32_e64 v20, v4, 0x70, vcc_lo
	v_dual_add_nc_u32 v4, 21, v20 :: v_dual_add_nc_u32 v21, 20, v20
	s_delay_alu instid0(VALU_DEP_1) | instskip(NEXT) | instid1(VALU_DEP_2)
	v_lshlrev_b64_e64 v[4:5], v4, -1
	v_lshlrev_b64_e64 v[30:31], v21, 1
	s_delay_alu instid0(VALU_DEP_2) | instskip(NEXT) | instid1(VALU_DEP_3)
	v_bfi_b32 v51, v5, 0, 0
	v_bfi_b32 v50, v4, 0, v12
	v_lshrrev_b64 v[4:5], v20, v[12:13]
	s_delay_alu instid0(VALU_DEP_1) | instskip(NEXT) | instid1(VALU_DEP_3)
	v_mov_b64_e32 v[12:13], v[4:5]
	v_cmpx_eq_u64_e64 v[50:51], v[30:31]
; %bb.3447:                             ;   in Loop: Header=BB4_3365 Depth=4
	v_bfe_u32 v12, v4, 21, 1
	v_mov_b32_e32 v13, v3
	s_delay_alu instid0(VALU_DEP_1) | instskip(NEXT) | instid1(VALU_DEP_1)
	v_add_nc_u64_e32 v[12:13], v[4:5], v[12:13]
	v_add_nc_u64_e32 v[12:13], -1, v[12:13]
; %bb.3448:                             ;   in Loop: Header=BB4_3365 Depth=4
	s_or_b32 exec_lo, exec_lo, s78
	v_add_nc_u32_e32 v2, 0xffffff81, v15
	v_lshrrev_b32_e32 v5, 23, v4
	s_mov_b32 s13, exec_lo
	s_delay_alu instid0(VALU_DEP_2) | instskip(NEXT) | instid1(VALU_DEP_1)
	v_cndmask_b32_e64 v2, v2, 0xffffff82, vcc_lo
	v_add3_u32 v13, v20, v2, v5
	v_and_b32_e32 v2, 0x1fffff, v12
                                        ; implicit-def: $vgpr12
	s_delay_alu instid0(VALU_DEP_1) | instskip(NEXT) | instid1(VALU_DEP_1)
	v_dual_add_nc_u32 v15, 14, v13 :: v_dual_add_nc_u32 v2, v2, v4
                                        ; implicit-def: $vgpr4_vgpr5
	v_cmpx_ne_u32_e32 0, v15
	s_xor_b32 s13, exec_lo, s13
; %bb.3449:                             ;   in Loop: Header=BB4_3365 Depth=4
	s_delay_alu instid0(VALU_DEP_2) | instskip(SKIP_1) | instid1(VALU_DEP_1)
	v_cmp_lt_u64_e32 vcc_lo, 0xffffff, v[2:3]
	v_add_nc_u32_e32 v4, 15, v13
	v_cndmask_b32_e32 v12, v15, v4, vcc_lo
	v_cndmask_b32_e64 v4, 0, 1, vcc_lo
	s_delay_alu instid0(VALU_DEP_1)
	v_lshrrev_b64 v[4:5], v4, v[2:3]
; %bb.3450:                             ;   in Loop: Header=BB4_3365 Depth=4
	s_and_not1_saveexec_b32 s13, s13
; %bb.3451:                             ;   in Loop: Header=BB4_3365 Depth=4
	v_mov_b64_e32 v[4:5], v[2:3]
	v_bfe_u32 v12, v2, 23, 1
; %bb.3452:                             ;   in Loop: Header=BB4_3365 Depth=4
	s_or_b32 exec_lo, exec_lo, s13
	s_delay_alu instid0(VALU_DEP_2) | instskip(NEXT) | instid1(VALU_DEP_2)
	v_lshrrev_b64 v[4:5], 21, v[4:5]
	v_cmp_gt_i32_e32 vcc_lo, 32, v12
	v_min_i32_e32 v2, 31, v12
	v_cmp_eq_u32_e64 s13, 0, v12
	s_delay_alu instid0(VALU_DEP_2) | instskip(SKIP_1) | instid1(VALU_DEP_2)
	v_dual_cndmask_b32 v5, 0, v5 :: v_dual_lshlrev_b32 v2, 2, v2
	v_cndmask_b32_e32 v4, 3, v4, vcc_lo
	v_and_b32_e32 v2, 0xfc, v2
	s_delay_alu instid0(VALU_DEP_2) | instskip(NEXT) | instid1(VALU_DEP_2)
	v_cmp_eq_u64_e32 vcc_lo, 0, v[4:5]
	v_and_or_b32 v2, v4, 3, v2
	s_and_b32 s13, s13, vcc_lo
	s_delay_alu instid0(VALU_DEP_1) | instid1(SALU_CYCLE_1)
	v_cndmask_b32_e64 v2, v2, 0, s13
	s_delay_alu instid0(VALU_DEP_1)
	v_or_b32_e32 v20, v2, v14
.LBB4_3453:                             ;   in Loop: Header=BB4_3365 Depth=4
	s_or_b32 exec_lo, exec_lo, s77
                                        ; implicit-def: $vgpr14
.LBB4_3454:                             ;   in Loop: Header=BB4_3365 Depth=4
	s_and_not1_saveexec_b32 s13, s76
; %bb.3455:                             ;   in Loop: Header=BB4_3365 Depth=4
	v_or_b32_e32 v20, 0x7b, v14
; %bb.3456:                             ;   in Loop: Header=BB4_3365 Depth=4
	s_or_b32 exec_lo, exec_lo, s13
                                        ; implicit-def: $vgpr4
                                        ; implicit-def: $vgpr5
.LBB4_3457:                             ;   in Loop: Header=BB4_3365 Depth=4
	s_and_not1_saveexec_b32 s13, s75
	s_cbranch_execz .LBB4_3463
; %bb.3458:                             ;   in Loop: Header=BB4_3365 Depth=4
	s_mov_b32 s75, exec_lo
                                        ; implicit-def: $vgpr20
	v_cmpx_ne_u64_e32 0, v[2:3]
	s_xor_b32 s75, exec_lo, s75
; %bb.3459:                             ;   in Loop: Header=BB4_3365 Depth=4
	v_or_b32_e32 v20, 0x7f, v5
                                        ; implicit-def: $vgpr4
; %bb.3460:                             ;   in Loop: Header=BB4_3365 Depth=4
	s_and_not1_saveexec_b32 s75, s75
; %bb.3461:                             ;   in Loop: Header=BB4_3365 Depth=4
	v_cmp_lt_i32_e32 vcc_lo, -1, v4
	v_cndmask_b32_e32 v20, 0xfc, v49, vcc_lo
; %bb.3462:                             ;   in Loop: Header=BB4_3365 Depth=4
	s_or_b32 exec_lo, exec_lo, s75
.LBB4_3463:                             ;   in Loop: Header=BB4_3365 Depth=4
	s_delay_alu instid0(SALU_CYCLE_1)
	s_or_b32 exec_lo, exec_lo, s13
	v_mov_b32_e32 v4, 0
	s_mov_b32 s13, exec_lo
	v_cmpx_lt_u32_e32 0xffffff, v8
	s_cbranch_execz .LBB4_3473
; %bb.3464:                             ;   in Loop: Header=BB4_3365 Depth=4
	v_lshrrev_b32_e32 v2, 24, v8
	v_bfrev_b32_e32 v4, 1
	s_mov_b32 s75, exec_lo
	s_delay_alu instid0(VALU_DEP_2)
	v_cmpx_ne_u32_e32 0x80, v2
	s_cbranch_execz .LBB4_3472
; %bb.3465:                             ;   in Loop: Header=BB4_3365 Depth=4
	v_and_b32_e32 v4, 0x7c000000, v8
	v_bfe_u32 v5, v8, 24, 2
	s_delay_alu instid0(VALU_DEP_2) | instskip(SKIP_1) | instid1(SALU_CYCLE_1)
	v_cmp_ne_u32_e32 vcc_lo, 0x7c000000, v4
                                        ; implicit-def: $vgpr4
	s_and_saveexec_b32 s76, vcc_lo
	s_xor_b32 s76, exec_lo, s76
	s_cbranch_execz .LBB4_3469
; %bb.3466:                             ;   in Loop: Header=BB4_3365 Depth=4
	v_bfe_u32 v4, v8, 26, 5
	s_mov_b32 s77, exec_lo
	s_delay_alu instid0(VALU_DEP_1)
	v_cmpx_eq_u32_e32 0, v4
; %bb.3467:                             ;   in Loop: Header=BB4_3365 Depth=4
	v_clz_i32_u32_e32 v4, v5
	s_delay_alu instid0(VALU_DEP_1) | instskip(NEXT) | instid1(VALU_DEP_1)
	v_min_u32_e32 v4, 32, v4
	v_subrev_nc_u32_e32 v5, 29, v4
	v_sub_nc_u32_e32 v4, 30, v4
	s_delay_alu instid0(VALU_DEP_2) | instskip(NEXT) | instid1(VALU_DEP_1)
	v_lshlrev_b64_e32 v[12:13], v5, v[2:3]
	v_and_b32_e32 v5, 3, v12
; %bb.3468:                             ;   in Loop: Header=BB4_3365 Depth=4
	s_or_b32 exec_lo, exec_lo, s77
	v_and_b32_e32 v2, 0x80000000, v8
	s_delay_alu instid0(VALU_DEP_1) | instskip(NEXT) | instid1(VALU_DEP_1)
	v_lshl_add_u32 v2, v4, 23, v2
	v_lshl_or_b32 v2, v5, 21, v2
                                        ; implicit-def: $vgpr5
	s_delay_alu instid0(VALU_DEP_1)
	v_add_nc_u32_e32 v4, 0x38000000, v2
.LBB4_3469:                             ;   in Loop: Header=BB4_3365 Depth=4
	s_and_not1_saveexec_b32 s76, s76
; %bb.3470:                             ;   in Loop: Header=BB4_3365 Depth=4
	v_cmp_lt_i32_e32 vcc_lo, -1, v8
	v_cndmask_b32_e32 v2, 0xff800000, v48, vcc_lo
	v_cmp_eq_u32_e32 vcc_lo, 0, v5
	s_delay_alu instid0(VALU_DEP_2)
	v_cndmask_b32_e32 v4, 0x7f800001, v2, vcc_lo
; %bb.3471:                             ;   in Loop: Header=BB4_3365 Depth=4
	s_or_b32 exec_lo, exec_lo, s76
.LBB4_3472:                             ;   in Loop: Header=BB4_3365 Depth=4
	s_delay_alu instid0(SALU_CYCLE_1)
	s_or_b32 exec_lo, exec_lo, s75
.LBB4_3473:                             ;   in Loop: Header=BB4_3365 Depth=4
	s_delay_alu instid0(SALU_CYCLE_1) | instskip(NEXT) | instid1(VALU_DEP_1)
	s_or_b32 exec_lo, exec_lo, s13
	v_dual_mul_f32 v4, s74, v4 :: v_dual_mov_b32 v13, v3
                                        ; implicit-def: $vgpr30
	s_mov_b32 s13, exec_lo
	s_delay_alu instid0(VALU_DEP_1) | instskip(SKIP_2) | instid1(VALU_DEP_3)
	v_and_b32_e32 v12, 0x7f800000, v4
	v_and_b32_e32 v2, 0x7fffff, v4
	v_lshrrev_b32_e32 v5, 24, v4
	v_cmpx_ne_u64_e32 0x7f800000, v[12:13]
	s_xor_b32 s75, exec_lo, s13
	s_cbranch_execz .LBB4_3487
; %bb.3474:                             ;   in Loop: Header=BB4_3365 Depth=4
	v_and_b32_e32 v12, 0x7fffffff, v4
	v_mov_b32_e32 v13, v3
	v_and_b32_e32 v14, 0x80, v5
                                        ; implicit-def: $vgpr30
	s_mov_b32 s13, exec_lo
	s_delay_alu instid0(VALU_DEP_2)
	v_cmpx_gt_u64_e32 0x47600001, v[12:13]
	s_xor_b32 s76, exec_lo, s13
	s_cbranch_execz .LBB4_3484
; %bb.3475:                             ;   in Loop: Header=BB4_3365 Depth=4
	v_mov_b32_e32 v30, 0
	s_mov_b32 s77, exec_lo
	v_cmpx_ne_u32_e32 0, v4
	s_cbranch_execz .LBB4_3483
; %bb.3476:                             ;   in Loop: Header=BB4_3365 Depth=4
	v_bfe_u32 v15, v4, 23, 8
	v_or_b32_e32 v12, 0x800000, v2
	s_mov_b32 s78, exec_lo
	s_delay_alu instid0(VALU_DEP_2) | instskip(SKIP_1) | instid1(VALU_DEP_2)
	v_dual_mov_b32 v13, v3 :: v_dual_sub_nc_u32 v4, 0x71, v15
	v_cmp_gt_u32_e32 vcc_lo, 0x72, v15
	v_cndmask_b32_e32 v4, 0, v4, vcc_lo
	v_cmp_eq_u32_e32 vcc_lo, 0, v15
	s_delay_alu instid0(VALU_DEP_2) | instskip(NEXT) | instid1(VALU_DEP_1)
	v_cndmask_b32_e64 v21, v4, 0x70, vcc_lo
	v_dual_cndmask_b32 v12, v12, v2, vcc_lo :: v_dual_add_nc_u32 v4, 21, v21
	v_add_nc_u32_e32 v30, 20, v21
	s_delay_alu instid0(VALU_DEP_2) | instskip(NEXT) | instid1(VALU_DEP_2)
	v_lshlrev_b64_e64 v[4:5], v4, -1
	v_lshlrev_b64_e64 v[30:31], v30, 1
	s_delay_alu instid0(VALU_DEP_2) | instskip(NEXT) | instid1(VALU_DEP_3)
	v_bfi_b32 v51, v5, 0, 0
	v_bfi_b32 v50, v4, 0, v12
	v_lshrrev_b64 v[4:5], v21, v[12:13]
	s_delay_alu instid0(VALU_DEP_1) | instskip(NEXT) | instid1(VALU_DEP_3)
	v_mov_b64_e32 v[12:13], v[4:5]
	v_cmpx_eq_u64_e64 v[50:51], v[30:31]
; %bb.3477:                             ;   in Loop: Header=BB4_3365 Depth=4
	v_bfe_u32 v12, v4, 21, 1
	v_mov_b32_e32 v13, v3
	s_delay_alu instid0(VALU_DEP_1) | instskip(NEXT) | instid1(VALU_DEP_1)
	v_add_nc_u64_e32 v[12:13], v[4:5], v[12:13]
	v_add_nc_u64_e32 v[12:13], -1, v[12:13]
; %bb.3478:                             ;   in Loop: Header=BB4_3365 Depth=4
	s_or_b32 exec_lo, exec_lo, s78
	v_add_nc_u32_e32 v2, 0xffffff81, v15
	v_lshrrev_b32_e32 v5, 23, v4
	s_mov_b32 s13, exec_lo
	s_delay_alu instid0(VALU_DEP_2) | instskip(NEXT) | instid1(VALU_DEP_1)
	v_cndmask_b32_e64 v2, v2, 0xffffff82, vcc_lo
	v_add3_u32 v13, v21, v2, v5
	v_and_b32_e32 v2, 0x1fffff, v12
                                        ; implicit-def: $vgpr12
	s_delay_alu instid0(VALU_DEP_1) | instskip(NEXT) | instid1(VALU_DEP_1)
	v_dual_add_nc_u32 v15, 14, v13 :: v_dual_add_nc_u32 v2, v2, v4
                                        ; implicit-def: $vgpr4_vgpr5
	v_cmpx_ne_u32_e32 0, v15
	s_xor_b32 s13, exec_lo, s13
; %bb.3479:                             ;   in Loop: Header=BB4_3365 Depth=4
	s_delay_alu instid0(VALU_DEP_2) | instskip(SKIP_1) | instid1(VALU_DEP_1)
	v_cmp_lt_u64_e32 vcc_lo, 0xffffff, v[2:3]
	v_add_nc_u32_e32 v4, 15, v13
	v_cndmask_b32_e32 v12, v15, v4, vcc_lo
	v_cndmask_b32_e64 v4, 0, 1, vcc_lo
	s_delay_alu instid0(VALU_DEP_1)
	v_lshrrev_b64 v[4:5], v4, v[2:3]
; %bb.3480:                             ;   in Loop: Header=BB4_3365 Depth=4
	s_and_not1_saveexec_b32 s13, s13
; %bb.3481:                             ;   in Loop: Header=BB4_3365 Depth=4
	v_mov_b64_e32 v[4:5], v[2:3]
	v_bfe_u32 v12, v2, 23, 1
; %bb.3482:                             ;   in Loop: Header=BB4_3365 Depth=4
	s_or_b32 exec_lo, exec_lo, s13
	s_delay_alu instid0(VALU_DEP_2) | instskip(NEXT) | instid1(VALU_DEP_2)
	v_lshrrev_b64 v[4:5], 21, v[4:5]
	v_cmp_gt_i32_e32 vcc_lo, 32, v12
	v_min_i32_e32 v2, 31, v12
	v_cmp_eq_u32_e64 s13, 0, v12
	s_delay_alu instid0(VALU_DEP_2) | instskip(SKIP_1) | instid1(VALU_DEP_2)
	v_dual_cndmask_b32 v5, 0, v5 :: v_dual_lshlrev_b32 v2, 2, v2
	v_cndmask_b32_e32 v4, 3, v4, vcc_lo
	v_and_b32_e32 v2, 0xfc, v2
	s_delay_alu instid0(VALU_DEP_2) | instskip(NEXT) | instid1(VALU_DEP_2)
	v_cmp_eq_u64_e32 vcc_lo, 0, v[4:5]
	v_and_or_b32 v2, v4, 3, v2
	s_and_b32 s13, s13, vcc_lo
	s_delay_alu instid0(VALU_DEP_1) | instid1(SALU_CYCLE_1)
	v_cndmask_b32_e64 v2, v2, 0, s13
	s_delay_alu instid0(VALU_DEP_1)
	v_or_b32_e32 v30, v2, v14
.LBB4_3483:                             ;   in Loop: Header=BB4_3365 Depth=4
	s_or_b32 exec_lo, exec_lo, s77
                                        ; implicit-def: $vgpr14
.LBB4_3484:                             ;   in Loop: Header=BB4_3365 Depth=4
	s_and_not1_saveexec_b32 s13, s76
; %bb.3485:                             ;   in Loop: Header=BB4_3365 Depth=4
	v_or_b32_e32 v30, 0x7b, v14
; %bb.3486:                             ;   in Loop: Header=BB4_3365 Depth=4
	s_or_b32 exec_lo, exec_lo, s13
                                        ; implicit-def: $vgpr4
                                        ; implicit-def: $vgpr5
.LBB4_3487:                             ;   in Loop: Header=BB4_3365 Depth=4
	s_and_not1_saveexec_b32 s13, s75
	s_cbranch_execz .LBB4_3493
; %bb.3488:                             ;   in Loop: Header=BB4_3365 Depth=4
	s_mov_b32 s75, exec_lo
                                        ; implicit-def: $vgpr30
	v_cmpx_ne_u64_e32 0, v[2:3]
	s_xor_b32 s75, exec_lo, s75
; %bb.3489:                             ;   in Loop: Header=BB4_3365 Depth=4
	v_or_b32_e32 v30, 0x7f, v5
                                        ; implicit-def: $vgpr4
; %bb.3490:                             ;   in Loop: Header=BB4_3365 Depth=4
	s_and_not1_saveexec_b32 s75, s75
; %bb.3491:                             ;   in Loop: Header=BB4_3365 Depth=4
	v_cmp_lt_i32_e32 vcc_lo, -1, v4
	v_cndmask_b32_e32 v30, 0xfc, v49, vcc_lo
; %bb.3492:                             ;   in Loop: Header=BB4_3365 Depth=4
	s_or_b32 exec_lo, exec_lo, s75
.LBB4_3493:                             ;   in Loop: Header=BB4_3365 Depth=4
	s_delay_alu instid0(SALU_CYCLE_1) | instskip(SKIP_3) | instid1(VALU_DEP_2)
	s_or_b32 exec_lo, exec_lo, s13
	v_and_b32_e32 v5, 0xff, v9
	v_dual_mov_b32 v2, v9 :: v_dual_mov_b32 v4, 0
	s_mov_b32 s13, exec_lo
	v_cmpx_ne_u16_e32 0, v5
	s_cbranch_execz .LBB4_3503
; %bb.3494:                             ;   in Loop: Header=BB4_3365 Depth=4
	v_bfrev_b32_e32 v4, 1
	s_mov_b32 s75, exec_lo
	v_cmpx_ne_u16_e32 0x80, v5
	s_cbranch_execz .LBB4_3502
; %bb.3495:                             ;   in Loop: Header=BB4_3365 Depth=4
	v_and_b32_e32 v4, 0x7c, v9
	v_and_b32_e32 v5, 3, v9
	s_delay_alu instid0(VALU_DEP_2) | instskip(SKIP_1) | instid1(SALU_CYCLE_1)
	v_cmp_ne_u32_e32 vcc_lo, 0x7c, v4
                                        ; implicit-def: $vgpr4
	s_and_saveexec_b32 s76, vcc_lo
	s_xor_b32 s76, exec_lo, s76
	s_cbranch_execz .LBB4_3499
; %bb.3496:                             ;   in Loop: Header=BB4_3365 Depth=4
	v_bfe_u32 v4, v9, 2, 5
	s_mov_b32 s77, exec_lo
	s_delay_alu instid0(VALU_DEP_1)
	v_cmpx_eq_u32_e32 0, v4
; %bb.3497:                             ;   in Loop: Header=BB4_3365 Depth=4
	v_clz_i32_u32_e32 v4, v5
	s_delay_alu instid0(VALU_DEP_1) | instskip(NEXT) | instid1(VALU_DEP_1)
	v_min_u32_e32 v4, 32, v4
	v_subrev_nc_u32_e32 v5, 29, v4
	v_sub_nc_u32_e32 v4, 30, v4
	s_delay_alu instid0(VALU_DEP_2) | instskip(NEXT) | instid1(VALU_DEP_1)
	v_lshlrev_b64_e32 v[12:13], v5, v[2:3]
	v_and_b32_e32 v5, 3, v12
; %bb.3498:                             ;   in Loop: Header=BB4_3365 Depth=4
	s_or_b32 exec_lo, exec_lo, s77
	v_lshlrev_b32_e32 v12, 24, v9
	s_delay_alu instid0(VALU_DEP_1) | instskip(NEXT) | instid1(VALU_DEP_1)
	v_and_b32_e32 v12, 0x80000000, v12
	v_lshl_add_u32 v4, v4, 23, v12
	s_delay_alu instid0(VALU_DEP_1) | instskip(NEXT) | instid1(VALU_DEP_1)
	v_lshl_or_b32 v4, v5, 21, v4
                                        ; implicit-def: $vgpr5
	v_add_nc_u32_e32 v4, 0x38000000, v4
.LBB4_3499:                             ;   in Loop: Header=BB4_3365 Depth=4
	s_and_not1_saveexec_b32 s76, s76
; %bb.3500:                             ;   in Loop: Header=BB4_3365 Depth=4
	v_bfe_i32 v4, v9, 0, 8
	s_delay_alu instid0(VALU_DEP_1) | instskip(SKIP_2) | instid1(VALU_DEP_2)
	v_cmp_lt_i16_e32 vcc_lo, -1, v4
	v_cndmask_b32_e32 v4, 0xff800000, v48, vcc_lo
	v_cmp_eq_u32_e32 vcc_lo, 0, v5
	v_cndmask_b32_e32 v4, 0x7f800001, v4, vcc_lo
; %bb.3501:                             ;   in Loop: Header=BB4_3365 Depth=4
	s_or_b32 exec_lo, exec_lo, s76
.LBB4_3502:                             ;   in Loop: Header=BB4_3365 Depth=4
	s_delay_alu instid0(SALU_CYCLE_1)
	s_or_b32 exec_lo, exec_lo, s75
.LBB4_3503:                             ;   in Loop: Header=BB4_3365 Depth=4
	s_delay_alu instid0(SALU_CYCLE_1) | instskip(NEXT) | instid1(VALU_DEP_1)
	s_or_b32 exec_lo, exec_lo, s13
	v_dual_mul_f32 v12, s74, v4 :: v_dual_mov_b32 v15, v3
	v_mov_b32_e32 v5, v3
                                        ; implicit-def: $vgpr58
	s_mov_b32 s13, exec_lo
	s_delay_alu instid0(VALU_DEP_2) | instskip(SKIP_2) | instid1(VALU_DEP_3)
	v_and_b32_e32 v14, 0x7f800000, v12
	v_and_b32_e32 v4, 0x7fffff, v12
	v_lshrrev_b32_e32 v13, 24, v12
	v_cmpx_ne_u64_e32 0x7f800000, v[14:15]
	s_xor_b32 s75, exec_lo, s13
	s_cbranch_execz .LBB4_3517
; %bb.3504:                             ;   in Loop: Header=BB4_3365 Depth=4
	v_and_b32_e32 v14, 0x7fffffff, v12
	v_mov_b32_e32 v15, v3
                                        ; implicit-def: $vgpr58
	s_delay_alu instid0(VALU_DEP_1) | instskip(SKIP_2) | instid1(SALU_CYCLE_1)
	v_cmp_gt_u64_e32 vcc_lo, 0x47600001, v[14:15]
	v_and_b32_e32 v14, 0x80, v13
	s_and_saveexec_b32 s13, vcc_lo
	s_xor_b32 s76, exec_lo, s13
	s_cbranch_execz .LBB4_3514
; %bb.3505:                             ;   in Loop: Header=BB4_3365 Depth=4
	v_mov_b32_e32 v58, 0
	s_mov_b32 s77, exec_lo
	v_cmpx_ne_u32_e32 0, v12
	s_cbranch_execz .LBB4_3513
; %bb.3506:                             ;   in Loop: Header=BB4_3365 Depth=4
	v_bfe_u32 v15, v12, 23, 8
	v_or_b32_e32 v31, 0x800000, v4
	s_delay_alu instid0(VALU_DEP_2) | instskip(SKIP_1) | instid1(VALU_DEP_2)
	v_sub_nc_u32_e32 v12, 0x71, v15
	v_cmp_gt_u32_e32 vcc_lo, 0x72, v15
	v_cndmask_b32_e32 v12, 0, v12, vcc_lo
	v_cmp_eq_u32_e32 vcc_lo, 0, v15
	s_delay_alu instid0(VALU_DEP_2) | instskip(NEXT) | instid1(VALU_DEP_1)
	v_cndmask_b32_e64 v21, v12, 0x70, vcc_lo
	v_dual_cndmask_b32 v4, v31, v4, vcc_lo :: v_dual_add_nc_u32 v12, 21, v21
	v_add_nc_u32_e32 v50, 20, v21
	s_delay_alu instid0(VALU_DEP_2) | instskip(NEXT) | instid1(VALU_DEP_2)
	v_lshlrev_b64_e64 v[12:13], v12, -1
	v_lshlrev_b64_e64 v[50:51], v50, 1
	s_delay_alu instid0(VALU_DEP_2) | instskip(SKIP_1) | instid1(VALU_DEP_4)
	v_bfi_b32 v12, v12, 0, v4
	v_lshrrev_b64 v[4:5], v21, v[4:5]
	v_bfi_b32 v13, v13, 0, 0
	s_delay_alu instid0(VALU_DEP_1) | instskip(NEXT) | instid1(VALU_DEP_3)
	v_cmp_eq_u64_e64 s13, v[12:13], v[50:51]
	v_mov_b64_e32 v[12:13], v[4:5]
	s_and_saveexec_b32 s78, s13
; %bb.3507:                             ;   in Loop: Header=BB4_3365 Depth=4
	v_bfe_u32 v12, v4, 21, 1
	v_mov_b32_e32 v13, v3
	s_delay_alu instid0(VALU_DEP_1) | instskip(NEXT) | instid1(VALU_DEP_1)
	v_add_nc_u64_e32 v[12:13], v[4:5], v[12:13]
	v_add_nc_u64_e32 v[12:13], -1, v[12:13]
; %bb.3508:                             ;   in Loop: Header=BB4_3365 Depth=4
	s_or_b32 exec_lo, exec_lo, s78
	v_add_nc_u32_e32 v5, 0xffffff81, v15
	v_lshrrev_b32_e32 v13, 23, v4
	s_mov_b32 s13, exec_lo
	s_delay_alu instid0(VALU_DEP_2) | instskip(NEXT) | instid1(VALU_DEP_1)
	v_cndmask_b32_e64 v5, v5, 0xffffff82, vcc_lo
	v_add3_u32 v13, v21, v5, v13
	v_and_b32_e32 v5, 0x1fffff, v12
                                        ; implicit-def: $vgpr12
	s_delay_alu instid0(VALU_DEP_1) | instskip(SKIP_1) | instid1(VALU_DEP_2)
	v_dual_add_nc_u32 v15, 14, v13 :: v_dual_add_nc_u32 v4, v5, v4
	v_mov_b32_e32 v5, v3
	v_cmpx_ne_u32_e32 0, v15
	s_xor_b32 s13, exec_lo, s13
; %bb.3509:                             ;   in Loop: Header=BB4_3365 Depth=4
	s_delay_alu instid0(VALU_DEP_2) | instskip(SKIP_2) | instid1(VALU_DEP_2)
	v_cmp_lt_u64_e32 vcc_lo, 0xffffff, v[4:5]
	v_add_nc_u32_e32 v12, 15, v13
	v_cndmask_b32_e64 v13, 0, 1, vcc_lo
	v_cndmask_b32_e32 v12, v15, v12, vcc_lo
	s_delay_alu instid0(VALU_DEP_2)
	v_lshrrev_b64 v[4:5], v13, v[4:5]
; %bb.3510:                             ;   in Loop: Header=BB4_3365 Depth=4
	s_and_not1_saveexec_b32 s13, s13
; %bb.3511:                             ;   in Loop: Header=BB4_3365 Depth=4
	s_delay_alu instid0(VALU_DEP_1)
	v_bfe_u32 v12, v4, 23, 1
; %bb.3512:                             ;   in Loop: Header=BB4_3365 Depth=4
	s_or_b32 exec_lo, exec_lo, s13
	s_delay_alu instid0(VALU_DEP_2) | instskip(NEXT) | instid1(VALU_DEP_2)
	v_lshrrev_b64 v[4:5], 21, v[4:5]
	v_cmp_gt_i32_e32 vcc_lo, 32, v12
	v_min_i32_e32 v13, 31, v12
	v_cmp_eq_u32_e64 s13, 0, v12
	s_delay_alu instid0(VALU_DEP_4) | instskip(NEXT) | instid1(VALU_DEP_3)
	v_cndmask_b32_e32 v5, 0, v5, vcc_lo
	v_dual_cndmask_b32 v4, 3, v4 :: v_dual_lshlrev_b32 v13, 2, v13
	s_delay_alu instid0(VALU_DEP_1) | instskip(NEXT) | instid1(VALU_DEP_2)
	v_and_b32_e32 v13, 0xfc, v13
	v_cmp_eq_u64_e32 vcc_lo, 0, v[4:5]
	s_delay_alu instid0(VALU_DEP_2)
	v_and_or_b32 v4, v4, 3, v13
	s_and_b32 s13, s13, vcc_lo
	s_delay_alu instid0(VALU_DEP_1) | instid1(SALU_CYCLE_1)
	v_cndmask_b32_e64 v4, v4, 0, s13
	s_delay_alu instid0(VALU_DEP_1)
	v_or_b32_e32 v58, v4, v14
.LBB4_3513:                             ;   in Loop: Header=BB4_3365 Depth=4
	s_or_b32 exec_lo, exec_lo, s77
                                        ; implicit-def: $vgpr14
.LBB4_3514:                             ;   in Loop: Header=BB4_3365 Depth=4
	s_and_not1_saveexec_b32 s13, s76
; %bb.3515:                             ;   in Loop: Header=BB4_3365 Depth=4
	v_or_b32_e32 v58, 0x7b, v14
; %bb.3516:                             ;   in Loop: Header=BB4_3365 Depth=4
	s_or_b32 exec_lo, exec_lo, s13
                                        ; implicit-def: $vgpr12
                                        ; implicit-def: $vgpr4_vgpr5
                                        ; implicit-def: $vgpr13
.LBB4_3517:                             ;   in Loop: Header=BB4_3365 Depth=4
	s_and_not1_saveexec_b32 s13, s75
	s_cbranch_execz .LBB4_3523
; %bb.3518:                             ;   in Loop: Header=BB4_3365 Depth=4
	s_mov_b32 s75, exec_lo
                                        ; implicit-def: $vgpr58
	v_cmpx_ne_u64_e32 0, v[4:5]
	s_xor_b32 s75, exec_lo, s75
; %bb.3519:                             ;   in Loop: Header=BB4_3365 Depth=4
	v_or_b32_e32 v58, 0x7f, v13
                                        ; implicit-def: $vgpr12
; %bb.3520:                             ;   in Loop: Header=BB4_3365 Depth=4
	s_and_not1_saveexec_b32 s75, s75
; %bb.3521:                             ;   in Loop: Header=BB4_3365 Depth=4
	v_cmp_lt_i32_e32 vcc_lo, -1, v12
	v_cndmask_b32_e32 v58, 0xfc, v49, vcc_lo
; %bb.3522:                             ;   in Loop: Header=BB4_3365 Depth=4
	s_or_b32 exec_lo, exec_lo, s75
.LBB4_3523:                             ;   in Loop: Header=BB4_3365 Depth=4
	s_delay_alu instid0(SALU_CYCLE_1) | instskip(SKIP_3) | instid1(VALU_DEP_2)
	s_or_b32 exec_lo, exec_lo, s13
	v_lshrrev_b16 v4, 8, v2
	v_mov_b32_e32 v12, 0
	s_mov_b32 s13, exec_lo
	v_cmpx_ne_u16_e32 0, v4
	s_cbranch_execz .LBB4_3533
; %bb.3524:                             ;   in Loop: Header=BB4_3365 Depth=4
	v_bfrev_b32_e32 v12, 1
	s_mov_b32 s75, exec_lo
	v_cmpx_ne_u16_e32 0x80, v4
	s_cbranch_execz .LBB4_3532
; %bb.3525:                             ;   in Loop: Header=BB4_3365 Depth=4
	v_and_b32_e32 v13, 0xffff, v4
	s_delay_alu instid0(VALU_DEP_1) | instskip(SKIP_1) | instid1(VALU_DEP_2)
	v_and_b32_e32 v12, 0x7c, v13
	v_and_b32_e32 v5, 3, v13
	v_cmp_ne_u32_e32 vcc_lo, 0x7c, v12
                                        ; implicit-def: $vgpr12
	s_and_saveexec_b32 s76, vcc_lo
	s_delay_alu instid0(SALU_CYCLE_1)
	s_xor_b32 s76, exec_lo, s76
	s_cbranch_execz .LBB4_3529
; %bb.3526:                             ;   in Loop: Header=BB4_3365 Depth=4
	v_bfe_u32 v12, v13, 2, 5
	s_mov_b32 s77, exec_lo
	s_delay_alu instid0(VALU_DEP_1)
	v_cmpx_eq_u32_e32 0, v12
	s_cbranch_execz .LBB4_3528
; %bb.3527:                             ;   in Loop: Header=BB4_3365 Depth=4
	v_clz_i32_u32_e32 v5, v5
	s_delay_alu instid0(VALU_DEP_1) | instskip(SKIP_1) | instid1(VALU_DEP_2)
	v_min_u32_e32 v12, 32, v5
	v_mov_b32_e32 v5, v3
	v_subrev_nc_u32_e32 v13, 29, v12
	v_sub_nc_u32_e32 v12, 30, v12
	s_delay_alu instid0(VALU_DEP_2) | instskip(NEXT) | instid1(VALU_DEP_1)
	v_lshlrev_b64_e32 v[4:5], v13, v[4:5]
	v_and_b32_e32 v5, 3, v4
.LBB4_3528:                             ;   in Loop: Header=BB4_3365 Depth=4
	s_or_b32 exec_lo, exec_lo, s77
	v_lshlrev_b32_e32 v2, 16, v2
	s_delay_alu instid0(VALU_DEP_1) | instskip(NEXT) | instid1(VALU_DEP_1)
	v_and_b32_e32 v2, 0x80000000, v2
	v_lshl_add_u32 v2, v12, 23, v2
	s_delay_alu instid0(VALU_DEP_1) | instskip(NEXT) | instid1(VALU_DEP_1)
	v_lshl_or_b32 v2, v5, 21, v2
                                        ; implicit-def: $vgpr5
	v_add_nc_u32_e32 v12, 0x38000000, v2
.LBB4_3529:                             ;   in Loop: Header=BB4_3365 Depth=4
	s_and_not1_saveexec_b32 s76, s76
; %bb.3530:                             ;   in Loop: Header=BB4_3365 Depth=4
	v_cmp_lt_i16_e32 vcc_lo, -1, v2
	v_cndmask_b32_e32 v2, 0xff800000, v48, vcc_lo
	v_cmp_eq_u32_e32 vcc_lo, 0, v5
	s_delay_alu instid0(VALU_DEP_2)
	v_cndmask_b32_e32 v12, 0x7f800001, v2, vcc_lo
; %bb.3531:                             ;   in Loop: Header=BB4_3365 Depth=4
	s_or_b32 exec_lo, exec_lo, s76
.LBB4_3532:                             ;   in Loop: Header=BB4_3365 Depth=4
	s_delay_alu instid0(SALU_CYCLE_1)
	s_or_b32 exec_lo, exec_lo, s75
.LBB4_3533:                             ;   in Loop: Header=BB4_3365 Depth=4
	s_delay_alu instid0(SALU_CYCLE_1) | instskip(NEXT) | instid1(VALU_DEP_1)
	s_or_b32 exec_lo, exec_lo, s13
	v_dual_mul_f32 v4, s74, v12 :: v_dual_mov_b32 v13, v3
                                        ; implicit-def: $vgpr62
	s_mov_b32 s13, exec_lo
	s_delay_alu instid0(VALU_DEP_1) | instskip(SKIP_2) | instid1(VALU_DEP_3)
	v_and_b32_e32 v12, 0x7f800000, v4
	v_and_b32_e32 v2, 0x7fffff, v4
	v_lshrrev_b32_e32 v5, 24, v4
	v_cmpx_ne_u64_e32 0x7f800000, v[12:13]
	s_xor_b32 s75, exec_lo, s13
	s_cbranch_execz .LBB4_3547
; %bb.3534:                             ;   in Loop: Header=BB4_3365 Depth=4
	v_and_b32_e32 v12, 0x7fffffff, v4
	v_mov_b32_e32 v13, v3
	v_and_b32_e32 v14, 0x80, v5
                                        ; implicit-def: $vgpr62
	s_mov_b32 s13, exec_lo
	s_delay_alu instid0(VALU_DEP_2)
	v_cmpx_gt_u64_e32 0x47600001, v[12:13]
	s_xor_b32 s76, exec_lo, s13
	s_cbranch_execz .LBB4_3544
; %bb.3535:                             ;   in Loop: Header=BB4_3365 Depth=4
	v_mov_b32_e32 v62, 0
	s_mov_b32 s77, exec_lo
	v_cmpx_ne_u32_e32 0, v4
	s_cbranch_execz .LBB4_3543
; %bb.3536:                             ;   in Loop: Header=BB4_3365 Depth=4
	v_bfe_u32 v15, v4, 23, 8
	v_or_b32_e32 v12, 0x800000, v2
	s_mov_b32 s78, exec_lo
	s_delay_alu instid0(VALU_DEP_2) | instskip(SKIP_1) | instid1(VALU_DEP_2)
	v_dual_mov_b32 v13, v3 :: v_dual_sub_nc_u32 v4, 0x71, v15
	v_cmp_gt_u32_e32 vcc_lo, 0x72, v15
	v_cndmask_b32_e32 v4, 0, v4, vcc_lo
	v_cmp_eq_u32_e32 vcc_lo, 0, v15
	s_delay_alu instid0(VALU_DEP_2) | instskip(NEXT) | instid1(VALU_DEP_1)
	v_cndmask_b32_e64 v21, v4, 0x70, vcc_lo
	v_dual_cndmask_b32 v12, v12, v2, vcc_lo :: v_dual_add_nc_u32 v4, 21, v21
	v_add_nc_u32_e32 v31, 20, v21
	s_delay_alu instid0(VALU_DEP_2) | instskip(NEXT) | instid1(VALU_DEP_2)
	v_lshlrev_b64_e64 v[4:5], v4, -1
	v_lshlrev_b64_e64 v[50:51], v31, 1
	s_delay_alu instid0(VALU_DEP_2) | instskip(NEXT) | instid1(VALU_DEP_3)
	v_bfi_b32 v65, v5, 0, 0
	v_bfi_b32 v64, v4, 0, v12
	v_lshrrev_b64 v[4:5], v21, v[12:13]
	s_delay_alu instid0(VALU_DEP_1) | instskip(NEXT) | instid1(VALU_DEP_3)
	v_mov_b64_e32 v[12:13], v[4:5]
	v_cmpx_eq_u64_e64 v[64:65], v[50:51]
; %bb.3537:                             ;   in Loop: Header=BB4_3365 Depth=4
	v_bfe_u32 v12, v4, 21, 1
	v_mov_b32_e32 v13, v3
	s_delay_alu instid0(VALU_DEP_1) | instskip(NEXT) | instid1(VALU_DEP_1)
	v_add_nc_u64_e32 v[12:13], v[4:5], v[12:13]
	v_add_nc_u64_e32 v[12:13], -1, v[12:13]
; %bb.3538:                             ;   in Loop: Header=BB4_3365 Depth=4
	s_or_b32 exec_lo, exec_lo, s78
	v_add_nc_u32_e32 v2, 0xffffff81, v15
	v_lshrrev_b32_e32 v5, 23, v4
	s_mov_b32 s13, exec_lo
	s_delay_alu instid0(VALU_DEP_2) | instskip(NEXT) | instid1(VALU_DEP_1)
	v_cndmask_b32_e64 v2, v2, 0xffffff82, vcc_lo
	v_add3_u32 v13, v21, v2, v5
	v_and_b32_e32 v2, 0x1fffff, v12
                                        ; implicit-def: $vgpr12
	s_delay_alu instid0(VALU_DEP_1) | instskip(NEXT) | instid1(VALU_DEP_1)
	v_dual_add_nc_u32 v15, 14, v13 :: v_dual_add_nc_u32 v2, v2, v4
                                        ; implicit-def: $vgpr4_vgpr5
	v_cmpx_ne_u32_e32 0, v15
	s_xor_b32 s13, exec_lo, s13
; %bb.3539:                             ;   in Loop: Header=BB4_3365 Depth=4
	s_delay_alu instid0(VALU_DEP_2) | instskip(SKIP_1) | instid1(VALU_DEP_1)
	v_cmp_lt_u64_e32 vcc_lo, 0xffffff, v[2:3]
	v_add_nc_u32_e32 v4, 15, v13
	v_cndmask_b32_e32 v12, v15, v4, vcc_lo
	v_cndmask_b32_e64 v4, 0, 1, vcc_lo
	s_delay_alu instid0(VALU_DEP_1)
	v_lshrrev_b64 v[4:5], v4, v[2:3]
; %bb.3540:                             ;   in Loop: Header=BB4_3365 Depth=4
	s_and_not1_saveexec_b32 s13, s13
; %bb.3541:                             ;   in Loop: Header=BB4_3365 Depth=4
	v_mov_b64_e32 v[4:5], v[2:3]
	v_bfe_u32 v12, v2, 23, 1
; %bb.3542:                             ;   in Loop: Header=BB4_3365 Depth=4
	s_or_b32 exec_lo, exec_lo, s13
	s_delay_alu instid0(VALU_DEP_2) | instskip(NEXT) | instid1(VALU_DEP_2)
	v_lshrrev_b64 v[4:5], 21, v[4:5]
	v_cmp_gt_i32_e32 vcc_lo, 32, v12
	v_min_i32_e32 v2, 31, v12
	v_cmp_eq_u32_e64 s13, 0, v12
	s_delay_alu instid0(VALU_DEP_2) | instskip(SKIP_1) | instid1(VALU_DEP_2)
	v_dual_cndmask_b32 v5, 0, v5 :: v_dual_lshlrev_b32 v2, 2, v2
	v_cndmask_b32_e32 v4, 3, v4, vcc_lo
	v_and_b32_e32 v2, 0xfc, v2
	s_delay_alu instid0(VALU_DEP_2) | instskip(NEXT) | instid1(VALU_DEP_2)
	v_cmp_eq_u64_e32 vcc_lo, 0, v[4:5]
	v_and_or_b32 v2, v4, 3, v2
	s_and_b32 s13, s13, vcc_lo
	s_delay_alu instid0(VALU_DEP_1) | instid1(SALU_CYCLE_1)
	v_cndmask_b32_e64 v2, v2, 0, s13
	s_delay_alu instid0(VALU_DEP_1)
	v_or_b32_e32 v62, v2, v14
.LBB4_3543:                             ;   in Loop: Header=BB4_3365 Depth=4
	s_or_b32 exec_lo, exec_lo, s77
                                        ; implicit-def: $vgpr14
.LBB4_3544:                             ;   in Loop: Header=BB4_3365 Depth=4
	s_and_not1_saveexec_b32 s13, s76
; %bb.3545:                             ;   in Loop: Header=BB4_3365 Depth=4
	v_or_b32_e32 v62, 0x7b, v14
; %bb.3546:                             ;   in Loop: Header=BB4_3365 Depth=4
	s_or_b32 exec_lo, exec_lo, s13
                                        ; implicit-def: $vgpr4
                                        ; implicit-def: $vgpr5
.LBB4_3547:                             ;   in Loop: Header=BB4_3365 Depth=4
	s_and_not1_saveexec_b32 s13, s75
	s_cbranch_execz .LBB4_3553
; %bb.3548:                             ;   in Loop: Header=BB4_3365 Depth=4
	s_mov_b32 s75, exec_lo
                                        ; implicit-def: $vgpr62
	v_cmpx_ne_u64_e32 0, v[2:3]
	s_xor_b32 s75, exec_lo, s75
; %bb.3549:                             ;   in Loop: Header=BB4_3365 Depth=4
	v_or_b32_e32 v62, 0x7f, v5
                                        ; implicit-def: $vgpr4
; %bb.3550:                             ;   in Loop: Header=BB4_3365 Depth=4
	s_and_not1_saveexec_b32 s75, s75
; %bb.3551:                             ;   in Loop: Header=BB4_3365 Depth=4
	v_cmp_lt_i32_e32 vcc_lo, -1, v4
	v_cndmask_b32_e32 v62, 0xfc, v49, vcc_lo
; %bb.3552:                             ;   in Loop: Header=BB4_3365 Depth=4
	s_or_b32 exec_lo, exec_lo, s75
.LBB4_3553:                             ;   in Loop: Header=BB4_3365 Depth=4
	s_delay_alu instid0(SALU_CYCLE_1) | instskip(SKIP_2) | instid1(VALU_DEP_1)
	s_or_b32 exec_lo, exec_lo, s13
	v_dual_lshrrev_b32 v2, 16, v9 :: v_dual_mov_b32 v4, 0
	s_mov_b32 s13, exec_lo
	v_and_b32_e32 v5, 0xff, v2
	s_delay_alu instid0(VALU_DEP_1)
	v_cmpx_ne_u16_e32 0, v5
	s_cbranch_execz .LBB4_3563
; %bb.3554:                             ;   in Loop: Header=BB4_3365 Depth=4
	v_bfrev_b32_e32 v4, 1
	s_mov_b32 s75, exec_lo
	v_cmpx_ne_u16_e32 0x80, v5
	s_cbranch_execz .LBB4_3562
; %bb.3555:                             ;   in Loop: Header=BB4_3365 Depth=4
	v_and_b32_e32 v4, 0x7c0000, v9
	v_bfe_u32 v5, v9, 16, 2
	s_delay_alu instid0(VALU_DEP_2) | instskip(SKIP_1) | instid1(SALU_CYCLE_1)
	v_cmp_ne_u32_e32 vcc_lo, 0x7c0000, v4
                                        ; implicit-def: $vgpr4
	s_and_saveexec_b32 s76, vcc_lo
	s_xor_b32 s76, exec_lo, s76
	s_cbranch_execz .LBB4_3559
; %bb.3556:                             ;   in Loop: Header=BB4_3365 Depth=4
	v_bfe_u32 v4, v9, 18, 5
	s_mov_b32 s77, exec_lo
	s_delay_alu instid0(VALU_DEP_1)
	v_cmpx_eq_u32_e32 0, v4
; %bb.3557:                             ;   in Loop: Header=BB4_3365 Depth=4
	v_clz_i32_u32_e32 v4, v5
	s_delay_alu instid0(VALU_DEP_1) | instskip(NEXT) | instid1(VALU_DEP_1)
	v_min_u32_e32 v4, 32, v4
	v_subrev_nc_u32_e32 v5, 29, v4
	v_sub_nc_u32_e32 v4, 30, v4
	s_delay_alu instid0(VALU_DEP_2) | instskip(NEXT) | instid1(VALU_DEP_1)
	v_lshlrev_b64_e32 v[12:13], v5, v[2:3]
	v_and_b32_e32 v5, 3, v12
; %bb.3558:                             ;   in Loop: Header=BB4_3365 Depth=4
	s_or_b32 exec_lo, exec_lo, s77
	v_lshlrev_b32_e32 v2, 24, v2
	s_delay_alu instid0(VALU_DEP_1) | instskip(NEXT) | instid1(VALU_DEP_1)
	v_and_b32_e32 v2, 0x80000000, v2
	v_lshl_add_u32 v2, v4, 23, v2
	s_delay_alu instid0(VALU_DEP_1) | instskip(NEXT) | instid1(VALU_DEP_1)
	v_lshl_or_b32 v2, v5, 21, v2
                                        ; implicit-def: $vgpr5
	v_add_nc_u32_e32 v4, 0x38000000, v2
                                        ; implicit-def: $vgpr2
.LBB4_3559:                             ;   in Loop: Header=BB4_3365 Depth=4
	s_and_not1_saveexec_b32 s76, s76
; %bb.3560:                             ;   in Loop: Header=BB4_3365 Depth=4
	v_bfe_i32 v2, v2, 0, 8
	s_delay_alu instid0(VALU_DEP_1) | instskip(SKIP_2) | instid1(VALU_DEP_2)
	v_cmp_lt_i16_e32 vcc_lo, -1, v2
	v_cndmask_b32_e32 v2, 0xff800000, v48, vcc_lo
	v_cmp_eq_u32_e32 vcc_lo, 0, v5
	v_cndmask_b32_e32 v4, 0x7f800001, v2, vcc_lo
; %bb.3561:                             ;   in Loop: Header=BB4_3365 Depth=4
	s_or_b32 exec_lo, exec_lo, s76
.LBB4_3562:                             ;   in Loop: Header=BB4_3365 Depth=4
	s_delay_alu instid0(SALU_CYCLE_1)
	s_or_b32 exec_lo, exec_lo, s75
.LBB4_3563:                             ;   in Loop: Header=BB4_3365 Depth=4
	s_delay_alu instid0(SALU_CYCLE_1) | instskip(NEXT) | instid1(VALU_DEP_1)
	s_or_b32 exec_lo, exec_lo, s13
	v_dual_mul_f32 v4, s74, v4 :: v_dual_mov_b32 v13, v3
                                        ; implicit-def: $vgpr88
	s_mov_b32 s13, exec_lo
	s_delay_alu instid0(VALU_DEP_1) | instskip(SKIP_2) | instid1(VALU_DEP_3)
	v_and_b32_e32 v12, 0x7f800000, v4
	v_and_b32_e32 v2, 0x7fffff, v4
	v_lshrrev_b32_e32 v5, 24, v4
	v_cmpx_ne_u64_e32 0x7f800000, v[12:13]
	s_xor_b32 s75, exec_lo, s13
	s_cbranch_execz .LBB4_3577
; %bb.3564:                             ;   in Loop: Header=BB4_3365 Depth=4
	v_and_b32_e32 v12, 0x7fffffff, v4
	v_mov_b32_e32 v13, v3
	v_and_b32_e32 v14, 0x80, v5
                                        ; implicit-def: $vgpr88
	s_mov_b32 s13, exec_lo
	s_delay_alu instid0(VALU_DEP_2)
	v_cmpx_gt_u64_e32 0x47600001, v[12:13]
	s_xor_b32 s76, exec_lo, s13
	s_cbranch_execz .LBB4_3574
; %bb.3565:                             ;   in Loop: Header=BB4_3365 Depth=4
	v_mov_b32_e32 v88, 0
	s_mov_b32 s77, exec_lo
	v_cmpx_ne_u32_e32 0, v4
	s_cbranch_execz .LBB4_3573
; %bb.3566:                             ;   in Loop: Header=BB4_3365 Depth=4
	v_bfe_u32 v15, v4, 23, 8
	v_or_b32_e32 v12, 0x800000, v2
	s_mov_b32 s78, exec_lo
	s_delay_alu instid0(VALU_DEP_2) | instskip(SKIP_1) | instid1(VALU_DEP_2)
	v_dual_mov_b32 v13, v3 :: v_dual_sub_nc_u32 v4, 0x71, v15
	v_cmp_gt_u32_e32 vcc_lo, 0x72, v15
	v_cndmask_b32_e32 v4, 0, v4, vcc_lo
	v_cmp_eq_u32_e32 vcc_lo, 0, v15
	s_delay_alu instid0(VALU_DEP_2) | instskip(NEXT) | instid1(VALU_DEP_1)
	v_cndmask_b32_e64 v21, v4, 0x70, vcc_lo
	v_dual_cndmask_b32 v12, v12, v2, vcc_lo :: v_dual_add_nc_u32 v4, 21, v21
	v_add_nc_u32_e32 v31, 20, v21
	s_delay_alu instid0(VALU_DEP_2) | instskip(NEXT) | instid1(VALU_DEP_2)
	v_lshlrev_b64_e64 v[4:5], v4, -1
	v_lshlrev_b64_e64 v[50:51], v31, 1
	s_delay_alu instid0(VALU_DEP_2) | instskip(NEXT) | instid1(VALU_DEP_3)
	v_bfi_b32 v65, v5, 0, 0
	v_bfi_b32 v64, v4, 0, v12
	v_lshrrev_b64 v[4:5], v21, v[12:13]
	s_delay_alu instid0(VALU_DEP_1) | instskip(NEXT) | instid1(VALU_DEP_3)
	v_mov_b64_e32 v[12:13], v[4:5]
	v_cmpx_eq_u64_e64 v[64:65], v[50:51]
; %bb.3567:                             ;   in Loop: Header=BB4_3365 Depth=4
	v_bfe_u32 v12, v4, 21, 1
	v_mov_b32_e32 v13, v3
	s_delay_alu instid0(VALU_DEP_1) | instskip(NEXT) | instid1(VALU_DEP_1)
	v_add_nc_u64_e32 v[12:13], v[4:5], v[12:13]
	v_add_nc_u64_e32 v[12:13], -1, v[12:13]
; %bb.3568:                             ;   in Loop: Header=BB4_3365 Depth=4
	s_or_b32 exec_lo, exec_lo, s78
	v_add_nc_u32_e32 v2, 0xffffff81, v15
	v_lshrrev_b32_e32 v5, 23, v4
	s_mov_b32 s13, exec_lo
	s_delay_alu instid0(VALU_DEP_2) | instskip(NEXT) | instid1(VALU_DEP_1)
	v_cndmask_b32_e64 v2, v2, 0xffffff82, vcc_lo
	v_add3_u32 v13, v21, v2, v5
	v_and_b32_e32 v2, 0x1fffff, v12
                                        ; implicit-def: $vgpr12
	s_delay_alu instid0(VALU_DEP_1) | instskip(NEXT) | instid1(VALU_DEP_1)
	v_dual_add_nc_u32 v15, 14, v13 :: v_dual_add_nc_u32 v2, v2, v4
                                        ; implicit-def: $vgpr4_vgpr5
	v_cmpx_ne_u32_e32 0, v15
	s_xor_b32 s13, exec_lo, s13
; %bb.3569:                             ;   in Loop: Header=BB4_3365 Depth=4
	s_delay_alu instid0(VALU_DEP_2) | instskip(SKIP_1) | instid1(VALU_DEP_1)
	v_cmp_lt_u64_e32 vcc_lo, 0xffffff, v[2:3]
	v_add_nc_u32_e32 v4, 15, v13
	v_cndmask_b32_e32 v12, v15, v4, vcc_lo
	v_cndmask_b32_e64 v4, 0, 1, vcc_lo
	s_delay_alu instid0(VALU_DEP_1)
	v_lshrrev_b64 v[4:5], v4, v[2:3]
; %bb.3570:                             ;   in Loop: Header=BB4_3365 Depth=4
	s_and_not1_saveexec_b32 s13, s13
; %bb.3571:                             ;   in Loop: Header=BB4_3365 Depth=4
	v_mov_b64_e32 v[4:5], v[2:3]
	v_bfe_u32 v12, v2, 23, 1
; %bb.3572:                             ;   in Loop: Header=BB4_3365 Depth=4
	s_or_b32 exec_lo, exec_lo, s13
	s_delay_alu instid0(VALU_DEP_2) | instskip(NEXT) | instid1(VALU_DEP_2)
	v_lshrrev_b64 v[4:5], 21, v[4:5]
	v_cmp_gt_i32_e32 vcc_lo, 32, v12
	v_min_i32_e32 v2, 31, v12
	v_cmp_eq_u32_e64 s13, 0, v12
	s_delay_alu instid0(VALU_DEP_2) | instskip(SKIP_1) | instid1(VALU_DEP_2)
	v_dual_cndmask_b32 v5, 0, v5 :: v_dual_lshlrev_b32 v2, 2, v2
	v_cndmask_b32_e32 v4, 3, v4, vcc_lo
	v_and_b32_e32 v2, 0xfc, v2
	s_delay_alu instid0(VALU_DEP_2) | instskip(NEXT) | instid1(VALU_DEP_2)
	v_cmp_eq_u64_e32 vcc_lo, 0, v[4:5]
	v_and_or_b32 v2, v4, 3, v2
	s_and_b32 s13, s13, vcc_lo
	s_delay_alu instid0(VALU_DEP_1) | instid1(SALU_CYCLE_1)
	v_cndmask_b32_e64 v2, v2, 0, s13
	s_delay_alu instid0(VALU_DEP_1)
	v_or_b32_e32 v88, v2, v14
.LBB4_3573:                             ;   in Loop: Header=BB4_3365 Depth=4
	s_or_b32 exec_lo, exec_lo, s77
                                        ; implicit-def: $vgpr14
.LBB4_3574:                             ;   in Loop: Header=BB4_3365 Depth=4
	s_and_not1_saveexec_b32 s13, s76
; %bb.3575:                             ;   in Loop: Header=BB4_3365 Depth=4
	v_or_b32_e32 v88, 0x7b, v14
; %bb.3576:                             ;   in Loop: Header=BB4_3365 Depth=4
	s_or_b32 exec_lo, exec_lo, s13
                                        ; implicit-def: $vgpr4
                                        ; implicit-def: $vgpr5
.LBB4_3577:                             ;   in Loop: Header=BB4_3365 Depth=4
	s_and_not1_saveexec_b32 s13, s75
	s_cbranch_execz .LBB4_3583
; %bb.3578:                             ;   in Loop: Header=BB4_3365 Depth=4
	s_mov_b32 s75, exec_lo
                                        ; implicit-def: $vgpr88
	v_cmpx_ne_u64_e32 0, v[2:3]
	s_xor_b32 s75, exec_lo, s75
; %bb.3579:                             ;   in Loop: Header=BB4_3365 Depth=4
	v_or_b32_e32 v88, 0x7f, v5
                                        ; implicit-def: $vgpr4
; %bb.3580:                             ;   in Loop: Header=BB4_3365 Depth=4
	s_and_not1_saveexec_b32 s75, s75
; %bb.3581:                             ;   in Loop: Header=BB4_3365 Depth=4
	v_cmp_lt_i32_e32 vcc_lo, -1, v4
	v_cndmask_b32_e32 v88, 0xfc, v49, vcc_lo
; %bb.3582:                             ;   in Loop: Header=BB4_3365 Depth=4
	s_or_b32 exec_lo, exec_lo, s75
.LBB4_3583:                             ;   in Loop: Header=BB4_3365 Depth=4
	s_delay_alu instid0(SALU_CYCLE_1)
	s_or_b32 exec_lo, exec_lo, s13
	v_mov_b32_e32 v4, 0
	s_mov_b32 s13, exec_lo
	v_cmpx_lt_u64_e64 s[22:23], v[8:9]
	s_cbranch_execz .LBB4_3593
; %bb.3584:                             ;   in Loop: Header=BB4_3365 Depth=4
	v_lshrrev_b32_e32 v2, 24, v9
	v_bfrev_b32_e32 v4, 1
	s_mov_b32 s75, exec_lo
	s_delay_alu instid0(VALU_DEP_2)
	v_cmpx_ne_u32_e32 0x80, v2
	s_cbranch_execz .LBB4_3592
; %bb.3585:                             ;   in Loop: Header=BB4_3365 Depth=4
	v_and_b32_e32 v4, 0x7c000000, v9
	v_bfe_u32 v5, v9, 24, 2
	s_delay_alu instid0(VALU_DEP_2) | instskip(SKIP_1) | instid1(SALU_CYCLE_1)
	v_cmp_ne_u32_e32 vcc_lo, 0x7c000000, v4
                                        ; implicit-def: $vgpr4
	s_and_saveexec_b32 s76, vcc_lo
	s_xor_b32 s76, exec_lo, s76
	s_cbranch_execz .LBB4_3589
; %bb.3586:                             ;   in Loop: Header=BB4_3365 Depth=4
	v_bfe_u32 v4, v9, 26, 5
	s_mov_b32 s77, exec_lo
	s_delay_alu instid0(VALU_DEP_1)
	v_cmpx_eq_u32_e32 0, v4
; %bb.3587:                             ;   in Loop: Header=BB4_3365 Depth=4
	v_clz_i32_u32_e32 v4, v5
	s_delay_alu instid0(VALU_DEP_1) | instskip(NEXT) | instid1(VALU_DEP_1)
	v_min_u32_e32 v4, 32, v4
	v_subrev_nc_u32_e32 v5, 29, v4
	v_sub_nc_u32_e32 v4, 30, v4
	s_delay_alu instid0(VALU_DEP_2) | instskip(NEXT) | instid1(VALU_DEP_1)
	v_lshlrev_b64_e32 v[12:13], v5, v[2:3]
	v_and_b32_e32 v5, 3, v12
; %bb.3588:                             ;   in Loop: Header=BB4_3365 Depth=4
	s_or_b32 exec_lo, exec_lo, s77
	v_and_b32_e32 v2, 0x80000000, v9
	s_delay_alu instid0(VALU_DEP_1) | instskip(NEXT) | instid1(VALU_DEP_1)
	v_lshl_add_u32 v2, v4, 23, v2
	v_lshl_or_b32 v2, v5, 21, v2
                                        ; implicit-def: $vgpr5
	s_delay_alu instid0(VALU_DEP_1)
	v_add_nc_u32_e32 v4, 0x38000000, v2
.LBB4_3589:                             ;   in Loop: Header=BB4_3365 Depth=4
	s_and_not1_saveexec_b32 s76, s76
; %bb.3590:                             ;   in Loop: Header=BB4_3365 Depth=4
	v_cmp_lt_i64_e32 vcc_lo, -1, v[8:9]
	v_cndmask_b32_e32 v2, 0xff800000, v48, vcc_lo
	v_cmp_eq_u32_e32 vcc_lo, 0, v5
	s_delay_alu instid0(VALU_DEP_2)
	v_cndmask_b32_e32 v4, 0x7f800001, v2, vcc_lo
; %bb.3591:                             ;   in Loop: Header=BB4_3365 Depth=4
	s_or_b32 exec_lo, exec_lo, s76
.LBB4_3592:                             ;   in Loop: Header=BB4_3365 Depth=4
	s_delay_alu instid0(SALU_CYCLE_1)
	s_or_b32 exec_lo, exec_lo, s75
.LBB4_3593:                             ;   in Loop: Header=BB4_3365 Depth=4
	s_delay_alu instid0(SALU_CYCLE_1) | instskip(NEXT) | instid1(VALU_DEP_1)
	s_or_b32 exec_lo, exec_lo, s13
	v_dual_mul_f32 v4, s74, v4 :: v_dual_mov_b32 v9, v3
                                        ; implicit-def: $vgpr89
	s_mov_b32 s13, exec_lo
	s_delay_alu instid0(VALU_DEP_1) | instskip(SKIP_2) | instid1(VALU_DEP_3)
	v_and_b32_e32 v8, 0x7f800000, v4
	v_and_b32_e32 v2, 0x7fffff, v4
	v_lshrrev_b32_e32 v5, 24, v4
	v_cmpx_ne_u64_e32 0x7f800000, v[8:9]
	s_xor_b32 s75, exec_lo, s13
	s_cbranch_execz .LBB4_3607
; %bb.3594:                             ;   in Loop: Header=BB4_3365 Depth=4
	v_and_b32_e32 v8, 0x7fffffff, v4
	v_mov_b32_e32 v9, v3
	v_and_b32_e32 v12, 0x80, v5
                                        ; implicit-def: $vgpr89
	s_mov_b32 s13, exec_lo
	s_delay_alu instid0(VALU_DEP_2)
	v_cmpx_gt_u64_e32 0x47600001, v[8:9]
	s_xor_b32 s76, exec_lo, s13
	s_cbranch_execz .LBB4_3604
; %bb.3595:                             ;   in Loop: Header=BB4_3365 Depth=4
	v_mov_b32_e32 v89, 0
	s_mov_b32 s77, exec_lo
	v_cmpx_ne_u32_e32 0, v4
	s_cbranch_execz .LBB4_3603
; %bb.3596:                             ;   in Loop: Header=BB4_3365 Depth=4
	v_bfe_u32 v13, v4, 23, 8
	v_or_b32_e32 v8, 0x800000, v2
	s_mov_b32 s78, exec_lo
	s_delay_alu instid0(VALU_DEP_2) | instskip(SKIP_1) | instid1(VALU_DEP_2)
	v_dual_mov_b32 v9, v3 :: v_dual_sub_nc_u32 v4, 0x71, v13
	v_cmp_gt_u32_e32 vcc_lo, 0x72, v13
	v_cndmask_b32_e32 v4, 0, v4, vcc_lo
	v_cmp_eq_u32_e32 vcc_lo, 0, v13
	s_delay_alu instid0(VALU_DEP_2) | instskip(SKIP_1) | instid1(VALU_DEP_2)
	v_cndmask_b32_e64 v14, v4, 0x70, vcc_lo
	v_cndmask_b32_e32 v8, v8, v2, vcc_lo
	v_dual_add_nc_u32 v4, 21, v14 :: v_dual_add_nc_u32 v15, 20, v14
	s_delay_alu instid0(VALU_DEP_1) | instskip(NEXT) | instid1(VALU_DEP_2)
	v_lshlrev_b64_e64 v[4:5], v4, -1
	v_lshlrev_b64_e64 v[50:51], v15, 1
	s_delay_alu instid0(VALU_DEP_2) | instskip(NEXT) | instid1(VALU_DEP_3)
	v_bfi_b32 v65, v5, 0, 0
	v_bfi_b32 v64, v4, 0, v8
	v_lshrrev_b64 v[4:5], v14, v[8:9]
	s_delay_alu instid0(VALU_DEP_1) | instskip(NEXT) | instid1(VALU_DEP_3)
	v_mov_b64_e32 v[8:9], v[4:5]
	v_cmpx_eq_u64_e64 v[64:65], v[50:51]
; %bb.3597:                             ;   in Loop: Header=BB4_3365 Depth=4
	v_bfe_u32 v8, v4, 21, 1
	v_mov_b32_e32 v9, v3
	s_delay_alu instid0(VALU_DEP_1) | instskip(NEXT) | instid1(VALU_DEP_1)
	v_add_nc_u64_e32 v[8:9], v[4:5], v[8:9]
	v_add_nc_u64_e32 v[8:9], -1, v[8:9]
; %bb.3598:                             ;   in Loop: Header=BB4_3365 Depth=4
	s_or_b32 exec_lo, exec_lo, s78
	v_add_nc_u32_e32 v2, 0xffffff81, v13
	v_lshrrev_b32_e32 v5, 23, v4
	s_mov_b32 s13, exec_lo
	s_delay_alu instid0(VALU_DEP_2) | instskip(NEXT) | instid1(VALU_DEP_1)
	v_cndmask_b32_e64 v2, v2, 0xffffff82, vcc_lo
	v_add3_u32 v9, v14, v2, v5
	v_and_b32_e32 v2, 0x1fffff, v8
                                        ; implicit-def: $vgpr8
	s_delay_alu instid0(VALU_DEP_1) | instskip(NEXT) | instid1(VALU_DEP_1)
	v_dual_add_nc_u32 v13, 14, v9 :: v_dual_add_nc_u32 v2, v2, v4
                                        ; implicit-def: $vgpr4_vgpr5
	v_cmpx_ne_u32_e32 0, v13
	s_xor_b32 s13, exec_lo, s13
; %bb.3599:                             ;   in Loop: Header=BB4_3365 Depth=4
	s_delay_alu instid0(VALU_DEP_2) | instskip(SKIP_1) | instid1(VALU_DEP_1)
	v_cmp_lt_u64_e32 vcc_lo, 0xffffff, v[2:3]
	v_add_nc_u32_e32 v4, 15, v9
	v_cndmask_b32_e32 v8, v13, v4, vcc_lo
	v_cndmask_b32_e64 v4, 0, 1, vcc_lo
	s_delay_alu instid0(VALU_DEP_1)
	v_lshrrev_b64 v[4:5], v4, v[2:3]
; %bb.3600:                             ;   in Loop: Header=BB4_3365 Depth=4
	s_and_not1_saveexec_b32 s13, s13
; %bb.3601:                             ;   in Loop: Header=BB4_3365 Depth=4
	v_mov_b64_e32 v[4:5], v[2:3]
	v_bfe_u32 v8, v2, 23, 1
; %bb.3602:                             ;   in Loop: Header=BB4_3365 Depth=4
	s_or_b32 exec_lo, exec_lo, s13
	s_delay_alu instid0(VALU_DEP_2) | instskip(NEXT) | instid1(VALU_DEP_2)
	v_lshrrev_b64 v[4:5], 21, v[4:5]
	v_cmp_gt_i32_e32 vcc_lo, 32, v8
	v_min_i32_e32 v2, 31, v8
	v_cmp_eq_u32_e64 s13, 0, v8
	s_delay_alu instid0(VALU_DEP_2) | instskip(SKIP_1) | instid1(VALU_DEP_2)
	v_dual_cndmask_b32 v5, 0, v5 :: v_dual_lshlrev_b32 v2, 2, v2
	v_cndmask_b32_e32 v4, 3, v4, vcc_lo
	v_and_b32_e32 v2, 0xfc, v2
	s_delay_alu instid0(VALU_DEP_2) | instskip(NEXT) | instid1(VALU_DEP_2)
	v_cmp_eq_u64_e32 vcc_lo, 0, v[4:5]
	v_and_or_b32 v2, v4, 3, v2
	s_and_b32 s13, s13, vcc_lo
	s_delay_alu instid0(VALU_DEP_1) | instid1(SALU_CYCLE_1)
	v_cndmask_b32_e64 v2, v2, 0, s13
	s_delay_alu instid0(VALU_DEP_1)
	v_or_b32_e32 v89, v2, v12
.LBB4_3603:                             ;   in Loop: Header=BB4_3365 Depth=4
	s_or_b32 exec_lo, exec_lo, s77
                                        ; implicit-def: $vgpr12
.LBB4_3604:                             ;   in Loop: Header=BB4_3365 Depth=4
	s_and_not1_saveexec_b32 s13, s76
; %bb.3605:                             ;   in Loop: Header=BB4_3365 Depth=4
	v_or_b32_e32 v89, 0x7b, v12
; %bb.3606:                             ;   in Loop: Header=BB4_3365 Depth=4
	s_or_b32 exec_lo, exec_lo, s13
                                        ; implicit-def: $vgpr4
                                        ; implicit-def: $vgpr5
.LBB4_3607:                             ;   in Loop: Header=BB4_3365 Depth=4
	s_and_not1_saveexec_b32 s13, s75
	s_cbranch_execz .LBB4_3613
; %bb.3608:                             ;   in Loop: Header=BB4_3365 Depth=4
	s_mov_b32 s75, exec_lo
                                        ; implicit-def: $vgpr89
	v_cmpx_ne_u64_e32 0, v[2:3]
	s_xor_b32 s75, exec_lo, s75
; %bb.3609:                             ;   in Loop: Header=BB4_3365 Depth=4
	v_or_b32_e32 v89, 0x7f, v5
                                        ; implicit-def: $vgpr4
; %bb.3610:                             ;   in Loop: Header=BB4_3365 Depth=4
	s_and_not1_saveexec_b32 s75, s75
; %bb.3611:                             ;   in Loop: Header=BB4_3365 Depth=4
	v_cmp_lt_i32_e32 vcc_lo, -1, v4
	v_cndmask_b32_e32 v89, 0xfc, v49, vcc_lo
; %bb.3612:                             ;   in Loop: Header=BB4_3365 Depth=4
	s_or_b32 exec_lo, exec_lo, s75
.LBB4_3613:                             ;   in Loop: Header=BB4_3365 Depth=4
	s_delay_alu instid0(SALU_CYCLE_1) | instskip(SKIP_1) | instid1(VALU_DEP_1)
	s_or_b32 exec_lo, exec_lo, s13
	v_and_b32_e32 v2, 0xff, v10
	v_cmp_ne_u16_e32 vcc_lo, 0, v2
	v_mov_b32_e32 v2, 0
	s_and_saveexec_b32 s13, vcc_lo
	s_cbranch_execz .LBB4_3623
; %bb.3614:                             ;   in Loop: Header=BB4_3365 Depth=4
	v_bfe_i32 v5, v10, 0, 8
	v_bfrev_b32_e32 v2, 1
	s_mov_b32 s75, exec_lo
	s_delay_alu instid0(VALU_DEP_2)
	v_cmpx_ne_u16_e32 0xff80, v5
	s_cbranch_execz .LBB4_3622
; %bb.3615:                             ;   in Loop: Header=BB4_3365 Depth=4
	v_and_b32_e32 v2, 0x7c, v10
	v_and_b32_e32 v4, 3, v10
	s_delay_alu instid0(VALU_DEP_2) | instskip(SKIP_1) | instid1(SALU_CYCLE_1)
	v_cmp_ne_u32_e32 vcc_lo, 0x7c, v2
                                        ; implicit-def: $vgpr2
	s_and_saveexec_b32 s76, vcc_lo
	s_xor_b32 s76, exec_lo, s76
	s_cbranch_execz .LBB4_3619
; %bb.3616:                             ;   in Loop: Header=BB4_3365 Depth=4
	v_bfe_u32 v2, v10, 2, 5
	s_mov_b32 s77, exec_lo
	s_delay_alu instid0(VALU_DEP_1)
	v_cmpx_eq_u32_e32 0, v2
; %bb.3617:                             ;   in Loop: Header=BB4_3365 Depth=4
	v_clz_i32_u32_e32 v2, v4
	s_delay_alu instid0(VALU_DEP_1) | instskip(NEXT) | instid1(VALU_DEP_1)
	v_min_u32_e32 v2, 32, v2
	v_subrev_nc_u32_e32 v4, 29, v2
	s_delay_alu instid0(VALU_DEP_1) | instskip(NEXT) | instid1(VALU_DEP_1)
	v_lshlrev_b64_e32 v[4:5], v4, v[10:11]
	v_dual_sub_nc_u32 v2, 30, v2 :: v_dual_bitop2_b32 v4, 3, v4 bitop3:0x40
; %bb.3618:                             ;   in Loop: Header=BB4_3365 Depth=4
	s_or_b32 exec_lo, exec_lo, s77
	v_lshlrev_b32_e32 v5, 24, v10
	s_delay_alu instid0(VALU_DEP_1) | instskip(NEXT) | instid1(VALU_DEP_1)
	v_and_b32_e32 v5, 0x80000000, v5
	v_lshl_add_u32 v2, v2, 23, v5
                                        ; implicit-def: $vgpr5
	s_delay_alu instid0(VALU_DEP_1) | instskip(NEXT) | instid1(VALU_DEP_1)
	v_lshl_or_b32 v2, v4, 21, v2
                                        ; implicit-def: $vgpr4
	v_add_nc_u32_e32 v2, 0x38000000, v2
.LBB4_3619:                             ;   in Loop: Header=BB4_3365 Depth=4
	s_and_not1_saveexec_b32 s76, s76
; %bb.3620:                             ;   in Loop: Header=BB4_3365 Depth=4
	v_cmp_lt_i16_e32 vcc_lo, -1, v5
	v_cndmask_b32_e32 v2, 0xff800000, v48, vcc_lo
	v_cmp_eq_u32_e32 vcc_lo, 0, v4
	s_delay_alu instid0(VALU_DEP_2)
	v_cndmask_b32_e32 v2, 0x7f800001, v2, vcc_lo
; %bb.3621:                             ;   in Loop: Header=BB4_3365 Depth=4
	s_or_b32 exec_lo, exec_lo, s76
.LBB4_3622:                             ;   in Loop: Header=BB4_3365 Depth=4
	s_delay_alu instid0(SALU_CYCLE_1)
	s_or_b32 exec_lo, exec_lo, s75
.LBB4_3623:                             ;   in Loop: Header=BB4_3365 Depth=4
	s_delay_alu instid0(SALU_CYCLE_1) | instskip(NEXT) | instid1(VALU_DEP_1)
	s_or_b32 exec_lo, exec_lo, s13
	v_dual_mul_f32 v4, s74, v2 :: v_dual_mov_b32 v9, v3
                                        ; implicit-def: $vgpr74
	s_mov_b32 s13, exec_lo
	s_delay_alu instid0(VALU_DEP_1) | instskip(SKIP_2) | instid1(VALU_DEP_3)
	v_and_b32_e32 v8, 0x7f800000, v4
	v_and_b32_e32 v2, 0x7fffff, v4
	v_lshrrev_b32_e32 v5, 24, v4
	v_cmpx_ne_u64_e32 0x7f800000, v[8:9]
	s_xor_b32 s75, exec_lo, s13
	s_cbranch_execz .LBB4_3637
; %bb.3624:                             ;   in Loop: Header=BB4_3365 Depth=4
	v_and_b32_e32 v8, 0x7fffffff, v4
	v_mov_b32_e32 v9, v3
	v_and_b32_e32 v12, 0x80, v5
                                        ; implicit-def: $vgpr74
	s_mov_b32 s13, exec_lo
	s_delay_alu instid0(VALU_DEP_2)
	v_cmpx_gt_u64_e32 0x47600001, v[8:9]
	s_xor_b32 s76, exec_lo, s13
	s_cbranch_execz .LBB4_3634
; %bb.3625:                             ;   in Loop: Header=BB4_3365 Depth=4
	v_mov_b32_e32 v74, 0
	s_mov_b32 s77, exec_lo
	v_cmpx_ne_u32_e32 0, v4
	s_cbranch_execz .LBB4_3633
; %bb.3626:                             ;   in Loop: Header=BB4_3365 Depth=4
	v_bfe_u32 v13, v4, 23, 8
	v_or_b32_e32 v8, 0x800000, v2
	s_mov_b32 s78, exec_lo
	s_delay_alu instid0(VALU_DEP_2) | instskip(SKIP_1) | instid1(VALU_DEP_2)
	v_dual_mov_b32 v9, v3 :: v_dual_sub_nc_u32 v4, 0x71, v13
	v_cmp_gt_u32_e32 vcc_lo, 0x72, v13
	v_cndmask_b32_e32 v4, 0, v4, vcc_lo
	v_cmp_eq_u32_e32 vcc_lo, 0, v13
	s_delay_alu instid0(VALU_DEP_2) | instskip(SKIP_1) | instid1(VALU_DEP_2)
	v_cndmask_b32_e64 v14, v4, 0x70, vcc_lo
	v_cndmask_b32_e32 v8, v8, v2, vcc_lo
	v_dual_add_nc_u32 v4, 21, v14 :: v_dual_add_nc_u32 v15, 20, v14
	s_delay_alu instid0(VALU_DEP_1) | instskip(NEXT) | instid1(VALU_DEP_2)
	v_lshlrev_b64_e64 v[4:5], v4, -1
	v_lshlrev_b64_e64 v[50:51], v15, 1
	s_delay_alu instid0(VALU_DEP_2) | instskip(NEXT) | instid1(VALU_DEP_3)
	v_bfi_b32 v65, v5, 0, 0
	v_bfi_b32 v64, v4, 0, v8
	v_lshrrev_b64 v[4:5], v14, v[8:9]
	s_delay_alu instid0(VALU_DEP_1) | instskip(NEXT) | instid1(VALU_DEP_3)
	v_mov_b64_e32 v[8:9], v[4:5]
	v_cmpx_eq_u64_e64 v[64:65], v[50:51]
; %bb.3627:                             ;   in Loop: Header=BB4_3365 Depth=4
	v_bfe_u32 v8, v4, 21, 1
	v_mov_b32_e32 v9, v3
	s_delay_alu instid0(VALU_DEP_1) | instskip(NEXT) | instid1(VALU_DEP_1)
	v_add_nc_u64_e32 v[8:9], v[4:5], v[8:9]
	v_add_nc_u64_e32 v[8:9], -1, v[8:9]
; %bb.3628:                             ;   in Loop: Header=BB4_3365 Depth=4
	s_or_b32 exec_lo, exec_lo, s78
	v_add_nc_u32_e32 v2, 0xffffff81, v13
	v_lshrrev_b32_e32 v5, 23, v4
	s_mov_b32 s13, exec_lo
	s_delay_alu instid0(VALU_DEP_2) | instskip(NEXT) | instid1(VALU_DEP_1)
	v_cndmask_b32_e64 v2, v2, 0xffffff82, vcc_lo
	v_add3_u32 v9, v14, v2, v5
	v_and_b32_e32 v2, 0x1fffff, v8
                                        ; implicit-def: $vgpr8
	s_delay_alu instid0(VALU_DEP_1) | instskip(NEXT) | instid1(VALU_DEP_1)
	v_dual_add_nc_u32 v13, 14, v9 :: v_dual_add_nc_u32 v2, v2, v4
                                        ; implicit-def: $vgpr4_vgpr5
	v_cmpx_ne_u32_e32 0, v13
	s_xor_b32 s13, exec_lo, s13
; %bb.3629:                             ;   in Loop: Header=BB4_3365 Depth=4
	s_delay_alu instid0(VALU_DEP_2) | instskip(SKIP_1) | instid1(VALU_DEP_1)
	v_cmp_lt_u64_e32 vcc_lo, 0xffffff, v[2:3]
	v_add_nc_u32_e32 v4, 15, v9
	v_cndmask_b32_e32 v8, v13, v4, vcc_lo
	v_cndmask_b32_e64 v4, 0, 1, vcc_lo
	s_delay_alu instid0(VALU_DEP_1)
	v_lshrrev_b64 v[4:5], v4, v[2:3]
; %bb.3630:                             ;   in Loop: Header=BB4_3365 Depth=4
	s_and_not1_saveexec_b32 s13, s13
; %bb.3631:                             ;   in Loop: Header=BB4_3365 Depth=4
	v_mov_b64_e32 v[4:5], v[2:3]
	v_bfe_u32 v8, v2, 23, 1
; %bb.3632:                             ;   in Loop: Header=BB4_3365 Depth=4
	s_or_b32 exec_lo, exec_lo, s13
	s_delay_alu instid0(VALU_DEP_2) | instskip(NEXT) | instid1(VALU_DEP_2)
	v_lshrrev_b64 v[4:5], 21, v[4:5]
	v_cmp_gt_i32_e32 vcc_lo, 32, v8
	v_min_i32_e32 v2, 31, v8
	v_cmp_eq_u32_e64 s13, 0, v8
	s_delay_alu instid0(VALU_DEP_2) | instskip(SKIP_1) | instid1(VALU_DEP_2)
	v_dual_cndmask_b32 v5, 0, v5 :: v_dual_lshlrev_b32 v2, 2, v2
	v_cndmask_b32_e32 v4, 3, v4, vcc_lo
	v_and_b32_e32 v2, 0xfc, v2
	s_delay_alu instid0(VALU_DEP_2) | instskip(NEXT) | instid1(VALU_DEP_2)
	v_cmp_eq_u64_e32 vcc_lo, 0, v[4:5]
	v_and_or_b32 v2, v4, 3, v2
	s_and_b32 s13, s13, vcc_lo
	s_delay_alu instid0(VALU_DEP_1) | instid1(SALU_CYCLE_1)
	v_cndmask_b32_e64 v2, v2, 0, s13
	s_delay_alu instid0(VALU_DEP_1)
	v_or_b32_e32 v74, v2, v12
.LBB4_3633:                             ;   in Loop: Header=BB4_3365 Depth=4
	s_or_b32 exec_lo, exec_lo, s77
                                        ; implicit-def: $vgpr12
.LBB4_3634:                             ;   in Loop: Header=BB4_3365 Depth=4
	s_and_not1_saveexec_b32 s13, s76
; %bb.3635:                             ;   in Loop: Header=BB4_3365 Depth=4
	v_or_b32_e32 v74, 0x7b, v12
; %bb.3636:                             ;   in Loop: Header=BB4_3365 Depth=4
	s_or_b32 exec_lo, exec_lo, s13
                                        ; implicit-def: $vgpr4
                                        ; implicit-def: $vgpr5
.LBB4_3637:                             ;   in Loop: Header=BB4_3365 Depth=4
	s_and_not1_saveexec_b32 s13, s75
	s_cbranch_execz .LBB4_3643
; %bb.3638:                             ;   in Loop: Header=BB4_3365 Depth=4
	s_mov_b32 s75, exec_lo
                                        ; implicit-def: $vgpr74
	v_cmpx_ne_u64_e32 0, v[2:3]
	s_xor_b32 s75, exec_lo, s75
; %bb.3639:                             ;   in Loop: Header=BB4_3365 Depth=4
	v_or_b32_e32 v74, 0x7f, v5
                                        ; implicit-def: $vgpr4
; %bb.3640:                             ;   in Loop: Header=BB4_3365 Depth=4
	s_and_not1_saveexec_b32 s75, s75
; %bb.3641:                             ;   in Loop: Header=BB4_3365 Depth=4
	v_cmp_lt_i32_e32 vcc_lo, -1, v4
	v_cndmask_b32_e32 v74, 0xfc, v49, vcc_lo
; %bb.3642:                             ;   in Loop: Header=BB4_3365 Depth=4
	s_or_b32 exec_lo, exec_lo, s75
.LBB4_3643:                             ;   in Loop: Header=BB4_3365 Depth=4
	s_delay_alu instid0(SALU_CYCLE_1) | instskip(SKIP_3) | instid1(VALU_DEP_2)
	s_or_b32 exec_lo, exec_lo, s13
	v_lshrrev_b16 v4, 8, v10
	v_mov_b32_e32 v5, 0
	s_mov_b32 s13, exec_lo
	v_cmpx_ne_u16_e32 0, v4
	s_cbranch_execz .LBB4_3653
; %bb.3644:                             ;   in Loop: Header=BB4_3365 Depth=4
	v_bfrev_b32_e32 v5, 1
	s_mov_b32 s75, exec_lo
	v_cmpx_ne_u16_e32 0x80, v4
	s_cbranch_execz .LBB4_3652
; %bb.3645:                             ;   in Loop: Header=BB4_3365 Depth=4
	v_and_b32_e32 v8, 0xffff, v4
	s_delay_alu instid0(VALU_DEP_1) | instskip(SKIP_1) | instid1(VALU_DEP_2)
	v_and_b32_e32 v5, 0x7c, v8
	v_and_b32_e32 v2, 3, v8
	v_cmp_ne_u32_e32 vcc_lo, 0x7c, v5
                                        ; implicit-def: $vgpr5
	s_and_saveexec_b32 s76, vcc_lo
	s_delay_alu instid0(SALU_CYCLE_1)
	s_xor_b32 s76, exec_lo, s76
	s_cbranch_execz .LBB4_3649
; %bb.3646:                             ;   in Loop: Header=BB4_3365 Depth=4
	v_bfe_u32 v5, v8, 2, 5
	s_mov_b32 s77, exec_lo
	s_delay_alu instid0(VALU_DEP_1)
	v_cmpx_eq_u32_e32 0, v5
; %bb.3647:                             ;   in Loop: Header=BB4_3365 Depth=4
	v_clz_i32_u32_e32 v2, v2
	v_mov_b32_e32 v5, v3
	s_delay_alu instid0(VALU_DEP_2) | instskip(NEXT) | instid1(VALU_DEP_1)
	v_min_u32_e32 v2, 32, v2
	v_subrev_nc_u32_e32 v8, 29, v2
	s_delay_alu instid0(VALU_DEP_1) | instskip(NEXT) | instid1(VALU_DEP_1)
	v_lshlrev_b64_e32 v[4:5], v8, v[4:5]
	v_dual_sub_nc_u32 v5, 30, v2 :: v_dual_bitop2_b32 v2, 3, v4 bitop3:0x40
; %bb.3648:                             ;   in Loop: Header=BB4_3365 Depth=4
	s_or_b32 exec_lo, exec_lo, s77
	v_lshlrev_b32_e32 v4, 16, v10
	s_delay_alu instid0(VALU_DEP_1) | instskip(NEXT) | instid1(VALU_DEP_1)
	v_and_b32_e32 v4, 0x80000000, v4
	v_lshl_add_u32 v4, v5, 23, v4
	s_delay_alu instid0(VALU_DEP_1) | instskip(NEXT) | instid1(VALU_DEP_1)
	v_lshl_or_b32 v2, v2, 21, v4
	v_add_nc_u32_e32 v5, 0x38000000, v2
                                        ; implicit-def: $vgpr2
.LBB4_3649:                             ;   in Loop: Header=BB4_3365 Depth=4
	s_and_not1_saveexec_b32 s76, s76
; %bb.3650:                             ;   in Loop: Header=BB4_3365 Depth=4
	v_cmp_lt_i16_e32 vcc_lo, -1, v10
	v_cndmask_b32_e32 v4, 0xff800000, v48, vcc_lo
	v_cmp_eq_u32_e32 vcc_lo, 0, v2
	s_delay_alu instid0(VALU_DEP_2)
	v_cndmask_b32_e32 v5, 0x7f800001, v4, vcc_lo
; %bb.3651:                             ;   in Loop: Header=BB4_3365 Depth=4
	s_or_b32 exec_lo, exec_lo, s76
.LBB4_3652:                             ;   in Loop: Header=BB4_3365 Depth=4
	s_delay_alu instid0(SALU_CYCLE_1)
	s_or_b32 exec_lo, exec_lo, s75
.LBB4_3653:                             ;   in Loop: Header=BB4_3365 Depth=4
	s_delay_alu instid0(SALU_CYCLE_1) | instskip(NEXT) | instid1(VALU_DEP_1)
	s_or_b32 exec_lo, exec_lo, s13
	v_dual_mul_f32 v4, s74, v5 :: v_dual_mov_b32 v9, v3
                                        ; implicit-def: $vgpr76
	s_mov_b32 s13, exec_lo
	s_delay_alu instid0(VALU_DEP_1) | instskip(SKIP_2) | instid1(VALU_DEP_3)
	v_and_b32_e32 v8, 0x7f800000, v4
	v_and_b32_e32 v2, 0x7fffff, v4
	v_lshrrev_b32_e32 v5, 24, v4
	v_cmpx_ne_u64_e32 0x7f800000, v[8:9]
	s_xor_b32 s75, exec_lo, s13
	s_cbranch_execz .LBB4_3667
; %bb.3654:                             ;   in Loop: Header=BB4_3365 Depth=4
	v_and_b32_e32 v8, 0x7fffffff, v4
	v_mov_b32_e32 v9, v3
	v_and_b32_e32 v12, 0x80, v5
                                        ; implicit-def: $vgpr76
	s_mov_b32 s13, exec_lo
	s_delay_alu instid0(VALU_DEP_2)
	v_cmpx_gt_u64_e32 0x47600001, v[8:9]
	s_xor_b32 s76, exec_lo, s13
	s_cbranch_execz .LBB4_3664
; %bb.3655:                             ;   in Loop: Header=BB4_3365 Depth=4
	v_mov_b32_e32 v76, 0
	s_mov_b32 s77, exec_lo
	v_cmpx_ne_u32_e32 0, v4
	s_cbranch_execz .LBB4_3663
; %bb.3656:                             ;   in Loop: Header=BB4_3365 Depth=4
	v_bfe_u32 v13, v4, 23, 8
	v_or_b32_e32 v8, 0x800000, v2
	s_mov_b32 s78, exec_lo
	s_delay_alu instid0(VALU_DEP_2) | instskip(SKIP_1) | instid1(VALU_DEP_2)
	v_dual_mov_b32 v9, v3 :: v_dual_sub_nc_u32 v4, 0x71, v13
	v_cmp_gt_u32_e32 vcc_lo, 0x72, v13
	v_cndmask_b32_e32 v4, 0, v4, vcc_lo
	v_cmp_eq_u32_e32 vcc_lo, 0, v13
	s_delay_alu instid0(VALU_DEP_2) | instskip(SKIP_1) | instid1(VALU_DEP_2)
	v_cndmask_b32_e64 v14, v4, 0x70, vcc_lo
	v_cndmask_b32_e32 v8, v8, v2, vcc_lo
	v_dual_add_nc_u32 v4, 21, v14 :: v_dual_add_nc_u32 v15, 20, v14
	s_delay_alu instid0(VALU_DEP_1) | instskip(NEXT) | instid1(VALU_DEP_2)
	v_lshlrev_b64_e64 v[4:5], v4, -1
	v_lshlrev_b64_e64 v[50:51], v15, 1
	s_delay_alu instid0(VALU_DEP_2) | instskip(NEXT) | instid1(VALU_DEP_3)
	v_bfi_b32 v65, v5, 0, 0
	v_bfi_b32 v64, v4, 0, v8
	v_lshrrev_b64 v[4:5], v14, v[8:9]
	s_delay_alu instid0(VALU_DEP_1) | instskip(NEXT) | instid1(VALU_DEP_3)
	v_mov_b64_e32 v[8:9], v[4:5]
	v_cmpx_eq_u64_e64 v[64:65], v[50:51]
; %bb.3657:                             ;   in Loop: Header=BB4_3365 Depth=4
	v_bfe_u32 v8, v4, 21, 1
	v_mov_b32_e32 v9, v3
	s_delay_alu instid0(VALU_DEP_1) | instskip(NEXT) | instid1(VALU_DEP_1)
	v_add_nc_u64_e32 v[8:9], v[4:5], v[8:9]
	v_add_nc_u64_e32 v[8:9], -1, v[8:9]
; %bb.3658:                             ;   in Loop: Header=BB4_3365 Depth=4
	s_or_b32 exec_lo, exec_lo, s78
	v_add_nc_u32_e32 v2, 0xffffff81, v13
	v_lshrrev_b32_e32 v5, 23, v4
	s_mov_b32 s13, exec_lo
	s_delay_alu instid0(VALU_DEP_2) | instskip(NEXT) | instid1(VALU_DEP_1)
	v_cndmask_b32_e64 v2, v2, 0xffffff82, vcc_lo
	v_add3_u32 v9, v14, v2, v5
	v_and_b32_e32 v2, 0x1fffff, v8
                                        ; implicit-def: $vgpr8
	s_delay_alu instid0(VALU_DEP_1) | instskip(NEXT) | instid1(VALU_DEP_1)
	v_dual_add_nc_u32 v13, 14, v9 :: v_dual_add_nc_u32 v2, v2, v4
                                        ; implicit-def: $vgpr4_vgpr5
	v_cmpx_ne_u32_e32 0, v13
	s_xor_b32 s13, exec_lo, s13
; %bb.3659:                             ;   in Loop: Header=BB4_3365 Depth=4
	s_delay_alu instid0(VALU_DEP_2) | instskip(SKIP_1) | instid1(VALU_DEP_1)
	v_cmp_lt_u64_e32 vcc_lo, 0xffffff, v[2:3]
	v_add_nc_u32_e32 v4, 15, v9
	v_cndmask_b32_e32 v8, v13, v4, vcc_lo
	v_cndmask_b32_e64 v4, 0, 1, vcc_lo
	s_delay_alu instid0(VALU_DEP_1)
	v_lshrrev_b64 v[4:5], v4, v[2:3]
; %bb.3660:                             ;   in Loop: Header=BB4_3365 Depth=4
	s_and_not1_saveexec_b32 s13, s13
; %bb.3661:                             ;   in Loop: Header=BB4_3365 Depth=4
	v_mov_b64_e32 v[4:5], v[2:3]
	v_bfe_u32 v8, v2, 23, 1
; %bb.3662:                             ;   in Loop: Header=BB4_3365 Depth=4
	s_or_b32 exec_lo, exec_lo, s13
	s_delay_alu instid0(VALU_DEP_2) | instskip(NEXT) | instid1(VALU_DEP_2)
	v_lshrrev_b64 v[4:5], 21, v[4:5]
	v_cmp_gt_i32_e32 vcc_lo, 32, v8
	v_min_i32_e32 v2, 31, v8
	v_cmp_eq_u32_e64 s13, 0, v8
	s_delay_alu instid0(VALU_DEP_2) | instskip(SKIP_1) | instid1(VALU_DEP_2)
	v_dual_cndmask_b32 v5, 0, v5 :: v_dual_lshlrev_b32 v2, 2, v2
	v_cndmask_b32_e32 v4, 3, v4, vcc_lo
	v_and_b32_e32 v2, 0xfc, v2
	s_delay_alu instid0(VALU_DEP_2) | instskip(NEXT) | instid1(VALU_DEP_2)
	v_cmp_eq_u64_e32 vcc_lo, 0, v[4:5]
	v_and_or_b32 v2, v4, 3, v2
	s_and_b32 s13, s13, vcc_lo
	s_delay_alu instid0(VALU_DEP_1) | instid1(SALU_CYCLE_1)
	v_cndmask_b32_e64 v2, v2, 0, s13
	s_delay_alu instid0(VALU_DEP_1)
	v_or_b32_e32 v76, v2, v12
.LBB4_3663:                             ;   in Loop: Header=BB4_3365 Depth=4
	s_or_b32 exec_lo, exec_lo, s77
                                        ; implicit-def: $vgpr12
.LBB4_3664:                             ;   in Loop: Header=BB4_3365 Depth=4
	s_and_not1_saveexec_b32 s13, s76
; %bb.3665:                             ;   in Loop: Header=BB4_3365 Depth=4
	v_or_b32_e32 v76, 0x7b, v12
; %bb.3666:                             ;   in Loop: Header=BB4_3365 Depth=4
	s_or_b32 exec_lo, exec_lo, s13
                                        ; implicit-def: $vgpr4
                                        ; implicit-def: $vgpr5
.LBB4_3667:                             ;   in Loop: Header=BB4_3365 Depth=4
	s_and_not1_saveexec_b32 s13, s75
	s_cbranch_execz .LBB4_3673
; %bb.3668:                             ;   in Loop: Header=BB4_3365 Depth=4
	s_mov_b32 s75, exec_lo
                                        ; implicit-def: $vgpr76
	v_cmpx_ne_u64_e32 0, v[2:3]
	s_xor_b32 s75, exec_lo, s75
; %bb.3669:                             ;   in Loop: Header=BB4_3365 Depth=4
	v_or_b32_e32 v76, 0x7f, v5
                                        ; implicit-def: $vgpr4
; %bb.3670:                             ;   in Loop: Header=BB4_3365 Depth=4
	s_and_not1_saveexec_b32 s75, s75
; %bb.3671:                             ;   in Loop: Header=BB4_3365 Depth=4
	v_cmp_lt_i32_e32 vcc_lo, -1, v4
	v_cndmask_b32_e32 v76, 0xfc, v49, vcc_lo
; %bb.3672:                             ;   in Loop: Header=BB4_3365 Depth=4
	s_or_b32 exec_lo, exec_lo, s75
.LBB4_3673:                             ;   in Loop: Header=BB4_3365 Depth=4
	s_delay_alu instid0(SALU_CYCLE_1) | instskip(SKIP_2) | instid1(VALU_DEP_1)
	s_or_b32 exec_lo, exec_lo, s13
	v_dual_lshrrev_b32 v2, 16, v10 :: v_dual_mov_b32 v4, 0
	s_mov_b32 s13, exec_lo
	v_and_b32_e32 v5, 0xff, v2
	s_delay_alu instid0(VALU_DEP_1)
	v_cmpx_ne_u16_e32 0, v5
	s_cbranch_execz .LBB4_3683
; %bb.3674:                             ;   in Loop: Header=BB4_3365 Depth=4
	v_bfrev_b32_e32 v4, 1
	s_mov_b32 s75, exec_lo
	v_cmpx_ne_u16_e32 0x80, v5
	s_cbranch_execz .LBB4_3682
; %bb.3675:                             ;   in Loop: Header=BB4_3365 Depth=4
	v_and_b32_e32 v4, 0x7c0000, v10
	v_bfe_u32 v5, v10, 16, 2
	s_delay_alu instid0(VALU_DEP_2) | instskip(SKIP_1) | instid1(SALU_CYCLE_1)
	v_cmp_ne_u32_e32 vcc_lo, 0x7c0000, v4
                                        ; implicit-def: $vgpr4
	s_and_saveexec_b32 s76, vcc_lo
	s_xor_b32 s76, exec_lo, s76
	s_cbranch_execz .LBB4_3679
; %bb.3676:                             ;   in Loop: Header=BB4_3365 Depth=4
	v_bfe_u32 v4, v10, 18, 5
	s_mov_b32 s77, exec_lo
	s_delay_alu instid0(VALU_DEP_1)
	v_cmpx_eq_u32_e32 0, v4
; %bb.3677:                             ;   in Loop: Header=BB4_3365 Depth=4
	v_clz_i32_u32_e32 v4, v5
	s_delay_alu instid0(VALU_DEP_1) | instskip(NEXT) | instid1(VALU_DEP_1)
	v_min_u32_e32 v4, 32, v4
	v_subrev_nc_u32_e32 v5, 29, v4
	v_sub_nc_u32_e32 v4, 30, v4
	s_delay_alu instid0(VALU_DEP_2) | instskip(NEXT) | instid1(VALU_DEP_1)
	v_lshlrev_b64_e32 v[8:9], v5, v[2:3]
	v_and_b32_e32 v5, 3, v8
; %bb.3678:                             ;   in Loop: Header=BB4_3365 Depth=4
	s_or_b32 exec_lo, exec_lo, s77
	v_lshlrev_b32_e32 v2, 24, v2
	s_delay_alu instid0(VALU_DEP_1) | instskip(NEXT) | instid1(VALU_DEP_1)
	v_and_b32_e32 v2, 0x80000000, v2
	v_lshl_add_u32 v2, v4, 23, v2
	s_delay_alu instid0(VALU_DEP_1) | instskip(NEXT) | instid1(VALU_DEP_1)
	v_lshl_or_b32 v2, v5, 21, v2
                                        ; implicit-def: $vgpr5
	v_add_nc_u32_e32 v4, 0x38000000, v2
                                        ; implicit-def: $vgpr2
.LBB4_3679:                             ;   in Loop: Header=BB4_3365 Depth=4
	s_and_not1_saveexec_b32 s76, s76
; %bb.3680:                             ;   in Loop: Header=BB4_3365 Depth=4
	v_bfe_i32 v2, v2, 0, 8
	s_delay_alu instid0(VALU_DEP_1) | instskip(SKIP_2) | instid1(VALU_DEP_2)
	v_cmp_lt_i16_e32 vcc_lo, -1, v2
	v_cndmask_b32_e32 v2, 0xff800000, v48, vcc_lo
	v_cmp_eq_u32_e32 vcc_lo, 0, v5
	v_cndmask_b32_e32 v4, 0x7f800001, v2, vcc_lo
; %bb.3681:                             ;   in Loop: Header=BB4_3365 Depth=4
	s_or_b32 exec_lo, exec_lo, s76
.LBB4_3682:                             ;   in Loop: Header=BB4_3365 Depth=4
	s_delay_alu instid0(SALU_CYCLE_1)
	s_or_b32 exec_lo, exec_lo, s75
.LBB4_3683:                             ;   in Loop: Header=BB4_3365 Depth=4
	s_delay_alu instid0(SALU_CYCLE_1) | instskip(NEXT) | instid1(VALU_DEP_1)
	s_or_b32 exec_lo, exec_lo, s13
	v_dual_mul_f32 v4, s74, v4 :: v_dual_mov_b32 v9, v3
                                        ; implicit-def: $vgpr78
	s_mov_b32 s13, exec_lo
	s_delay_alu instid0(VALU_DEP_1) | instskip(SKIP_2) | instid1(VALU_DEP_3)
	v_and_b32_e32 v8, 0x7f800000, v4
	v_and_b32_e32 v2, 0x7fffff, v4
	v_lshrrev_b32_e32 v5, 24, v4
	v_cmpx_ne_u64_e32 0x7f800000, v[8:9]
	s_xor_b32 s75, exec_lo, s13
	s_cbranch_execz .LBB4_3697
; %bb.3684:                             ;   in Loop: Header=BB4_3365 Depth=4
	v_and_b32_e32 v8, 0x7fffffff, v4
	v_mov_b32_e32 v9, v3
	v_and_b32_e32 v12, 0x80, v5
                                        ; implicit-def: $vgpr78
	s_mov_b32 s13, exec_lo
	s_delay_alu instid0(VALU_DEP_2)
	v_cmpx_gt_u64_e32 0x47600001, v[8:9]
	s_xor_b32 s76, exec_lo, s13
	s_cbranch_execz .LBB4_3694
; %bb.3685:                             ;   in Loop: Header=BB4_3365 Depth=4
	v_mov_b32_e32 v78, 0
	s_mov_b32 s77, exec_lo
	v_cmpx_ne_u32_e32 0, v4
	s_cbranch_execz .LBB4_3693
; %bb.3686:                             ;   in Loop: Header=BB4_3365 Depth=4
	v_bfe_u32 v13, v4, 23, 8
	v_or_b32_e32 v8, 0x800000, v2
	s_mov_b32 s78, exec_lo
	s_delay_alu instid0(VALU_DEP_2) | instskip(SKIP_1) | instid1(VALU_DEP_2)
	v_dual_mov_b32 v9, v3 :: v_dual_sub_nc_u32 v4, 0x71, v13
	v_cmp_gt_u32_e32 vcc_lo, 0x72, v13
	v_cndmask_b32_e32 v4, 0, v4, vcc_lo
	v_cmp_eq_u32_e32 vcc_lo, 0, v13
	s_delay_alu instid0(VALU_DEP_2) | instskip(SKIP_1) | instid1(VALU_DEP_2)
	v_cndmask_b32_e64 v14, v4, 0x70, vcc_lo
	v_cndmask_b32_e32 v8, v8, v2, vcc_lo
	v_dual_add_nc_u32 v4, 21, v14 :: v_dual_add_nc_u32 v15, 20, v14
	s_delay_alu instid0(VALU_DEP_1) | instskip(NEXT) | instid1(VALU_DEP_2)
	v_lshlrev_b64_e64 v[4:5], v4, -1
	v_lshlrev_b64_e64 v[50:51], v15, 1
	s_delay_alu instid0(VALU_DEP_2) | instskip(NEXT) | instid1(VALU_DEP_3)
	v_bfi_b32 v65, v5, 0, 0
	v_bfi_b32 v64, v4, 0, v8
	v_lshrrev_b64 v[4:5], v14, v[8:9]
	s_delay_alu instid0(VALU_DEP_1) | instskip(NEXT) | instid1(VALU_DEP_3)
	v_mov_b64_e32 v[8:9], v[4:5]
	v_cmpx_eq_u64_e64 v[64:65], v[50:51]
; %bb.3687:                             ;   in Loop: Header=BB4_3365 Depth=4
	v_bfe_u32 v8, v4, 21, 1
	v_mov_b32_e32 v9, v3
	s_delay_alu instid0(VALU_DEP_1) | instskip(NEXT) | instid1(VALU_DEP_1)
	v_add_nc_u64_e32 v[8:9], v[4:5], v[8:9]
	v_add_nc_u64_e32 v[8:9], -1, v[8:9]
; %bb.3688:                             ;   in Loop: Header=BB4_3365 Depth=4
	s_or_b32 exec_lo, exec_lo, s78
	v_add_nc_u32_e32 v2, 0xffffff81, v13
	v_lshrrev_b32_e32 v5, 23, v4
	s_mov_b32 s13, exec_lo
	s_delay_alu instid0(VALU_DEP_2) | instskip(NEXT) | instid1(VALU_DEP_1)
	v_cndmask_b32_e64 v2, v2, 0xffffff82, vcc_lo
	v_add3_u32 v9, v14, v2, v5
	v_and_b32_e32 v2, 0x1fffff, v8
                                        ; implicit-def: $vgpr8
	s_delay_alu instid0(VALU_DEP_1) | instskip(NEXT) | instid1(VALU_DEP_1)
	v_dual_add_nc_u32 v13, 14, v9 :: v_dual_add_nc_u32 v2, v2, v4
                                        ; implicit-def: $vgpr4_vgpr5
	v_cmpx_ne_u32_e32 0, v13
	s_xor_b32 s13, exec_lo, s13
; %bb.3689:                             ;   in Loop: Header=BB4_3365 Depth=4
	s_delay_alu instid0(VALU_DEP_2) | instskip(SKIP_1) | instid1(VALU_DEP_1)
	v_cmp_lt_u64_e32 vcc_lo, 0xffffff, v[2:3]
	v_add_nc_u32_e32 v4, 15, v9
	v_cndmask_b32_e32 v8, v13, v4, vcc_lo
	v_cndmask_b32_e64 v4, 0, 1, vcc_lo
	s_delay_alu instid0(VALU_DEP_1)
	v_lshrrev_b64 v[4:5], v4, v[2:3]
; %bb.3690:                             ;   in Loop: Header=BB4_3365 Depth=4
	s_and_not1_saveexec_b32 s13, s13
; %bb.3691:                             ;   in Loop: Header=BB4_3365 Depth=4
	v_mov_b64_e32 v[4:5], v[2:3]
	v_bfe_u32 v8, v2, 23, 1
; %bb.3692:                             ;   in Loop: Header=BB4_3365 Depth=4
	s_or_b32 exec_lo, exec_lo, s13
	s_delay_alu instid0(VALU_DEP_2) | instskip(NEXT) | instid1(VALU_DEP_2)
	v_lshrrev_b64 v[4:5], 21, v[4:5]
	v_cmp_gt_i32_e32 vcc_lo, 32, v8
	v_min_i32_e32 v2, 31, v8
	v_cmp_eq_u32_e64 s13, 0, v8
	s_delay_alu instid0(VALU_DEP_2) | instskip(SKIP_1) | instid1(VALU_DEP_2)
	v_dual_cndmask_b32 v5, 0, v5 :: v_dual_lshlrev_b32 v2, 2, v2
	v_cndmask_b32_e32 v4, 3, v4, vcc_lo
	v_and_b32_e32 v2, 0xfc, v2
	s_delay_alu instid0(VALU_DEP_2) | instskip(NEXT) | instid1(VALU_DEP_2)
	v_cmp_eq_u64_e32 vcc_lo, 0, v[4:5]
	v_and_or_b32 v2, v4, 3, v2
	s_and_b32 s13, s13, vcc_lo
	s_delay_alu instid0(VALU_DEP_1) | instid1(SALU_CYCLE_1)
	v_cndmask_b32_e64 v2, v2, 0, s13
	s_delay_alu instid0(VALU_DEP_1)
	v_or_b32_e32 v78, v2, v12
.LBB4_3693:                             ;   in Loop: Header=BB4_3365 Depth=4
	s_or_b32 exec_lo, exec_lo, s77
                                        ; implicit-def: $vgpr12
.LBB4_3694:                             ;   in Loop: Header=BB4_3365 Depth=4
	s_and_not1_saveexec_b32 s13, s76
; %bb.3695:                             ;   in Loop: Header=BB4_3365 Depth=4
	v_or_b32_e32 v78, 0x7b, v12
; %bb.3696:                             ;   in Loop: Header=BB4_3365 Depth=4
	s_or_b32 exec_lo, exec_lo, s13
                                        ; implicit-def: $vgpr4
                                        ; implicit-def: $vgpr5
.LBB4_3697:                             ;   in Loop: Header=BB4_3365 Depth=4
	s_and_not1_saveexec_b32 s13, s75
	s_cbranch_execz .LBB4_3703
; %bb.3698:                             ;   in Loop: Header=BB4_3365 Depth=4
	s_mov_b32 s75, exec_lo
                                        ; implicit-def: $vgpr78
	v_cmpx_ne_u64_e32 0, v[2:3]
	s_xor_b32 s75, exec_lo, s75
; %bb.3699:                             ;   in Loop: Header=BB4_3365 Depth=4
	v_or_b32_e32 v78, 0x7f, v5
                                        ; implicit-def: $vgpr4
; %bb.3700:                             ;   in Loop: Header=BB4_3365 Depth=4
	s_and_not1_saveexec_b32 s75, s75
; %bb.3701:                             ;   in Loop: Header=BB4_3365 Depth=4
	v_cmp_lt_i32_e32 vcc_lo, -1, v4
	v_cndmask_b32_e32 v78, 0xfc, v49, vcc_lo
; %bb.3702:                             ;   in Loop: Header=BB4_3365 Depth=4
	s_or_b32 exec_lo, exec_lo, s75
.LBB4_3703:                             ;   in Loop: Header=BB4_3365 Depth=4
	s_delay_alu instid0(SALU_CYCLE_1)
	s_or_b32 exec_lo, exec_lo, s13
	v_mov_b32_e32 v4, 0
	s_mov_b32 s13, exec_lo
	v_cmpx_lt_u32_e32 0xffffff, v10
	s_cbranch_execz .LBB4_3713
; %bb.3704:                             ;   in Loop: Header=BB4_3365 Depth=4
	v_lshrrev_b32_e32 v2, 24, v10
	v_bfrev_b32_e32 v4, 1
	s_mov_b32 s75, exec_lo
	s_delay_alu instid0(VALU_DEP_2)
	v_cmpx_ne_u32_e32 0x80, v2
	s_cbranch_execz .LBB4_3712
; %bb.3705:                             ;   in Loop: Header=BB4_3365 Depth=4
	v_and_b32_e32 v4, 0x7c000000, v10
	v_bfe_u32 v5, v10, 24, 2
	s_delay_alu instid0(VALU_DEP_2) | instskip(SKIP_1) | instid1(SALU_CYCLE_1)
	v_cmp_ne_u32_e32 vcc_lo, 0x7c000000, v4
                                        ; implicit-def: $vgpr4
	s_and_saveexec_b32 s76, vcc_lo
	s_xor_b32 s76, exec_lo, s76
	s_cbranch_execz .LBB4_3709
; %bb.3706:                             ;   in Loop: Header=BB4_3365 Depth=4
	v_bfe_u32 v4, v10, 26, 5
	s_mov_b32 s77, exec_lo
	s_delay_alu instid0(VALU_DEP_1)
	v_cmpx_eq_u32_e32 0, v4
; %bb.3707:                             ;   in Loop: Header=BB4_3365 Depth=4
	v_clz_i32_u32_e32 v4, v5
	s_delay_alu instid0(VALU_DEP_1) | instskip(NEXT) | instid1(VALU_DEP_1)
	v_min_u32_e32 v4, 32, v4
	v_subrev_nc_u32_e32 v5, 29, v4
	v_sub_nc_u32_e32 v4, 30, v4
	s_delay_alu instid0(VALU_DEP_2) | instskip(NEXT) | instid1(VALU_DEP_1)
	v_lshlrev_b64_e32 v[8:9], v5, v[2:3]
	v_and_b32_e32 v5, 3, v8
; %bb.3708:                             ;   in Loop: Header=BB4_3365 Depth=4
	s_or_b32 exec_lo, exec_lo, s77
	v_and_b32_e32 v2, 0x80000000, v10
	s_delay_alu instid0(VALU_DEP_1) | instskip(NEXT) | instid1(VALU_DEP_1)
	v_lshl_add_u32 v2, v4, 23, v2
	v_lshl_or_b32 v2, v5, 21, v2
                                        ; implicit-def: $vgpr5
	s_delay_alu instid0(VALU_DEP_1)
	v_add_nc_u32_e32 v4, 0x38000000, v2
.LBB4_3709:                             ;   in Loop: Header=BB4_3365 Depth=4
	s_and_not1_saveexec_b32 s76, s76
; %bb.3710:                             ;   in Loop: Header=BB4_3365 Depth=4
	v_cmp_lt_i32_e32 vcc_lo, -1, v10
	v_cndmask_b32_e32 v2, 0xff800000, v48, vcc_lo
	v_cmp_eq_u32_e32 vcc_lo, 0, v5
	s_delay_alu instid0(VALU_DEP_2)
	v_cndmask_b32_e32 v4, 0x7f800001, v2, vcc_lo
; %bb.3711:                             ;   in Loop: Header=BB4_3365 Depth=4
	s_or_b32 exec_lo, exec_lo, s76
.LBB4_3712:                             ;   in Loop: Header=BB4_3365 Depth=4
	s_delay_alu instid0(SALU_CYCLE_1)
	s_or_b32 exec_lo, exec_lo, s75
.LBB4_3713:                             ;   in Loop: Header=BB4_3365 Depth=4
	s_delay_alu instid0(SALU_CYCLE_1) | instskip(NEXT) | instid1(VALU_DEP_1)
	s_or_b32 exec_lo, exec_lo, s13
	v_dual_mul_f32 v4, s74, v4 :: v_dual_mov_b32 v9, v3
                                        ; implicit-def: $vgpr79
	s_mov_b32 s13, exec_lo
	s_delay_alu instid0(VALU_DEP_1) | instskip(SKIP_2) | instid1(VALU_DEP_3)
	v_and_b32_e32 v8, 0x7f800000, v4
	v_and_b32_e32 v2, 0x7fffff, v4
	v_lshrrev_b32_e32 v5, 24, v4
	v_cmpx_ne_u64_e32 0x7f800000, v[8:9]
	s_xor_b32 s75, exec_lo, s13
	s_cbranch_execz .LBB4_3727
; %bb.3714:                             ;   in Loop: Header=BB4_3365 Depth=4
	v_and_b32_e32 v8, 0x7fffffff, v4
	v_mov_b32_e32 v9, v3
	v_and_b32_e32 v12, 0x80, v5
                                        ; implicit-def: $vgpr79
	s_mov_b32 s13, exec_lo
	s_delay_alu instid0(VALU_DEP_2)
	v_cmpx_gt_u64_e32 0x47600001, v[8:9]
	s_xor_b32 s76, exec_lo, s13
	s_cbranch_execz .LBB4_3724
; %bb.3715:                             ;   in Loop: Header=BB4_3365 Depth=4
	v_mov_b32_e32 v79, 0
	s_mov_b32 s77, exec_lo
	v_cmpx_ne_u32_e32 0, v4
	s_cbranch_execz .LBB4_3723
; %bb.3716:                             ;   in Loop: Header=BB4_3365 Depth=4
	v_bfe_u32 v13, v4, 23, 8
	v_or_b32_e32 v8, 0x800000, v2
	s_mov_b32 s78, exec_lo
	s_delay_alu instid0(VALU_DEP_2) | instskip(SKIP_1) | instid1(VALU_DEP_2)
	v_dual_mov_b32 v9, v3 :: v_dual_sub_nc_u32 v4, 0x71, v13
	v_cmp_gt_u32_e32 vcc_lo, 0x72, v13
	v_cndmask_b32_e32 v4, 0, v4, vcc_lo
	v_cmp_eq_u32_e32 vcc_lo, 0, v13
	s_delay_alu instid0(VALU_DEP_2) | instskip(SKIP_1) | instid1(VALU_DEP_2)
	v_cndmask_b32_e64 v14, v4, 0x70, vcc_lo
	v_cndmask_b32_e32 v8, v8, v2, vcc_lo
	v_dual_add_nc_u32 v4, 21, v14 :: v_dual_add_nc_u32 v15, 20, v14
	s_delay_alu instid0(VALU_DEP_1) | instskip(NEXT) | instid1(VALU_DEP_2)
	v_lshlrev_b64_e64 v[4:5], v4, -1
	v_lshlrev_b64_e64 v[50:51], v15, 1
	s_delay_alu instid0(VALU_DEP_2) | instskip(NEXT) | instid1(VALU_DEP_3)
	v_bfi_b32 v65, v5, 0, 0
	v_bfi_b32 v64, v4, 0, v8
	v_lshrrev_b64 v[4:5], v14, v[8:9]
	s_delay_alu instid0(VALU_DEP_1) | instskip(NEXT) | instid1(VALU_DEP_3)
	v_mov_b64_e32 v[8:9], v[4:5]
	v_cmpx_eq_u64_e64 v[64:65], v[50:51]
; %bb.3717:                             ;   in Loop: Header=BB4_3365 Depth=4
	v_bfe_u32 v8, v4, 21, 1
	v_mov_b32_e32 v9, v3
	s_delay_alu instid0(VALU_DEP_1) | instskip(NEXT) | instid1(VALU_DEP_1)
	v_add_nc_u64_e32 v[8:9], v[4:5], v[8:9]
	v_add_nc_u64_e32 v[8:9], -1, v[8:9]
; %bb.3718:                             ;   in Loop: Header=BB4_3365 Depth=4
	s_or_b32 exec_lo, exec_lo, s78
	v_add_nc_u32_e32 v2, 0xffffff81, v13
	v_lshrrev_b32_e32 v5, 23, v4
	s_mov_b32 s13, exec_lo
	s_delay_alu instid0(VALU_DEP_2) | instskip(NEXT) | instid1(VALU_DEP_1)
	v_cndmask_b32_e64 v2, v2, 0xffffff82, vcc_lo
	v_add3_u32 v9, v14, v2, v5
	v_and_b32_e32 v2, 0x1fffff, v8
                                        ; implicit-def: $vgpr8
	s_delay_alu instid0(VALU_DEP_1) | instskip(NEXT) | instid1(VALU_DEP_1)
	v_dual_add_nc_u32 v13, 14, v9 :: v_dual_add_nc_u32 v2, v2, v4
                                        ; implicit-def: $vgpr4_vgpr5
	v_cmpx_ne_u32_e32 0, v13
	s_xor_b32 s13, exec_lo, s13
; %bb.3719:                             ;   in Loop: Header=BB4_3365 Depth=4
	s_delay_alu instid0(VALU_DEP_2) | instskip(SKIP_1) | instid1(VALU_DEP_1)
	v_cmp_lt_u64_e32 vcc_lo, 0xffffff, v[2:3]
	v_add_nc_u32_e32 v4, 15, v9
	v_cndmask_b32_e32 v8, v13, v4, vcc_lo
	v_cndmask_b32_e64 v4, 0, 1, vcc_lo
	s_delay_alu instid0(VALU_DEP_1)
	v_lshrrev_b64 v[4:5], v4, v[2:3]
; %bb.3720:                             ;   in Loop: Header=BB4_3365 Depth=4
	s_and_not1_saveexec_b32 s13, s13
; %bb.3721:                             ;   in Loop: Header=BB4_3365 Depth=4
	v_mov_b64_e32 v[4:5], v[2:3]
	v_bfe_u32 v8, v2, 23, 1
; %bb.3722:                             ;   in Loop: Header=BB4_3365 Depth=4
	s_or_b32 exec_lo, exec_lo, s13
	s_delay_alu instid0(VALU_DEP_2) | instskip(NEXT) | instid1(VALU_DEP_2)
	v_lshrrev_b64 v[4:5], 21, v[4:5]
	v_cmp_gt_i32_e32 vcc_lo, 32, v8
	v_min_i32_e32 v2, 31, v8
	v_cmp_eq_u32_e64 s13, 0, v8
	s_delay_alu instid0(VALU_DEP_2) | instskip(SKIP_1) | instid1(VALU_DEP_2)
	v_dual_cndmask_b32 v5, 0, v5 :: v_dual_lshlrev_b32 v2, 2, v2
	v_cndmask_b32_e32 v4, 3, v4, vcc_lo
	v_and_b32_e32 v2, 0xfc, v2
	s_delay_alu instid0(VALU_DEP_2) | instskip(NEXT) | instid1(VALU_DEP_2)
	v_cmp_eq_u64_e32 vcc_lo, 0, v[4:5]
	v_and_or_b32 v2, v4, 3, v2
	s_and_b32 s13, s13, vcc_lo
	s_delay_alu instid0(VALU_DEP_1) | instid1(SALU_CYCLE_1)
	v_cndmask_b32_e64 v2, v2, 0, s13
	s_delay_alu instid0(VALU_DEP_1)
	v_or_b32_e32 v79, v2, v12
.LBB4_3723:                             ;   in Loop: Header=BB4_3365 Depth=4
	s_or_b32 exec_lo, exec_lo, s77
                                        ; implicit-def: $vgpr12
.LBB4_3724:                             ;   in Loop: Header=BB4_3365 Depth=4
	s_and_not1_saveexec_b32 s13, s76
; %bb.3725:                             ;   in Loop: Header=BB4_3365 Depth=4
	v_or_b32_e32 v79, 0x7b, v12
; %bb.3726:                             ;   in Loop: Header=BB4_3365 Depth=4
	s_or_b32 exec_lo, exec_lo, s13
                                        ; implicit-def: $vgpr4
                                        ; implicit-def: $vgpr5
.LBB4_3727:                             ;   in Loop: Header=BB4_3365 Depth=4
	s_and_not1_saveexec_b32 s13, s75
	s_cbranch_execz .LBB4_3733
; %bb.3728:                             ;   in Loop: Header=BB4_3365 Depth=4
	s_mov_b32 s75, exec_lo
                                        ; implicit-def: $vgpr79
	v_cmpx_ne_u64_e32 0, v[2:3]
	s_xor_b32 s75, exec_lo, s75
; %bb.3729:                             ;   in Loop: Header=BB4_3365 Depth=4
	v_or_b32_e32 v79, 0x7f, v5
                                        ; implicit-def: $vgpr4
; %bb.3730:                             ;   in Loop: Header=BB4_3365 Depth=4
	s_and_not1_saveexec_b32 s75, s75
; %bb.3731:                             ;   in Loop: Header=BB4_3365 Depth=4
	v_cmp_lt_i32_e32 vcc_lo, -1, v4
	v_cndmask_b32_e32 v79, 0xfc, v49, vcc_lo
; %bb.3732:                             ;   in Loop: Header=BB4_3365 Depth=4
	s_or_b32 exec_lo, exec_lo, s75
.LBB4_3733:                             ;   in Loop: Header=BB4_3365 Depth=4
	s_delay_alu instid0(SALU_CYCLE_1) | instskip(SKIP_3) | instid1(VALU_DEP_2)
	s_or_b32 exec_lo, exec_lo, s13
	v_and_b32_e32 v5, 0xff, v11
	v_dual_mov_b32 v2, v11 :: v_dual_mov_b32 v4, 0
	s_mov_b32 s13, exec_lo
	v_cmpx_ne_u16_e32 0, v5
	s_cbranch_execz .LBB4_3743
; %bb.3734:                             ;   in Loop: Header=BB4_3365 Depth=4
	v_bfrev_b32_e32 v4, 1
	s_mov_b32 s75, exec_lo
	v_cmpx_ne_u16_e32 0x80, v5
	s_cbranch_execz .LBB4_3742
; %bb.3735:                             ;   in Loop: Header=BB4_3365 Depth=4
	v_and_b32_e32 v4, 0x7c, v11
	v_and_b32_e32 v5, 3, v11
	s_delay_alu instid0(VALU_DEP_2) | instskip(SKIP_1) | instid1(SALU_CYCLE_1)
	v_cmp_ne_u32_e32 vcc_lo, 0x7c, v4
                                        ; implicit-def: $vgpr4
	s_and_saveexec_b32 s76, vcc_lo
	s_xor_b32 s76, exec_lo, s76
	s_cbranch_execz .LBB4_3739
; %bb.3736:                             ;   in Loop: Header=BB4_3365 Depth=4
	v_bfe_u32 v4, v11, 2, 5
	s_mov_b32 s77, exec_lo
	s_delay_alu instid0(VALU_DEP_1)
	v_cmpx_eq_u32_e32 0, v4
; %bb.3737:                             ;   in Loop: Header=BB4_3365 Depth=4
	v_clz_i32_u32_e32 v4, v5
	s_delay_alu instid0(VALU_DEP_1) | instskip(NEXT) | instid1(VALU_DEP_1)
	v_min_u32_e32 v4, 32, v4
	v_subrev_nc_u32_e32 v5, 29, v4
	v_sub_nc_u32_e32 v4, 30, v4
	s_delay_alu instid0(VALU_DEP_2) | instskip(NEXT) | instid1(VALU_DEP_1)
	v_lshlrev_b64_e32 v[8:9], v5, v[2:3]
	v_and_b32_e32 v5, 3, v8
; %bb.3738:                             ;   in Loop: Header=BB4_3365 Depth=4
	s_or_b32 exec_lo, exec_lo, s77
	v_lshlrev_b32_e32 v8, 24, v11
	s_delay_alu instid0(VALU_DEP_1) | instskip(NEXT) | instid1(VALU_DEP_1)
	v_and_b32_e32 v8, 0x80000000, v8
	v_lshl_add_u32 v4, v4, 23, v8
	s_delay_alu instid0(VALU_DEP_1) | instskip(NEXT) | instid1(VALU_DEP_1)
	v_lshl_or_b32 v4, v5, 21, v4
                                        ; implicit-def: $vgpr5
	v_add_nc_u32_e32 v4, 0x38000000, v4
.LBB4_3739:                             ;   in Loop: Header=BB4_3365 Depth=4
	s_and_not1_saveexec_b32 s76, s76
; %bb.3740:                             ;   in Loop: Header=BB4_3365 Depth=4
	v_bfe_i32 v4, v11, 0, 8
	s_delay_alu instid0(VALU_DEP_1) | instskip(SKIP_2) | instid1(VALU_DEP_2)
	v_cmp_lt_i16_e32 vcc_lo, -1, v4
	v_cndmask_b32_e32 v4, 0xff800000, v48, vcc_lo
	v_cmp_eq_u32_e32 vcc_lo, 0, v5
	v_cndmask_b32_e32 v4, 0x7f800001, v4, vcc_lo
; %bb.3741:                             ;   in Loop: Header=BB4_3365 Depth=4
	s_or_b32 exec_lo, exec_lo, s76
.LBB4_3742:                             ;   in Loop: Header=BB4_3365 Depth=4
	s_delay_alu instid0(SALU_CYCLE_1)
	s_or_b32 exec_lo, exec_lo, s75
.LBB4_3743:                             ;   in Loop: Header=BB4_3365 Depth=4
	s_delay_alu instid0(SALU_CYCLE_1) | instskip(NEXT) | instid1(VALU_DEP_1)
	s_or_b32 exec_lo, exec_lo, s13
	v_dual_mul_f32 v8, s74, v4 :: v_dual_mov_b32 v13, v3
	v_mov_b32_e32 v5, v3
                                        ; implicit-def: $vgpr61
	s_mov_b32 s13, exec_lo
	s_delay_alu instid0(VALU_DEP_2) | instskip(SKIP_2) | instid1(VALU_DEP_3)
	v_and_b32_e32 v12, 0x7f800000, v8
	v_and_b32_e32 v4, 0x7fffff, v8
	v_lshrrev_b32_e32 v9, 24, v8
	v_cmpx_ne_u64_e32 0x7f800000, v[12:13]
	s_xor_b32 s75, exec_lo, s13
	s_cbranch_execz .LBB4_3757
; %bb.3744:                             ;   in Loop: Header=BB4_3365 Depth=4
	v_and_b32_e32 v12, 0x7fffffff, v8
	v_mov_b32_e32 v13, v3
                                        ; implicit-def: $vgpr61
	s_delay_alu instid0(VALU_DEP_1) | instskip(SKIP_2) | instid1(SALU_CYCLE_1)
	v_cmp_gt_u64_e32 vcc_lo, 0x47600001, v[12:13]
	v_and_b32_e32 v12, 0x80, v9
	s_and_saveexec_b32 s13, vcc_lo
	s_xor_b32 s76, exec_lo, s13
	s_cbranch_execz .LBB4_3754
; %bb.3745:                             ;   in Loop: Header=BB4_3365 Depth=4
	v_mov_b32_e32 v61, 0
	s_mov_b32 s77, exec_lo
	v_cmpx_ne_u32_e32 0, v8
	s_cbranch_execz .LBB4_3753
; %bb.3746:                             ;   in Loop: Header=BB4_3365 Depth=4
	v_bfe_u32 v13, v8, 23, 8
	v_or_b32_e32 v15, 0x800000, v4
	s_delay_alu instid0(VALU_DEP_2) | instskip(SKIP_1) | instid1(VALU_DEP_2)
	v_sub_nc_u32_e32 v8, 0x71, v13
	v_cmp_gt_u32_e32 vcc_lo, 0x72, v13
	v_cndmask_b32_e32 v8, 0, v8, vcc_lo
	v_cmp_eq_u32_e32 vcc_lo, 0, v13
	s_delay_alu instid0(VALU_DEP_2) | instskip(NEXT) | instid1(VALU_DEP_1)
	v_cndmask_b32_e64 v14, v8, 0x70, vcc_lo
	v_dual_cndmask_b32 v4, v15, v4, vcc_lo :: v_dual_add_nc_u32 v8, 21, v14
	v_add_nc_u32_e32 v21, 20, v14
	s_delay_alu instid0(VALU_DEP_2) | instskip(NEXT) | instid1(VALU_DEP_2)
	v_lshlrev_b64_e64 v[8:9], v8, -1
	v_lshlrev_b64_e64 v[50:51], v21, 1
	s_delay_alu instid0(VALU_DEP_2) | instskip(SKIP_1) | instid1(VALU_DEP_4)
	v_bfi_b32 v8, v8, 0, v4
	v_lshrrev_b64 v[4:5], v14, v[4:5]
	v_bfi_b32 v9, v9, 0, 0
	s_delay_alu instid0(VALU_DEP_1) | instskip(NEXT) | instid1(VALU_DEP_3)
	v_cmp_eq_u64_e64 s13, v[8:9], v[50:51]
	v_mov_b64_e32 v[8:9], v[4:5]
	s_and_saveexec_b32 s78, s13
; %bb.3747:                             ;   in Loop: Header=BB4_3365 Depth=4
	v_bfe_u32 v8, v4, 21, 1
	v_mov_b32_e32 v9, v3
	s_delay_alu instid0(VALU_DEP_1) | instskip(NEXT) | instid1(VALU_DEP_1)
	v_add_nc_u64_e32 v[8:9], v[4:5], v[8:9]
	v_add_nc_u64_e32 v[8:9], -1, v[8:9]
; %bb.3748:                             ;   in Loop: Header=BB4_3365 Depth=4
	s_or_b32 exec_lo, exec_lo, s78
	v_add_nc_u32_e32 v5, 0xffffff81, v13
	v_lshrrev_b32_e32 v9, 23, v4
	s_mov_b32 s13, exec_lo
	s_delay_alu instid0(VALU_DEP_2) | instskip(NEXT) | instid1(VALU_DEP_1)
	v_cndmask_b32_e64 v5, v5, 0xffffff82, vcc_lo
	v_add3_u32 v9, v14, v5, v9
	v_and_b32_e32 v5, 0x1fffff, v8
                                        ; implicit-def: $vgpr8
	s_delay_alu instid0(VALU_DEP_1) | instskip(SKIP_1) | instid1(VALU_DEP_2)
	v_dual_add_nc_u32 v13, 14, v9 :: v_dual_add_nc_u32 v4, v5, v4
	v_mov_b32_e32 v5, v3
	v_cmpx_ne_u32_e32 0, v13
	s_xor_b32 s13, exec_lo, s13
; %bb.3749:                             ;   in Loop: Header=BB4_3365 Depth=4
	s_delay_alu instid0(VALU_DEP_2) | instskip(SKIP_2) | instid1(VALU_DEP_2)
	v_cmp_lt_u64_e32 vcc_lo, 0xffffff, v[4:5]
	v_add_nc_u32_e32 v8, 15, v9
	v_cndmask_b32_e64 v9, 0, 1, vcc_lo
	v_cndmask_b32_e32 v8, v13, v8, vcc_lo
	s_delay_alu instid0(VALU_DEP_2)
	v_lshrrev_b64 v[4:5], v9, v[4:5]
; %bb.3750:                             ;   in Loop: Header=BB4_3365 Depth=4
	s_and_not1_saveexec_b32 s13, s13
; %bb.3751:                             ;   in Loop: Header=BB4_3365 Depth=4
	s_delay_alu instid0(VALU_DEP_1)
	v_bfe_u32 v8, v4, 23, 1
; %bb.3752:                             ;   in Loop: Header=BB4_3365 Depth=4
	s_or_b32 exec_lo, exec_lo, s13
	s_delay_alu instid0(VALU_DEP_2) | instskip(NEXT) | instid1(VALU_DEP_2)
	v_lshrrev_b64 v[4:5], 21, v[4:5]
	v_cmp_gt_i32_e32 vcc_lo, 32, v8
	v_min_i32_e32 v9, 31, v8
	v_cmp_eq_u32_e64 s13, 0, v8
	s_delay_alu instid0(VALU_DEP_4) | instskip(NEXT) | instid1(VALU_DEP_3)
	v_cndmask_b32_e32 v5, 0, v5, vcc_lo
	v_dual_cndmask_b32 v4, 3, v4 :: v_dual_lshlrev_b32 v9, 2, v9
	s_delay_alu instid0(VALU_DEP_1) | instskip(NEXT) | instid1(VALU_DEP_2)
	v_and_b32_e32 v9, 0xfc, v9
	v_cmp_eq_u64_e32 vcc_lo, 0, v[4:5]
	s_delay_alu instid0(VALU_DEP_2)
	v_and_or_b32 v4, v4, 3, v9
	s_and_b32 s13, s13, vcc_lo
	s_delay_alu instid0(VALU_DEP_1) | instid1(SALU_CYCLE_1)
	v_cndmask_b32_e64 v4, v4, 0, s13
	s_delay_alu instid0(VALU_DEP_1)
	v_or_b32_e32 v61, v4, v12
.LBB4_3753:                             ;   in Loop: Header=BB4_3365 Depth=4
	s_or_b32 exec_lo, exec_lo, s77
                                        ; implicit-def: $vgpr12
.LBB4_3754:                             ;   in Loop: Header=BB4_3365 Depth=4
	s_and_not1_saveexec_b32 s13, s76
; %bb.3755:                             ;   in Loop: Header=BB4_3365 Depth=4
	v_or_b32_e32 v61, 0x7b, v12
; %bb.3756:                             ;   in Loop: Header=BB4_3365 Depth=4
	s_or_b32 exec_lo, exec_lo, s13
                                        ; implicit-def: $vgpr8
                                        ; implicit-def: $vgpr4_vgpr5
                                        ; implicit-def: $vgpr9
.LBB4_3757:                             ;   in Loop: Header=BB4_3365 Depth=4
	s_and_not1_saveexec_b32 s13, s75
	s_cbranch_execz .LBB4_3763
; %bb.3758:                             ;   in Loop: Header=BB4_3365 Depth=4
	s_mov_b32 s75, exec_lo
                                        ; implicit-def: $vgpr61
	v_cmpx_ne_u64_e32 0, v[4:5]
	s_xor_b32 s75, exec_lo, s75
; %bb.3759:                             ;   in Loop: Header=BB4_3365 Depth=4
	v_or_b32_e32 v61, 0x7f, v9
                                        ; implicit-def: $vgpr8
; %bb.3760:                             ;   in Loop: Header=BB4_3365 Depth=4
	s_and_not1_saveexec_b32 s75, s75
; %bb.3761:                             ;   in Loop: Header=BB4_3365 Depth=4
	v_cmp_lt_i32_e32 vcc_lo, -1, v8
	v_cndmask_b32_e32 v61, 0xfc, v49, vcc_lo
; %bb.3762:                             ;   in Loop: Header=BB4_3365 Depth=4
	s_or_b32 exec_lo, exec_lo, s75
.LBB4_3763:                             ;   in Loop: Header=BB4_3365 Depth=4
	s_delay_alu instid0(SALU_CYCLE_1) | instskip(SKIP_3) | instid1(VALU_DEP_2)
	s_or_b32 exec_lo, exec_lo, s13
	v_lshrrev_b16 v4, 8, v2
	v_mov_b32_e32 v8, 0
	s_mov_b32 s13, exec_lo
	v_cmpx_ne_u16_e32 0, v4
	s_cbranch_execz .LBB4_3773
; %bb.3764:                             ;   in Loop: Header=BB4_3365 Depth=4
	v_bfrev_b32_e32 v8, 1
	s_mov_b32 s75, exec_lo
	v_cmpx_ne_u16_e32 0x80, v4
	s_cbranch_execz .LBB4_3772
; %bb.3765:                             ;   in Loop: Header=BB4_3365 Depth=4
	v_and_b32_e32 v9, 0xffff, v4
	s_delay_alu instid0(VALU_DEP_1) | instskip(SKIP_1) | instid1(VALU_DEP_2)
	v_and_b32_e32 v8, 0x7c, v9
	v_and_b32_e32 v5, 3, v9
	v_cmp_ne_u32_e32 vcc_lo, 0x7c, v8
                                        ; implicit-def: $vgpr8
	s_and_saveexec_b32 s76, vcc_lo
	s_delay_alu instid0(SALU_CYCLE_1)
	s_xor_b32 s76, exec_lo, s76
	s_cbranch_execz .LBB4_3769
; %bb.3766:                             ;   in Loop: Header=BB4_3365 Depth=4
	v_bfe_u32 v8, v9, 2, 5
	s_mov_b32 s77, exec_lo
	s_delay_alu instid0(VALU_DEP_1)
	v_cmpx_eq_u32_e32 0, v8
	s_cbranch_execz .LBB4_3768
; %bb.3767:                             ;   in Loop: Header=BB4_3365 Depth=4
	v_clz_i32_u32_e32 v5, v5
	s_delay_alu instid0(VALU_DEP_1) | instskip(SKIP_1) | instid1(VALU_DEP_2)
	v_min_u32_e32 v8, 32, v5
	v_mov_b32_e32 v5, v3
	v_subrev_nc_u32_e32 v9, 29, v8
	v_sub_nc_u32_e32 v8, 30, v8
	s_delay_alu instid0(VALU_DEP_2) | instskip(NEXT) | instid1(VALU_DEP_1)
	v_lshlrev_b64_e32 v[4:5], v9, v[4:5]
	v_and_b32_e32 v5, 3, v4
.LBB4_3768:                             ;   in Loop: Header=BB4_3365 Depth=4
	s_or_b32 exec_lo, exec_lo, s77
	v_lshlrev_b32_e32 v2, 16, v2
	s_delay_alu instid0(VALU_DEP_1) | instskip(NEXT) | instid1(VALU_DEP_1)
	v_and_b32_e32 v2, 0x80000000, v2
	v_lshl_add_u32 v2, v8, 23, v2
	s_delay_alu instid0(VALU_DEP_1) | instskip(NEXT) | instid1(VALU_DEP_1)
	v_lshl_or_b32 v2, v5, 21, v2
                                        ; implicit-def: $vgpr5
	v_add_nc_u32_e32 v8, 0x38000000, v2
.LBB4_3769:                             ;   in Loop: Header=BB4_3365 Depth=4
	s_and_not1_saveexec_b32 s76, s76
; %bb.3770:                             ;   in Loop: Header=BB4_3365 Depth=4
	v_cmp_lt_i16_e32 vcc_lo, -1, v2
	v_cndmask_b32_e32 v2, 0xff800000, v48, vcc_lo
	v_cmp_eq_u32_e32 vcc_lo, 0, v5
	s_delay_alu instid0(VALU_DEP_2)
	v_cndmask_b32_e32 v8, 0x7f800001, v2, vcc_lo
; %bb.3771:                             ;   in Loop: Header=BB4_3365 Depth=4
	s_or_b32 exec_lo, exec_lo, s76
.LBB4_3772:                             ;   in Loop: Header=BB4_3365 Depth=4
	s_delay_alu instid0(SALU_CYCLE_1)
	s_or_b32 exec_lo, exec_lo, s75
.LBB4_3773:                             ;   in Loop: Header=BB4_3365 Depth=4
	s_delay_alu instid0(SALU_CYCLE_1) | instskip(NEXT) | instid1(VALU_DEP_1)
	s_or_b32 exec_lo, exec_lo, s13
	v_dual_mul_f32 v4, s74, v8 :: v_dual_mov_b32 v9, v3
                                        ; implicit-def: $vgpr72
	s_mov_b32 s13, exec_lo
	s_delay_alu instid0(VALU_DEP_1) | instskip(SKIP_2) | instid1(VALU_DEP_3)
	v_and_b32_e32 v8, 0x7f800000, v4
	v_and_b32_e32 v2, 0x7fffff, v4
	v_lshrrev_b32_e32 v5, 24, v4
	v_cmpx_ne_u64_e32 0x7f800000, v[8:9]
	s_xor_b32 s75, exec_lo, s13
	s_cbranch_execz .LBB4_3787
; %bb.3774:                             ;   in Loop: Header=BB4_3365 Depth=4
	v_and_b32_e32 v8, 0x7fffffff, v4
	v_mov_b32_e32 v9, v3
	v_and_b32_e32 v12, 0x80, v5
                                        ; implicit-def: $vgpr72
	s_mov_b32 s13, exec_lo
	s_delay_alu instid0(VALU_DEP_2)
	v_cmpx_gt_u64_e32 0x47600001, v[8:9]
	s_xor_b32 s76, exec_lo, s13
	s_cbranch_execz .LBB4_3784
; %bb.3775:                             ;   in Loop: Header=BB4_3365 Depth=4
	v_mov_b32_e32 v72, 0
	s_mov_b32 s77, exec_lo
	v_cmpx_ne_u32_e32 0, v4
	s_cbranch_execz .LBB4_3783
; %bb.3776:                             ;   in Loop: Header=BB4_3365 Depth=4
	v_bfe_u32 v13, v4, 23, 8
	v_or_b32_e32 v8, 0x800000, v2
	s_mov_b32 s78, exec_lo
	s_delay_alu instid0(VALU_DEP_2) | instskip(SKIP_1) | instid1(VALU_DEP_2)
	v_dual_mov_b32 v9, v3 :: v_dual_sub_nc_u32 v4, 0x71, v13
	v_cmp_gt_u32_e32 vcc_lo, 0x72, v13
	v_cndmask_b32_e32 v4, 0, v4, vcc_lo
	v_cmp_eq_u32_e32 vcc_lo, 0, v13
	s_delay_alu instid0(VALU_DEP_2) | instskip(SKIP_1) | instid1(VALU_DEP_2)
	v_cndmask_b32_e64 v14, v4, 0x70, vcc_lo
	v_cndmask_b32_e32 v8, v8, v2, vcc_lo
	v_dual_add_nc_u32 v4, 21, v14 :: v_dual_add_nc_u32 v15, 20, v14
	s_delay_alu instid0(VALU_DEP_1) | instskip(NEXT) | instid1(VALU_DEP_2)
	v_lshlrev_b64_e64 v[4:5], v4, -1
	v_lshlrev_b64_e64 v[50:51], v15, 1
	s_delay_alu instid0(VALU_DEP_2) | instskip(NEXT) | instid1(VALU_DEP_3)
	v_bfi_b32 v65, v5, 0, 0
	v_bfi_b32 v64, v4, 0, v8
	v_lshrrev_b64 v[4:5], v14, v[8:9]
	s_delay_alu instid0(VALU_DEP_1) | instskip(NEXT) | instid1(VALU_DEP_3)
	v_mov_b64_e32 v[8:9], v[4:5]
	v_cmpx_eq_u64_e64 v[64:65], v[50:51]
; %bb.3777:                             ;   in Loop: Header=BB4_3365 Depth=4
	v_bfe_u32 v8, v4, 21, 1
	v_mov_b32_e32 v9, v3
	s_delay_alu instid0(VALU_DEP_1) | instskip(NEXT) | instid1(VALU_DEP_1)
	v_add_nc_u64_e32 v[8:9], v[4:5], v[8:9]
	v_add_nc_u64_e32 v[8:9], -1, v[8:9]
; %bb.3778:                             ;   in Loop: Header=BB4_3365 Depth=4
	s_or_b32 exec_lo, exec_lo, s78
	v_add_nc_u32_e32 v2, 0xffffff81, v13
	v_lshrrev_b32_e32 v5, 23, v4
	s_mov_b32 s13, exec_lo
	s_delay_alu instid0(VALU_DEP_2) | instskip(NEXT) | instid1(VALU_DEP_1)
	v_cndmask_b32_e64 v2, v2, 0xffffff82, vcc_lo
	v_add3_u32 v9, v14, v2, v5
	v_and_b32_e32 v2, 0x1fffff, v8
                                        ; implicit-def: $vgpr8
	s_delay_alu instid0(VALU_DEP_1) | instskip(NEXT) | instid1(VALU_DEP_1)
	v_dual_add_nc_u32 v13, 14, v9 :: v_dual_add_nc_u32 v2, v2, v4
                                        ; implicit-def: $vgpr4_vgpr5
	v_cmpx_ne_u32_e32 0, v13
	s_xor_b32 s13, exec_lo, s13
; %bb.3779:                             ;   in Loop: Header=BB4_3365 Depth=4
	s_delay_alu instid0(VALU_DEP_2) | instskip(SKIP_1) | instid1(VALU_DEP_1)
	v_cmp_lt_u64_e32 vcc_lo, 0xffffff, v[2:3]
	v_add_nc_u32_e32 v4, 15, v9
	v_cndmask_b32_e32 v8, v13, v4, vcc_lo
	v_cndmask_b32_e64 v4, 0, 1, vcc_lo
	s_delay_alu instid0(VALU_DEP_1)
	v_lshrrev_b64 v[4:5], v4, v[2:3]
; %bb.3780:                             ;   in Loop: Header=BB4_3365 Depth=4
	s_and_not1_saveexec_b32 s13, s13
; %bb.3781:                             ;   in Loop: Header=BB4_3365 Depth=4
	v_mov_b64_e32 v[4:5], v[2:3]
	v_bfe_u32 v8, v2, 23, 1
; %bb.3782:                             ;   in Loop: Header=BB4_3365 Depth=4
	s_or_b32 exec_lo, exec_lo, s13
	s_delay_alu instid0(VALU_DEP_2) | instskip(NEXT) | instid1(VALU_DEP_2)
	v_lshrrev_b64 v[4:5], 21, v[4:5]
	v_cmp_gt_i32_e32 vcc_lo, 32, v8
	v_min_i32_e32 v2, 31, v8
	v_cmp_eq_u32_e64 s13, 0, v8
	s_delay_alu instid0(VALU_DEP_2) | instskip(SKIP_1) | instid1(VALU_DEP_2)
	v_dual_cndmask_b32 v5, 0, v5 :: v_dual_lshlrev_b32 v2, 2, v2
	v_cndmask_b32_e32 v4, 3, v4, vcc_lo
	v_and_b32_e32 v2, 0xfc, v2
	s_delay_alu instid0(VALU_DEP_2) | instskip(NEXT) | instid1(VALU_DEP_2)
	v_cmp_eq_u64_e32 vcc_lo, 0, v[4:5]
	v_and_or_b32 v2, v4, 3, v2
	s_and_b32 s13, s13, vcc_lo
	s_delay_alu instid0(VALU_DEP_1) | instid1(SALU_CYCLE_1)
	v_cndmask_b32_e64 v2, v2, 0, s13
	s_delay_alu instid0(VALU_DEP_1)
	v_or_b32_e32 v72, v2, v12
.LBB4_3783:                             ;   in Loop: Header=BB4_3365 Depth=4
	s_or_b32 exec_lo, exec_lo, s77
                                        ; implicit-def: $vgpr12
.LBB4_3784:                             ;   in Loop: Header=BB4_3365 Depth=4
	s_and_not1_saveexec_b32 s13, s76
; %bb.3785:                             ;   in Loop: Header=BB4_3365 Depth=4
	v_or_b32_e32 v72, 0x7b, v12
; %bb.3786:                             ;   in Loop: Header=BB4_3365 Depth=4
	s_or_b32 exec_lo, exec_lo, s13
                                        ; implicit-def: $vgpr4
                                        ; implicit-def: $vgpr5
.LBB4_3787:                             ;   in Loop: Header=BB4_3365 Depth=4
	s_and_not1_saveexec_b32 s13, s75
	s_cbranch_execz .LBB4_3793
; %bb.3788:                             ;   in Loop: Header=BB4_3365 Depth=4
	s_mov_b32 s75, exec_lo
                                        ; implicit-def: $vgpr72
	v_cmpx_ne_u64_e32 0, v[2:3]
	s_xor_b32 s75, exec_lo, s75
; %bb.3789:                             ;   in Loop: Header=BB4_3365 Depth=4
	v_or_b32_e32 v72, 0x7f, v5
                                        ; implicit-def: $vgpr4
; %bb.3790:                             ;   in Loop: Header=BB4_3365 Depth=4
	s_and_not1_saveexec_b32 s75, s75
; %bb.3791:                             ;   in Loop: Header=BB4_3365 Depth=4
	v_cmp_lt_i32_e32 vcc_lo, -1, v4
	v_cndmask_b32_e32 v72, 0xfc, v49, vcc_lo
; %bb.3792:                             ;   in Loop: Header=BB4_3365 Depth=4
	s_or_b32 exec_lo, exec_lo, s75
.LBB4_3793:                             ;   in Loop: Header=BB4_3365 Depth=4
	s_delay_alu instid0(SALU_CYCLE_1) | instskip(SKIP_2) | instid1(VALU_DEP_1)
	s_or_b32 exec_lo, exec_lo, s13
	v_dual_lshrrev_b32 v2, 16, v11 :: v_dual_mov_b32 v4, 0
	s_mov_b32 s13, exec_lo
	v_and_b32_e32 v5, 0xff, v2
	s_delay_alu instid0(VALU_DEP_1)
	v_cmpx_ne_u16_e32 0, v5
	s_cbranch_execz .LBB4_3803
; %bb.3794:                             ;   in Loop: Header=BB4_3365 Depth=4
	v_bfrev_b32_e32 v4, 1
	s_mov_b32 s75, exec_lo
	v_cmpx_ne_u16_e32 0x80, v5
	s_cbranch_execz .LBB4_3802
; %bb.3795:                             ;   in Loop: Header=BB4_3365 Depth=4
	v_and_b32_e32 v4, 0x7c0000, v11
	v_bfe_u32 v5, v11, 16, 2
	s_delay_alu instid0(VALU_DEP_2) | instskip(SKIP_1) | instid1(SALU_CYCLE_1)
	v_cmp_ne_u32_e32 vcc_lo, 0x7c0000, v4
                                        ; implicit-def: $vgpr4
	s_and_saveexec_b32 s76, vcc_lo
	s_xor_b32 s76, exec_lo, s76
	s_cbranch_execz .LBB4_3799
; %bb.3796:                             ;   in Loop: Header=BB4_3365 Depth=4
	v_bfe_u32 v4, v11, 18, 5
	s_mov_b32 s77, exec_lo
	s_delay_alu instid0(VALU_DEP_1)
	v_cmpx_eq_u32_e32 0, v4
; %bb.3797:                             ;   in Loop: Header=BB4_3365 Depth=4
	v_clz_i32_u32_e32 v4, v5
	s_delay_alu instid0(VALU_DEP_1) | instskip(NEXT) | instid1(VALU_DEP_1)
	v_min_u32_e32 v4, 32, v4
	v_subrev_nc_u32_e32 v5, 29, v4
	v_sub_nc_u32_e32 v4, 30, v4
	s_delay_alu instid0(VALU_DEP_2) | instskip(NEXT) | instid1(VALU_DEP_1)
	v_lshlrev_b64_e32 v[8:9], v5, v[2:3]
	v_and_b32_e32 v5, 3, v8
; %bb.3798:                             ;   in Loop: Header=BB4_3365 Depth=4
	s_or_b32 exec_lo, exec_lo, s77
	v_lshlrev_b32_e32 v2, 24, v2
	s_delay_alu instid0(VALU_DEP_1) | instskip(NEXT) | instid1(VALU_DEP_1)
	v_and_b32_e32 v2, 0x80000000, v2
	v_lshl_add_u32 v2, v4, 23, v2
	s_delay_alu instid0(VALU_DEP_1) | instskip(NEXT) | instid1(VALU_DEP_1)
	v_lshl_or_b32 v2, v5, 21, v2
                                        ; implicit-def: $vgpr5
	v_add_nc_u32_e32 v4, 0x38000000, v2
                                        ; implicit-def: $vgpr2
.LBB4_3799:                             ;   in Loop: Header=BB4_3365 Depth=4
	s_and_not1_saveexec_b32 s76, s76
; %bb.3800:                             ;   in Loop: Header=BB4_3365 Depth=4
	v_bfe_i32 v2, v2, 0, 8
	s_delay_alu instid0(VALU_DEP_1) | instskip(SKIP_2) | instid1(VALU_DEP_2)
	v_cmp_lt_i16_e32 vcc_lo, -1, v2
	v_cndmask_b32_e32 v2, 0xff800000, v48, vcc_lo
	v_cmp_eq_u32_e32 vcc_lo, 0, v5
	v_cndmask_b32_e32 v4, 0x7f800001, v2, vcc_lo
; %bb.3801:                             ;   in Loop: Header=BB4_3365 Depth=4
	s_or_b32 exec_lo, exec_lo, s76
.LBB4_3802:                             ;   in Loop: Header=BB4_3365 Depth=4
	s_delay_alu instid0(SALU_CYCLE_1)
	s_or_b32 exec_lo, exec_lo, s75
.LBB4_3803:                             ;   in Loop: Header=BB4_3365 Depth=4
	s_delay_alu instid0(SALU_CYCLE_1) | instskip(NEXT) | instid1(VALU_DEP_1)
	s_or_b32 exec_lo, exec_lo, s13
	v_dual_mul_f32 v4, s74, v4 :: v_dual_mov_b32 v9, v3
                                        ; implicit-def: $vgpr75
	s_mov_b32 s13, exec_lo
	s_delay_alu instid0(VALU_DEP_1) | instskip(SKIP_2) | instid1(VALU_DEP_3)
	v_and_b32_e32 v8, 0x7f800000, v4
	v_and_b32_e32 v2, 0x7fffff, v4
	v_lshrrev_b32_e32 v5, 24, v4
	v_cmpx_ne_u64_e32 0x7f800000, v[8:9]
	s_xor_b32 s75, exec_lo, s13
	s_cbranch_execz .LBB4_3817
; %bb.3804:                             ;   in Loop: Header=BB4_3365 Depth=4
	v_and_b32_e32 v8, 0x7fffffff, v4
	v_mov_b32_e32 v9, v3
	v_and_b32_e32 v12, 0x80, v5
                                        ; implicit-def: $vgpr75
	s_mov_b32 s13, exec_lo
	s_delay_alu instid0(VALU_DEP_2)
	v_cmpx_gt_u64_e32 0x47600001, v[8:9]
	s_xor_b32 s76, exec_lo, s13
	s_cbranch_execz .LBB4_3814
; %bb.3805:                             ;   in Loop: Header=BB4_3365 Depth=4
	v_mov_b32_e32 v75, 0
	s_mov_b32 s77, exec_lo
	v_cmpx_ne_u32_e32 0, v4
	s_cbranch_execz .LBB4_3813
; %bb.3806:                             ;   in Loop: Header=BB4_3365 Depth=4
	v_bfe_u32 v13, v4, 23, 8
	v_or_b32_e32 v8, 0x800000, v2
	s_mov_b32 s78, exec_lo
	s_delay_alu instid0(VALU_DEP_2) | instskip(SKIP_1) | instid1(VALU_DEP_2)
	v_dual_mov_b32 v9, v3 :: v_dual_sub_nc_u32 v4, 0x71, v13
	v_cmp_gt_u32_e32 vcc_lo, 0x72, v13
	v_cndmask_b32_e32 v4, 0, v4, vcc_lo
	v_cmp_eq_u32_e32 vcc_lo, 0, v13
	s_delay_alu instid0(VALU_DEP_2) | instskip(SKIP_1) | instid1(VALU_DEP_2)
	v_cndmask_b32_e64 v14, v4, 0x70, vcc_lo
	v_cndmask_b32_e32 v8, v8, v2, vcc_lo
	v_dual_add_nc_u32 v4, 21, v14 :: v_dual_add_nc_u32 v15, 20, v14
	s_delay_alu instid0(VALU_DEP_1) | instskip(NEXT) | instid1(VALU_DEP_2)
	v_lshlrev_b64_e64 v[4:5], v4, -1
	v_lshlrev_b64_e64 v[50:51], v15, 1
	s_delay_alu instid0(VALU_DEP_2) | instskip(NEXT) | instid1(VALU_DEP_3)
	v_bfi_b32 v65, v5, 0, 0
	v_bfi_b32 v64, v4, 0, v8
	v_lshrrev_b64 v[4:5], v14, v[8:9]
	s_delay_alu instid0(VALU_DEP_1) | instskip(NEXT) | instid1(VALU_DEP_3)
	v_mov_b64_e32 v[8:9], v[4:5]
	v_cmpx_eq_u64_e64 v[64:65], v[50:51]
; %bb.3807:                             ;   in Loop: Header=BB4_3365 Depth=4
	v_bfe_u32 v8, v4, 21, 1
	v_mov_b32_e32 v9, v3
	s_delay_alu instid0(VALU_DEP_1) | instskip(NEXT) | instid1(VALU_DEP_1)
	v_add_nc_u64_e32 v[8:9], v[4:5], v[8:9]
	v_add_nc_u64_e32 v[8:9], -1, v[8:9]
; %bb.3808:                             ;   in Loop: Header=BB4_3365 Depth=4
	s_or_b32 exec_lo, exec_lo, s78
	v_add_nc_u32_e32 v2, 0xffffff81, v13
	v_lshrrev_b32_e32 v5, 23, v4
	s_mov_b32 s13, exec_lo
	s_delay_alu instid0(VALU_DEP_2) | instskip(NEXT) | instid1(VALU_DEP_1)
	v_cndmask_b32_e64 v2, v2, 0xffffff82, vcc_lo
	v_add3_u32 v9, v14, v2, v5
	v_and_b32_e32 v2, 0x1fffff, v8
                                        ; implicit-def: $vgpr8
	s_delay_alu instid0(VALU_DEP_1) | instskip(NEXT) | instid1(VALU_DEP_1)
	v_dual_add_nc_u32 v13, 14, v9 :: v_dual_add_nc_u32 v2, v2, v4
                                        ; implicit-def: $vgpr4_vgpr5
	v_cmpx_ne_u32_e32 0, v13
	s_xor_b32 s13, exec_lo, s13
; %bb.3809:                             ;   in Loop: Header=BB4_3365 Depth=4
	s_delay_alu instid0(VALU_DEP_2) | instskip(SKIP_1) | instid1(VALU_DEP_1)
	v_cmp_lt_u64_e32 vcc_lo, 0xffffff, v[2:3]
	v_add_nc_u32_e32 v4, 15, v9
	v_cndmask_b32_e32 v8, v13, v4, vcc_lo
	v_cndmask_b32_e64 v4, 0, 1, vcc_lo
	s_delay_alu instid0(VALU_DEP_1)
	v_lshrrev_b64 v[4:5], v4, v[2:3]
; %bb.3810:                             ;   in Loop: Header=BB4_3365 Depth=4
	s_and_not1_saveexec_b32 s13, s13
; %bb.3811:                             ;   in Loop: Header=BB4_3365 Depth=4
	v_mov_b64_e32 v[4:5], v[2:3]
	v_bfe_u32 v8, v2, 23, 1
; %bb.3812:                             ;   in Loop: Header=BB4_3365 Depth=4
	s_or_b32 exec_lo, exec_lo, s13
	s_delay_alu instid0(VALU_DEP_2) | instskip(NEXT) | instid1(VALU_DEP_2)
	v_lshrrev_b64 v[4:5], 21, v[4:5]
	v_cmp_gt_i32_e32 vcc_lo, 32, v8
	v_min_i32_e32 v2, 31, v8
	v_cmp_eq_u32_e64 s13, 0, v8
	s_delay_alu instid0(VALU_DEP_2) | instskip(SKIP_1) | instid1(VALU_DEP_2)
	v_dual_cndmask_b32 v5, 0, v5 :: v_dual_lshlrev_b32 v2, 2, v2
	v_cndmask_b32_e32 v4, 3, v4, vcc_lo
	v_and_b32_e32 v2, 0xfc, v2
	s_delay_alu instid0(VALU_DEP_2) | instskip(NEXT) | instid1(VALU_DEP_2)
	v_cmp_eq_u64_e32 vcc_lo, 0, v[4:5]
	v_and_or_b32 v2, v4, 3, v2
	s_and_b32 s13, s13, vcc_lo
	s_delay_alu instid0(VALU_DEP_1) | instid1(SALU_CYCLE_1)
	v_cndmask_b32_e64 v2, v2, 0, s13
	s_delay_alu instid0(VALU_DEP_1)
	v_or_b32_e32 v75, v2, v12
.LBB4_3813:                             ;   in Loop: Header=BB4_3365 Depth=4
	s_or_b32 exec_lo, exec_lo, s77
                                        ; implicit-def: $vgpr12
.LBB4_3814:                             ;   in Loop: Header=BB4_3365 Depth=4
	s_and_not1_saveexec_b32 s13, s76
; %bb.3815:                             ;   in Loop: Header=BB4_3365 Depth=4
	v_or_b32_e32 v75, 0x7b, v12
; %bb.3816:                             ;   in Loop: Header=BB4_3365 Depth=4
	s_or_b32 exec_lo, exec_lo, s13
                                        ; implicit-def: $vgpr4
                                        ; implicit-def: $vgpr5
.LBB4_3817:                             ;   in Loop: Header=BB4_3365 Depth=4
	s_and_not1_saveexec_b32 s13, s75
	s_cbranch_execz .LBB4_3823
; %bb.3818:                             ;   in Loop: Header=BB4_3365 Depth=4
	s_mov_b32 s75, exec_lo
                                        ; implicit-def: $vgpr75
	v_cmpx_ne_u64_e32 0, v[2:3]
	s_xor_b32 s75, exec_lo, s75
; %bb.3819:                             ;   in Loop: Header=BB4_3365 Depth=4
	v_or_b32_e32 v75, 0x7f, v5
                                        ; implicit-def: $vgpr4
; %bb.3820:                             ;   in Loop: Header=BB4_3365 Depth=4
	s_and_not1_saveexec_b32 s75, s75
; %bb.3821:                             ;   in Loop: Header=BB4_3365 Depth=4
	v_cmp_lt_i32_e32 vcc_lo, -1, v4
	v_cndmask_b32_e32 v75, 0xfc, v49, vcc_lo
; %bb.3822:                             ;   in Loop: Header=BB4_3365 Depth=4
	s_or_b32 exec_lo, exec_lo, s75
.LBB4_3823:                             ;   in Loop: Header=BB4_3365 Depth=4
	s_delay_alu instid0(SALU_CYCLE_1)
	s_or_b32 exec_lo, exec_lo, s13
	v_mov_b32_e32 v4, 0
	s_mov_b32 s13, exec_lo
	v_cmpx_lt_u64_e64 s[22:23], v[10:11]
	s_cbranch_execz .LBB4_3833
; %bb.3824:                             ;   in Loop: Header=BB4_3365 Depth=4
	v_lshrrev_b32_e32 v2, 24, v11
	v_bfrev_b32_e32 v4, 1
	s_mov_b32 s75, exec_lo
	s_delay_alu instid0(VALU_DEP_2)
	v_cmpx_ne_u32_e32 0x80, v2
	s_cbranch_execz .LBB4_3832
; %bb.3825:                             ;   in Loop: Header=BB4_3365 Depth=4
	v_and_b32_e32 v4, 0x7c000000, v11
	v_bfe_u32 v5, v11, 24, 2
	s_delay_alu instid0(VALU_DEP_2) | instskip(SKIP_1) | instid1(SALU_CYCLE_1)
	v_cmp_ne_u32_e32 vcc_lo, 0x7c000000, v4
                                        ; implicit-def: $vgpr4
	s_and_saveexec_b32 s76, vcc_lo
	s_xor_b32 s76, exec_lo, s76
	s_cbranch_execz .LBB4_3829
; %bb.3826:                             ;   in Loop: Header=BB4_3365 Depth=4
	v_bfe_u32 v4, v11, 26, 5
	s_mov_b32 s77, exec_lo
	s_delay_alu instid0(VALU_DEP_1)
	v_cmpx_eq_u32_e32 0, v4
; %bb.3827:                             ;   in Loop: Header=BB4_3365 Depth=4
	v_clz_i32_u32_e32 v4, v5
	s_delay_alu instid0(VALU_DEP_1) | instskip(NEXT) | instid1(VALU_DEP_1)
	v_min_u32_e32 v4, 32, v4
	v_subrev_nc_u32_e32 v5, 29, v4
	v_sub_nc_u32_e32 v4, 30, v4
	s_delay_alu instid0(VALU_DEP_2) | instskip(NEXT) | instid1(VALU_DEP_1)
	v_lshlrev_b64_e32 v[8:9], v5, v[2:3]
	v_and_b32_e32 v5, 3, v8
; %bb.3828:                             ;   in Loop: Header=BB4_3365 Depth=4
	s_or_b32 exec_lo, exec_lo, s77
	v_and_b32_e32 v2, 0x80000000, v11
                                        ; implicit-def: $vgpr10_vgpr11
	s_delay_alu instid0(VALU_DEP_1) | instskip(NEXT) | instid1(VALU_DEP_1)
	v_lshl_add_u32 v2, v4, 23, v2
	v_lshl_or_b32 v2, v5, 21, v2
                                        ; implicit-def: $vgpr5
	s_delay_alu instid0(VALU_DEP_1)
	v_add_nc_u32_e32 v4, 0x38000000, v2
.LBB4_3829:                             ;   in Loop: Header=BB4_3365 Depth=4
	s_and_not1_saveexec_b32 s76, s76
; %bb.3830:                             ;   in Loop: Header=BB4_3365 Depth=4
	v_cmp_lt_i64_e32 vcc_lo, -1, v[10:11]
	v_cndmask_b32_e32 v2, 0xff800000, v48, vcc_lo
	v_cmp_eq_u32_e32 vcc_lo, 0, v5
	s_delay_alu instid0(VALU_DEP_2)
	v_cndmask_b32_e32 v4, 0x7f800001, v2, vcc_lo
; %bb.3831:                             ;   in Loop: Header=BB4_3365 Depth=4
	s_or_b32 exec_lo, exec_lo, s76
.LBB4_3832:                             ;   in Loop: Header=BB4_3365 Depth=4
	s_delay_alu instid0(SALU_CYCLE_1)
	s_or_b32 exec_lo, exec_lo, s75
.LBB4_3833:                             ;   in Loop: Header=BB4_3365 Depth=4
	s_delay_alu instid0(SALU_CYCLE_1) | instskip(NEXT) | instid1(VALU_DEP_1)
	s_or_b32 exec_lo, exec_lo, s13
	v_dual_mul_f32 v4, s74, v4 :: v_dual_mov_b32 v9, v3
                                        ; implicit-def: $vgpr77
	s_mov_b32 s13, exec_lo
	s_delay_alu instid0(VALU_DEP_1) | instskip(SKIP_2) | instid1(VALU_DEP_3)
	v_and_b32_e32 v8, 0x7f800000, v4
	v_and_b32_e32 v2, 0x7fffff, v4
	v_lshrrev_b32_e32 v5, 24, v4
	v_cmpx_ne_u64_e32 0x7f800000, v[8:9]
	s_xor_b32 s75, exec_lo, s13
	s_cbranch_execz .LBB4_3847
; %bb.3834:                             ;   in Loop: Header=BB4_3365 Depth=4
	v_and_b32_e32 v8, 0x7fffffff, v4
	v_mov_b32_e32 v9, v3
	v_and_b32_e32 v10, 0x80, v5
                                        ; implicit-def: $vgpr77
	s_mov_b32 s13, exec_lo
	s_delay_alu instid0(VALU_DEP_2)
	v_cmpx_gt_u64_e32 0x47600001, v[8:9]
	s_xor_b32 s76, exec_lo, s13
	s_cbranch_execz .LBB4_3844
; %bb.3835:                             ;   in Loop: Header=BB4_3365 Depth=4
	v_mov_b32_e32 v77, 0
	s_mov_b32 s77, exec_lo
	v_cmpx_ne_u32_e32 0, v4
	s_cbranch_execz .LBB4_3843
; %bb.3836:                             ;   in Loop: Header=BB4_3365 Depth=4
	v_bfe_u32 v11, v4, 23, 8
	v_or_b32_e32 v8, 0x800000, v2
	s_mov_b32 s78, exec_lo
	s_delay_alu instid0(VALU_DEP_2) | instskip(SKIP_1) | instid1(VALU_DEP_2)
	v_dual_mov_b32 v9, v3 :: v_dual_sub_nc_u32 v4, 0x71, v11
	v_cmp_gt_u32_e32 vcc_lo, 0x72, v11
	v_cndmask_b32_e32 v4, 0, v4, vcc_lo
	v_cmp_eq_u32_e32 vcc_lo, 0, v11
	v_cndmask_b32_e32 v8, v8, v2, vcc_lo
	s_delay_alu instid0(VALU_DEP_3) | instskip(NEXT) | instid1(VALU_DEP_1)
	v_cndmask_b32_e64 v12, v4, 0x70, vcc_lo
	v_dual_add_nc_u32 v4, 21, v12 :: v_dual_add_nc_u32 v13, 20, v12
	s_delay_alu instid0(VALU_DEP_1) | instskip(NEXT) | instid1(VALU_DEP_2)
	v_lshlrev_b64_e64 v[4:5], v4, -1
	v_lshlrev_b64_e64 v[14:15], v13, 1
	s_delay_alu instid0(VALU_DEP_2) | instskip(NEXT) | instid1(VALU_DEP_3)
	v_bfi_b32 v51, v5, 0, 0
	v_bfi_b32 v50, v4, 0, v8
	v_lshrrev_b64 v[4:5], v12, v[8:9]
	s_delay_alu instid0(VALU_DEP_1) | instskip(NEXT) | instid1(VALU_DEP_3)
	v_mov_b64_e32 v[8:9], v[4:5]
	v_cmpx_eq_u64_e64 v[50:51], v[14:15]
; %bb.3837:                             ;   in Loop: Header=BB4_3365 Depth=4
	v_bfe_u32 v8, v4, 21, 1
	v_mov_b32_e32 v9, v3
	s_delay_alu instid0(VALU_DEP_1) | instskip(NEXT) | instid1(VALU_DEP_1)
	v_add_nc_u64_e32 v[8:9], v[4:5], v[8:9]
	v_add_nc_u64_e32 v[8:9], -1, v[8:9]
; %bb.3838:                             ;   in Loop: Header=BB4_3365 Depth=4
	s_or_b32 exec_lo, exec_lo, s78
	v_add_nc_u32_e32 v2, 0xffffff81, v11
	v_lshrrev_b32_e32 v5, 23, v4
	s_mov_b32 s13, exec_lo
	s_delay_alu instid0(VALU_DEP_2) | instskip(NEXT) | instid1(VALU_DEP_1)
	v_cndmask_b32_e64 v2, v2, 0xffffff82, vcc_lo
	v_add3_u32 v9, v12, v2, v5
	v_and_b32_e32 v2, 0x1fffff, v8
                                        ; implicit-def: $vgpr8
	s_delay_alu instid0(VALU_DEP_1) | instskip(NEXT) | instid1(VALU_DEP_1)
	v_dual_add_nc_u32 v11, 14, v9 :: v_dual_add_nc_u32 v2, v2, v4
                                        ; implicit-def: $vgpr4_vgpr5
	v_cmpx_ne_u32_e32 0, v11
	s_xor_b32 s13, exec_lo, s13
; %bb.3839:                             ;   in Loop: Header=BB4_3365 Depth=4
	s_delay_alu instid0(VALU_DEP_2) | instskip(SKIP_1) | instid1(VALU_DEP_1)
	v_cmp_lt_u64_e32 vcc_lo, 0xffffff, v[2:3]
	v_add_nc_u32_e32 v4, 15, v9
	v_cndmask_b32_e32 v8, v11, v4, vcc_lo
	v_cndmask_b32_e64 v4, 0, 1, vcc_lo
	s_delay_alu instid0(VALU_DEP_1)
	v_lshrrev_b64 v[4:5], v4, v[2:3]
; %bb.3840:                             ;   in Loop: Header=BB4_3365 Depth=4
	s_and_not1_saveexec_b32 s13, s13
; %bb.3841:                             ;   in Loop: Header=BB4_3365 Depth=4
	v_mov_b64_e32 v[4:5], v[2:3]
	v_bfe_u32 v8, v2, 23, 1
; %bb.3842:                             ;   in Loop: Header=BB4_3365 Depth=4
	s_or_b32 exec_lo, exec_lo, s13
	s_delay_alu instid0(VALU_DEP_2) | instskip(NEXT) | instid1(VALU_DEP_2)
	v_lshrrev_b64 v[4:5], 21, v[4:5]
	v_cmp_gt_i32_e32 vcc_lo, 32, v8
	v_min_i32_e32 v2, 31, v8
	v_cmp_eq_u32_e64 s13, 0, v8
	s_delay_alu instid0(VALU_DEP_2) | instskip(SKIP_1) | instid1(VALU_DEP_2)
	v_dual_cndmask_b32 v5, 0, v5 :: v_dual_lshlrev_b32 v2, 2, v2
	v_cndmask_b32_e32 v4, 3, v4, vcc_lo
	v_and_b32_e32 v2, 0xfc, v2
	s_delay_alu instid0(VALU_DEP_2) | instskip(NEXT) | instid1(VALU_DEP_2)
	v_cmp_eq_u64_e32 vcc_lo, 0, v[4:5]
	v_and_or_b32 v2, v4, 3, v2
	s_and_b32 s13, s13, vcc_lo
	s_delay_alu instid0(VALU_DEP_1) | instid1(SALU_CYCLE_1)
	v_cndmask_b32_e64 v2, v2, 0, s13
	s_delay_alu instid0(VALU_DEP_1)
	v_or_b32_e32 v77, v2, v10
.LBB4_3843:                             ;   in Loop: Header=BB4_3365 Depth=4
	s_or_b32 exec_lo, exec_lo, s77
                                        ; implicit-def: $vgpr10
.LBB4_3844:                             ;   in Loop: Header=BB4_3365 Depth=4
	s_and_not1_saveexec_b32 s13, s76
; %bb.3845:                             ;   in Loop: Header=BB4_3365 Depth=4
	v_or_b32_e32 v77, 0x7b, v10
; %bb.3846:                             ;   in Loop: Header=BB4_3365 Depth=4
	s_or_b32 exec_lo, exec_lo, s13
                                        ; implicit-def: $vgpr4
                                        ; implicit-def: $vgpr5
.LBB4_3847:                             ;   in Loop: Header=BB4_3365 Depth=4
	s_and_not1_saveexec_b32 s13, s75
	s_cbranch_execz .LBB4_3853
; %bb.3848:                             ;   in Loop: Header=BB4_3365 Depth=4
	s_mov_b32 s75, exec_lo
                                        ; implicit-def: $vgpr77
	v_cmpx_ne_u64_e32 0, v[2:3]
	s_xor_b32 s75, exec_lo, s75
; %bb.3849:                             ;   in Loop: Header=BB4_3365 Depth=4
	v_or_b32_e32 v77, 0x7f, v5
                                        ; implicit-def: $vgpr4
; %bb.3850:                             ;   in Loop: Header=BB4_3365 Depth=4
	s_and_not1_saveexec_b32 s75, s75
; %bb.3851:                             ;   in Loop: Header=BB4_3365 Depth=4
	v_cmp_lt_i32_e32 vcc_lo, -1, v4
	v_cndmask_b32_e32 v77, 0xfc, v49, vcc_lo
; %bb.3852:                             ;   in Loop: Header=BB4_3365 Depth=4
	s_or_b32 exec_lo, exec_lo, s75
.LBB4_3853:                             ;   in Loop: Header=BB4_3365 Depth=4
	s_delay_alu instid0(SALU_CYCLE_1) | instskip(SKIP_3) | instid1(VALU_DEP_1)
	s_or_b32 exec_lo, exec_lo, s13
	global_load_b128 v[8:11], v[42:43], off offset:512 th:TH_LOAD_NT
	s_wait_loadcnt 0x0
	v_and_b32_e32 v2, 0xff, v8
	v_cmp_ne_u16_e32 vcc_lo, 0, v2
	v_mov_b32_e32 v2, 0
	s_wait_xcnt 0x0
	s_and_saveexec_b32 s13, vcc_lo
	s_cbranch_execz .LBB4_3863
; %bb.3854:                             ;   in Loop: Header=BB4_3365 Depth=4
	v_bfe_i32 v5, v8, 0, 8
	v_bfrev_b32_e32 v2, 1
	s_mov_b32 s75, exec_lo
	s_delay_alu instid0(VALU_DEP_2)
	v_cmpx_ne_u16_e32 0xff80, v5
	s_cbranch_execz .LBB4_3862
; %bb.3855:                             ;   in Loop: Header=BB4_3365 Depth=4
	v_and_b32_e32 v2, 0x7c, v8
	v_and_b32_e32 v4, 3, v8
	s_delay_alu instid0(VALU_DEP_2) | instskip(SKIP_1) | instid1(SALU_CYCLE_1)
	v_cmp_ne_u32_e32 vcc_lo, 0x7c, v2
                                        ; implicit-def: $vgpr2
	s_and_saveexec_b32 s76, vcc_lo
	s_xor_b32 s76, exec_lo, s76
	s_cbranch_execz .LBB4_3859
; %bb.3856:                             ;   in Loop: Header=BB4_3365 Depth=4
	v_bfe_u32 v2, v8, 2, 5
	s_mov_b32 s77, exec_lo
	s_delay_alu instid0(VALU_DEP_1)
	v_cmpx_eq_u32_e32 0, v2
; %bb.3857:                             ;   in Loop: Header=BB4_3365 Depth=4
	v_clz_i32_u32_e32 v2, v4
	s_delay_alu instid0(VALU_DEP_1) | instskip(NEXT) | instid1(VALU_DEP_1)
	v_min_u32_e32 v2, 32, v2
	v_subrev_nc_u32_e32 v4, 29, v2
	s_delay_alu instid0(VALU_DEP_1) | instskip(NEXT) | instid1(VALU_DEP_1)
	v_lshlrev_b64_e32 v[4:5], v4, v[8:9]
	v_dual_sub_nc_u32 v2, 30, v2 :: v_dual_bitop2_b32 v4, 3, v4 bitop3:0x40
; %bb.3858:                             ;   in Loop: Header=BB4_3365 Depth=4
	s_or_b32 exec_lo, exec_lo, s77
	v_lshlrev_b32_e32 v5, 24, v8
	s_delay_alu instid0(VALU_DEP_1) | instskip(NEXT) | instid1(VALU_DEP_1)
	v_and_b32_e32 v5, 0x80000000, v5
	v_lshl_add_u32 v2, v2, 23, v5
                                        ; implicit-def: $vgpr5
	s_delay_alu instid0(VALU_DEP_1) | instskip(NEXT) | instid1(VALU_DEP_1)
	v_lshl_or_b32 v2, v4, 21, v2
                                        ; implicit-def: $vgpr4
	v_add_nc_u32_e32 v2, 0x38000000, v2
.LBB4_3859:                             ;   in Loop: Header=BB4_3365 Depth=4
	s_and_not1_saveexec_b32 s76, s76
; %bb.3860:                             ;   in Loop: Header=BB4_3365 Depth=4
	v_cmp_lt_i16_e32 vcc_lo, -1, v5
	v_cndmask_b32_e32 v2, 0xff800000, v48, vcc_lo
	v_cmp_eq_u32_e32 vcc_lo, 0, v4
	s_delay_alu instid0(VALU_DEP_2)
	v_cndmask_b32_e32 v2, 0x7f800001, v2, vcc_lo
; %bb.3861:                             ;   in Loop: Header=BB4_3365 Depth=4
	s_or_b32 exec_lo, exec_lo, s76
.LBB4_3862:                             ;   in Loop: Header=BB4_3365 Depth=4
	s_delay_alu instid0(SALU_CYCLE_1)
	s_or_b32 exec_lo, exec_lo, s75
.LBB4_3863:                             ;   in Loop: Header=BB4_3365 Depth=4
	s_delay_alu instid0(SALU_CYCLE_1) | instskip(NEXT) | instid1(VALU_DEP_1)
	s_or_b32 exec_lo, exec_lo, s13
	v_dual_mul_f32 v4, s74, v2 :: v_dual_mov_b32 v13, v3
                                        ; implicit-def: $vgpr66
	s_mov_b32 s13, exec_lo
	s_delay_alu instid0(VALU_DEP_1) | instskip(SKIP_2) | instid1(VALU_DEP_3)
	v_and_b32_e32 v12, 0x7f800000, v4
	v_and_b32_e32 v2, 0x7fffff, v4
	v_lshrrev_b32_e32 v5, 24, v4
	v_cmpx_ne_u64_e32 0x7f800000, v[12:13]
	s_xor_b32 s75, exec_lo, s13
	s_cbranch_execz .LBB4_3877
; %bb.3864:                             ;   in Loop: Header=BB4_3365 Depth=4
	v_and_b32_e32 v12, 0x7fffffff, v4
	v_mov_b32_e32 v13, v3
	v_and_b32_e32 v14, 0x80, v5
                                        ; implicit-def: $vgpr66
	s_mov_b32 s13, exec_lo
	s_delay_alu instid0(VALU_DEP_2)
	v_cmpx_gt_u64_e32 0x47600001, v[12:13]
	s_xor_b32 s76, exec_lo, s13
	s_cbranch_execz .LBB4_3874
; %bb.3865:                             ;   in Loop: Header=BB4_3365 Depth=4
	v_mov_b32_e32 v66, 0
	s_mov_b32 s77, exec_lo
	v_cmpx_ne_u32_e32 0, v4
	s_cbranch_execz .LBB4_3873
; %bb.3866:                             ;   in Loop: Header=BB4_3365 Depth=4
	v_bfe_u32 v15, v4, 23, 8
	v_or_b32_e32 v12, 0x800000, v2
	s_mov_b32 s78, exec_lo
	s_delay_alu instid0(VALU_DEP_2) | instskip(SKIP_1) | instid1(VALU_DEP_2)
	v_dual_mov_b32 v13, v3 :: v_dual_sub_nc_u32 v4, 0x71, v15
	v_cmp_gt_u32_e32 vcc_lo, 0x72, v15
	v_cndmask_b32_e32 v4, 0, v4, vcc_lo
	v_cmp_eq_u32_e32 vcc_lo, 0, v15
	s_delay_alu instid0(VALU_DEP_2) | instskip(NEXT) | instid1(VALU_DEP_1)
	v_cndmask_b32_e64 v21, v4, 0x70, vcc_lo
	v_dual_cndmask_b32 v12, v12, v2, vcc_lo :: v_dual_add_nc_u32 v4, 21, v21
	v_add_nc_u32_e32 v31, 20, v21
	s_delay_alu instid0(VALU_DEP_2) | instskip(NEXT) | instid1(VALU_DEP_2)
	v_lshlrev_b64_e64 v[4:5], v4, -1
	v_lshlrev_b64_e64 v[50:51], v31, 1
	s_delay_alu instid0(VALU_DEP_2) | instskip(NEXT) | instid1(VALU_DEP_3)
	v_bfi_b32 v65, v5, 0, 0
	v_bfi_b32 v64, v4, 0, v12
	v_lshrrev_b64 v[4:5], v21, v[12:13]
	s_delay_alu instid0(VALU_DEP_1) | instskip(NEXT) | instid1(VALU_DEP_3)
	v_mov_b64_e32 v[12:13], v[4:5]
	v_cmpx_eq_u64_e64 v[64:65], v[50:51]
; %bb.3867:                             ;   in Loop: Header=BB4_3365 Depth=4
	v_bfe_u32 v12, v4, 21, 1
	v_mov_b32_e32 v13, v3
	s_delay_alu instid0(VALU_DEP_1) | instskip(NEXT) | instid1(VALU_DEP_1)
	v_add_nc_u64_e32 v[12:13], v[4:5], v[12:13]
	v_add_nc_u64_e32 v[12:13], -1, v[12:13]
; %bb.3868:                             ;   in Loop: Header=BB4_3365 Depth=4
	s_or_b32 exec_lo, exec_lo, s78
	v_add_nc_u32_e32 v2, 0xffffff81, v15
	v_lshrrev_b32_e32 v5, 23, v4
	s_mov_b32 s13, exec_lo
	s_delay_alu instid0(VALU_DEP_2) | instskip(NEXT) | instid1(VALU_DEP_1)
	v_cndmask_b32_e64 v2, v2, 0xffffff82, vcc_lo
	v_add3_u32 v13, v21, v2, v5
	v_and_b32_e32 v2, 0x1fffff, v12
                                        ; implicit-def: $vgpr12
	s_delay_alu instid0(VALU_DEP_1) | instskip(NEXT) | instid1(VALU_DEP_1)
	v_dual_add_nc_u32 v15, 14, v13 :: v_dual_add_nc_u32 v2, v2, v4
                                        ; implicit-def: $vgpr4_vgpr5
	v_cmpx_ne_u32_e32 0, v15
	s_xor_b32 s13, exec_lo, s13
; %bb.3869:                             ;   in Loop: Header=BB4_3365 Depth=4
	s_delay_alu instid0(VALU_DEP_2) | instskip(SKIP_1) | instid1(VALU_DEP_1)
	v_cmp_lt_u64_e32 vcc_lo, 0xffffff, v[2:3]
	v_add_nc_u32_e32 v4, 15, v13
	v_cndmask_b32_e32 v12, v15, v4, vcc_lo
	v_cndmask_b32_e64 v4, 0, 1, vcc_lo
	s_delay_alu instid0(VALU_DEP_1)
	v_lshrrev_b64 v[4:5], v4, v[2:3]
; %bb.3870:                             ;   in Loop: Header=BB4_3365 Depth=4
	s_and_not1_saveexec_b32 s13, s13
; %bb.3871:                             ;   in Loop: Header=BB4_3365 Depth=4
	v_mov_b64_e32 v[4:5], v[2:3]
	v_bfe_u32 v12, v2, 23, 1
; %bb.3872:                             ;   in Loop: Header=BB4_3365 Depth=4
	s_or_b32 exec_lo, exec_lo, s13
	s_delay_alu instid0(VALU_DEP_2) | instskip(NEXT) | instid1(VALU_DEP_2)
	v_lshrrev_b64 v[4:5], 21, v[4:5]
	v_cmp_gt_i32_e32 vcc_lo, 32, v12
	v_min_i32_e32 v2, 31, v12
	v_cmp_eq_u32_e64 s13, 0, v12
	s_delay_alu instid0(VALU_DEP_2) | instskip(SKIP_1) | instid1(VALU_DEP_2)
	v_dual_cndmask_b32 v5, 0, v5 :: v_dual_lshlrev_b32 v2, 2, v2
	v_cndmask_b32_e32 v4, 3, v4, vcc_lo
	v_and_b32_e32 v2, 0xfc, v2
	s_delay_alu instid0(VALU_DEP_2) | instskip(NEXT) | instid1(VALU_DEP_2)
	v_cmp_eq_u64_e32 vcc_lo, 0, v[4:5]
	v_and_or_b32 v2, v4, 3, v2
	s_and_b32 s13, s13, vcc_lo
	s_delay_alu instid0(VALU_DEP_1) | instid1(SALU_CYCLE_1)
	v_cndmask_b32_e64 v2, v2, 0, s13
	s_delay_alu instid0(VALU_DEP_1)
	v_or_b32_e32 v66, v2, v14
.LBB4_3873:                             ;   in Loop: Header=BB4_3365 Depth=4
	s_or_b32 exec_lo, exec_lo, s77
                                        ; implicit-def: $vgpr14
.LBB4_3874:                             ;   in Loop: Header=BB4_3365 Depth=4
	s_and_not1_saveexec_b32 s13, s76
; %bb.3875:                             ;   in Loop: Header=BB4_3365 Depth=4
	v_or_b32_e32 v66, 0x7b, v14
; %bb.3876:                             ;   in Loop: Header=BB4_3365 Depth=4
	s_or_b32 exec_lo, exec_lo, s13
                                        ; implicit-def: $vgpr4
                                        ; implicit-def: $vgpr5
.LBB4_3877:                             ;   in Loop: Header=BB4_3365 Depth=4
	s_and_not1_saveexec_b32 s13, s75
	s_cbranch_execz .LBB4_3883
; %bb.3878:                             ;   in Loop: Header=BB4_3365 Depth=4
	s_mov_b32 s75, exec_lo
                                        ; implicit-def: $vgpr66
	v_cmpx_ne_u64_e32 0, v[2:3]
	s_xor_b32 s75, exec_lo, s75
; %bb.3879:                             ;   in Loop: Header=BB4_3365 Depth=4
	v_or_b32_e32 v66, 0x7f, v5
                                        ; implicit-def: $vgpr4
; %bb.3880:                             ;   in Loop: Header=BB4_3365 Depth=4
	s_and_not1_saveexec_b32 s75, s75
; %bb.3881:                             ;   in Loop: Header=BB4_3365 Depth=4
	v_cmp_lt_i32_e32 vcc_lo, -1, v4
	v_cndmask_b32_e32 v66, 0xfc, v49, vcc_lo
; %bb.3882:                             ;   in Loop: Header=BB4_3365 Depth=4
	s_or_b32 exec_lo, exec_lo, s75
.LBB4_3883:                             ;   in Loop: Header=BB4_3365 Depth=4
	s_delay_alu instid0(SALU_CYCLE_1) | instskip(SKIP_3) | instid1(VALU_DEP_2)
	s_or_b32 exec_lo, exec_lo, s13
	v_lshrrev_b16 v4, 8, v8
	v_mov_b32_e32 v5, 0
	s_mov_b32 s13, exec_lo
	v_cmpx_ne_u16_e32 0, v4
	s_cbranch_execz .LBB4_3893
; %bb.3884:                             ;   in Loop: Header=BB4_3365 Depth=4
	v_bfrev_b32_e32 v5, 1
	s_mov_b32 s75, exec_lo
	v_cmpx_ne_u16_e32 0x80, v4
	s_cbranch_execz .LBB4_3892
; %bb.3885:                             ;   in Loop: Header=BB4_3365 Depth=4
	v_and_b32_e32 v12, 0xffff, v4
	s_delay_alu instid0(VALU_DEP_1) | instskip(SKIP_1) | instid1(VALU_DEP_2)
	v_and_b32_e32 v5, 0x7c, v12
	v_and_b32_e32 v2, 3, v12
	v_cmp_ne_u32_e32 vcc_lo, 0x7c, v5
                                        ; implicit-def: $vgpr5
	s_and_saveexec_b32 s76, vcc_lo
	s_delay_alu instid0(SALU_CYCLE_1)
	s_xor_b32 s76, exec_lo, s76
	s_cbranch_execz .LBB4_3889
; %bb.3886:                             ;   in Loop: Header=BB4_3365 Depth=4
	v_bfe_u32 v5, v12, 2, 5
	s_mov_b32 s77, exec_lo
	s_delay_alu instid0(VALU_DEP_1)
	v_cmpx_eq_u32_e32 0, v5
; %bb.3887:                             ;   in Loop: Header=BB4_3365 Depth=4
	v_clz_i32_u32_e32 v2, v2
	v_mov_b32_e32 v5, v3
	s_delay_alu instid0(VALU_DEP_2) | instskip(NEXT) | instid1(VALU_DEP_1)
	v_min_u32_e32 v2, 32, v2
	v_subrev_nc_u32_e32 v12, 29, v2
	s_delay_alu instid0(VALU_DEP_1) | instskip(NEXT) | instid1(VALU_DEP_1)
	v_lshlrev_b64_e32 v[4:5], v12, v[4:5]
	v_dual_sub_nc_u32 v5, 30, v2 :: v_dual_bitop2_b32 v2, 3, v4 bitop3:0x40
; %bb.3888:                             ;   in Loop: Header=BB4_3365 Depth=4
	s_or_b32 exec_lo, exec_lo, s77
	v_lshlrev_b32_e32 v4, 16, v8
	s_delay_alu instid0(VALU_DEP_1) | instskip(NEXT) | instid1(VALU_DEP_1)
	v_and_b32_e32 v4, 0x80000000, v4
	v_lshl_add_u32 v4, v5, 23, v4
	s_delay_alu instid0(VALU_DEP_1) | instskip(NEXT) | instid1(VALU_DEP_1)
	v_lshl_or_b32 v2, v2, 21, v4
	v_add_nc_u32_e32 v5, 0x38000000, v2
                                        ; implicit-def: $vgpr2
.LBB4_3889:                             ;   in Loop: Header=BB4_3365 Depth=4
	s_and_not1_saveexec_b32 s76, s76
; %bb.3890:                             ;   in Loop: Header=BB4_3365 Depth=4
	v_cmp_lt_i16_e32 vcc_lo, -1, v8
	v_cndmask_b32_e32 v4, 0xff800000, v48, vcc_lo
	v_cmp_eq_u32_e32 vcc_lo, 0, v2
	s_delay_alu instid0(VALU_DEP_2)
	v_cndmask_b32_e32 v5, 0x7f800001, v4, vcc_lo
; %bb.3891:                             ;   in Loop: Header=BB4_3365 Depth=4
	s_or_b32 exec_lo, exec_lo, s76
.LBB4_3892:                             ;   in Loop: Header=BB4_3365 Depth=4
	s_delay_alu instid0(SALU_CYCLE_1)
	s_or_b32 exec_lo, exec_lo, s75
.LBB4_3893:                             ;   in Loop: Header=BB4_3365 Depth=4
	s_delay_alu instid0(SALU_CYCLE_1) | instskip(NEXT) | instid1(VALU_DEP_1)
	s_or_b32 exec_lo, exec_lo, s13
	v_dual_mul_f32 v4, s74, v5 :: v_dual_mov_b32 v13, v3
                                        ; implicit-def: $vgpr59
	s_mov_b32 s13, exec_lo
	s_delay_alu instid0(VALU_DEP_1) | instskip(SKIP_2) | instid1(VALU_DEP_3)
	v_and_b32_e32 v12, 0x7f800000, v4
	v_and_b32_e32 v2, 0x7fffff, v4
	v_lshrrev_b32_e32 v5, 24, v4
	v_cmpx_ne_u64_e32 0x7f800000, v[12:13]
	s_xor_b32 s75, exec_lo, s13
	s_cbranch_execz .LBB4_3907
; %bb.3894:                             ;   in Loop: Header=BB4_3365 Depth=4
	v_and_b32_e32 v12, 0x7fffffff, v4
	v_mov_b32_e32 v13, v3
	v_and_b32_e32 v14, 0x80, v5
                                        ; implicit-def: $vgpr59
	s_mov_b32 s13, exec_lo
	s_delay_alu instid0(VALU_DEP_2)
	v_cmpx_gt_u64_e32 0x47600001, v[12:13]
	s_xor_b32 s76, exec_lo, s13
	s_cbranch_execz .LBB4_3904
; %bb.3895:                             ;   in Loop: Header=BB4_3365 Depth=4
	v_mov_b32_e32 v59, 0
	s_mov_b32 s77, exec_lo
	v_cmpx_ne_u32_e32 0, v4
	s_cbranch_execz .LBB4_3903
; %bb.3896:                             ;   in Loop: Header=BB4_3365 Depth=4
	v_bfe_u32 v15, v4, 23, 8
	v_or_b32_e32 v12, 0x800000, v2
	s_mov_b32 s78, exec_lo
	s_delay_alu instid0(VALU_DEP_2) | instskip(SKIP_1) | instid1(VALU_DEP_2)
	v_dual_mov_b32 v13, v3 :: v_dual_sub_nc_u32 v4, 0x71, v15
	v_cmp_gt_u32_e32 vcc_lo, 0x72, v15
	v_cndmask_b32_e32 v4, 0, v4, vcc_lo
	v_cmp_eq_u32_e32 vcc_lo, 0, v15
	s_delay_alu instid0(VALU_DEP_2) | instskip(NEXT) | instid1(VALU_DEP_1)
	v_cndmask_b32_e64 v21, v4, 0x70, vcc_lo
	v_dual_cndmask_b32 v12, v12, v2, vcc_lo :: v_dual_add_nc_u32 v4, 21, v21
	v_add_nc_u32_e32 v31, 20, v21
	s_delay_alu instid0(VALU_DEP_2) | instskip(NEXT) | instid1(VALU_DEP_2)
	v_lshlrev_b64_e64 v[4:5], v4, -1
	v_lshlrev_b64_e64 v[50:51], v31, 1
	s_delay_alu instid0(VALU_DEP_2) | instskip(NEXT) | instid1(VALU_DEP_3)
	v_bfi_b32 v65, v5, 0, 0
	v_bfi_b32 v64, v4, 0, v12
	v_lshrrev_b64 v[4:5], v21, v[12:13]
	s_delay_alu instid0(VALU_DEP_1) | instskip(NEXT) | instid1(VALU_DEP_3)
	v_mov_b64_e32 v[12:13], v[4:5]
	v_cmpx_eq_u64_e64 v[64:65], v[50:51]
; %bb.3897:                             ;   in Loop: Header=BB4_3365 Depth=4
	v_bfe_u32 v12, v4, 21, 1
	v_mov_b32_e32 v13, v3
	s_delay_alu instid0(VALU_DEP_1) | instskip(NEXT) | instid1(VALU_DEP_1)
	v_add_nc_u64_e32 v[12:13], v[4:5], v[12:13]
	v_add_nc_u64_e32 v[12:13], -1, v[12:13]
; %bb.3898:                             ;   in Loop: Header=BB4_3365 Depth=4
	s_or_b32 exec_lo, exec_lo, s78
	v_add_nc_u32_e32 v2, 0xffffff81, v15
	v_lshrrev_b32_e32 v5, 23, v4
	s_mov_b32 s13, exec_lo
	s_delay_alu instid0(VALU_DEP_2) | instskip(NEXT) | instid1(VALU_DEP_1)
	v_cndmask_b32_e64 v2, v2, 0xffffff82, vcc_lo
	v_add3_u32 v13, v21, v2, v5
	v_and_b32_e32 v2, 0x1fffff, v12
                                        ; implicit-def: $vgpr12
	s_delay_alu instid0(VALU_DEP_1) | instskip(NEXT) | instid1(VALU_DEP_1)
	v_dual_add_nc_u32 v15, 14, v13 :: v_dual_add_nc_u32 v2, v2, v4
                                        ; implicit-def: $vgpr4_vgpr5
	v_cmpx_ne_u32_e32 0, v15
	s_xor_b32 s13, exec_lo, s13
; %bb.3899:                             ;   in Loop: Header=BB4_3365 Depth=4
	s_delay_alu instid0(VALU_DEP_2) | instskip(SKIP_1) | instid1(VALU_DEP_1)
	v_cmp_lt_u64_e32 vcc_lo, 0xffffff, v[2:3]
	v_add_nc_u32_e32 v4, 15, v13
	v_cndmask_b32_e32 v12, v15, v4, vcc_lo
	v_cndmask_b32_e64 v4, 0, 1, vcc_lo
	s_delay_alu instid0(VALU_DEP_1)
	v_lshrrev_b64 v[4:5], v4, v[2:3]
; %bb.3900:                             ;   in Loop: Header=BB4_3365 Depth=4
	s_and_not1_saveexec_b32 s13, s13
; %bb.3901:                             ;   in Loop: Header=BB4_3365 Depth=4
	v_mov_b64_e32 v[4:5], v[2:3]
	v_bfe_u32 v12, v2, 23, 1
; %bb.3902:                             ;   in Loop: Header=BB4_3365 Depth=4
	s_or_b32 exec_lo, exec_lo, s13
	s_delay_alu instid0(VALU_DEP_2) | instskip(NEXT) | instid1(VALU_DEP_2)
	v_lshrrev_b64 v[4:5], 21, v[4:5]
	v_cmp_gt_i32_e32 vcc_lo, 32, v12
	v_min_i32_e32 v2, 31, v12
	v_cmp_eq_u32_e64 s13, 0, v12
	s_delay_alu instid0(VALU_DEP_2) | instskip(SKIP_1) | instid1(VALU_DEP_2)
	v_dual_cndmask_b32 v5, 0, v5 :: v_dual_lshlrev_b32 v2, 2, v2
	v_cndmask_b32_e32 v4, 3, v4, vcc_lo
	v_and_b32_e32 v2, 0xfc, v2
	s_delay_alu instid0(VALU_DEP_2) | instskip(NEXT) | instid1(VALU_DEP_2)
	v_cmp_eq_u64_e32 vcc_lo, 0, v[4:5]
	v_and_or_b32 v2, v4, 3, v2
	s_and_b32 s13, s13, vcc_lo
	s_delay_alu instid0(VALU_DEP_1) | instid1(SALU_CYCLE_1)
	v_cndmask_b32_e64 v2, v2, 0, s13
	s_delay_alu instid0(VALU_DEP_1)
	v_or_b32_e32 v59, v2, v14
.LBB4_3903:                             ;   in Loop: Header=BB4_3365 Depth=4
	s_or_b32 exec_lo, exec_lo, s77
                                        ; implicit-def: $vgpr14
.LBB4_3904:                             ;   in Loop: Header=BB4_3365 Depth=4
	s_and_not1_saveexec_b32 s13, s76
; %bb.3905:                             ;   in Loop: Header=BB4_3365 Depth=4
	v_or_b32_e32 v59, 0x7b, v14
; %bb.3906:                             ;   in Loop: Header=BB4_3365 Depth=4
	s_or_b32 exec_lo, exec_lo, s13
                                        ; implicit-def: $vgpr4
                                        ; implicit-def: $vgpr5
.LBB4_3907:                             ;   in Loop: Header=BB4_3365 Depth=4
	s_and_not1_saveexec_b32 s13, s75
	s_cbranch_execz .LBB4_3913
; %bb.3908:                             ;   in Loop: Header=BB4_3365 Depth=4
	s_mov_b32 s75, exec_lo
                                        ; implicit-def: $vgpr59
	v_cmpx_ne_u64_e32 0, v[2:3]
	s_xor_b32 s75, exec_lo, s75
; %bb.3909:                             ;   in Loop: Header=BB4_3365 Depth=4
	v_or_b32_e32 v59, 0x7f, v5
                                        ; implicit-def: $vgpr4
; %bb.3910:                             ;   in Loop: Header=BB4_3365 Depth=4
	s_and_not1_saveexec_b32 s75, s75
; %bb.3911:                             ;   in Loop: Header=BB4_3365 Depth=4
	v_cmp_lt_i32_e32 vcc_lo, -1, v4
	v_cndmask_b32_e32 v59, 0xfc, v49, vcc_lo
; %bb.3912:                             ;   in Loop: Header=BB4_3365 Depth=4
	s_or_b32 exec_lo, exec_lo, s75
.LBB4_3913:                             ;   in Loop: Header=BB4_3365 Depth=4
	s_delay_alu instid0(SALU_CYCLE_1) | instskip(SKIP_2) | instid1(VALU_DEP_1)
	s_or_b32 exec_lo, exec_lo, s13
	v_dual_mov_b32 v5, 0 :: v_dual_lshrrev_b32 v2, 16, v8
	s_mov_b32 s13, exec_lo
	v_and_b32_e32 v4, 0xff, v2
	s_delay_alu instid0(VALU_DEP_1)
	v_cmpx_ne_u16_e32 0, v4
	s_cbranch_execz .LBB4_3923
; %bb.3914:                             ;   in Loop: Header=BB4_3365 Depth=4
	v_bfrev_b32_e32 v5, 1
	s_mov_b32 s75, exec_lo
	v_cmpx_ne_u16_e32 0x80, v4
	s_cbranch_execz .LBB4_3922
; %bb.3915:                             ;   in Loop: Header=BB4_3365 Depth=4
	v_and_b32_e32 v5, 0x7c0000, v8
	v_bfe_u32 v4, v8, 16, 2
	s_delay_alu instid0(VALU_DEP_2) | instskip(SKIP_1) | instid1(SALU_CYCLE_1)
	v_cmp_ne_u32_e32 vcc_lo, 0x7c0000, v5
                                        ; implicit-def: $vgpr5
	s_and_saveexec_b32 s76, vcc_lo
	s_xor_b32 s76, exec_lo, s76
	s_cbranch_execz .LBB4_3919
; %bb.3916:                             ;   in Loop: Header=BB4_3365 Depth=4
	v_bfe_u32 v5, v8, 18, 5
	s_mov_b32 s77, exec_lo
	s_delay_alu instid0(VALU_DEP_1)
	v_cmpx_eq_u32_e32 0, v5
; %bb.3917:                             ;   in Loop: Header=BB4_3365 Depth=4
	v_clz_i32_u32_e32 v4, v4
	s_delay_alu instid0(VALU_DEP_1) | instskip(NEXT) | instid1(VALU_DEP_1)
	v_min_u32_e32 v12, 32, v4
	v_subrev_nc_u32_e32 v4, 29, v12
	s_delay_alu instid0(VALU_DEP_1) | instskip(SKIP_1) | instid1(VALU_DEP_2)
	v_lshlrev_b64_e32 v[4:5], v4, v[2:3]
	v_sub_nc_u32_e32 v5, 30, v12
	v_and_b32_e32 v4, 3, v4
; %bb.3918:                             ;   in Loop: Header=BB4_3365 Depth=4
	s_or_b32 exec_lo, exec_lo, s77
	v_lshlrev_b32_e32 v2, 24, v2
	s_delay_alu instid0(VALU_DEP_1) | instskip(NEXT) | instid1(VALU_DEP_1)
	v_and_b32_e32 v2, 0x80000000, v2
	v_lshl_add_u32 v2, v5, 23, v2
	s_delay_alu instid0(VALU_DEP_1) | instskip(NEXT) | instid1(VALU_DEP_1)
	v_lshl_or_b32 v2, v4, 21, v2
                                        ; implicit-def: $vgpr4
	v_add_nc_u32_e32 v5, 0x38000000, v2
                                        ; implicit-def: $vgpr2
.LBB4_3919:                             ;   in Loop: Header=BB4_3365 Depth=4
	s_and_not1_saveexec_b32 s76, s76
; %bb.3920:                             ;   in Loop: Header=BB4_3365 Depth=4
	v_bfe_i32 v2, v2, 0, 8
	s_delay_alu instid0(VALU_DEP_1) | instskip(SKIP_2) | instid1(VALU_DEP_2)
	v_cmp_lt_i16_e32 vcc_lo, -1, v2
	v_cndmask_b32_e32 v2, 0xff800000, v48, vcc_lo
	v_cmp_eq_u32_e32 vcc_lo, 0, v4
	v_cndmask_b32_e32 v5, 0x7f800001, v2, vcc_lo
; %bb.3921:                             ;   in Loop: Header=BB4_3365 Depth=4
	s_or_b32 exec_lo, exec_lo, s76
.LBB4_3922:                             ;   in Loop: Header=BB4_3365 Depth=4
	s_delay_alu instid0(SALU_CYCLE_1)
	s_or_b32 exec_lo, exec_lo, s75
.LBB4_3923:                             ;   in Loop: Header=BB4_3365 Depth=4
	s_delay_alu instid0(SALU_CYCLE_1) | instskip(NEXT) | instid1(VALU_DEP_1)
	s_or_b32 exec_lo, exec_lo, s13
	v_dual_mul_f32 v4, s74, v5 :: v_dual_mov_b32 v13, v3
                                        ; implicit-def: $vgpr63
	s_mov_b32 s13, exec_lo
	s_delay_alu instid0(VALU_DEP_1) | instskip(SKIP_2) | instid1(VALU_DEP_3)
	v_and_b32_e32 v12, 0x7f800000, v4
	v_and_b32_e32 v2, 0x7fffff, v4
	v_lshrrev_b32_e32 v5, 24, v4
	v_cmpx_ne_u64_e32 0x7f800000, v[12:13]
	s_xor_b32 s75, exec_lo, s13
	s_cbranch_execz .LBB4_3937
; %bb.3924:                             ;   in Loop: Header=BB4_3365 Depth=4
	v_and_b32_e32 v12, 0x7fffffff, v4
	v_mov_b32_e32 v13, v3
	v_and_b32_e32 v14, 0x80, v5
                                        ; implicit-def: $vgpr63
	s_mov_b32 s13, exec_lo
	s_delay_alu instid0(VALU_DEP_2)
	v_cmpx_gt_u64_e32 0x47600001, v[12:13]
	s_xor_b32 s76, exec_lo, s13
	s_cbranch_execz .LBB4_3934
; %bb.3925:                             ;   in Loop: Header=BB4_3365 Depth=4
	v_mov_b32_e32 v63, 0
	s_mov_b32 s77, exec_lo
	v_cmpx_ne_u32_e32 0, v4
	s_cbranch_execz .LBB4_3933
; %bb.3926:                             ;   in Loop: Header=BB4_3365 Depth=4
	v_bfe_u32 v15, v4, 23, 8
	v_or_b32_e32 v12, 0x800000, v2
	s_mov_b32 s78, exec_lo
	s_delay_alu instid0(VALU_DEP_2) | instskip(SKIP_1) | instid1(VALU_DEP_2)
	v_dual_mov_b32 v13, v3 :: v_dual_sub_nc_u32 v4, 0x71, v15
	v_cmp_gt_u32_e32 vcc_lo, 0x72, v15
	v_cndmask_b32_e32 v4, 0, v4, vcc_lo
	v_cmp_eq_u32_e32 vcc_lo, 0, v15
	s_delay_alu instid0(VALU_DEP_2) | instskip(NEXT) | instid1(VALU_DEP_1)
	v_cndmask_b32_e64 v21, v4, 0x70, vcc_lo
	v_dual_cndmask_b32 v12, v12, v2, vcc_lo :: v_dual_add_nc_u32 v4, 21, v21
	v_add_nc_u32_e32 v31, 20, v21
	s_delay_alu instid0(VALU_DEP_2) | instskip(NEXT) | instid1(VALU_DEP_2)
	v_lshlrev_b64_e64 v[4:5], v4, -1
	v_lshlrev_b64_e64 v[50:51], v31, 1
	s_delay_alu instid0(VALU_DEP_2) | instskip(NEXT) | instid1(VALU_DEP_3)
	v_bfi_b32 v65, v5, 0, 0
	v_bfi_b32 v64, v4, 0, v12
	v_lshrrev_b64 v[4:5], v21, v[12:13]
	s_delay_alu instid0(VALU_DEP_1) | instskip(NEXT) | instid1(VALU_DEP_3)
	v_mov_b64_e32 v[12:13], v[4:5]
	v_cmpx_eq_u64_e64 v[64:65], v[50:51]
; %bb.3927:                             ;   in Loop: Header=BB4_3365 Depth=4
	v_bfe_u32 v12, v4, 21, 1
	v_mov_b32_e32 v13, v3
	s_delay_alu instid0(VALU_DEP_1) | instskip(NEXT) | instid1(VALU_DEP_1)
	v_add_nc_u64_e32 v[12:13], v[4:5], v[12:13]
	v_add_nc_u64_e32 v[12:13], -1, v[12:13]
; %bb.3928:                             ;   in Loop: Header=BB4_3365 Depth=4
	s_or_b32 exec_lo, exec_lo, s78
	v_add_nc_u32_e32 v2, 0xffffff81, v15
	v_lshrrev_b32_e32 v5, 23, v4
	s_mov_b32 s13, exec_lo
	s_delay_alu instid0(VALU_DEP_2) | instskip(NEXT) | instid1(VALU_DEP_1)
	v_cndmask_b32_e64 v2, v2, 0xffffff82, vcc_lo
	v_add3_u32 v13, v21, v2, v5
	v_and_b32_e32 v2, 0x1fffff, v12
                                        ; implicit-def: $vgpr12
	s_delay_alu instid0(VALU_DEP_1) | instskip(NEXT) | instid1(VALU_DEP_1)
	v_dual_add_nc_u32 v15, 14, v13 :: v_dual_add_nc_u32 v2, v2, v4
                                        ; implicit-def: $vgpr4_vgpr5
	v_cmpx_ne_u32_e32 0, v15
	s_xor_b32 s13, exec_lo, s13
; %bb.3929:                             ;   in Loop: Header=BB4_3365 Depth=4
	s_delay_alu instid0(VALU_DEP_2) | instskip(SKIP_1) | instid1(VALU_DEP_1)
	v_cmp_lt_u64_e32 vcc_lo, 0xffffff, v[2:3]
	v_add_nc_u32_e32 v4, 15, v13
	v_cndmask_b32_e32 v12, v15, v4, vcc_lo
	v_cndmask_b32_e64 v4, 0, 1, vcc_lo
	s_delay_alu instid0(VALU_DEP_1)
	v_lshrrev_b64 v[4:5], v4, v[2:3]
; %bb.3930:                             ;   in Loop: Header=BB4_3365 Depth=4
	s_and_not1_saveexec_b32 s13, s13
; %bb.3931:                             ;   in Loop: Header=BB4_3365 Depth=4
	v_mov_b64_e32 v[4:5], v[2:3]
	v_bfe_u32 v12, v2, 23, 1
; %bb.3932:                             ;   in Loop: Header=BB4_3365 Depth=4
	s_or_b32 exec_lo, exec_lo, s13
	s_delay_alu instid0(VALU_DEP_2) | instskip(NEXT) | instid1(VALU_DEP_2)
	v_lshrrev_b64 v[4:5], 21, v[4:5]
	v_cmp_gt_i32_e32 vcc_lo, 32, v12
	v_min_i32_e32 v2, 31, v12
	v_cmp_eq_u32_e64 s13, 0, v12
	s_delay_alu instid0(VALU_DEP_2) | instskip(SKIP_1) | instid1(VALU_DEP_2)
	v_dual_cndmask_b32 v5, 0, v5 :: v_dual_lshlrev_b32 v2, 2, v2
	v_cndmask_b32_e32 v4, 3, v4, vcc_lo
	v_and_b32_e32 v2, 0xfc, v2
	s_delay_alu instid0(VALU_DEP_2) | instskip(NEXT) | instid1(VALU_DEP_2)
	v_cmp_eq_u64_e32 vcc_lo, 0, v[4:5]
	v_and_or_b32 v2, v4, 3, v2
	s_and_b32 s13, s13, vcc_lo
	s_delay_alu instid0(VALU_DEP_1) | instid1(SALU_CYCLE_1)
	v_cndmask_b32_e64 v2, v2, 0, s13
	s_delay_alu instid0(VALU_DEP_1)
	v_or_b32_e32 v63, v2, v14
.LBB4_3933:                             ;   in Loop: Header=BB4_3365 Depth=4
	s_or_b32 exec_lo, exec_lo, s77
                                        ; implicit-def: $vgpr14
.LBB4_3934:                             ;   in Loop: Header=BB4_3365 Depth=4
	s_and_not1_saveexec_b32 s13, s76
; %bb.3935:                             ;   in Loop: Header=BB4_3365 Depth=4
	v_or_b32_e32 v63, 0x7b, v14
; %bb.3936:                             ;   in Loop: Header=BB4_3365 Depth=4
	s_or_b32 exec_lo, exec_lo, s13
                                        ; implicit-def: $vgpr4
                                        ; implicit-def: $vgpr5
.LBB4_3937:                             ;   in Loop: Header=BB4_3365 Depth=4
	s_and_not1_saveexec_b32 s13, s75
	s_cbranch_execz .LBB4_3943
; %bb.3938:                             ;   in Loop: Header=BB4_3365 Depth=4
	s_mov_b32 s75, exec_lo
                                        ; implicit-def: $vgpr63
	v_cmpx_ne_u64_e32 0, v[2:3]
	s_xor_b32 s75, exec_lo, s75
; %bb.3939:                             ;   in Loop: Header=BB4_3365 Depth=4
	v_or_b32_e32 v63, 0x7f, v5
                                        ; implicit-def: $vgpr4
; %bb.3940:                             ;   in Loop: Header=BB4_3365 Depth=4
	s_and_not1_saveexec_b32 s75, s75
; %bb.3941:                             ;   in Loop: Header=BB4_3365 Depth=4
	v_cmp_lt_i32_e32 vcc_lo, -1, v4
	v_cndmask_b32_e32 v63, 0xfc, v49, vcc_lo
; %bb.3942:                             ;   in Loop: Header=BB4_3365 Depth=4
	s_or_b32 exec_lo, exec_lo, s75
.LBB4_3943:                             ;   in Loop: Header=BB4_3365 Depth=4
	s_delay_alu instid0(SALU_CYCLE_1)
	s_or_b32 exec_lo, exec_lo, s13
	v_mov_b32_e32 v4, 0
	s_mov_b32 s13, exec_lo
	v_cmpx_lt_u32_e32 0xffffff, v8
	s_cbranch_execz .LBB4_3953
; %bb.3944:                             ;   in Loop: Header=BB4_3365 Depth=4
	v_lshrrev_b32_e32 v2, 24, v8
	v_bfrev_b32_e32 v4, 1
	s_mov_b32 s75, exec_lo
	s_delay_alu instid0(VALU_DEP_2)
	v_cmpx_ne_u32_e32 0x80, v2
	s_cbranch_execz .LBB4_3952
; %bb.3945:                             ;   in Loop: Header=BB4_3365 Depth=4
	v_and_b32_e32 v4, 0x7c000000, v8
	v_bfe_u32 v5, v8, 24, 2
	s_delay_alu instid0(VALU_DEP_2) | instskip(SKIP_1) | instid1(SALU_CYCLE_1)
	v_cmp_ne_u32_e32 vcc_lo, 0x7c000000, v4
                                        ; implicit-def: $vgpr4
	s_and_saveexec_b32 s76, vcc_lo
	s_xor_b32 s76, exec_lo, s76
	s_cbranch_execz .LBB4_3949
; %bb.3946:                             ;   in Loop: Header=BB4_3365 Depth=4
	v_bfe_u32 v4, v8, 26, 5
	s_mov_b32 s77, exec_lo
	s_delay_alu instid0(VALU_DEP_1)
	v_cmpx_eq_u32_e32 0, v4
; %bb.3947:                             ;   in Loop: Header=BB4_3365 Depth=4
	v_clz_i32_u32_e32 v4, v5
	s_delay_alu instid0(VALU_DEP_1) | instskip(NEXT) | instid1(VALU_DEP_1)
	v_min_u32_e32 v4, 32, v4
	v_subrev_nc_u32_e32 v5, 29, v4
	v_sub_nc_u32_e32 v4, 30, v4
	s_delay_alu instid0(VALU_DEP_2) | instskip(NEXT) | instid1(VALU_DEP_1)
	v_lshlrev_b64_e32 v[12:13], v5, v[2:3]
	v_and_b32_e32 v5, 3, v12
; %bb.3948:                             ;   in Loop: Header=BB4_3365 Depth=4
	s_or_b32 exec_lo, exec_lo, s77
	v_and_b32_e32 v2, 0x80000000, v8
	s_delay_alu instid0(VALU_DEP_1) | instskip(NEXT) | instid1(VALU_DEP_1)
	v_lshl_add_u32 v2, v4, 23, v2
	v_lshl_or_b32 v2, v5, 21, v2
                                        ; implicit-def: $vgpr5
	s_delay_alu instid0(VALU_DEP_1)
	v_add_nc_u32_e32 v4, 0x38000000, v2
.LBB4_3949:                             ;   in Loop: Header=BB4_3365 Depth=4
	s_and_not1_saveexec_b32 s76, s76
; %bb.3950:                             ;   in Loop: Header=BB4_3365 Depth=4
	v_cmp_lt_i32_e32 vcc_lo, -1, v8
	v_cndmask_b32_e32 v2, 0xff800000, v48, vcc_lo
	v_cmp_eq_u32_e32 vcc_lo, 0, v5
	s_delay_alu instid0(VALU_DEP_2)
	v_cndmask_b32_e32 v4, 0x7f800001, v2, vcc_lo
; %bb.3951:                             ;   in Loop: Header=BB4_3365 Depth=4
	s_or_b32 exec_lo, exec_lo, s76
.LBB4_3952:                             ;   in Loop: Header=BB4_3365 Depth=4
	s_delay_alu instid0(SALU_CYCLE_1)
	s_or_b32 exec_lo, exec_lo, s75
.LBB4_3953:                             ;   in Loop: Header=BB4_3365 Depth=4
	s_delay_alu instid0(SALU_CYCLE_1) | instskip(NEXT) | instid1(VALU_DEP_1)
	s_or_b32 exec_lo, exec_lo, s13
	v_dual_mul_f32 v4, s74, v4 :: v_dual_mov_b32 v13, v3
                                        ; implicit-def: $vgpr73
	s_mov_b32 s13, exec_lo
	s_delay_alu instid0(VALU_DEP_1) | instskip(SKIP_2) | instid1(VALU_DEP_3)
	v_and_b32_e32 v12, 0x7f800000, v4
	v_and_b32_e32 v2, 0x7fffff, v4
	v_lshrrev_b32_e32 v5, 24, v4
	v_cmpx_ne_u64_e32 0x7f800000, v[12:13]
	s_xor_b32 s75, exec_lo, s13
	s_cbranch_execz .LBB4_3967
; %bb.3954:                             ;   in Loop: Header=BB4_3365 Depth=4
	v_and_b32_e32 v12, 0x7fffffff, v4
	v_mov_b32_e32 v13, v3
	v_and_b32_e32 v14, 0x80, v5
                                        ; implicit-def: $vgpr73
	s_mov_b32 s13, exec_lo
	s_delay_alu instid0(VALU_DEP_2)
	v_cmpx_gt_u64_e32 0x47600001, v[12:13]
	s_xor_b32 s76, exec_lo, s13
	s_cbranch_execz .LBB4_3964
; %bb.3955:                             ;   in Loop: Header=BB4_3365 Depth=4
	v_mov_b32_e32 v73, 0
	s_mov_b32 s77, exec_lo
	v_cmpx_ne_u32_e32 0, v4
	s_cbranch_execz .LBB4_3963
; %bb.3956:                             ;   in Loop: Header=BB4_3365 Depth=4
	v_bfe_u32 v15, v4, 23, 8
	v_or_b32_e32 v12, 0x800000, v2
	s_mov_b32 s78, exec_lo
	s_delay_alu instid0(VALU_DEP_2) | instskip(SKIP_1) | instid1(VALU_DEP_2)
	v_dual_mov_b32 v13, v3 :: v_dual_sub_nc_u32 v4, 0x71, v15
	v_cmp_gt_u32_e32 vcc_lo, 0x72, v15
	v_cndmask_b32_e32 v4, 0, v4, vcc_lo
	v_cmp_eq_u32_e32 vcc_lo, 0, v15
	s_delay_alu instid0(VALU_DEP_2) | instskip(NEXT) | instid1(VALU_DEP_1)
	v_cndmask_b32_e64 v21, v4, 0x70, vcc_lo
	v_dual_cndmask_b32 v12, v12, v2, vcc_lo :: v_dual_add_nc_u32 v4, 21, v21
	v_add_nc_u32_e32 v31, 20, v21
	s_delay_alu instid0(VALU_DEP_2) | instskip(NEXT) | instid1(VALU_DEP_2)
	v_lshlrev_b64_e64 v[4:5], v4, -1
	v_lshlrev_b64_e64 v[50:51], v31, 1
	s_delay_alu instid0(VALU_DEP_2) | instskip(NEXT) | instid1(VALU_DEP_3)
	v_bfi_b32 v65, v5, 0, 0
	v_bfi_b32 v64, v4, 0, v12
	v_lshrrev_b64 v[4:5], v21, v[12:13]
	s_delay_alu instid0(VALU_DEP_1) | instskip(NEXT) | instid1(VALU_DEP_3)
	v_mov_b64_e32 v[12:13], v[4:5]
	v_cmpx_eq_u64_e64 v[64:65], v[50:51]
; %bb.3957:                             ;   in Loop: Header=BB4_3365 Depth=4
	v_bfe_u32 v12, v4, 21, 1
	v_mov_b32_e32 v13, v3
	s_delay_alu instid0(VALU_DEP_1) | instskip(NEXT) | instid1(VALU_DEP_1)
	v_add_nc_u64_e32 v[12:13], v[4:5], v[12:13]
	v_add_nc_u64_e32 v[12:13], -1, v[12:13]
; %bb.3958:                             ;   in Loop: Header=BB4_3365 Depth=4
	s_or_b32 exec_lo, exec_lo, s78
	v_add_nc_u32_e32 v2, 0xffffff81, v15
	v_lshrrev_b32_e32 v5, 23, v4
	s_mov_b32 s13, exec_lo
	s_delay_alu instid0(VALU_DEP_2) | instskip(NEXT) | instid1(VALU_DEP_1)
	v_cndmask_b32_e64 v2, v2, 0xffffff82, vcc_lo
	v_add3_u32 v13, v21, v2, v5
	v_and_b32_e32 v2, 0x1fffff, v12
                                        ; implicit-def: $vgpr12
	s_delay_alu instid0(VALU_DEP_1) | instskip(NEXT) | instid1(VALU_DEP_1)
	v_dual_add_nc_u32 v15, 14, v13 :: v_dual_add_nc_u32 v2, v2, v4
                                        ; implicit-def: $vgpr4_vgpr5
	v_cmpx_ne_u32_e32 0, v15
	s_xor_b32 s13, exec_lo, s13
; %bb.3959:                             ;   in Loop: Header=BB4_3365 Depth=4
	s_delay_alu instid0(VALU_DEP_2) | instskip(SKIP_1) | instid1(VALU_DEP_1)
	v_cmp_lt_u64_e32 vcc_lo, 0xffffff, v[2:3]
	v_add_nc_u32_e32 v4, 15, v13
	v_cndmask_b32_e32 v12, v15, v4, vcc_lo
	v_cndmask_b32_e64 v4, 0, 1, vcc_lo
	s_delay_alu instid0(VALU_DEP_1)
	v_lshrrev_b64 v[4:5], v4, v[2:3]
; %bb.3960:                             ;   in Loop: Header=BB4_3365 Depth=4
	s_and_not1_saveexec_b32 s13, s13
; %bb.3961:                             ;   in Loop: Header=BB4_3365 Depth=4
	v_mov_b64_e32 v[4:5], v[2:3]
	v_bfe_u32 v12, v2, 23, 1
; %bb.3962:                             ;   in Loop: Header=BB4_3365 Depth=4
	s_or_b32 exec_lo, exec_lo, s13
	s_delay_alu instid0(VALU_DEP_2) | instskip(NEXT) | instid1(VALU_DEP_2)
	v_lshrrev_b64 v[4:5], 21, v[4:5]
	v_cmp_gt_i32_e32 vcc_lo, 32, v12
	v_min_i32_e32 v2, 31, v12
	v_cmp_eq_u32_e64 s13, 0, v12
	s_delay_alu instid0(VALU_DEP_2) | instskip(SKIP_1) | instid1(VALU_DEP_2)
	v_dual_cndmask_b32 v5, 0, v5 :: v_dual_lshlrev_b32 v2, 2, v2
	v_cndmask_b32_e32 v4, 3, v4, vcc_lo
	v_and_b32_e32 v2, 0xfc, v2
	s_delay_alu instid0(VALU_DEP_2) | instskip(NEXT) | instid1(VALU_DEP_2)
	v_cmp_eq_u64_e32 vcc_lo, 0, v[4:5]
	v_and_or_b32 v2, v4, 3, v2
	s_and_b32 s13, s13, vcc_lo
	s_delay_alu instid0(VALU_DEP_1) | instid1(SALU_CYCLE_1)
	v_cndmask_b32_e64 v2, v2, 0, s13
	s_delay_alu instid0(VALU_DEP_1)
	v_or_b32_e32 v73, v2, v14
.LBB4_3963:                             ;   in Loop: Header=BB4_3365 Depth=4
	s_or_b32 exec_lo, exec_lo, s77
                                        ; implicit-def: $vgpr14
.LBB4_3964:                             ;   in Loop: Header=BB4_3365 Depth=4
	s_and_not1_saveexec_b32 s13, s76
; %bb.3965:                             ;   in Loop: Header=BB4_3365 Depth=4
	v_or_b32_e32 v73, 0x7b, v14
; %bb.3966:                             ;   in Loop: Header=BB4_3365 Depth=4
	s_or_b32 exec_lo, exec_lo, s13
                                        ; implicit-def: $vgpr4
                                        ; implicit-def: $vgpr5
.LBB4_3967:                             ;   in Loop: Header=BB4_3365 Depth=4
	s_and_not1_saveexec_b32 s13, s75
	s_cbranch_execz .LBB4_3973
; %bb.3968:                             ;   in Loop: Header=BB4_3365 Depth=4
	s_mov_b32 s75, exec_lo
                                        ; implicit-def: $vgpr73
	v_cmpx_ne_u64_e32 0, v[2:3]
	s_xor_b32 s75, exec_lo, s75
; %bb.3969:                             ;   in Loop: Header=BB4_3365 Depth=4
	v_or_b32_e32 v73, 0x7f, v5
                                        ; implicit-def: $vgpr4
; %bb.3970:                             ;   in Loop: Header=BB4_3365 Depth=4
	s_and_not1_saveexec_b32 s75, s75
; %bb.3971:                             ;   in Loop: Header=BB4_3365 Depth=4
	v_cmp_lt_i32_e32 vcc_lo, -1, v4
	v_cndmask_b32_e32 v73, 0xfc, v49, vcc_lo
; %bb.3972:                             ;   in Loop: Header=BB4_3365 Depth=4
	s_or_b32 exec_lo, exec_lo, s75
.LBB4_3973:                             ;   in Loop: Header=BB4_3365 Depth=4
	s_delay_alu instid0(SALU_CYCLE_1) | instskip(SKIP_3) | instid1(VALU_DEP_2)
	s_or_b32 exec_lo, exec_lo, s13
	v_and_b32_e32 v4, 0xff, v9
	v_dual_mov_b32 v2, v9 :: v_dual_mov_b32 v5, 0
	s_mov_b32 s13, exec_lo
	v_cmpx_ne_u16_e32 0, v4
	s_cbranch_execz .LBB4_3983
; %bb.3974:                             ;   in Loop: Header=BB4_3365 Depth=4
	v_bfrev_b32_e32 v5, 1
	s_mov_b32 s75, exec_lo
	v_cmpx_ne_u16_e32 0x80, v4
	s_cbranch_execz .LBB4_3982
; %bb.3975:                             ;   in Loop: Header=BB4_3365 Depth=4
	v_and_b32_e32 v5, 0x7c, v9
	v_and_b32_e32 v4, 3, v9
	s_delay_alu instid0(VALU_DEP_2) | instskip(SKIP_1) | instid1(SALU_CYCLE_1)
	v_cmp_ne_u32_e32 vcc_lo, 0x7c, v5
                                        ; implicit-def: $vgpr5
	s_and_saveexec_b32 s76, vcc_lo
	s_xor_b32 s76, exec_lo, s76
	s_cbranch_execz .LBB4_3979
; %bb.3976:                             ;   in Loop: Header=BB4_3365 Depth=4
	v_bfe_u32 v5, v9, 2, 5
	s_mov_b32 s77, exec_lo
	s_delay_alu instid0(VALU_DEP_1)
	v_cmpx_eq_u32_e32 0, v5
; %bb.3977:                             ;   in Loop: Header=BB4_3365 Depth=4
	v_clz_i32_u32_e32 v4, v4
	s_delay_alu instid0(VALU_DEP_1) | instskip(NEXT) | instid1(VALU_DEP_1)
	v_min_u32_e32 v12, 32, v4
	v_subrev_nc_u32_e32 v4, 29, v12
	s_delay_alu instid0(VALU_DEP_1) | instskip(SKIP_1) | instid1(VALU_DEP_2)
	v_lshlrev_b64_e32 v[4:5], v4, v[2:3]
	v_sub_nc_u32_e32 v5, 30, v12
	v_and_b32_e32 v4, 3, v4
; %bb.3978:                             ;   in Loop: Header=BB4_3365 Depth=4
	s_or_b32 exec_lo, exec_lo, s77
	v_lshlrev_b32_e32 v12, 24, v9
	s_delay_alu instid0(VALU_DEP_1) | instskip(NEXT) | instid1(VALU_DEP_1)
	v_and_b32_e32 v12, 0x80000000, v12
	v_lshl_add_u32 v5, v5, 23, v12
	s_delay_alu instid0(VALU_DEP_1) | instskip(NEXT) | instid1(VALU_DEP_1)
	v_lshl_or_b32 v4, v4, 21, v5
	v_add_nc_u32_e32 v5, 0x38000000, v4
                                        ; implicit-def: $vgpr4
.LBB4_3979:                             ;   in Loop: Header=BB4_3365 Depth=4
	s_and_not1_saveexec_b32 s76, s76
; %bb.3980:                             ;   in Loop: Header=BB4_3365 Depth=4
	v_bfe_i32 v5, v9, 0, 8
	s_delay_alu instid0(VALU_DEP_1) | instskip(SKIP_2) | instid1(VALU_DEP_2)
	v_cmp_lt_i16_e32 vcc_lo, -1, v5
	v_cndmask_b32_e32 v5, 0xff800000, v48, vcc_lo
	v_cmp_eq_u32_e32 vcc_lo, 0, v4
	v_cndmask_b32_e32 v5, 0x7f800001, v5, vcc_lo
; %bb.3981:                             ;   in Loop: Header=BB4_3365 Depth=4
	s_or_b32 exec_lo, exec_lo, s76
.LBB4_3982:                             ;   in Loop: Header=BB4_3365 Depth=4
	s_delay_alu instid0(SALU_CYCLE_1)
	s_or_b32 exec_lo, exec_lo, s75
.LBB4_3983:                             ;   in Loop: Header=BB4_3365 Depth=4
	s_delay_alu instid0(SALU_CYCLE_1) | instskip(NEXT) | instid1(VALU_DEP_1)
	s_or_b32 exec_lo, exec_lo, s13
	v_dual_mul_f32 v12, s74, v5 :: v_dual_mov_b32 v15, v3
	v_mov_b32_e32 v5, v3
                                        ; implicit-def: $vgpr100
	s_mov_b32 s13, exec_lo
	s_delay_alu instid0(VALU_DEP_2) | instskip(SKIP_2) | instid1(VALU_DEP_3)
	v_and_b32_e32 v14, 0x7f800000, v12
	v_and_b32_e32 v4, 0x7fffff, v12
	v_lshrrev_b32_e32 v13, 24, v12
	v_cmpx_ne_u64_e32 0x7f800000, v[14:15]
	s_xor_b32 s75, exec_lo, s13
	s_cbranch_execz .LBB4_3997
; %bb.3984:                             ;   in Loop: Header=BB4_3365 Depth=4
	v_and_b32_e32 v14, 0x7fffffff, v12
	v_mov_b32_e32 v15, v3
                                        ; implicit-def: $vgpr100
	s_delay_alu instid0(VALU_DEP_1) | instskip(SKIP_2) | instid1(SALU_CYCLE_1)
	v_cmp_gt_u64_e32 vcc_lo, 0x47600001, v[14:15]
	v_and_b32_e32 v14, 0x80, v13
	s_and_saveexec_b32 s13, vcc_lo
	s_xor_b32 s76, exec_lo, s13
	s_cbranch_execz .LBB4_3994
; %bb.3985:                             ;   in Loop: Header=BB4_3365 Depth=4
	v_mov_b32_e32 v100, 0
	s_mov_b32 s77, exec_lo
	v_cmpx_ne_u32_e32 0, v12
	s_cbranch_execz .LBB4_3993
; %bb.3986:                             ;   in Loop: Header=BB4_3365 Depth=4
	v_bfe_u32 v15, v12, 23, 8
	v_or_b32_e32 v31, 0x800000, v4
	s_delay_alu instid0(VALU_DEP_2) | instskip(SKIP_1) | instid1(VALU_DEP_2)
	v_sub_nc_u32_e32 v12, 0x71, v15
	v_cmp_gt_u32_e32 vcc_lo, 0x72, v15
	v_cndmask_b32_e32 v12, 0, v12, vcc_lo
	v_cmp_eq_u32_e32 vcc_lo, 0, v15
	s_delay_alu instid0(VALU_DEP_2) | instskip(NEXT) | instid1(VALU_DEP_1)
	v_cndmask_b32_e64 v21, v12, 0x70, vcc_lo
	v_dual_cndmask_b32 v4, v31, v4, vcc_lo :: v_dual_add_nc_u32 v12, 21, v21
	v_add_nc_u32_e32 v50, 20, v21
	s_delay_alu instid0(VALU_DEP_2) | instskip(NEXT) | instid1(VALU_DEP_2)
	v_lshlrev_b64_e64 v[12:13], v12, -1
	v_lshlrev_b64_e64 v[50:51], v50, 1
	s_delay_alu instid0(VALU_DEP_2) | instskip(SKIP_1) | instid1(VALU_DEP_4)
	v_bfi_b32 v12, v12, 0, v4
	v_lshrrev_b64 v[4:5], v21, v[4:5]
	v_bfi_b32 v13, v13, 0, 0
	s_delay_alu instid0(VALU_DEP_1) | instskip(NEXT) | instid1(VALU_DEP_3)
	v_cmp_eq_u64_e64 s13, v[12:13], v[50:51]
	v_mov_b64_e32 v[12:13], v[4:5]
	s_and_saveexec_b32 s78, s13
; %bb.3987:                             ;   in Loop: Header=BB4_3365 Depth=4
	v_bfe_u32 v12, v4, 21, 1
	v_mov_b32_e32 v13, v3
	s_delay_alu instid0(VALU_DEP_1) | instskip(NEXT) | instid1(VALU_DEP_1)
	v_add_nc_u64_e32 v[12:13], v[4:5], v[12:13]
	v_add_nc_u64_e32 v[12:13], -1, v[12:13]
; %bb.3988:                             ;   in Loop: Header=BB4_3365 Depth=4
	s_or_b32 exec_lo, exec_lo, s78
	v_add_nc_u32_e32 v5, 0xffffff81, v15
	v_lshrrev_b32_e32 v13, 23, v4
	s_mov_b32 s13, exec_lo
	s_delay_alu instid0(VALU_DEP_2) | instskip(NEXT) | instid1(VALU_DEP_1)
	v_cndmask_b32_e64 v5, v5, 0xffffff82, vcc_lo
	v_add3_u32 v13, v21, v5, v13
	v_and_b32_e32 v5, 0x1fffff, v12
                                        ; implicit-def: $vgpr12
	s_delay_alu instid0(VALU_DEP_1) | instskip(SKIP_1) | instid1(VALU_DEP_2)
	v_dual_add_nc_u32 v15, 14, v13 :: v_dual_add_nc_u32 v4, v5, v4
	v_mov_b32_e32 v5, v3
	v_cmpx_ne_u32_e32 0, v15
	s_xor_b32 s13, exec_lo, s13
; %bb.3989:                             ;   in Loop: Header=BB4_3365 Depth=4
	s_delay_alu instid0(VALU_DEP_2) | instskip(SKIP_2) | instid1(VALU_DEP_2)
	v_cmp_lt_u64_e32 vcc_lo, 0xffffff, v[4:5]
	v_add_nc_u32_e32 v12, 15, v13
	v_cndmask_b32_e64 v13, 0, 1, vcc_lo
	v_cndmask_b32_e32 v12, v15, v12, vcc_lo
	s_delay_alu instid0(VALU_DEP_2)
	v_lshrrev_b64 v[4:5], v13, v[4:5]
; %bb.3990:                             ;   in Loop: Header=BB4_3365 Depth=4
	s_and_not1_saveexec_b32 s13, s13
; %bb.3991:                             ;   in Loop: Header=BB4_3365 Depth=4
	s_delay_alu instid0(VALU_DEP_1)
	v_bfe_u32 v12, v4, 23, 1
; %bb.3992:                             ;   in Loop: Header=BB4_3365 Depth=4
	s_or_b32 exec_lo, exec_lo, s13
	s_delay_alu instid0(VALU_DEP_2) | instskip(NEXT) | instid1(VALU_DEP_2)
	v_lshrrev_b64 v[4:5], 21, v[4:5]
	v_cmp_gt_i32_e32 vcc_lo, 32, v12
	v_min_i32_e32 v13, 31, v12
	v_cmp_eq_u32_e64 s13, 0, v12
	s_delay_alu instid0(VALU_DEP_4) | instskip(NEXT) | instid1(VALU_DEP_3)
	v_cndmask_b32_e32 v5, 0, v5, vcc_lo
	v_dual_cndmask_b32 v4, 3, v4 :: v_dual_lshlrev_b32 v13, 2, v13
	s_delay_alu instid0(VALU_DEP_1) | instskip(NEXT) | instid1(VALU_DEP_2)
	v_and_b32_e32 v13, 0xfc, v13
	v_cmp_eq_u64_e32 vcc_lo, 0, v[4:5]
	s_delay_alu instid0(VALU_DEP_2)
	v_and_or_b32 v4, v4, 3, v13
	s_and_b32 s13, s13, vcc_lo
	s_delay_alu instid0(VALU_DEP_1) | instid1(SALU_CYCLE_1)
	v_cndmask_b32_e64 v4, v4, 0, s13
	s_delay_alu instid0(VALU_DEP_1)
	v_or_b32_e32 v100, v4, v14
.LBB4_3993:                             ;   in Loop: Header=BB4_3365 Depth=4
	s_or_b32 exec_lo, exec_lo, s77
                                        ; implicit-def: $vgpr14
.LBB4_3994:                             ;   in Loop: Header=BB4_3365 Depth=4
	s_and_not1_saveexec_b32 s13, s76
; %bb.3995:                             ;   in Loop: Header=BB4_3365 Depth=4
	v_or_b32_e32 v100, 0x7b, v14
; %bb.3996:                             ;   in Loop: Header=BB4_3365 Depth=4
	s_or_b32 exec_lo, exec_lo, s13
                                        ; implicit-def: $vgpr12
                                        ; implicit-def: $vgpr4_vgpr5
                                        ; implicit-def: $vgpr13
.LBB4_3997:                             ;   in Loop: Header=BB4_3365 Depth=4
	s_and_not1_saveexec_b32 s13, s75
	s_cbranch_execz .LBB4_4003
; %bb.3998:                             ;   in Loop: Header=BB4_3365 Depth=4
	s_mov_b32 s75, exec_lo
                                        ; implicit-def: $vgpr100
	v_cmpx_ne_u64_e32 0, v[4:5]
	s_xor_b32 s75, exec_lo, s75
; %bb.3999:                             ;   in Loop: Header=BB4_3365 Depth=4
	v_or_b32_e32 v100, 0x7f, v13
                                        ; implicit-def: $vgpr12
; %bb.4000:                             ;   in Loop: Header=BB4_3365 Depth=4
	s_and_not1_saveexec_b32 s75, s75
; %bb.4001:                             ;   in Loop: Header=BB4_3365 Depth=4
	v_cmp_lt_i32_e32 vcc_lo, -1, v12
	v_cndmask_b32_e32 v100, 0xfc, v49, vcc_lo
; %bb.4002:                             ;   in Loop: Header=BB4_3365 Depth=4
	s_or_b32 exec_lo, exec_lo, s75
.LBB4_4003:                             ;   in Loop: Header=BB4_3365 Depth=4
	s_delay_alu instid0(SALU_CYCLE_1) | instskip(SKIP_3) | instid1(VALU_DEP_2)
	s_or_b32 exec_lo, exec_lo, s13
	v_lshrrev_b16 v4, 8, v2
	v_mov_b32_e32 v12, 0
	s_mov_b32 s13, exec_lo
	v_cmpx_ne_u16_e32 0, v4
	s_cbranch_execz .LBB4_4013
; %bb.4004:                             ;   in Loop: Header=BB4_3365 Depth=4
	v_bfrev_b32_e32 v12, 1
	s_mov_b32 s75, exec_lo
	v_cmpx_ne_u16_e32 0x80, v4
	s_cbranch_execz .LBB4_4012
; %bb.4005:                             ;   in Loop: Header=BB4_3365 Depth=4
	v_and_b32_e32 v13, 0xffff, v4
	s_delay_alu instid0(VALU_DEP_1) | instskip(SKIP_1) | instid1(VALU_DEP_2)
	v_and_b32_e32 v12, 0x7c, v13
	v_and_b32_e32 v5, 3, v13
	v_cmp_ne_u32_e32 vcc_lo, 0x7c, v12
                                        ; implicit-def: $vgpr12
	s_and_saveexec_b32 s76, vcc_lo
	s_delay_alu instid0(SALU_CYCLE_1)
	s_xor_b32 s76, exec_lo, s76
	s_cbranch_execz .LBB4_4009
; %bb.4006:                             ;   in Loop: Header=BB4_3365 Depth=4
	v_bfe_u32 v12, v13, 2, 5
	s_mov_b32 s77, exec_lo
	s_delay_alu instid0(VALU_DEP_1)
	v_cmpx_eq_u32_e32 0, v12
	s_cbranch_execz .LBB4_4008
; %bb.4007:                             ;   in Loop: Header=BB4_3365 Depth=4
	v_clz_i32_u32_e32 v5, v5
	s_delay_alu instid0(VALU_DEP_1) | instskip(SKIP_1) | instid1(VALU_DEP_2)
	v_min_u32_e32 v12, 32, v5
	v_mov_b32_e32 v5, v3
	v_subrev_nc_u32_e32 v13, 29, v12
	v_sub_nc_u32_e32 v12, 30, v12
	s_delay_alu instid0(VALU_DEP_2) | instskip(NEXT) | instid1(VALU_DEP_1)
	v_lshlrev_b64_e32 v[4:5], v13, v[4:5]
	v_and_b32_e32 v5, 3, v4
.LBB4_4008:                             ;   in Loop: Header=BB4_3365 Depth=4
	s_or_b32 exec_lo, exec_lo, s77
	v_lshlrev_b32_e32 v2, 16, v2
	s_delay_alu instid0(VALU_DEP_1) | instskip(NEXT) | instid1(VALU_DEP_1)
	v_and_b32_e32 v2, 0x80000000, v2
	v_lshl_add_u32 v2, v12, 23, v2
	s_delay_alu instid0(VALU_DEP_1) | instskip(NEXT) | instid1(VALU_DEP_1)
	v_lshl_or_b32 v2, v5, 21, v2
                                        ; implicit-def: $vgpr5
	v_add_nc_u32_e32 v12, 0x38000000, v2
.LBB4_4009:                             ;   in Loop: Header=BB4_3365 Depth=4
	s_and_not1_saveexec_b32 s76, s76
; %bb.4010:                             ;   in Loop: Header=BB4_3365 Depth=4
	v_cmp_lt_i16_e32 vcc_lo, -1, v2
	v_cndmask_b32_e32 v2, 0xff800000, v48, vcc_lo
	v_cmp_eq_u32_e32 vcc_lo, 0, v5
	s_delay_alu instid0(VALU_DEP_2)
	v_cndmask_b32_e32 v12, 0x7f800001, v2, vcc_lo
; %bb.4011:                             ;   in Loop: Header=BB4_3365 Depth=4
	s_or_b32 exec_lo, exec_lo, s76
.LBB4_4012:                             ;   in Loop: Header=BB4_3365 Depth=4
	s_delay_alu instid0(SALU_CYCLE_1)
	s_or_b32 exec_lo, exec_lo, s75
.LBB4_4013:                             ;   in Loop: Header=BB4_3365 Depth=4
	s_delay_alu instid0(SALU_CYCLE_1) | instskip(NEXT) | instid1(VALU_DEP_1)
	s_or_b32 exec_lo, exec_lo, s13
	v_dual_mul_f32 v4, s74, v12 :: v_dual_mov_b32 v13, v3
                                        ; implicit-def: $vgpr56
	s_mov_b32 s13, exec_lo
	s_delay_alu instid0(VALU_DEP_1) | instskip(SKIP_2) | instid1(VALU_DEP_3)
	v_and_b32_e32 v12, 0x7f800000, v4
	v_and_b32_e32 v2, 0x7fffff, v4
	v_lshrrev_b32_e32 v5, 24, v4
	v_cmpx_ne_u64_e32 0x7f800000, v[12:13]
	s_xor_b32 s75, exec_lo, s13
	s_cbranch_execz .LBB4_4027
; %bb.4014:                             ;   in Loop: Header=BB4_3365 Depth=4
	v_and_b32_e32 v12, 0x7fffffff, v4
	v_mov_b32_e32 v13, v3
	v_and_b32_e32 v14, 0x80, v5
                                        ; implicit-def: $vgpr56
	s_mov_b32 s13, exec_lo
	s_delay_alu instid0(VALU_DEP_2)
	v_cmpx_gt_u64_e32 0x47600001, v[12:13]
	s_xor_b32 s76, exec_lo, s13
	s_cbranch_execz .LBB4_4024
; %bb.4015:                             ;   in Loop: Header=BB4_3365 Depth=4
	v_mov_b32_e32 v56, 0
	s_mov_b32 s77, exec_lo
	v_cmpx_ne_u32_e32 0, v4
	s_cbranch_execz .LBB4_4023
; %bb.4016:                             ;   in Loop: Header=BB4_3365 Depth=4
	v_bfe_u32 v15, v4, 23, 8
	v_or_b32_e32 v12, 0x800000, v2
	s_mov_b32 s78, exec_lo
	s_delay_alu instid0(VALU_DEP_2) | instskip(SKIP_1) | instid1(VALU_DEP_2)
	v_dual_mov_b32 v13, v3 :: v_dual_sub_nc_u32 v4, 0x71, v15
	v_cmp_gt_u32_e32 vcc_lo, 0x72, v15
	v_cndmask_b32_e32 v4, 0, v4, vcc_lo
	v_cmp_eq_u32_e32 vcc_lo, 0, v15
	s_delay_alu instid0(VALU_DEP_2) | instskip(NEXT) | instid1(VALU_DEP_1)
	v_cndmask_b32_e64 v21, v4, 0x70, vcc_lo
	v_dual_cndmask_b32 v12, v12, v2, vcc_lo :: v_dual_add_nc_u32 v4, 21, v21
	v_add_nc_u32_e32 v31, 20, v21
	s_delay_alu instid0(VALU_DEP_2) | instskip(NEXT) | instid1(VALU_DEP_2)
	v_lshlrev_b64_e64 v[4:5], v4, -1
	v_lshlrev_b64_e64 v[50:51], v31, 1
	s_delay_alu instid0(VALU_DEP_2) | instskip(NEXT) | instid1(VALU_DEP_3)
	v_bfi_b32 v65, v5, 0, 0
	v_bfi_b32 v64, v4, 0, v12
	v_lshrrev_b64 v[4:5], v21, v[12:13]
	s_delay_alu instid0(VALU_DEP_1) | instskip(NEXT) | instid1(VALU_DEP_3)
	v_mov_b64_e32 v[12:13], v[4:5]
	v_cmpx_eq_u64_e64 v[64:65], v[50:51]
; %bb.4017:                             ;   in Loop: Header=BB4_3365 Depth=4
	v_bfe_u32 v12, v4, 21, 1
	v_mov_b32_e32 v13, v3
	s_delay_alu instid0(VALU_DEP_1) | instskip(NEXT) | instid1(VALU_DEP_1)
	v_add_nc_u64_e32 v[12:13], v[4:5], v[12:13]
	v_add_nc_u64_e32 v[12:13], -1, v[12:13]
; %bb.4018:                             ;   in Loop: Header=BB4_3365 Depth=4
	s_or_b32 exec_lo, exec_lo, s78
	v_add_nc_u32_e32 v2, 0xffffff81, v15
	v_lshrrev_b32_e32 v5, 23, v4
	s_mov_b32 s13, exec_lo
	s_delay_alu instid0(VALU_DEP_2) | instskip(NEXT) | instid1(VALU_DEP_1)
	v_cndmask_b32_e64 v2, v2, 0xffffff82, vcc_lo
	v_add3_u32 v13, v21, v2, v5
	v_and_b32_e32 v2, 0x1fffff, v12
                                        ; implicit-def: $vgpr12
	s_delay_alu instid0(VALU_DEP_1) | instskip(NEXT) | instid1(VALU_DEP_1)
	v_dual_add_nc_u32 v15, 14, v13 :: v_dual_add_nc_u32 v2, v2, v4
                                        ; implicit-def: $vgpr4_vgpr5
	v_cmpx_ne_u32_e32 0, v15
	s_xor_b32 s13, exec_lo, s13
; %bb.4019:                             ;   in Loop: Header=BB4_3365 Depth=4
	s_delay_alu instid0(VALU_DEP_2) | instskip(SKIP_1) | instid1(VALU_DEP_1)
	v_cmp_lt_u64_e32 vcc_lo, 0xffffff, v[2:3]
	v_add_nc_u32_e32 v4, 15, v13
	v_cndmask_b32_e32 v12, v15, v4, vcc_lo
	v_cndmask_b32_e64 v4, 0, 1, vcc_lo
	s_delay_alu instid0(VALU_DEP_1)
	v_lshrrev_b64 v[4:5], v4, v[2:3]
; %bb.4020:                             ;   in Loop: Header=BB4_3365 Depth=4
	s_and_not1_saveexec_b32 s13, s13
; %bb.4021:                             ;   in Loop: Header=BB4_3365 Depth=4
	v_mov_b64_e32 v[4:5], v[2:3]
	v_bfe_u32 v12, v2, 23, 1
; %bb.4022:                             ;   in Loop: Header=BB4_3365 Depth=4
	s_or_b32 exec_lo, exec_lo, s13
	s_delay_alu instid0(VALU_DEP_2) | instskip(NEXT) | instid1(VALU_DEP_2)
	v_lshrrev_b64 v[4:5], 21, v[4:5]
	v_cmp_gt_i32_e32 vcc_lo, 32, v12
	v_min_i32_e32 v2, 31, v12
	v_cmp_eq_u32_e64 s13, 0, v12
	s_delay_alu instid0(VALU_DEP_2) | instskip(SKIP_1) | instid1(VALU_DEP_2)
	v_dual_cndmask_b32 v5, 0, v5 :: v_dual_lshlrev_b32 v2, 2, v2
	v_cndmask_b32_e32 v4, 3, v4, vcc_lo
	v_and_b32_e32 v2, 0xfc, v2
	s_delay_alu instid0(VALU_DEP_2) | instskip(NEXT) | instid1(VALU_DEP_2)
	v_cmp_eq_u64_e32 vcc_lo, 0, v[4:5]
	v_and_or_b32 v2, v4, 3, v2
	s_and_b32 s13, s13, vcc_lo
	s_delay_alu instid0(VALU_DEP_1) | instid1(SALU_CYCLE_1)
	v_cndmask_b32_e64 v2, v2, 0, s13
	s_delay_alu instid0(VALU_DEP_1)
	v_or_b32_e32 v56, v2, v14
.LBB4_4023:                             ;   in Loop: Header=BB4_3365 Depth=4
	s_or_b32 exec_lo, exec_lo, s77
                                        ; implicit-def: $vgpr14
.LBB4_4024:                             ;   in Loop: Header=BB4_3365 Depth=4
	s_and_not1_saveexec_b32 s13, s76
; %bb.4025:                             ;   in Loop: Header=BB4_3365 Depth=4
	v_or_b32_e32 v56, 0x7b, v14
; %bb.4026:                             ;   in Loop: Header=BB4_3365 Depth=4
	s_or_b32 exec_lo, exec_lo, s13
                                        ; implicit-def: $vgpr4
                                        ; implicit-def: $vgpr5
.LBB4_4027:                             ;   in Loop: Header=BB4_3365 Depth=4
	s_and_not1_saveexec_b32 s13, s75
	s_cbranch_execz .LBB4_4033
; %bb.4028:                             ;   in Loop: Header=BB4_3365 Depth=4
	s_mov_b32 s75, exec_lo
                                        ; implicit-def: $vgpr56
	v_cmpx_ne_u64_e32 0, v[2:3]
	s_xor_b32 s75, exec_lo, s75
; %bb.4029:                             ;   in Loop: Header=BB4_3365 Depth=4
	v_or_b32_e32 v56, 0x7f, v5
                                        ; implicit-def: $vgpr4
; %bb.4030:                             ;   in Loop: Header=BB4_3365 Depth=4
	s_and_not1_saveexec_b32 s75, s75
; %bb.4031:                             ;   in Loop: Header=BB4_3365 Depth=4
	v_cmp_lt_i32_e32 vcc_lo, -1, v4
	v_cndmask_b32_e32 v56, 0xfc, v49, vcc_lo
; %bb.4032:                             ;   in Loop: Header=BB4_3365 Depth=4
	s_or_b32 exec_lo, exec_lo, s75
.LBB4_4033:                             ;   in Loop: Header=BB4_3365 Depth=4
	s_delay_alu instid0(SALU_CYCLE_1) | instskip(SKIP_2) | instid1(VALU_DEP_1)
	s_or_b32 exec_lo, exec_lo, s13
	v_dual_mov_b32 v5, 0 :: v_dual_lshrrev_b32 v2, 16, v9
	s_mov_b32 s13, exec_lo
	v_and_b32_e32 v4, 0xff, v2
	s_delay_alu instid0(VALU_DEP_1)
	v_cmpx_ne_u16_e32 0, v4
	s_cbranch_execz .LBB4_4043
; %bb.4034:                             ;   in Loop: Header=BB4_3365 Depth=4
	v_bfrev_b32_e32 v5, 1
	s_mov_b32 s75, exec_lo
	v_cmpx_ne_u16_e32 0x80, v4
	s_cbranch_execz .LBB4_4042
; %bb.4035:                             ;   in Loop: Header=BB4_3365 Depth=4
	v_and_b32_e32 v5, 0x7c0000, v9
	v_bfe_u32 v4, v9, 16, 2
	s_delay_alu instid0(VALU_DEP_2) | instskip(SKIP_1) | instid1(SALU_CYCLE_1)
	v_cmp_ne_u32_e32 vcc_lo, 0x7c0000, v5
                                        ; implicit-def: $vgpr5
	s_and_saveexec_b32 s76, vcc_lo
	s_xor_b32 s76, exec_lo, s76
	s_cbranch_execz .LBB4_4039
; %bb.4036:                             ;   in Loop: Header=BB4_3365 Depth=4
	v_bfe_u32 v5, v9, 18, 5
	s_mov_b32 s77, exec_lo
	s_delay_alu instid0(VALU_DEP_1)
	v_cmpx_eq_u32_e32 0, v5
; %bb.4037:                             ;   in Loop: Header=BB4_3365 Depth=4
	v_clz_i32_u32_e32 v4, v4
	s_delay_alu instid0(VALU_DEP_1) | instskip(NEXT) | instid1(VALU_DEP_1)
	v_min_u32_e32 v12, 32, v4
	v_subrev_nc_u32_e32 v4, 29, v12
	s_delay_alu instid0(VALU_DEP_1) | instskip(SKIP_1) | instid1(VALU_DEP_2)
	v_lshlrev_b64_e32 v[4:5], v4, v[2:3]
	v_sub_nc_u32_e32 v5, 30, v12
	v_and_b32_e32 v4, 3, v4
; %bb.4038:                             ;   in Loop: Header=BB4_3365 Depth=4
	s_or_b32 exec_lo, exec_lo, s77
	v_lshlrev_b32_e32 v2, 24, v2
	s_delay_alu instid0(VALU_DEP_1) | instskip(NEXT) | instid1(VALU_DEP_1)
	v_and_b32_e32 v2, 0x80000000, v2
	v_lshl_add_u32 v2, v5, 23, v2
	s_delay_alu instid0(VALU_DEP_1) | instskip(NEXT) | instid1(VALU_DEP_1)
	v_lshl_or_b32 v2, v4, 21, v2
                                        ; implicit-def: $vgpr4
	v_add_nc_u32_e32 v5, 0x38000000, v2
                                        ; implicit-def: $vgpr2
.LBB4_4039:                             ;   in Loop: Header=BB4_3365 Depth=4
	s_and_not1_saveexec_b32 s76, s76
; %bb.4040:                             ;   in Loop: Header=BB4_3365 Depth=4
	v_bfe_i32 v2, v2, 0, 8
	s_delay_alu instid0(VALU_DEP_1) | instskip(SKIP_2) | instid1(VALU_DEP_2)
	v_cmp_lt_i16_e32 vcc_lo, -1, v2
	v_cndmask_b32_e32 v2, 0xff800000, v48, vcc_lo
	v_cmp_eq_u32_e32 vcc_lo, 0, v4
	v_cndmask_b32_e32 v5, 0x7f800001, v2, vcc_lo
; %bb.4041:                             ;   in Loop: Header=BB4_3365 Depth=4
	s_or_b32 exec_lo, exec_lo, s76
.LBB4_4042:                             ;   in Loop: Header=BB4_3365 Depth=4
	s_delay_alu instid0(SALU_CYCLE_1)
	s_or_b32 exec_lo, exec_lo, s75
.LBB4_4043:                             ;   in Loop: Header=BB4_3365 Depth=4
	s_delay_alu instid0(SALU_CYCLE_1) | instskip(NEXT) | instid1(VALU_DEP_1)
	s_or_b32 exec_lo, exec_lo, s13
	v_dual_mul_f32 v4, s74, v5 :: v_dual_mov_b32 v13, v3
                                        ; implicit-def: $vgpr57
	s_mov_b32 s13, exec_lo
	s_delay_alu instid0(VALU_DEP_1) | instskip(SKIP_2) | instid1(VALU_DEP_3)
	v_and_b32_e32 v12, 0x7f800000, v4
	v_and_b32_e32 v2, 0x7fffff, v4
	v_lshrrev_b32_e32 v5, 24, v4
	v_cmpx_ne_u64_e32 0x7f800000, v[12:13]
	s_xor_b32 s75, exec_lo, s13
	s_cbranch_execz .LBB4_4057
; %bb.4044:                             ;   in Loop: Header=BB4_3365 Depth=4
	v_and_b32_e32 v12, 0x7fffffff, v4
	v_mov_b32_e32 v13, v3
	v_and_b32_e32 v14, 0x80, v5
                                        ; implicit-def: $vgpr57
	s_mov_b32 s13, exec_lo
	s_delay_alu instid0(VALU_DEP_2)
	v_cmpx_gt_u64_e32 0x47600001, v[12:13]
	s_xor_b32 s76, exec_lo, s13
	s_cbranch_execz .LBB4_4054
; %bb.4045:                             ;   in Loop: Header=BB4_3365 Depth=4
	v_mov_b32_e32 v57, 0
	s_mov_b32 s77, exec_lo
	v_cmpx_ne_u32_e32 0, v4
	s_cbranch_execz .LBB4_4053
; %bb.4046:                             ;   in Loop: Header=BB4_3365 Depth=4
	v_bfe_u32 v15, v4, 23, 8
	v_or_b32_e32 v12, 0x800000, v2
	s_mov_b32 s78, exec_lo
	s_delay_alu instid0(VALU_DEP_2) | instskip(SKIP_1) | instid1(VALU_DEP_2)
	v_dual_mov_b32 v13, v3 :: v_dual_sub_nc_u32 v4, 0x71, v15
	v_cmp_gt_u32_e32 vcc_lo, 0x72, v15
	v_cndmask_b32_e32 v4, 0, v4, vcc_lo
	v_cmp_eq_u32_e32 vcc_lo, 0, v15
	s_delay_alu instid0(VALU_DEP_2) | instskip(NEXT) | instid1(VALU_DEP_1)
	v_cndmask_b32_e64 v21, v4, 0x70, vcc_lo
	v_dual_cndmask_b32 v12, v12, v2, vcc_lo :: v_dual_add_nc_u32 v4, 21, v21
	v_add_nc_u32_e32 v31, 20, v21
	s_delay_alu instid0(VALU_DEP_2) | instskip(NEXT) | instid1(VALU_DEP_2)
	v_lshlrev_b64_e64 v[4:5], v4, -1
	v_lshlrev_b64_e64 v[50:51], v31, 1
	s_delay_alu instid0(VALU_DEP_2) | instskip(NEXT) | instid1(VALU_DEP_3)
	v_bfi_b32 v65, v5, 0, 0
	v_bfi_b32 v64, v4, 0, v12
	v_lshrrev_b64 v[4:5], v21, v[12:13]
	s_delay_alu instid0(VALU_DEP_1) | instskip(NEXT) | instid1(VALU_DEP_3)
	v_mov_b64_e32 v[12:13], v[4:5]
	v_cmpx_eq_u64_e64 v[64:65], v[50:51]
; %bb.4047:                             ;   in Loop: Header=BB4_3365 Depth=4
	v_bfe_u32 v12, v4, 21, 1
	v_mov_b32_e32 v13, v3
	s_delay_alu instid0(VALU_DEP_1) | instskip(NEXT) | instid1(VALU_DEP_1)
	v_add_nc_u64_e32 v[12:13], v[4:5], v[12:13]
	v_add_nc_u64_e32 v[12:13], -1, v[12:13]
; %bb.4048:                             ;   in Loop: Header=BB4_3365 Depth=4
	s_or_b32 exec_lo, exec_lo, s78
	v_add_nc_u32_e32 v2, 0xffffff81, v15
	v_lshrrev_b32_e32 v5, 23, v4
	s_mov_b32 s13, exec_lo
	s_delay_alu instid0(VALU_DEP_2) | instskip(NEXT) | instid1(VALU_DEP_1)
	v_cndmask_b32_e64 v2, v2, 0xffffff82, vcc_lo
	v_add3_u32 v13, v21, v2, v5
	v_and_b32_e32 v2, 0x1fffff, v12
                                        ; implicit-def: $vgpr12
	s_delay_alu instid0(VALU_DEP_1) | instskip(NEXT) | instid1(VALU_DEP_1)
	v_dual_add_nc_u32 v15, 14, v13 :: v_dual_add_nc_u32 v2, v2, v4
                                        ; implicit-def: $vgpr4_vgpr5
	v_cmpx_ne_u32_e32 0, v15
	s_xor_b32 s13, exec_lo, s13
; %bb.4049:                             ;   in Loop: Header=BB4_3365 Depth=4
	s_delay_alu instid0(VALU_DEP_2) | instskip(SKIP_1) | instid1(VALU_DEP_1)
	v_cmp_lt_u64_e32 vcc_lo, 0xffffff, v[2:3]
	v_add_nc_u32_e32 v4, 15, v13
	v_cndmask_b32_e32 v12, v15, v4, vcc_lo
	v_cndmask_b32_e64 v4, 0, 1, vcc_lo
	s_delay_alu instid0(VALU_DEP_1)
	v_lshrrev_b64 v[4:5], v4, v[2:3]
; %bb.4050:                             ;   in Loop: Header=BB4_3365 Depth=4
	s_and_not1_saveexec_b32 s13, s13
; %bb.4051:                             ;   in Loop: Header=BB4_3365 Depth=4
	v_mov_b64_e32 v[4:5], v[2:3]
	v_bfe_u32 v12, v2, 23, 1
; %bb.4052:                             ;   in Loop: Header=BB4_3365 Depth=4
	s_or_b32 exec_lo, exec_lo, s13
	s_delay_alu instid0(VALU_DEP_2) | instskip(NEXT) | instid1(VALU_DEP_2)
	v_lshrrev_b64 v[4:5], 21, v[4:5]
	v_cmp_gt_i32_e32 vcc_lo, 32, v12
	v_min_i32_e32 v2, 31, v12
	v_cmp_eq_u32_e64 s13, 0, v12
	s_delay_alu instid0(VALU_DEP_2) | instskip(SKIP_1) | instid1(VALU_DEP_2)
	v_dual_cndmask_b32 v5, 0, v5 :: v_dual_lshlrev_b32 v2, 2, v2
	v_cndmask_b32_e32 v4, 3, v4, vcc_lo
	v_and_b32_e32 v2, 0xfc, v2
	s_delay_alu instid0(VALU_DEP_2) | instskip(NEXT) | instid1(VALU_DEP_2)
	v_cmp_eq_u64_e32 vcc_lo, 0, v[4:5]
	v_and_or_b32 v2, v4, 3, v2
	s_and_b32 s13, s13, vcc_lo
	s_delay_alu instid0(VALU_DEP_1) | instid1(SALU_CYCLE_1)
	v_cndmask_b32_e64 v2, v2, 0, s13
	s_delay_alu instid0(VALU_DEP_1)
	v_or_b32_e32 v57, v2, v14
.LBB4_4053:                             ;   in Loop: Header=BB4_3365 Depth=4
	s_or_b32 exec_lo, exec_lo, s77
                                        ; implicit-def: $vgpr14
.LBB4_4054:                             ;   in Loop: Header=BB4_3365 Depth=4
	s_and_not1_saveexec_b32 s13, s76
; %bb.4055:                             ;   in Loop: Header=BB4_3365 Depth=4
	v_or_b32_e32 v57, 0x7b, v14
; %bb.4056:                             ;   in Loop: Header=BB4_3365 Depth=4
	s_or_b32 exec_lo, exec_lo, s13
                                        ; implicit-def: $vgpr4
                                        ; implicit-def: $vgpr5
.LBB4_4057:                             ;   in Loop: Header=BB4_3365 Depth=4
	s_and_not1_saveexec_b32 s13, s75
	s_cbranch_execz .LBB4_4063
; %bb.4058:                             ;   in Loop: Header=BB4_3365 Depth=4
	s_mov_b32 s75, exec_lo
                                        ; implicit-def: $vgpr57
	v_cmpx_ne_u64_e32 0, v[2:3]
	s_xor_b32 s75, exec_lo, s75
; %bb.4059:                             ;   in Loop: Header=BB4_3365 Depth=4
	v_or_b32_e32 v57, 0x7f, v5
                                        ; implicit-def: $vgpr4
; %bb.4060:                             ;   in Loop: Header=BB4_3365 Depth=4
	s_and_not1_saveexec_b32 s75, s75
; %bb.4061:                             ;   in Loop: Header=BB4_3365 Depth=4
	v_cmp_lt_i32_e32 vcc_lo, -1, v4
	v_cndmask_b32_e32 v57, 0xfc, v49, vcc_lo
; %bb.4062:                             ;   in Loop: Header=BB4_3365 Depth=4
	s_or_b32 exec_lo, exec_lo, s75
.LBB4_4063:                             ;   in Loop: Header=BB4_3365 Depth=4
	s_delay_alu instid0(SALU_CYCLE_1)
	s_or_b32 exec_lo, exec_lo, s13
	v_mov_b32_e32 v4, 0
	s_mov_b32 s13, exec_lo
	v_cmpx_lt_u64_e64 s[22:23], v[8:9]
	s_cbranch_execz .LBB4_4073
; %bb.4064:                             ;   in Loop: Header=BB4_3365 Depth=4
	v_lshrrev_b32_e32 v2, 24, v9
	v_bfrev_b32_e32 v4, 1
	s_mov_b32 s75, exec_lo
	s_delay_alu instid0(VALU_DEP_2)
	v_cmpx_ne_u32_e32 0x80, v2
	s_cbranch_execz .LBB4_4072
; %bb.4065:                             ;   in Loop: Header=BB4_3365 Depth=4
	v_and_b32_e32 v4, 0x7c000000, v9
	v_bfe_u32 v5, v9, 24, 2
	s_delay_alu instid0(VALU_DEP_2) | instskip(SKIP_1) | instid1(SALU_CYCLE_1)
	v_cmp_ne_u32_e32 vcc_lo, 0x7c000000, v4
                                        ; implicit-def: $vgpr4
	s_and_saveexec_b32 s76, vcc_lo
	s_xor_b32 s76, exec_lo, s76
	s_cbranch_execz .LBB4_4069
; %bb.4066:                             ;   in Loop: Header=BB4_3365 Depth=4
	v_bfe_u32 v4, v9, 26, 5
	s_mov_b32 s77, exec_lo
	s_delay_alu instid0(VALU_DEP_1)
	v_cmpx_eq_u32_e32 0, v4
; %bb.4067:                             ;   in Loop: Header=BB4_3365 Depth=4
	v_clz_i32_u32_e32 v4, v5
	s_delay_alu instid0(VALU_DEP_1) | instskip(NEXT) | instid1(VALU_DEP_1)
	v_min_u32_e32 v4, 32, v4
	v_subrev_nc_u32_e32 v5, 29, v4
	v_sub_nc_u32_e32 v4, 30, v4
	s_delay_alu instid0(VALU_DEP_2) | instskip(NEXT) | instid1(VALU_DEP_1)
	v_lshlrev_b64_e32 v[12:13], v5, v[2:3]
	v_and_b32_e32 v5, 3, v12
; %bb.4068:                             ;   in Loop: Header=BB4_3365 Depth=4
	s_or_b32 exec_lo, exec_lo, s77
	v_and_b32_e32 v2, 0x80000000, v9
	s_delay_alu instid0(VALU_DEP_1) | instskip(NEXT) | instid1(VALU_DEP_1)
	v_lshl_add_u32 v2, v4, 23, v2
	v_lshl_or_b32 v2, v5, 21, v2
                                        ; implicit-def: $vgpr5
	s_delay_alu instid0(VALU_DEP_1)
	v_add_nc_u32_e32 v4, 0x38000000, v2
.LBB4_4069:                             ;   in Loop: Header=BB4_3365 Depth=4
	s_and_not1_saveexec_b32 s76, s76
; %bb.4070:                             ;   in Loop: Header=BB4_3365 Depth=4
	v_cmp_lt_i64_e32 vcc_lo, -1, v[8:9]
	v_cndmask_b32_e32 v2, 0xff800000, v48, vcc_lo
	v_cmp_eq_u32_e32 vcc_lo, 0, v5
	s_delay_alu instid0(VALU_DEP_2)
	v_cndmask_b32_e32 v4, 0x7f800001, v2, vcc_lo
; %bb.4071:                             ;   in Loop: Header=BB4_3365 Depth=4
	s_or_b32 exec_lo, exec_lo, s76
.LBB4_4072:                             ;   in Loop: Header=BB4_3365 Depth=4
	s_delay_alu instid0(SALU_CYCLE_1)
	s_or_b32 exec_lo, exec_lo, s75
.LBB4_4073:                             ;   in Loop: Header=BB4_3365 Depth=4
	s_delay_alu instid0(SALU_CYCLE_1) | instskip(NEXT) | instid1(VALU_DEP_1)
	s_or_b32 exec_lo, exec_lo, s13
	v_dual_mul_f32 v4, s74, v4 :: v_dual_mov_b32 v9, v3
                                        ; implicit-def: $vgpr60
	s_mov_b32 s13, exec_lo
	s_delay_alu instid0(VALU_DEP_1) | instskip(SKIP_2) | instid1(VALU_DEP_3)
	v_and_b32_e32 v8, 0x7f800000, v4
	v_and_b32_e32 v2, 0x7fffff, v4
	v_lshrrev_b32_e32 v5, 24, v4
	v_cmpx_ne_u64_e32 0x7f800000, v[8:9]
	s_xor_b32 s75, exec_lo, s13
	s_cbranch_execz .LBB4_4087
; %bb.4074:                             ;   in Loop: Header=BB4_3365 Depth=4
	v_and_b32_e32 v8, 0x7fffffff, v4
	v_mov_b32_e32 v9, v3
	v_and_b32_e32 v12, 0x80, v5
                                        ; implicit-def: $vgpr60
	s_mov_b32 s13, exec_lo
	s_delay_alu instid0(VALU_DEP_2)
	v_cmpx_gt_u64_e32 0x47600001, v[8:9]
	s_xor_b32 s76, exec_lo, s13
	s_cbranch_execz .LBB4_4084
; %bb.4075:                             ;   in Loop: Header=BB4_3365 Depth=4
	v_mov_b32_e32 v60, 0
	s_mov_b32 s77, exec_lo
	v_cmpx_ne_u32_e32 0, v4
	s_cbranch_execz .LBB4_4083
; %bb.4076:                             ;   in Loop: Header=BB4_3365 Depth=4
	v_bfe_u32 v13, v4, 23, 8
	v_or_b32_e32 v8, 0x800000, v2
	s_mov_b32 s78, exec_lo
	s_delay_alu instid0(VALU_DEP_2) | instskip(SKIP_1) | instid1(VALU_DEP_2)
	v_dual_mov_b32 v9, v3 :: v_dual_sub_nc_u32 v4, 0x71, v13
	v_cmp_gt_u32_e32 vcc_lo, 0x72, v13
	v_cndmask_b32_e32 v4, 0, v4, vcc_lo
	v_cmp_eq_u32_e32 vcc_lo, 0, v13
	s_delay_alu instid0(VALU_DEP_2) | instskip(SKIP_1) | instid1(VALU_DEP_2)
	v_cndmask_b32_e64 v14, v4, 0x70, vcc_lo
	v_cndmask_b32_e32 v8, v8, v2, vcc_lo
	v_dual_add_nc_u32 v4, 21, v14 :: v_dual_add_nc_u32 v15, 20, v14
	s_delay_alu instid0(VALU_DEP_1) | instskip(NEXT) | instid1(VALU_DEP_2)
	v_lshlrev_b64_e64 v[4:5], v4, -1
	v_lshlrev_b64_e64 v[50:51], v15, 1
	s_delay_alu instid0(VALU_DEP_2) | instskip(NEXT) | instid1(VALU_DEP_3)
	v_bfi_b32 v65, v5, 0, 0
	v_bfi_b32 v64, v4, 0, v8
	v_lshrrev_b64 v[4:5], v14, v[8:9]
	s_delay_alu instid0(VALU_DEP_1) | instskip(NEXT) | instid1(VALU_DEP_3)
	v_mov_b64_e32 v[8:9], v[4:5]
	v_cmpx_eq_u64_e64 v[64:65], v[50:51]
; %bb.4077:                             ;   in Loop: Header=BB4_3365 Depth=4
	v_bfe_u32 v8, v4, 21, 1
	v_mov_b32_e32 v9, v3
	s_delay_alu instid0(VALU_DEP_1) | instskip(NEXT) | instid1(VALU_DEP_1)
	v_add_nc_u64_e32 v[8:9], v[4:5], v[8:9]
	v_add_nc_u64_e32 v[8:9], -1, v[8:9]
; %bb.4078:                             ;   in Loop: Header=BB4_3365 Depth=4
	s_or_b32 exec_lo, exec_lo, s78
	v_add_nc_u32_e32 v2, 0xffffff81, v13
	v_lshrrev_b32_e32 v5, 23, v4
	s_mov_b32 s13, exec_lo
	s_delay_alu instid0(VALU_DEP_2) | instskip(NEXT) | instid1(VALU_DEP_1)
	v_cndmask_b32_e64 v2, v2, 0xffffff82, vcc_lo
	v_add3_u32 v9, v14, v2, v5
	v_and_b32_e32 v2, 0x1fffff, v8
                                        ; implicit-def: $vgpr8
	s_delay_alu instid0(VALU_DEP_1) | instskip(NEXT) | instid1(VALU_DEP_1)
	v_dual_add_nc_u32 v13, 14, v9 :: v_dual_add_nc_u32 v2, v2, v4
                                        ; implicit-def: $vgpr4_vgpr5
	v_cmpx_ne_u32_e32 0, v13
	s_xor_b32 s13, exec_lo, s13
; %bb.4079:                             ;   in Loop: Header=BB4_3365 Depth=4
	s_delay_alu instid0(VALU_DEP_2) | instskip(SKIP_1) | instid1(VALU_DEP_1)
	v_cmp_lt_u64_e32 vcc_lo, 0xffffff, v[2:3]
	v_add_nc_u32_e32 v4, 15, v9
	v_cndmask_b32_e32 v8, v13, v4, vcc_lo
	v_cndmask_b32_e64 v4, 0, 1, vcc_lo
	s_delay_alu instid0(VALU_DEP_1)
	v_lshrrev_b64 v[4:5], v4, v[2:3]
; %bb.4080:                             ;   in Loop: Header=BB4_3365 Depth=4
	s_and_not1_saveexec_b32 s13, s13
; %bb.4081:                             ;   in Loop: Header=BB4_3365 Depth=4
	v_mov_b64_e32 v[4:5], v[2:3]
	v_bfe_u32 v8, v2, 23, 1
; %bb.4082:                             ;   in Loop: Header=BB4_3365 Depth=4
	s_or_b32 exec_lo, exec_lo, s13
	s_delay_alu instid0(VALU_DEP_2) | instskip(NEXT) | instid1(VALU_DEP_2)
	v_lshrrev_b64 v[4:5], 21, v[4:5]
	v_cmp_gt_i32_e32 vcc_lo, 32, v8
	v_min_i32_e32 v2, 31, v8
	v_cmp_eq_u32_e64 s13, 0, v8
	s_delay_alu instid0(VALU_DEP_2) | instskip(SKIP_1) | instid1(VALU_DEP_2)
	v_dual_cndmask_b32 v5, 0, v5 :: v_dual_lshlrev_b32 v2, 2, v2
	v_cndmask_b32_e32 v4, 3, v4, vcc_lo
	v_and_b32_e32 v2, 0xfc, v2
	s_delay_alu instid0(VALU_DEP_2) | instskip(NEXT) | instid1(VALU_DEP_2)
	v_cmp_eq_u64_e32 vcc_lo, 0, v[4:5]
	v_and_or_b32 v2, v4, 3, v2
	s_and_b32 s13, s13, vcc_lo
	s_delay_alu instid0(VALU_DEP_1) | instid1(SALU_CYCLE_1)
	v_cndmask_b32_e64 v2, v2, 0, s13
	s_delay_alu instid0(VALU_DEP_1)
	v_or_b32_e32 v60, v2, v12
.LBB4_4083:                             ;   in Loop: Header=BB4_3365 Depth=4
	s_or_b32 exec_lo, exec_lo, s77
                                        ; implicit-def: $vgpr12
.LBB4_4084:                             ;   in Loop: Header=BB4_3365 Depth=4
	s_and_not1_saveexec_b32 s13, s76
; %bb.4085:                             ;   in Loop: Header=BB4_3365 Depth=4
	v_or_b32_e32 v60, 0x7b, v12
; %bb.4086:                             ;   in Loop: Header=BB4_3365 Depth=4
	s_or_b32 exec_lo, exec_lo, s13
                                        ; implicit-def: $vgpr4
                                        ; implicit-def: $vgpr5
.LBB4_4087:                             ;   in Loop: Header=BB4_3365 Depth=4
	s_and_not1_saveexec_b32 s13, s75
	s_cbranch_execz .LBB4_4093
; %bb.4088:                             ;   in Loop: Header=BB4_3365 Depth=4
	s_mov_b32 s75, exec_lo
                                        ; implicit-def: $vgpr60
	v_cmpx_ne_u64_e32 0, v[2:3]
	s_xor_b32 s75, exec_lo, s75
; %bb.4089:                             ;   in Loop: Header=BB4_3365 Depth=4
	v_or_b32_e32 v60, 0x7f, v5
                                        ; implicit-def: $vgpr4
; %bb.4090:                             ;   in Loop: Header=BB4_3365 Depth=4
	s_and_not1_saveexec_b32 s75, s75
; %bb.4091:                             ;   in Loop: Header=BB4_3365 Depth=4
	v_cmp_lt_i32_e32 vcc_lo, -1, v4
	v_cndmask_b32_e32 v60, 0xfc, v49, vcc_lo
; %bb.4092:                             ;   in Loop: Header=BB4_3365 Depth=4
	s_or_b32 exec_lo, exec_lo, s75
.LBB4_4093:                             ;   in Loop: Header=BB4_3365 Depth=4
	s_delay_alu instid0(SALU_CYCLE_1) | instskip(SKIP_1) | instid1(VALU_DEP_1)
	s_or_b32 exec_lo, exec_lo, s13
	v_and_b32_e32 v2, 0xff, v10
	v_cmp_ne_u16_e32 vcc_lo, 0, v2
	v_mov_b32_e32 v2, 0
	s_and_saveexec_b32 s13, vcc_lo
	s_cbranch_execz .LBB4_4103
; %bb.4094:                             ;   in Loop: Header=BB4_3365 Depth=4
	v_bfe_i32 v5, v10, 0, 8
	v_bfrev_b32_e32 v2, 1
	s_mov_b32 s75, exec_lo
	s_delay_alu instid0(VALU_DEP_2)
	v_cmpx_ne_u16_e32 0xff80, v5
	s_cbranch_execz .LBB4_4102
; %bb.4095:                             ;   in Loop: Header=BB4_3365 Depth=4
	v_and_b32_e32 v2, 0x7c, v10
	v_and_b32_e32 v4, 3, v10
	s_delay_alu instid0(VALU_DEP_2) | instskip(SKIP_1) | instid1(SALU_CYCLE_1)
	v_cmp_ne_u32_e32 vcc_lo, 0x7c, v2
                                        ; implicit-def: $vgpr2
	s_and_saveexec_b32 s76, vcc_lo
	s_xor_b32 s76, exec_lo, s76
	s_cbranch_execz .LBB4_4099
; %bb.4096:                             ;   in Loop: Header=BB4_3365 Depth=4
	v_bfe_u32 v2, v10, 2, 5
	s_mov_b32 s77, exec_lo
	s_delay_alu instid0(VALU_DEP_1)
	v_cmpx_eq_u32_e32 0, v2
; %bb.4097:                             ;   in Loop: Header=BB4_3365 Depth=4
	v_clz_i32_u32_e32 v2, v4
	s_delay_alu instid0(VALU_DEP_1) | instskip(NEXT) | instid1(VALU_DEP_1)
	v_min_u32_e32 v2, 32, v2
	v_subrev_nc_u32_e32 v4, 29, v2
	s_delay_alu instid0(VALU_DEP_1) | instskip(NEXT) | instid1(VALU_DEP_1)
	v_lshlrev_b64_e32 v[4:5], v4, v[10:11]
	v_dual_sub_nc_u32 v2, 30, v2 :: v_dual_bitop2_b32 v4, 3, v4 bitop3:0x40
; %bb.4098:                             ;   in Loop: Header=BB4_3365 Depth=4
	s_or_b32 exec_lo, exec_lo, s77
	v_lshlrev_b32_e32 v5, 24, v10
	s_delay_alu instid0(VALU_DEP_1) | instskip(NEXT) | instid1(VALU_DEP_1)
	v_and_b32_e32 v5, 0x80000000, v5
	v_lshl_add_u32 v2, v2, 23, v5
                                        ; implicit-def: $vgpr5
	s_delay_alu instid0(VALU_DEP_1) | instskip(NEXT) | instid1(VALU_DEP_1)
	v_lshl_or_b32 v2, v4, 21, v2
                                        ; implicit-def: $vgpr4
	v_add_nc_u32_e32 v2, 0x38000000, v2
.LBB4_4099:                             ;   in Loop: Header=BB4_3365 Depth=4
	s_and_not1_saveexec_b32 s76, s76
; %bb.4100:                             ;   in Loop: Header=BB4_3365 Depth=4
	v_cmp_lt_i16_e32 vcc_lo, -1, v5
	v_cndmask_b32_e32 v2, 0xff800000, v48, vcc_lo
	v_cmp_eq_u32_e32 vcc_lo, 0, v4
	s_delay_alu instid0(VALU_DEP_2)
	v_cndmask_b32_e32 v2, 0x7f800001, v2, vcc_lo
; %bb.4101:                             ;   in Loop: Header=BB4_3365 Depth=4
	s_or_b32 exec_lo, exec_lo, s76
.LBB4_4102:                             ;   in Loop: Header=BB4_3365 Depth=4
	s_delay_alu instid0(SALU_CYCLE_1)
	s_or_b32 exec_lo, exec_lo, s75
.LBB4_4103:                             ;   in Loop: Header=BB4_3365 Depth=4
	s_delay_alu instid0(SALU_CYCLE_1) | instskip(NEXT) | instid1(VALU_DEP_1)
	s_or_b32 exec_lo, exec_lo, s13
	v_dual_mul_f32 v4, s74, v2 :: v_dual_mov_b32 v9, v3
                                        ; implicit-def: $vgpr31
	s_mov_b32 s13, exec_lo
	s_delay_alu instid0(VALU_DEP_1) | instskip(SKIP_2) | instid1(VALU_DEP_3)
	v_and_b32_e32 v8, 0x7f800000, v4
	v_and_b32_e32 v2, 0x7fffff, v4
	v_lshrrev_b32_e32 v5, 24, v4
	v_cmpx_ne_u64_e32 0x7f800000, v[8:9]
	s_xor_b32 s75, exec_lo, s13
	s_cbranch_execz .LBB4_4117
; %bb.4104:                             ;   in Loop: Header=BB4_3365 Depth=4
	v_and_b32_e32 v8, 0x7fffffff, v4
	v_mov_b32_e32 v9, v3
	v_and_b32_e32 v12, 0x80, v5
                                        ; implicit-def: $vgpr31
	s_mov_b32 s13, exec_lo
	s_delay_alu instid0(VALU_DEP_2)
	v_cmpx_gt_u64_e32 0x47600001, v[8:9]
	s_xor_b32 s76, exec_lo, s13
	s_cbranch_execz .LBB4_4114
; %bb.4105:                             ;   in Loop: Header=BB4_3365 Depth=4
	v_mov_b32_e32 v31, 0
	s_mov_b32 s77, exec_lo
	v_cmpx_ne_u32_e32 0, v4
	s_cbranch_execz .LBB4_4113
; %bb.4106:                             ;   in Loop: Header=BB4_3365 Depth=4
	v_bfe_u32 v13, v4, 23, 8
	v_or_b32_e32 v8, 0x800000, v2
	s_mov_b32 s78, exec_lo
	s_delay_alu instid0(VALU_DEP_2) | instskip(SKIP_1) | instid1(VALU_DEP_2)
	v_dual_mov_b32 v9, v3 :: v_dual_sub_nc_u32 v4, 0x71, v13
	v_cmp_gt_u32_e32 vcc_lo, 0x72, v13
	v_cndmask_b32_e32 v4, 0, v4, vcc_lo
	v_cmp_eq_u32_e32 vcc_lo, 0, v13
	s_delay_alu instid0(VALU_DEP_2) | instskip(SKIP_1) | instid1(VALU_DEP_2)
	v_cndmask_b32_e64 v14, v4, 0x70, vcc_lo
	v_cndmask_b32_e32 v8, v8, v2, vcc_lo
	v_dual_add_nc_u32 v4, 21, v14 :: v_dual_add_nc_u32 v15, 20, v14
	s_delay_alu instid0(VALU_DEP_1) | instskip(NEXT) | instid1(VALU_DEP_2)
	v_lshlrev_b64_e64 v[4:5], v4, -1
	v_lshlrev_b64_e64 v[50:51], v15, 1
	s_delay_alu instid0(VALU_DEP_2) | instskip(NEXT) | instid1(VALU_DEP_3)
	v_bfi_b32 v65, v5, 0, 0
	v_bfi_b32 v64, v4, 0, v8
	v_lshrrev_b64 v[4:5], v14, v[8:9]
	s_delay_alu instid0(VALU_DEP_1) | instskip(NEXT) | instid1(VALU_DEP_3)
	v_mov_b64_e32 v[8:9], v[4:5]
	v_cmpx_eq_u64_e64 v[64:65], v[50:51]
; %bb.4107:                             ;   in Loop: Header=BB4_3365 Depth=4
	v_bfe_u32 v8, v4, 21, 1
	v_mov_b32_e32 v9, v3
	s_delay_alu instid0(VALU_DEP_1) | instskip(NEXT) | instid1(VALU_DEP_1)
	v_add_nc_u64_e32 v[8:9], v[4:5], v[8:9]
	v_add_nc_u64_e32 v[8:9], -1, v[8:9]
; %bb.4108:                             ;   in Loop: Header=BB4_3365 Depth=4
	s_or_b32 exec_lo, exec_lo, s78
	v_add_nc_u32_e32 v2, 0xffffff81, v13
	v_lshrrev_b32_e32 v5, 23, v4
	s_mov_b32 s13, exec_lo
	s_delay_alu instid0(VALU_DEP_2) | instskip(NEXT) | instid1(VALU_DEP_1)
	v_cndmask_b32_e64 v2, v2, 0xffffff82, vcc_lo
	v_add3_u32 v9, v14, v2, v5
	v_and_b32_e32 v2, 0x1fffff, v8
                                        ; implicit-def: $vgpr8
	s_delay_alu instid0(VALU_DEP_1) | instskip(NEXT) | instid1(VALU_DEP_1)
	v_dual_add_nc_u32 v13, 14, v9 :: v_dual_add_nc_u32 v2, v2, v4
                                        ; implicit-def: $vgpr4_vgpr5
	v_cmpx_ne_u32_e32 0, v13
	s_xor_b32 s13, exec_lo, s13
; %bb.4109:                             ;   in Loop: Header=BB4_3365 Depth=4
	s_delay_alu instid0(VALU_DEP_2) | instskip(SKIP_1) | instid1(VALU_DEP_1)
	v_cmp_lt_u64_e32 vcc_lo, 0xffffff, v[2:3]
	v_add_nc_u32_e32 v4, 15, v9
	v_cndmask_b32_e32 v8, v13, v4, vcc_lo
	v_cndmask_b32_e64 v4, 0, 1, vcc_lo
	s_delay_alu instid0(VALU_DEP_1)
	v_lshrrev_b64 v[4:5], v4, v[2:3]
; %bb.4110:                             ;   in Loop: Header=BB4_3365 Depth=4
	s_and_not1_saveexec_b32 s13, s13
; %bb.4111:                             ;   in Loop: Header=BB4_3365 Depth=4
	v_mov_b64_e32 v[4:5], v[2:3]
	v_bfe_u32 v8, v2, 23, 1
; %bb.4112:                             ;   in Loop: Header=BB4_3365 Depth=4
	s_or_b32 exec_lo, exec_lo, s13
	s_delay_alu instid0(VALU_DEP_2) | instskip(NEXT) | instid1(VALU_DEP_2)
	v_lshrrev_b64 v[4:5], 21, v[4:5]
	v_cmp_gt_i32_e32 vcc_lo, 32, v8
	v_min_i32_e32 v2, 31, v8
	v_cmp_eq_u32_e64 s13, 0, v8
	s_delay_alu instid0(VALU_DEP_2) | instskip(SKIP_1) | instid1(VALU_DEP_2)
	v_dual_cndmask_b32 v5, 0, v5 :: v_dual_lshlrev_b32 v2, 2, v2
	v_cndmask_b32_e32 v4, 3, v4, vcc_lo
	v_and_b32_e32 v2, 0xfc, v2
	s_delay_alu instid0(VALU_DEP_2) | instskip(NEXT) | instid1(VALU_DEP_2)
	v_cmp_eq_u64_e32 vcc_lo, 0, v[4:5]
	v_and_or_b32 v2, v4, 3, v2
	s_and_b32 s13, s13, vcc_lo
	s_delay_alu instid0(VALU_DEP_1) | instid1(SALU_CYCLE_1)
	v_cndmask_b32_e64 v2, v2, 0, s13
	s_delay_alu instid0(VALU_DEP_1)
	v_or_b32_e32 v31, v2, v12
.LBB4_4113:                             ;   in Loop: Header=BB4_3365 Depth=4
	s_or_b32 exec_lo, exec_lo, s77
                                        ; implicit-def: $vgpr12
.LBB4_4114:                             ;   in Loop: Header=BB4_3365 Depth=4
	s_and_not1_saveexec_b32 s13, s76
; %bb.4115:                             ;   in Loop: Header=BB4_3365 Depth=4
	v_or_b32_e32 v31, 0x7b, v12
; %bb.4116:                             ;   in Loop: Header=BB4_3365 Depth=4
	s_or_b32 exec_lo, exec_lo, s13
                                        ; implicit-def: $vgpr4
                                        ; implicit-def: $vgpr5
.LBB4_4117:                             ;   in Loop: Header=BB4_3365 Depth=4
	s_and_not1_saveexec_b32 s13, s75
	s_cbranch_execz .LBB4_4123
; %bb.4118:                             ;   in Loop: Header=BB4_3365 Depth=4
	s_mov_b32 s75, exec_lo
                                        ; implicit-def: $vgpr31
	v_cmpx_ne_u64_e32 0, v[2:3]
	s_xor_b32 s75, exec_lo, s75
; %bb.4119:                             ;   in Loop: Header=BB4_3365 Depth=4
	v_or_b32_e32 v31, 0x7f, v5
                                        ; implicit-def: $vgpr4
; %bb.4120:                             ;   in Loop: Header=BB4_3365 Depth=4
	s_and_not1_saveexec_b32 s75, s75
; %bb.4121:                             ;   in Loop: Header=BB4_3365 Depth=4
	v_cmp_lt_i32_e32 vcc_lo, -1, v4
	v_cndmask_b32_e32 v31, 0xfc, v49, vcc_lo
; %bb.4122:                             ;   in Loop: Header=BB4_3365 Depth=4
	s_or_b32 exec_lo, exec_lo, s75
.LBB4_4123:                             ;   in Loop: Header=BB4_3365 Depth=4
	s_delay_alu instid0(SALU_CYCLE_1) | instskip(SKIP_3) | instid1(VALU_DEP_2)
	s_or_b32 exec_lo, exec_lo, s13
	v_lshrrev_b16 v4, 8, v10
	v_mov_b32_e32 v5, 0
	s_mov_b32 s13, exec_lo
	v_cmpx_ne_u16_e32 0, v4
	s_cbranch_execz .LBB4_4133
; %bb.4124:                             ;   in Loop: Header=BB4_3365 Depth=4
	v_bfrev_b32_e32 v5, 1
	s_mov_b32 s75, exec_lo
	v_cmpx_ne_u16_e32 0x80, v4
	s_cbranch_execz .LBB4_4132
; %bb.4125:                             ;   in Loop: Header=BB4_3365 Depth=4
	v_and_b32_e32 v8, 0xffff, v4
	s_delay_alu instid0(VALU_DEP_1) | instskip(SKIP_1) | instid1(VALU_DEP_2)
	v_and_b32_e32 v5, 0x7c, v8
	v_and_b32_e32 v2, 3, v8
	v_cmp_ne_u32_e32 vcc_lo, 0x7c, v5
                                        ; implicit-def: $vgpr5
	s_and_saveexec_b32 s76, vcc_lo
	s_delay_alu instid0(SALU_CYCLE_1)
	s_xor_b32 s76, exec_lo, s76
	s_cbranch_execz .LBB4_4129
; %bb.4126:                             ;   in Loop: Header=BB4_3365 Depth=4
	v_bfe_u32 v5, v8, 2, 5
	s_mov_b32 s77, exec_lo
	s_delay_alu instid0(VALU_DEP_1)
	v_cmpx_eq_u32_e32 0, v5
; %bb.4127:                             ;   in Loop: Header=BB4_3365 Depth=4
	v_clz_i32_u32_e32 v2, v2
	v_mov_b32_e32 v5, v3
	s_delay_alu instid0(VALU_DEP_2) | instskip(NEXT) | instid1(VALU_DEP_1)
	v_min_u32_e32 v2, 32, v2
	v_subrev_nc_u32_e32 v8, 29, v2
	s_delay_alu instid0(VALU_DEP_1) | instskip(NEXT) | instid1(VALU_DEP_1)
	v_lshlrev_b64_e32 v[4:5], v8, v[4:5]
	v_dual_sub_nc_u32 v5, 30, v2 :: v_dual_bitop2_b32 v2, 3, v4 bitop3:0x40
; %bb.4128:                             ;   in Loop: Header=BB4_3365 Depth=4
	s_or_b32 exec_lo, exec_lo, s77
	v_lshlrev_b32_e32 v4, 16, v10
	s_delay_alu instid0(VALU_DEP_1) | instskip(NEXT) | instid1(VALU_DEP_1)
	v_and_b32_e32 v4, 0x80000000, v4
	v_lshl_add_u32 v4, v5, 23, v4
	s_delay_alu instid0(VALU_DEP_1) | instskip(NEXT) | instid1(VALU_DEP_1)
	v_lshl_or_b32 v2, v2, 21, v4
	v_add_nc_u32_e32 v5, 0x38000000, v2
                                        ; implicit-def: $vgpr2
.LBB4_4129:                             ;   in Loop: Header=BB4_3365 Depth=4
	s_and_not1_saveexec_b32 s76, s76
; %bb.4130:                             ;   in Loop: Header=BB4_3365 Depth=4
	v_cmp_lt_i16_e32 vcc_lo, -1, v10
	v_cndmask_b32_e32 v4, 0xff800000, v48, vcc_lo
	v_cmp_eq_u32_e32 vcc_lo, 0, v2
	s_delay_alu instid0(VALU_DEP_2)
	v_cndmask_b32_e32 v5, 0x7f800001, v4, vcc_lo
; %bb.4131:                             ;   in Loop: Header=BB4_3365 Depth=4
	s_or_b32 exec_lo, exec_lo, s76
.LBB4_4132:                             ;   in Loop: Header=BB4_3365 Depth=4
	s_delay_alu instid0(SALU_CYCLE_1)
	s_or_b32 exec_lo, exec_lo, s75
.LBB4_4133:                             ;   in Loop: Header=BB4_3365 Depth=4
	s_delay_alu instid0(SALU_CYCLE_1) | instskip(NEXT) | instid1(VALU_DEP_1)
	s_or_b32 exec_lo, exec_lo, s13
	v_dual_mul_f32 v4, s74, v5 :: v_dual_mov_b32 v9, v3
                                        ; implicit-def: $vgpr65
	s_mov_b32 s13, exec_lo
	s_delay_alu instid0(VALU_DEP_1) | instskip(SKIP_2) | instid1(VALU_DEP_3)
	v_and_b32_e32 v8, 0x7f800000, v4
	v_and_b32_e32 v2, 0x7fffff, v4
	v_lshrrev_b32_e32 v5, 24, v4
	v_cmpx_ne_u64_e32 0x7f800000, v[8:9]
	s_xor_b32 s75, exec_lo, s13
	s_cbranch_execz .LBB4_4147
; %bb.4134:                             ;   in Loop: Header=BB4_3365 Depth=4
	v_and_b32_e32 v8, 0x7fffffff, v4
	v_mov_b32_e32 v9, v3
	v_and_b32_e32 v12, 0x80, v5
                                        ; implicit-def: $vgpr65
	s_mov_b32 s13, exec_lo
	s_delay_alu instid0(VALU_DEP_2)
	v_cmpx_gt_u64_e32 0x47600001, v[8:9]
	s_xor_b32 s76, exec_lo, s13
	s_cbranch_execz .LBB4_4144
; %bb.4135:                             ;   in Loop: Header=BB4_3365 Depth=4
	v_mov_b32_e32 v65, 0
	s_mov_b32 s77, exec_lo
	v_cmpx_ne_u32_e32 0, v4
	s_cbranch_execz .LBB4_4143
; %bb.4136:                             ;   in Loop: Header=BB4_3365 Depth=4
	v_bfe_u32 v13, v4, 23, 8
	v_or_b32_e32 v8, 0x800000, v2
	s_mov_b32 s78, exec_lo
	s_delay_alu instid0(VALU_DEP_2) | instskip(SKIP_1) | instid1(VALU_DEP_2)
	v_dual_mov_b32 v9, v3 :: v_dual_sub_nc_u32 v4, 0x71, v13
	v_cmp_gt_u32_e32 vcc_lo, 0x72, v13
	v_cndmask_b32_e32 v4, 0, v4, vcc_lo
	v_cmp_eq_u32_e32 vcc_lo, 0, v13
	s_delay_alu instid0(VALU_DEP_2) | instskip(SKIP_1) | instid1(VALU_DEP_2)
	v_cndmask_b32_e64 v14, v4, 0x70, vcc_lo
	v_cndmask_b32_e32 v8, v8, v2, vcc_lo
	v_dual_add_nc_u32 v4, 21, v14 :: v_dual_add_nc_u32 v15, 20, v14
	s_delay_alu instid0(VALU_DEP_1) | instskip(NEXT) | instid1(VALU_DEP_2)
	v_lshlrev_b64_e64 v[4:5], v4, -1
	v_lshlrev_b64_e64 v[50:51], v15, 1
	s_delay_alu instid0(VALU_DEP_2) | instskip(NEXT) | instid1(VALU_DEP_3)
	v_bfi_b32 v65, v5, 0, 0
	v_bfi_b32 v64, v4, 0, v8
	v_lshrrev_b64 v[4:5], v14, v[8:9]
	s_delay_alu instid0(VALU_DEP_1) | instskip(NEXT) | instid1(VALU_DEP_3)
	v_mov_b64_e32 v[8:9], v[4:5]
	v_cmpx_eq_u64_e64 v[64:65], v[50:51]
; %bb.4137:                             ;   in Loop: Header=BB4_3365 Depth=4
	v_bfe_u32 v8, v4, 21, 1
	v_mov_b32_e32 v9, v3
	s_delay_alu instid0(VALU_DEP_1) | instskip(NEXT) | instid1(VALU_DEP_1)
	v_add_nc_u64_e32 v[8:9], v[4:5], v[8:9]
	v_add_nc_u64_e32 v[8:9], -1, v[8:9]
; %bb.4138:                             ;   in Loop: Header=BB4_3365 Depth=4
	s_or_b32 exec_lo, exec_lo, s78
	v_add_nc_u32_e32 v2, 0xffffff81, v13
	v_lshrrev_b32_e32 v5, 23, v4
	s_mov_b32 s13, exec_lo
	s_delay_alu instid0(VALU_DEP_2) | instskip(NEXT) | instid1(VALU_DEP_1)
	v_cndmask_b32_e64 v2, v2, 0xffffff82, vcc_lo
	v_add3_u32 v9, v14, v2, v5
	v_and_b32_e32 v2, 0x1fffff, v8
                                        ; implicit-def: $vgpr8
	s_delay_alu instid0(VALU_DEP_1) | instskip(NEXT) | instid1(VALU_DEP_1)
	v_dual_add_nc_u32 v13, 14, v9 :: v_dual_add_nc_u32 v2, v2, v4
                                        ; implicit-def: $vgpr4_vgpr5
	v_cmpx_ne_u32_e32 0, v13
	s_xor_b32 s13, exec_lo, s13
; %bb.4139:                             ;   in Loop: Header=BB4_3365 Depth=4
	s_delay_alu instid0(VALU_DEP_2) | instskip(SKIP_1) | instid1(VALU_DEP_1)
	v_cmp_lt_u64_e32 vcc_lo, 0xffffff, v[2:3]
	v_add_nc_u32_e32 v4, 15, v9
	v_cndmask_b32_e32 v8, v13, v4, vcc_lo
	v_cndmask_b32_e64 v4, 0, 1, vcc_lo
	s_delay_alu instid0(VALU_DEP_1)
	v_lshrrev_b64 v[4:5], v4, v[2:3]
; %bb.4140:                             ;   in Loop: Header=BB4_3365 Depth=4
	s_and_not1_saveexec_b32 s13, s13
; %bb.4141:                             ;   in Loop: Header=BB4_3365 Depth=4
	v_mov_b64_e32 v[4:5], v[2:3]
	v_bfe_u32 v8, v2, 23, 1
; %bb.4142:                             ;   in Loop: Header=BB4_3365 Depth=4
	s_or_b32 exec_lo, exec_lo, s13
	s_delay_alu instid0(VALU_DEP_2) | instskip(NEXT) | instid1(VALU_DEP_2)
	v_lshrrev_b64 v[4:5], 21, v[4:5]
	v_cmp_gt_i32_e32 vcc_lo, 32, v8
	v_min_i32_e32 v2, 31, v8
	v_cmp_eq_u32_e64 s13, 0, v8
	s_delay_alu instid0(VALU_DEP_2) | instskip(SKIP_1) | instid1(VALU_DEP_2)
	v_dual_cndmask_b32 v5, 0, v5 :: v_dual_lshlrev_b32 v2, 2, v2
	v_cndmask_b32_e32 v4, 3, v4, vcc_lo
	v_and_b32_e32 v2, 0xfc, v2
	s_delay_alu instid0(VALU_DEP_2) | instskip(NEXT) | instid1(VALU_DEP_2)
	v_cmp_eq_u64_e32 vcc_lo, 0, v[4:5]
	v_and_or_b32 v2, v4, 3, v2
	s_and_b32 s13, s13, vcc_lo
	s_delay_alu instid0(VALU_DEP_1) | instid1(SALU_CYCLE_1)
	v_cndmask_b32_e64 v2, v2, 0, s13
	s_delay_alu instid0(VALU_DEP_1)
	v_or_b32_e32 v65, v2, v12
.LBB4_4143:                             ;   in Loop: Header=BB4_3365 Depth=4
	s_or_b32 exec_lo, exec_lo, s77
                                        ; implicit-def: $vgpr12
.LBB4_4144:                             ;   in Loop: Header=BB4_3365 Depth=4
	s_and_not1_saveexec_b32 s13, s76
; %bb.4145:                             ;   in Loop: Header=BB4_3365 Depth=4
	v_or_b32_e32 v65, 0x7b, v12
; %bb.4146:                             ;   in Loop: Header=BB4_3365 Depth=4
	s_or_b32 exec_lo, exec_lo, s13
                                        ; implicit-def: $vgpr4
                                        ; implicit-def: $vgpr5
.LBB4_4147:                             ;   in Loop: Header=BB4_3365 Depth=4
	s_and_not1_saveexec_b32 s13, s75
	s_cbranch_execz .LBB4_4153
; %bb.4148:                             ;   in Loop: Header=BB4_3365 Depth=4
	s_mov_b32 s75, exec_lo
                                        ; implicit-def: $vgpr65
	v_cmpx_ne_u64_e32 0, v[2:3]
	s_xor_b32 s75, exec_lo, s75
; %bb.4149:                             ;   in Loop: Header=BB4_3365 Depth=4
	v_or_b32_e32 v65, 0x7f, v5
                                        ; implicit-def: $vgpr4
; %bb.4150:                             ;   in Loop: Header=BB4_3365 Depth=4
	s_and_not1_saveexec_b32 s75, s75
; %bb.4151:                             ;   in Loop: Header=BB4_3365 Depth=4
	v_cmp_lt_i32_e32 vcc_lo, -1, v4
	v_cndmask_b32_e32 v65, 0xfc, v49, vcc_lo
; %bb.4152:                             ;   in Loop: Header=BB4_3365 Depth=4
	s_or_b32 exec_lo, exec_lo, s75
.LBB4_4153:                             ;   in Loop: Header=BB4_3365 Depth=4
	s_delay_alu instid0(SALU_CYCLE_1) | instskip(SKIP_2) | instid1(VALU_DEP_1)
	s_or_b32 exec_lo, exec_lo, s13
	v_dual_mov_b32 v5, 0 :: v_dual_lshrrev_b32 v2, 16, v10
	s_mov_b32 s13, exec_lo
	v_and_b32_e32 v4, 0xff, v2
	s_delay_alu instid0(VALU_DEP_1)
	v_cmpx_ne_u16_e32 0, v4
	s_cbranch_execz .LBB4_4163
; %bb.4154:                             ;   in Loop: Header=BB4_3365 Depth=4
	v_bfrev_b32_e32 v5, 1
	s_mov_b32 s75, exec_lo
	v_cmpx_ne_u16_e32 0x80, v4
	s_cbranch_execz .LBB4_4162
; %bb.4155:                             ;   in Loop: Header=BB4_3365 Depth=4
	v_and_b32_e32 v5, 0x7c0000, v10
	v_bfe_u32 v4, v10, 16, 2
	s_delay_alu instid0(VALU_DEP_2) | instskip(SKIP_1) | instid1(SALU_CYCLE_1)
	v_cmp_ne_u32_e32 vcc_lo, 0x7c0000, v5
                                        ; implicit-def: $vgpr5
	s_and_saveexec_b32 s76, vcc_lo
	s_xor_b32 s76, exec_lo, s76
	s_cbranch_execz .LBB4_4159
; %bb.4156:                             ;   in Loop: Header=BB4_3365 Depth=4
	v_bfe_u32 v5, v10, 18, 5
	s_mov_b32 s77, exec_lo
	s_delay_alu instid0(VALU_DEP_1)
	v_cmpx_eq_u32_e32 0, v5
; %bb.4157:                             ;   in Loop: Header=BB4_3365 Depth=4
	v_clz_i32_u32_e32 v4, v4
	s_delay_alu instid0(VALU_DEP_1) | instskip(NEXT) | instid1(VALU_DEP_1)
	v_min_u32_e32 v8, 32, v4
	v_subrev_nc_u32_e32 v4, 29, v8
	s_delay_alu instid0(VALU_DEP_1) | instskip(SKIP_1) | instid1(VALU_DEP_2)
	v_lshlrev_b64_e32 v[4:5], v4, v[2:3]
	v_sub_nc_u32_e32 v5, 30, v8
	v_and_b32_e32 v4, 3, v4
; %bb.4158:                             ;   in Loop: Header=BB4_3365 Depth=4
	s_or_b32 exec_lo, exec_lo, s77
	v_lshlrev_b32_e32 v2, 24, v2
	s_delay_alu instid0(VALU_DEP_1) | instskip(NEXT) | instid1(VALU_DEP_1)
	v_and_b32_e32 v2, 0x80000000, v2
	v_lshl_add_u32 v2, v5, 23, v2
	s_delay_alu instid0(VALU_DEP_1) | instskip(NEXT) | instid1(VALU_DEP_1)
	v_lshl_or_b32 v2, v4, 21, v2
                                        ; implicit-def: $vgpr4
	v_add_nc_u32_e32 v5, 0x38000000, v2
                                        ; implicit-def: $vgpr2
.LBB4_4159:                             ;   in Loop: Header=BB4_3365 Depth=4
	s_and_not1_saveexec_b32 s76, s76
; %bb.4160:                             ;   in Loop: Header=BB4_3365 Depth=4
	v_bfe_i32 v2, v2, 0, 8
	s_delay_alu instid0(VALU_DEP_1) | instskip(SKIP_2) | instid1(VALU_DEP_2)
	v_cmp_lt_i16_e32 vcc_lo, -1, v2
	v_cndmask_b32_e32 v2, 0xff800000, v48, vcc_lo
	v_cmp_eq_u32_e32 vcc_lo, 0, v4
	v_cndmask_b32_e32 v5, 0x7f800001, v2, vcc_lo
; %bb.4161:                             ;   in Loop: Header=BB4_3365 Depth=4
	s_or_b32 exec_lo, exec_lo, s76
.LBB4_4162:                             ;   in Loop: Header=BB4_3365 Depth=4
	s_delay_alu instid0(SALU_CYCLE_1)
	s_or_b32 exec_lo, exec_lo, s75
.LBB4_4163:                             ;   in Loop: Header=BB4_3365 Depth=4
	s_delay_alu instid0(SALU_CYCLE_1) | instskip(NEXT) | instid1(VALU_DEP_1)
	s_or_b32 exec_lo, exec_lo, s13
	v_dual_mul_f32 v4, s74, v5 :: v_dual_mov_b32 v9, v3
                                        ; implicit-def: $vgpr113
	s_mov_b32 s13, exec_lo
	s_delay_alu instid0(VALU_DEP_1) | instskip(SKIP_2) | instid1(VALU_DEP_3)
	v_and_b32_e32 v8, 0x7f800000, v4
	v_and_b32_e32 v2, 0x7fffff, v4
	v_lshrrev_b32_e32 v5, 24, v4
	v_cmpx_ne_u64_e32 0x7f800000, v[8:9]
	s_xor_b32 s75, exec_lo, s13
	s_cbranch_execz .LBB4_4177
; %bb.4164:                             ;   in Loop: Header=BB4_3365 Depth=4
	v_and_b32_e32 v8, 0x7fffffff, v4
	v_mov_b32_e32 v9, v3
	v_and_b32_e32 v12, 0x80, v5
                                        ; implicit-def: $vgpr113
	s_mov_b32 s13, exec_lo
	s_delay_alu instid0(VALU_DEP_2)
	v_cmpx_gt_u64_e32 0x47600001, v[8:9]
	s_xor_b32 s76, exec_lo, s13
	s_cbranch_execz .LBB4_4174
; %bb.4165:                             ;   in Loop: Header=BB4_3365 Depth=4
	v_mov_b32_e32 v113, 0
	s_mov_b32 s77, exec_lo
	v_cmpx_ne_u32_e32 0, v4
	s_cbranch_execz .LBB4_4173
; %bb.4166:                             ;   in Loop: Header=BB4_3365 Depth=4
	v_bfe_u32 v13, v4, 23, 8
	v_or_b32_e32 v5, 0x800000, v2
	s_delay_alu instid0(VALU_DEP_2) | instskip(SKIP_2) | instid1(VALU_DEP_2)
	v_cmp_gt_u32_e64 s13, 0x72, v13
	v_sub_nc_u32_e32 v4, 0x71, v13
	v_cmp_eq_u32_e32 vcc_lo, 0, v13
	v_cndmask_b32_e64 v4, 0, v4, s13
	s_delay_alu instid0(VALU_DEP_1) | instskip(SKIP_1) | instid1(VALU_DEP_2)
	v_cndmask_b32_e64 v14, v4, 0x70, vcc_lo
	v_dual_cndmask_b32 v4, v5, v2 :: v_dual_mov_b32 v5, v3
	v_add_nc_u32_e32 v2, 21, v14
	s_delay_alu instid0(VALU_DEP_1) | instskip(SKIP_1) | instid1(VALU_DEP_1)
	v_lshlrev_b64_e64 v[8:9], v2, -1
	v_add_nc_u32_e32 v2, 20, v14
	v_lshlrev_b64_e64 v[50:51], v2, 1
	s_delay_alu instid0(VALU_DEP_3) | instskip(SKIP_2) | instid1(VALU_DEP_1)
	v_bfi_b32 v8, v8, 0, v4
	v_lshrrev_b64 v[4:5], v14, v[4:5]
	v_bfi_b32 v9, v9, 0, 0
	v_cmp_eq_u64_e64 s13, v[8:9], v[50:51]
	s_delay_alu instid0(VALU_DEP_3)
	v_mov_b64_e32 v[8:9], v[4:5]
	s_and_saveexec_b32 s78, s13
; %bb.4167:                             ;   in Loop: Header=BB4_3365 Depth=4
	v_bfe_u32 v8, v4, 21, 1
	v_mov_b32_e32 v9, v3
	s_delay_alu instid0(VALU_DEP_1) | instskip(NEXT) | instid1(VALU_DEP_1)
	v_add_nc_u64_e32 v[8:9], v[4:5], v[8:9]
	v_add_nc_u64_e32 v[8:9], -1, v[8:9]
; %bb.4168:                             ;   in Loop: Header=BB4_3365 Depth=4
	s_or_b32 exec_lo, exec_lo, s78
	v_add_nc_u32_e32 v2, 0xffffff81, v13
	v_lshrrev_b32_e32 v5, 23, v4
	s_mov_b32 s13, exec_lo
	s_delay_alu instid0(VALU_DEP_2) | instskip(NEXT) | instid1(VALU_DEP_1)
	v_cndmask_b32_e64 v2, v2, 0xffffff82, vcc_lo
	v_add3_u32 v9, v14, v2, v5
	v_and_b32_e32 v2, 0x1fffff, v8
                                        ; implicit-def: $vgpr8
	s_delay_alu instid0(VALU_DEP_1) | instskip(NEXT) | instid1(VALU_DEP_1)
	v_dual_add_nc_u32 v13, 14, v9 :: v_dual_add_nc_u32 v2, v2, v4
                                        ; implicit-def: $vgpr4_vgpr5
	v_cmpx_ne_u32_e32 0, v13
	s_xor_b32 s13, exec_lo, s13
; %bb.4169:                             ;   in Loop: Header=BB4_3365 Depth=4
	s_delay_alu instid0(VALU_DEP_2) | instskip(SKIP_1) | instid1(VALU_DEP_1)
	v_cmp_lt_u64_e32 vcc_lo, 0xffffff, v[2:3]
	v_add_nc_u32_e32 v4, 15, v9
	v_cndmask_b32_e32 v8, v13, v4, vcc_lo
	v_cndmask_b32_e64 v4, 0, 1, vcc_lo
	s_delay_alu instid0(VALU_DEP_1)
	v_lshrrev_b64 v[4:5], v4, v[2:3]
; %bb.4170:                             ;   in Loop: Header=BB4_3365 Depth=4
	s_and_not1_saveexec_b32 s13, s13
; %bb.4171:                             ;   in Loop: Header=BB4_3365 Depth=4
	v_mov_b64_e32 v[4:5], v[2:3]
	v_bfe_u32 v8, v2, 23, 1
; %bb.4172:                             ;   in Loop: Header=BB4_3365 Depth=4
	s_or_b32 exec_lo, exec_lo, s13
	s_delay_alu instid0(VALU_DEP_2) | instskip(NEXT) | instid1(VALU_DEP_2)
	v_lshrrev_b64 v[4:5], 21, v[4:5]
	v_cmp_gt_i32_e32 vcc_lo, 32, v8
	v_min_i32_e32 v2, 31, v8
	v_cmp_eq_u32_e64 s13, 0, v8
	s_delay_alu instid0(VALU_DEP_2) | instskip(SKIP_1) | instid1(VALU_DEP_2)
	v_dual_cndmask_b32 v5, 0, v5 :: v_dual_lshlrev_b32 v2, 2, v2
	v_cndmask_b32_e32 v4, 3, v4, vcc_lo
	v_and_b32_e32 v2, 0xfc, v2
	s_delay_alu instid0(VALU_DEP_2) | instskip(NEXT) | instid1(VALU_DEP_2)
	v_cmp_eq_u64_e32 vcc_lo, 0, v[4:5]
	v_and_or_b32 v2, v4, 3, v2
	s_and_b32 s13, s13, vcc_lo
	s_delay_alu instid0(VALU_DEP_1) | instid1(SALU_CYCLE_1)
	v_cndmask_b32_e64 v2, v2, 0, s13
	s_delay_alu instid0(VALU_DEP_1)
	v_or_b32_e32 v113, v2, v12
.LBB4_4173:                             ;   in Loop: Header=BB4_3365 Depth=4
	s_or_b32 exec_lo, exec_lo, s77
                                        ; implicit-def: $vgpr12
.LBB4_4174:                             ;   in Loop: Header=BB4_3365 Depth=4
	s_and_not1_saveexec_b32 s13, s76
; %bb.4175:                             ;   in Loop: Header=BB4_3365 Depth=4
	v_or_b32_e32 v113, 0x7b, v12
; %bb.4176:                             ;   in Loop: Header=BB4_3365 Depth=4
	s_or_b32 exec_lo, exec_lo, s13
                                        ; implicit-def: $vgpr4
                                        ; implicit-def: $vgpr5
.LBB4_4177:                             ;   in Loop: Header=BB4_3365 Depth=4
	s_and_not1_saveexec_b32 s13, s75
	s_cbranch_execz .LBB4_4183
; %bb.4178:                             ;   in Loop: Header=BB4_3365 Depth=4
	s_mov_b32 s75, exec_lo
                                        ; implicit-def: $vgpr113
	v_cmpx_ne_u64_e32 0, v[2:3]
	s_xor_b32 s75, exec_lo, s75
; %bb.4179:                             ;   in Loop: Header=BB4_3365 Depth=4
	v_or_b32_e32 v113, 0x7f, v5
                                        ; implicit-def: $vgpr4
; %bb.4180:                             ;   in Loop: Header=BB4_3365 Depth=4
	s_and_not1_saveexec_b32 s75, s75
; %bb.4181:                             ;   in Loop: Header=BB4_3365 Depth=4
	v_cmp_lt_i32_e32 vcc_lo, -1, v4
	v_cndmask_b32_e32 v113, 0xfc, v49, vcc_lo
; %bb.4182:                             ;   in Loop: Header=BB4_3365 Depth=4
	s_or_b32 exec_lo, exec_lo, s75
.LBB4_4183:                             ;   in Loop: Header=BB4_3365 Depth=4
	s_delay_alu instid0(SALU_CYCLE_1)
	s_or_b32 exec_lo, exec_lo, s13
	v_mov_b32_e32 v4, 0
	s_mov_b32 s13, exec_lo
	v_cmpx_lt_u32_e32 0xffffff, v10
	s_cbranch_execz .LBB4_4193
; %bb.4184:                             ;   in Loop: Header=BB4_3365 Depth=4
	v_lshrrev_b32_e32 v2, 24, v10
	v_bfrev_b32_e32 v4, 1
	s_mov_b32 s75, exec_lo
	s_delay_alu instid0(VALU_DEP_2)
	v_cmpx_ne_u32_e32 0x80, v2
	s_cbranch_execz .LBB4_4192
; %bb.4185:                             ;   in Loop: Header=BB4_3365 Depth=4
	v_and_b32_e32 v4, 0x7c000000, v10
	v_bfe_u32 v5, v10, 24, 2
	s_delay_alu instid0(VALU_DEP_2) | instskip(SKIP_1) | instid1(SALU_CYCLE_1)
	v_cmp_ne_u32_e32 vcc_lo, 0x7c000000, v4
                                        ; implicit-def: $vgpr4
	s_and_saveexec_b32 s76, vcc_lo
	s_xor_b32 s76, exec_lo, s76
	s_cbranch_execz .LBB4_4189
; %bb.4186:                             ;   in Loop: Header=BB4_3365 Depth=4
	v_bfe_u32 v4, v10, 26, 5
	s_mov_b32 s77, exec_lo
	s_delay_alu instid0(VALU_DEP_1)
	v_cmpx_eq_u32_e32 0, v4
; %bb.4187:                             ;   in Loop: Header=BB4_3365 Depth=4
	v_clz_i32_u32_e32 v4, v5
	s_delay_alu instid0(VALU_DEP_1) | instskip(NEXT) | instid1(VALU_DEP_1)
	v_min_u32_e32 v4, 32, v4
	v_subrev_nc_u32_e32 v5, 29, v4
	v_sub_nc_u32_e32 v4, 30, v4
	s_delay_alu instid0(VALU_DEP_2) | instskip(NEXT) | instid1(VALU_DEP_1)
	v_lshlrev_b64_e32 v[8:9], v5, v[2:3]
	v_and_b32_e32 v5, 3, v8
; %bb.4188:                             ;   in Loop: Header=BB4_3365 Depth=4
	s_or_b32 exec_lo, exec_lo, s77
	v_and_b32_e32 v2, 0x80000000, v10
	s_delay_alu instid0(VALU_DEP_1) | instskip(NEXT) | instid1(VALU_DEP_1)
	v_lshl_add_u32 v2, v4, 23, v2
	v_lshl_or_b32 v2, v5, 21, v2
                                        ; implicit-def: $vgpr5
	s_delay_alu instid0(VALU_DEP_1)
	v_add_nc_u32_e32 v4, 0x38000000, v2
.LBB4_4189:                             ;   in Loop: Header=BB4_3365 Depth=4
	s_and_not1_saveexec_b32 s76, s76
; %bb.4190:                             ;   in Loop: Header=BB4_3365 Depth=4
	v_cmp_lt_i32_e32 vcc_lo, -1, v10
	v_cndmask_b32_e32 v2, 0xff800000, v48, vcc_lo
	v_cmp_eq_u32_e32 vcc_lo, 0, v5
	s_delay_alu instid0(VALU_DEP_2)
	v_cndmask_b32_e32 v4, 0x7f800001, v2, vcc_lo
; %bb.4191:                             ;   in Loop: Header=BB4_3365 Depth=4
	s_or_b32 exec_lo, exec_lo, s76
.LBB4_4192:                             ;   in Loop: Header=BB4_3365 Depth=4
	s_delay_alu instid0(SALU_CYCLE_1)
	s_or_b32 exec_lo, exec_lo, s75
.LBB4_4193:                             ;   in Loop: Header=BB4_3365 Depth=4
	s_delay_alu instid0(SALU_CYCLE_1) | instskip(NEXT) | instid1(VALU_DEP_1)
	s_or_b32 exec_lo, exec_lo, s13
	v_dual_mul_f32 v4, s74, v4 :: v_dual_mov_b32 v9, v3
                                        ; implicit-def: $vgpr67
	s_mov_b32 s13, exec_lo
	s_delay_alu instid0(VALU_DEP_1) | instskip(SKIP_2) | instid1(VALU_DEP_3)
	v_and_b32_e32 v8, 0x7f800000, v4
	v_and_b32_e32 v2, 0x7fffff, v4
	v_lshrrev_b32_e32 v5, 24, v4
	v_cmpx_ne_u64_e32 0x7f800000, v[8:9]
	s_xor_b32 s75, exec_lo, s13
	s_cbranch_execz .LBB4_4207
; %bb.4194:                             ;   in Loop: Header=BB4_3365 Depth=4
	v_and_b32_e32 v8, 0x7fffffff, v4
	v_mov_b32_e32 v9, v3
	v_and_b32_e32 v12, 0x80, v5
                                        ; implicit-def: $vgpr67
	s_mov_b32 s13, exec_lo
	s_delay_alu instid0(VALU_DEP_2)
	v_cmpx_gt_u64_e32 0x47600001, v[8:9]
	s_xor_b32 s76, exec_lo, s13
	s_cbranch_execz .LBB4_4204
; %bb.4195:                             ;   in Loop: Header=BB4_3365 Depth=4
	v_mov_b32_e32 v67, 0
	s_mov_b32 s77, exec_lo
	v_cmpx_ne_u32_e32 0, v4
	s_cbranch_execz .LBB4_4203
; %bb.4196:                             ;   in Loop: Header=BB4_3365 Depth=4
	v_bfe_u32 v13, v4, 23, 8
	v_or_b32_e32 v5, 0x800000, v2
	s_delay_alu instid0(VALU_DEP_2) | instskip(SKIP_2) | instid1(VALU_DEP_2)
	v_cmp_gt_u32_e64 s13, 0x72, v13
	v_sub_nc_u32_e32 v4, 0x71, v13
	v_cmp_eq_u32_e32 vcc_lo, 0, v13
	v_cndmask_b32_e64 v4, 0, v4, s13
	s_delay_alu instid0(VALU_DEP_1) | instskip(SKIP_1) | instid1(VALU_DEP_2)
	v_cndmask_b32_e64 v14, v4, 0x70, vcc_lo
	v_dual_cndmask_b32 v4, v5, v2 :: v_dual_mov_b32 v5, v3
	v_add_nc_u32_e32 v2, 21, v14
	s_delay_alu instid0(VALU_DEP_1) | instskip(SKIP_1) | instid1(VALU_DEP_1)
	v_lshlrev_b64_e64 v[8:9], v2, -1
	v_add_nc_u32_e32 v2, 20, v14
	v_lshlrev_b64_e64 v[50:51], v2, 1
	s_delay_alu instid0(VALU_DEP_3) | instskip(SKIP_2) | instid1(VALU_DEP_1)
	v_bfi_b32 v8, v8, 0, v4
	v_lshrrev_b64 v[4:5], v14, v[4:5]
	v_bfi_b32 v9, v9, 0, 0
	v_cmp_eq_u64_e64 s13, v[8:9], v[50:51]
	s_delay_alu instid0(VALU_DEP_3)
	v_mov_b64_e32 v[8:9], v[4:5]
	s_and_saveexec_b32 s78, s13
; %bb.4197:                             ;   in Loop: Header=BB4_3365 Depth=4
	v_bfe_u32 v8, v4, 21, 1
	v_mov_b32_e32 v9, v3
	s_delay_alu instid0(VALU_DEP_1) | instskip(NEXT) | instid1(VALU_DEP_1)
	v_add_nc_u64_e32 v[8:9], v[4:5], v[8:9]
	v_add_nc_u64_e32 v[8:9], -1, v[8:9]
; %bb.4198:                             ;   in Loop: Header=BB4_3365 Depth=4
	s_or_b32 exec_lo, exec_lo, s78
	v_add_nc_u32_e32 v2, 0xffffff81, v13
	v_lshrrev_b32_e32 v5, 23, v4
	s_mov_b32 s13, exec_lo
	s_delay_alu instid0(VALU_DEP_2) | instskip(NEXT) | instid1(VALU_DEP_1)
	v_cndmask_b32_e64 v2, v2, 0xffffff82, vcc_lo
	v_add3_u32 v9, v14, v2, v5
	v_and_b32_e32 v2, 0x1fffff, v8
                                        ; implicit-def: $vgpr8
	s_delay_alu instid0(VALU_DEP_1) | instskip(NEXT) | instid1(VALU_DEP_1)
	v_dual_add_nc_u32 v13, 14, v9 :: v_dual_add_nc_u32 v2, v2, v4
                                        ; implicit-def: $vgpr4_vgpr5
	v_cmpx_ne_u32_e32 0, v13
	s_xor_b32 s13, exec_lo, s13
; %bb.4199:                             ;   in Loop: Header=BB4_3365 Depth=4
	s_delay_alu instid0(VALU_DEP_2) | instskip(SKIP_1) | instid1(VALU_DEP_1)
	v_cmp_lt_u64_e32 vcc_lo, 0xffffff, v[2:3]
	v_add_nc_u32_e32 v4, 15, v9
	v_cndmask_b32_e32 v8, v13, v4, vcc_lo
	v_cndmask_b32_e64 v4, 0, 1, vcc_lo
	s_delay_alu instid0(VALU_DEP_1)
	v_lshrrev_b64 v[4:5], v4, v[2:3]
; %bb.4200:                             ;   in Loop: Header=BB4_3365 Depth=4
	s_and_not1_saveexec_b32 s13, s13
; %bb.4201:                             ;   in Loop: Header=BB4_3365 Depth=4
	v_mov_b64_e32 v[4:5], v[2:3]
	v_bfe_u32 v8, v2, 23, 1
; %bb.4202:                             ;   in Loop: Header=BB4_3365 Depth=4
	s_or_b32 exec_lo, exec_lo, s13
	s_delay_alu instid0(VALU_DEP_2) | instskip(NEXT) | instid1(VALU_DEP_2)
	v_lshrrev_b64 v[4:5], 21, v[4:5]
	v_cmp_gt_i32_e32 vcc_lo, 32, v8
	v_min_i32_e32 v2, 31, v8
	v_cmp_eq_u32_e64 s13, 0, v8
	s_delay_alu instid0(VALU_DEP_2) | instskip(SKIP_1) | instid1(VALU_DEP_2)
	v_dual_cndmask_b32 v5, 0, v5 :: v_dual_lshlrev_b32 v2, 2, v2
	v_cndmask_b32_e32 v4, 3, v4, vcc_lo
	v_and_b32_e32 v2, 0xfc, v2
	s_delay_alu instid0(VALU_DEP_2) | instskip(NEXT) | instid1(VALU_DEP_2)
	v_cmp_eq_u64_e32 vcc_lo, 0, v[4:5]
	v_and_or_b32 v2, v4, 3, v2
	s_and_b32 s13, s13, vcc_lo
	s_delay_alu instid0(VALU_DEP_1) | instid1(SALU_CYCLE_1)
	v_cndmask_b32_e64 v2, v2, 0, s13
	s_delay_alu instid0(VALU_DEP_1)
	v_or_b32_e32 v67, v2, v12
.LBB4_4203:                             ;   in Loop: Header=BB4_3365 Depth=4
	s_or_b32 exec_lo, exec_lo, s77
                                        ; implicit-def: $vgpr12
.LBB4_4204:                             ;   in Loop: Header=BB4_3365 Depth=4
	s_and_not1_saveexec_b32 s13, s76
; %bb.4205:                             ;   in Loop: Header=BB4_3365 Depth=4
	v_or_b32_e32 v67, 0x7b, v12
; %bb.4206:                             ;   in Loop: Header=BB4_3365 Depth=4
	s_or_b32 exec_lo, exec_lo, s13
                                        ; implicit-def: $vgpr4
                                        ; implicit-def: $vgpr5
.LBB4_4207:                             ;   in Loop: Header=BB4_3365 Depth=4
	s_and_not1_saveexec_b32 s13, s75
	s_cbranch_execz .LBB4_4213
; %bb.4208:                             ;   in Loop: Header=BB4_3365 Depth=4
	s_mov_b32 s75, exec_lo
                                        ; implicit-def: $vgpr67
	v_cmpx_ne_u64_e32 0, v[2:3]
	s_xor_b32 s75, exec_lo, s75
; %bb.4209:                             ;   in Loop: Header=BB4_3365 Depth=4
	v_or_b32_e32 v67, 0x7f, v5
                                        ; implicit-def: $vgpr4
; %bb.4210:                             ;   in Loop: Header=BB4_3365 Depth=4
	s_and_not1_saveexec_b32 s75, s75
; %bb.4211:                             ;   in Loop: Header=BB4_3365 Depth=4
	v_cmp_lt_i32_e32 vcc_lo, -1, v4
	v_cndmask_b32_e32 v67, 0xfc, v49, vcc_lo
; %bb.4212:                             ;   in Loop: Header=BB4_3365 Depth=4
	s_or_b32 exec_lo, exec_lo, s75
.LBB4_4213:                             ;   in Loop: Header=BB4_3365 Depth=4
	s_delay_alu instid0(SALU_CYCLE_1) | instskip(SKIP_3) | instid1(VALU_DEP_2)
	s_or_b32 exec_lo, exec_lo, s13
	v_and_b32_e32 v4, 0xff, v11
	v_dual_mov_b32 v2, v11 :: v_dual_mov_b32 v5, 0
	s_mov_b32 s13, exec_lo
	v_cmpx_ne_u16_e32 0, v4
	s_cbranch_execz .LBB4_4223
; %bb.4214:                             ;   in Loop: Header=BB4_3365 Depth=4
	v_bfrev_b32_e32 v5, 1
	s_mov_b32 s75, exec_lo
	v_cmpx_ne_u16_e32 0x80, v4
	s_cbranch_execz .LBB4_4222
; %bb.4215:                             ;   in Loop: Header=BB4_3365 Depth=4
	v_and_b32_e32 v5, 0x7c, v11
	v_and_b32_e32 v4, 3, v11
	s_delay_alu instid0(VALU_DEP_2) | instskip(SKIP_1) | instid1(SALU_CYCLE_1)
	v_cmp_ne_u32_e32 vcc_lo, 0x7c, v5
                                        ; implicit-def: $vgpr5
	s_and_saveexec_b32 s76, vcc_lo
	s_xor_b32 s76, exec_lo, s76
	s_cbranch_execz .LBB4_4219
; %bb.4216:                             ;   in Loop: Header=BB4_3365 Depth=4
	v_bfe_u32 v5, v11, 2, 5
	s_mov_b32 s77, exec_lo
	s_delay_alu instid0(VALU_DEP_1)
	v_cmpx_eq_u32_e32 0, v5
; %bb.4217:                             ;   in Loop: Header=BB4_3365 Depth=4
	v_clz_i32_u32_e32 v4, v4
	s_delay_alu instid0(VALU_DEP_1) | instskip(NEXT) | instid1(VALU_DEP_1)
	v_min_u32_e32 v8, 32, v4
	v_subrev_nc_u32_e32 v4, 29, v8
	s_delay_alu instid0(VALU_DEP_1) | instskip(SKIP_1) | instid1(VALU_DEP_2)
	v_lshlrev_b64_e32 v[4:5], v4, v[2:3]
	v_sub_nc_u32_e32 v5, 30, v8
	v_and_b32_e32 v4, 3, v4
; %bb.4218:                             ;   in Loop: Header=BB4_3365 Depth=4
	s_or_b32 exec_lo, exec_lo, s77
	v_lshlrev_b32_e32 v8, 24, v11
	s_delay_alu instid0(VALU_DEP_1) | instskip(NEXT) | instid1(VALU_DEP_1)
	v_and_b32_e32 v8, 0x80000000, v8
	v_lshl_add_u32 v5, v5, 23, v8
	s_delay_alu instid0(VALU_DEP_1) | instskip(NEXT) | instid1(VALU_DEP_1)
	v_lshl_or_b32 v4, v4, 21, v5
	v_add_nc_u32_e32 v5, 0x38000000, v4
                                        ; implicit-def: $vgpr4
.LBB4_4219:                             ;   in Loop: Header=BB4_3365 Depth=4
	s_and_not1_saveexec_b32 s76, s76
; %bb.4220:                             ;   in Loop: Header=BB4_3365 Depth=4
	v_bfe_i32 v5, v11, 0, 8
	s_delay_alu instid0(VALU_DEP_1) | instskip(SKIP_2) | instid1(VALU_DEP_2)
	v_cmp_lt_i16_e32 vcc_lo, -1, v5
	v_cndmask_b32_e32 v5, 0xff800000, v48, vcc_lo
	v_cmp_eq_u32_e32 vcc_lo, 0, v4
	v_cndmask_b32_e32 v5, 0x7f800001, v5, vcc_lo
; %bb.4221:                             ;   in Loop: Header=BB4_3365 Depth=4
	s_or_b32 exec_lo, exec_lo, s76
.LBB4_4222:                             ;   in Loop: Header=BB4_3365 Depth=4
	s_delay_alu instid0(SALU_CYCLE_1)
	s_or_b32 exec_lo, exec_lo, s75
.LBB4_4223:                             ;   in Loop: Header=BB4_3365 Depth=4
	s_delay_alu instid0(SALU_CYCLE_1) | instskip(NEXT) | instid1(VALU_DEP_1)
	s_or_b32 exec_lo, exec_lo, s13
	v_dual_mul_f32 v8, s74, v5 :: v_dual_mov_b32 v13, v3
	v_mov_b32_e32 v5, v3
                                        ; implicit-def: $vgpr21
	s_mov_b32 s13, exec_lo
	s_delay_alu instid0(VALU_DEP_2) | instskip(SKIP_2) | instid1(VALU_DEP_3)
	v_and_b32_e32 v12, 0x7f800000, v8
	v_and_b32_e32 v4, 0x7fffff, v8
	v_lshrrev_b32_e32 v9, 24, v8
	v_cmpx_ne_u64_e32 0x7f800000, v[12:13]
	s_xor_b32 s75, exec_lo, s13
	s_cbranch_execz .LBB4_4237
; %bb.4224:                             ;   in Loop: Header=BB4_3365 Depth=4
	v_and_b32_e32 v12, 0x7fffffff, v8
	v_mov_b32_e32 v13, v3
                                        ; implicit-def: $vgpr21
	s_delay_alu instid0(VALU_DEP_1) | instskip(SKIP_2) | instid1(SALU_CYCLE_1)
	v_cmp_gt_u64_e32 vcc_lo, 0x47600001, v[12:13]
	v_and_b32_e32 v12, 0x80, v9
	s_and_saveexec_b32 s13, vcc_lo
	s_xor_b32 s76, exec_lo, s13
	s_cbranch_execz .LBB4_4234
; %bb.4225:                             ;   in Loop: Header=BB4_3365 Depth=4
	v_mov_b32_e32 v21, 0
	s_mov_b32 s77, exec_lo
	v_cmpx_ne_u32_e32 0, v8
	s_cbranch_execz .LBB4_4233
; %bb.4226:                             ;   in Loop: Header=BB4_3365 Depth=4
	v_bfe_u32 v13, v8, 23, 8
	v_or_b32_e32 v9, 0x800000, v4
	s_delay_alu instid0(VALU_DEP_2) | instskip(SKIP_2) | instid1(VALU_DEP_2)
	v_cmp_gt_u32_e64 s13, 0x72, v13
	v_sub_nc_u32_e32 v8, 0x71, v13
	v_cmp_eq_u32_e32 vcc_lo, 0, v13
	v_cndmask_b32_e64 v8, 0, v8, s13
	s_delay_alu instid0(VALU_DEP_1) | instskip(NEXT) | instid1(VALU_DEP_1)
	v_cndmask_b32_e64 v14, v8, 0x70, vcc_lo
	v_dual_cndmask_b32 v4, v9, v4, vcc_lo :: v_dual_add_nc_u32 v8, 21, v14
	v_add_nc_u32_e32 v15, 20, v14
	s_delay_alu instid0(VALU_DEP_2) | instskip(NEXT) | instid1(VALU_DEP_2)
	v_lshlrev_b64_e64 v[8:9], v8, -1
	v_lshlrev_b64_e64 v[50:51], v15, 1
	s_delay_alu instid0(VALU_DEP_2) | instskip(SKIP_1) | instid1(VALU_DEP_4)
	v_bfi_b32 v8, v8, 0, v4
	v_lshrrev_b64 v[4:5], v14, v[4:5]
	v_bfi_b32 v9, v9, 0, 0
	s_delay_alu instid0(VALU_DEP_1) | instskip(NEXT) | instid1(VALU_DEP_3)
	v_cmp_eq_u64_e64 s13, v[8:9], v[50:51]
	v_mov_b64_e32 v[8:9], v[4:5]
	s_and_saveexec_b32 s78, s13
; %bb.4227:                             ;   in Loop: Header=BB4_3365 Depth=4
	v_bfe_u32 v8, v4, 21, 1
	v_mov_b32_e32 v9, v3
	s_delay_alu instid0(VALU_DEP_1) | instskip(NEXT) | instid1(VALU_DEP_1)
	v_add_nc_u64_e32 v[8:9], v[4:5], v[8:9]
	v_add_nc_u64_e32 v[8:9], -1, v[8:9]
; %bb.4228:                             ;   in Loop: Header=BB4_3365 Depth=4
	s_or_b32 exec_lo, exec_lo, s78
	v_add_nc_u32_e32 v5, 0xffffff81, v13
	v_lshrrev_b32_e32 v9, 23, v4
	s_mov_b32 s13, exec_lo
	s_delay_alu instid0(VALU_DEP_2) | instskip(NEXT) | instid1(VALU_DEP_1)
	v_cndmask_b32_e64 v5, v5, 0xffffff82, vcc_lo
	v_add3_u32 v9, v14, v5, v9
	v_and_b32_e32 v5, 0x1fffff, v8
                                        ; implicit-def: $vgpr8
	s_delay_alu instid0(VALU_DEP_1) | instskip(SKIP_1) | instid1(VALU_DEP_2)
	v_dual_add_nc_u32 v13, 14, v9 :: v_dual_add_nc_u32 v4, v5, v4
	v_mov_b32_e32 v5, v3
	v_cmpx_ne_u32_e32 0, v13
	s_xor_b32 s13, exec_lo, s13
; %bb.4229:                             ;   in Loop: Header=BB4_3365 Depth=4
	s_delay_alu instid0(VALU_DEP_2) | instskip(SKIP_2) | instid1(VALU_DEP_2)
	v_cmp_lt_u64_e32 vcc_lo, 0xffffff, v[4:5]
	v_add_nc_u32_e32 v8, 15, v9
	v_cndmask_b32_e64 v9, 0, 1, vcc_lo
	v_cndmask_b32_e32 v8, v13, v8, vcc_lo
	s_delay_alu instid0(VALU_DEP_2)
	v_lshrrev_b64 v[4:5], v9, v[4:5]
; %bb.4230:                             ;   in Loop: Header=BB4_3365 Depth=4
	s_and_not1_saveexec_b32 s13, s13
; %bb.4231:                             ;   in Loop: Header=BB4_3365 Depth=4
	s_delay_alu instid0(VALU_DEP_1)
	v_bfe_u32 v8, v4, 23, 1
; %bb.4232:                             ;   in Loop: Header=BB4_3365 Depth=4
	s_or_b32 exec_lo, exec_lo, s13
	s_delay_alu instid0(VALU_DEP_2) | instskip(NEXT) | instid1(VALU_DEP_2)
	v_lshrrev_b64 v[4:5], 21, v[4:5]
	v_cmp_gt_i32_e32 vcc_lo, 32, v8
	v_min_i32_e32 v9, 31, v8
	v_cmp_eq_u32_e64 s13, 0, v8
	s_delay_alu instid0(VALU_DEP_4) | instskip(NEXT) | instid1(VALU_DEP_3)
	v_cndmask_b32_e32 v5, 0, v5, vcc_lo
	v_dual_cndmask_b32 v4, 3, v4 :: v_dual_lshlrev_b32 v9, 2, v9
	s_delay_alu instid0(VALU_DEP_1) | instskip(NEXT) | instid1(VALU_DEP_2)
	v_and_b32_e32 v9, 0xfc, v9
	v_cmp_eq_u64_e32 vcc_lo, 0, v[4:5]
	s_delay_alu instid0(VALU_DEP_2)
	v_and_or_b32 v4, v4, 3, v9
	s_and_b32 s13, s13, vcc_lo
	s_delay_alu instid0(VALU_DEP_1) | instid1(SALU_CYCLE_1)
	v_cndmask_b32_e64 v4, v4, 0, s13
	s_delay_alu instid0(VALU_DEP_1)
	v_or_b32_e32 v21, v4, v12
.LBB4_4233:                             ;   in Loop: Header=BB4_3365 Depth=4
	s_or_b32 exec_lo, exec_lo, s77
                                        ; implicit-def: $vgpr12
.LBB4_4234:                             ;   in Loop: Header=BB4_3365 Depth=4
	s_and_not1_saveexec_b32 s13, s76
; %bb.4235:                             ;   in Loop: Header=BB4_3365 Depth=4
	v_or_b32_e32 v21, 0x7b, v12
; %bb.4236:                             ;   in Loop: Header=BB4_3365 Depth=4
	s_or_b32 exec_lo, exec_lo, s13
                                        ; implicit-def: $vgpr8
                                        ; implicit-def: $vgpr4_vgpr5
                                        ; implicit-def: $vgpr9
.LBB4_4237:                             ;   in Loop: Header=BB4_3365 Depth=4
	s_and_not1_saveexec_b32 s13, s75
	s_cbranch_execz .LBB4_4243
; %bb.4238:                             ;   in Loop: Header=BB4_3365 Depth=4
	s_mov_b32 s75, exec_lo
                                        ; implicit-def: $vgpr21
	v_cmpx_ne_u64_e32 0, v[4:5]
	s_xor_b32 s75, exec_lo, s75
; %bb.4239:                             ;   in Loop: Header=BB4_3365 Depth=4
	v_or_b32_e32 v21, 0x7f, v9
                                        ; implicit-def: $vgpr8
; %bb.4240:                             ;   in Loop: Header=BB4_3365 Depth=4
	s_and_not1_saveexec_b32 s75, s75
; %bb.4241:                             ;   in Loop: Header=BB4_3365 Depth=4
	v_cmp_lt_i32_e32 vcc_lo, -1, v8
	v_cndmask_b32_e32 v21, 0xfc, v49, vcc_lo
; %bb.4242:                             ;   in Loop: Header=BB4_3365 Depth=4
	s_or_b32 exec_lo, exec_lo, s75
.LBB4_4243:                             ;   in Loop: Header=BB4_3365 Depth=4
	s_delay_alu instid0(SALU_CYCLE_1) | instskip(SKIP_3) | instid1(VALU_DEP_2)
	s_or_b32 exec_lo, exec_lo, s13
	v_lshrrev_b16 v4, 8, v2
	v_mov_b32_e32 v8, 0
	s_mov_b32 s13, exec_lo
	v_cmpx_ne_u16_e32 0, v4
	s_cbranch_execz .LBB4_4253
; %bb.4244:                             ;   in Loop: Header=BB4_3365 Depth=4
	v_bfrev_b32_e32 v8, 1
	s_mov_b32 s75, exec_lo
	v_cmpx_ne_u16_e32 0x80, v4
	s_cbranch_execz .LBB4_4252
; %bb.4245:                             ;   in Loop: Header=BB4_3365 Depth=4
	v_and_b32_e32 v9, 0xffff, v4
	s_delay_alu instid0(VALU_DEP_1) | instskip(SKIP_1) | instid1(VALU_DEP_2)
	v_and_b32_e32 v8, 0x7c, v9
	v_and_b32_e32 v5, 3, v9
	v_cmp_ne_u32_e32 vcc_lo, 0x7c, v8
                                        ; implicit-def: $vgpr8
	s_and_saveexec_b32 s76, vcc_lo
	s_delay_alu instid0(SALU_CYCLE_1)
	s_xor_b32 s76, exec_lo, s76
	s_cbranch_execz .LBB4_4249
; %bb.4246:                             ;   in Loop: Header=BB4_3365 Depth=4
	v_bfe_u32 v8, v9, 2, 5
	s_mov_b32 s77, exec_lo
	s_delay_alu instid0(VALU_DEP_1)
	v_cmpx_eq_u32_e32 0, v8
	s_cbranch_execz .LBB4_4248
; %bb.4247:                             ;   in Loop: Header=BB4_3365 Depth=4
	v_clz_i32_u32_e32 v5, v5
	s_delay_alu instid0(VALU_DEP_1) | instskip(SKIP_1) | instid1(VALU_DEP_2)
	v_min_u32_e32 v8, 32, v5
	v_mov_b32_e32 v5, v3
	v_subrev_nc_u32_e32 v9, 29, v8
	v_sub_nc_u32_e32 v8, 30, v8
	s_delay_alu instid0(VALU_DEP_2) | instskip(NEXT) | instid1(VALU_DEP_1)
	v_lshlrev_b64_e32 v[4:5], v9, v[4:5]
	v_and_b32_e32 v5, 3, v4
.LBB4_4248:                             ;   in Loop: Header=BB4_3365 Depth=4
	s_or_b32 exec_lo, exec_lo, s77
	v_lshlrev_b32_e32 v2, 16, v2
	s_delay_alu instid0(VALU_DEP_1) | instskip(NEXT) | instid1(VALU_DEP_1)
	v_and_b32_e32 v2, 0x80000000, v2
	v_lshl_add_u32 v2, v8, 23, v2
	s_delay_alu instid0(VALU_DEP_1) | instskip(NEXT) | instid1(VALU_DEP_1)
	v_lshl_or_b32 v2, v5, 21, v2
                                        ; implicit-def: $vgpr5
	v_add_nc_u32_e32 v8, 0x38000000, v2
.LBB4_4249:                             ;   in Loop: Header=BB4_3365 Depth=4
	s_and_not1_saveexec_b32 s76, s76
; %bb.4250:                             ;   in Loop: Header=BB4_3365 Depth=4
	v_cmp_lt_i16_e32 vcc_lo, -1, v2
	v_cndmask_b32_e32 v2, 0xff800000, v48, vcc_lo
	v_cmp_eq_u32_e32 vcc_lo, 0, v5
	s_delay_alu instid0(VALU_DEP_2)
	v_cndmask_b32_e32 v8, 0x7f800001, v2, vcc_lo
; %bb.4251:                             ;   in Loop: Header=BB4_3365 Depth=4
	s_or_b32 exec_lo, exec_lo, s76
.LBB4_4252:                             ;   in Loop: Header=BB4_3365 Depth=4
	s_delay_alu instid0(SALU_CYCLE_1)
	s_or_b32 exec_lo, exec_lo, s75
.LBB4_4253:                             ;   in Loop: Header=BB4_3365 Depth=4
	s_delay_alu instid0(SALU_CYCLE_1) | instskip(NEXT) | instid1(VALU_DEP_1)
	s_or_b32 exec_lo, exec_lo, s13
	v_dual_mul_f32 v4, s74, v8 :: v_dual_mov_b32 v9, v3
                                        ; implicit-def: $vgpr50
	s_mov_b32 s13, exec_lo
	s_delay_alu instid0(VALU_DEP_1) | instskip(SKIP_2) | instid1(VALU_DEP_3)
	v_and_b32_e32 v8, 0x7f800000, v4
	v_and_b32_e32 v2, 0x7fffff, v4
	v_lshrrev_b32_e32 v5, 24, v4
	v_cmpx_ne_u64_e32 0x7f800000, v[8:9]
	s_xor_b32 s75, exec_lo, s13
	s_cbranch_execz .LBB4_4267
; %bb.4254:                             ;   in Loop: Header=BB4_3365 Depth=4
	v_and_b32_e32 v8, 0x7fffffff, v4
	v_mov_b32_e32 v9, v3
	v_and_b32_e32 v12, 0x80, v5
                                        ; implicit-def: $vgpr50
	s_mov_b32 s13, exec_lo
	s_delay_alu instid0(VALU_DEP_2)
	v_cmpx_gt_u64_e32 0x47600001, v[8:9]
	s_xor_b32 s76, exec_lo, s13
	s_cbranch_execz .LBB4_4264
; %bb.4255:                             ;   in Loop: Header=BB4_3365 Depth=4
	v_mov_b32_e32 v50, 0
	s_mov_b32 s77, exec_lo
	v_cmpx_ne_u32_e32 0, v4
	s_cbranch_execz .LBB4_4263
; %bb.4256:                             ;   in Loop: Header=BB4_3365 Depth=4
	v_bfe_u32 v13, v4, 23, 8
	v_or_b32_e32 v5, 0x800000, v2
	s_delay_alu instid0(VALU_DEP_2) | instskip(SKIP_2) | instid1(VALU_DEP_2)
	v_cmp_gt_u32_e64 s13, 0x72, v13
	v_sub_nc_u32_e32 v4, 0x71, v13
	v_cmp_eq_u32_e32 vcc_lo, 0, v13
	v_cndmask_b32_e64 v4, 0, v4, s13
	s_delay_alu instid0(VALU_DEP_1) | instskip(SKIP_1) | instid1(VALU_DEP_2)
	v_cndmask_b32_e64 v14, v4, 0x70, vcc_lo
	v_dual_cndmask_b32 v4, v5, v2 :: v_dual_mov_b32 v5, v3
	v_add_nc_u32_e32 v2, 21, v14
	s_delay_alu instid0(VALU_DEP_1) | instskip(SKIP_1) | instid1(VALU_DEP_1)
	v_lshlrev_b64_e64 v[8:9], v2, -1
	v_add_nc_u32_e32 v2, 20, v14
	v_lshlrev_b64_e64 v[50:51], v2, 1
	s_delay_alu instid0(VALU_DEP_3) | instskip(SKIP_2) | instid1(VALU_DEP_1)
	v_bfi_b32 v8, v8, 0, v4
	v_lshrrev_b64 v[4:5], v14, v[4:5]
	v_bfi_b32 v9, v9, 0, 0
	v_cmp_eq_u64_e64 s13, v[8:9], v[50:51]
	s_delay_alu instid0(VALU_DEP_3)
	v_mov_b64_e32 v[8:9], v[4:5]
	s_and_saveexec_b32 s78, s13
; %bb.4257:                             ;   in Loop: Header=BB4_3365 Depth=4
	v_bfe_u32 v8, v4, 21, 1
	v_mov_b32_e32 v9, v3
	s_delay_alu instid0(VALU_DEP_1) | instskip(NEXT) | instid1(VALU_DEP_1)
	v_add_nc_u64_e32 v[8:9], v[4:5], v[8:9]
	v_add_nc_u64_e32 v[8:9], -1, v[8:9]
; %bb.4258:                             ;   in Loop: Header=BB4_3365 Depth=4
	s_or_b32 exec_lo, exec_lo, s78
	v_add_nc_u32_e32 v2, 0xffffff81, v13
	v_lshrrev_b32_e32 v5, 23, v4
	s_mov_b32 s13, exec_lo
	s_delay_alu instid0(VALU_DEP_2) | instskip(NEXT) | instid1(VALU_DEP_1)
	v_cndmask_b32_e64 v2, v2, 0xffffff82, vcc_lo
	v_add3_u32 v9, v14, v2, v5
	v_and_b32_e32 v2, 0x1fffff, v8
                                        ; implicit-def: $vgpr8
	s_delay_alu instid0(VALU_DEP_1) | instskip(NEXT) | instid1(VALU_DEP_1)
	v_dual_add_nc_u32 v13, 14, v9 :: v_dual_add_nc_u32 v2, v2, v4
                                        ; implicit-def: $vgpr4_vgpr5
	v_cmpx_ne_u32_e32 0, v13
	s_xor_b32 s13, exec_lo, s13
; %bb.4259:                             ;   in Loop: Header=BB4_3365 Depth=4
	s_delay_alu instid0(VALU_DEP_2) | instskip(SKIP_1) | instid1(VALU_DEP_1)
	v_cmp_lt_u64_e32 vcc_lo, 0xffffff, v[2:3]
	v_add_nc_u32_e32 v4, 15, v9
	v_cndmask_b32_e32 v8, v13, v4, vcc_lo
	v_cndmask_b32_e64 v4, 0, 1, vcc_lo
	s_delay_alu instid0(VALU_DEP_1)
	v_lshrrev_b64 v[4:5], v4, v[2:3]
; %bb.4260:                             ;   in Loop: Header=BB4_3365 Depth=4
	s_and_not1_saveexec_b32 s13, s13
; %bb.4261:                             ;   in Loop: Header=BB4_3365 Depth=4
	v_mov_b64_e32 v[4:5], v[2:3]
	v_bfe_u32 v8, v2, 23, 1
; %bb.4262:                             ;   in Loop: Header=BB4_3365 Depth=4
	s_or_b32 exec_lo, exec_lo, s13
	s_delay_alu instid0(VALU_DEP_2) | instskip(NEXT) | instid1(VALU_DEP_2)
	v_lshrrev_b64 v[4:5], 21, v[4:5]
	v_cmp_gt_i32_e32 vcc_lo, 32, v8
	v_min_i32_e32 v2, 31, v8
	v_cmp_eq_u32_e64 s13, 0, v8
	s_delay_alu instid0(VALU_DEP_2) | instskip(SKIP_1) | instid1(VALU_DEP_2)
	v_dual_cndmask_b32 v5, 0, v5 :: v_dual_lshlrev_b32 v2, 2, v2
	v_cndmask_b32_e32 v4, 3, v4, vcc_lo
	v_and_b32_e32 v2, 0xfc, v2
	s_delay_alu instid0(VALU_DEP_2) | instskip(NEXT) | instid1(VALU_DEP_2)
	v_cmp_eq_u64_e32 vcc_lo, 0, v[4:5]
	v_and_or_b32 v2, v4, 3, v2
	s_and_b32 s13, s13, vcc_lo
	s_delay_alu instid0(VALU_DEP_1) | instid1(SALU_CYCLE_1)
	v_cndmask_b32_e64 v2, v2, 0, s13
	s_delay_alu instid0(VALU_DEP_1)
	v_or_b32_e32 v50, v2, v12
.LBB4_4263:                             ;   in Loop: Header=BB4_3365 Depth=4
	s_or_b32 exec_lo, exec_lo, s77
                                        ; implicit-def: $vgpr12
.LBB4_4264:                             ;   in Loop: Header=BB4_3365 Depth=4
	s_and_not1_saveexec_b32 s13, s76
; %bb.4265:                             ;   in Loop: Header=BB4_3365 Depth=4
	v_or_b32_e32 v50, 0x7b, v12
; %bb.4266:                             ;   in Loop: Header=BB4_3365 Depth=4
	s_or_b32 exec_lo, exec_lo, s13
                                        ; implicit-def: $vgpr4
                                        ; implicit-def: $vgpr5
.LBB4_4267:                             ;   in Loop: Header=BB4_3365 Depth=4
	s_and_not1_saveexec_b32 s13, s75
	s_cbranch_execz .LBB4_4273
; %bb.4268:                             ;   in Loop: Header=BB4_3365 Depth=4
	s_mov_b32 s75, exec_lo
                                        ; implicit-def: $vgpr50
	v_cmpx_ne_u64_e32 0, v[2:3]
	s_xor_b32 s75, exec_lo, s75
; %bb.4269:                             ;   in Loop: Header=BB4_3365 Depth=4
	v_or_b32_e32 v50, 0x7f, v5
                                        ; implicit-def: $vgpr4
; %bb.4270:                             ;   in Loop: Header=BB4_3365 Depth=4
	s_and_not1_saveexec_b32 s75, s75
; %bb.4271:                             ;   in Loop: Header=BB4_3365 Depth=4
	v_cmp_lt_i32_e32 vcc_lo, -1, v4
	v_cndmask_b32_e32 v50, 0xfc, v49, vcc_lo
; %bb.4272:                             ;   in Loop: Header=BB4_3365 Depth=4
	s_or_b32 exec_lo, exec_lo, s75
.LBB4_4273:                             ;   in Loop: Header=BB4_3365 Depth=4
	s_delay_alu instid0(SALU_CYCLE_1) | instskip(SKIP_2) | instid1(VALU_DEP_1)
	s_or_b32 exec_lo, exec_lo, s13
	v_dual_mov_b32 v5, 0 :: v_dual_lshrrev_b32 v2, 16, v11
	s_mov_b32 s13, exec_lo
	v_and_b32_e32 v4, 0xff, v2
	s_delay_alu instid0(VALU_DEP_1)
	v_cmpx_ne_u16_e32 0, v4
	s_cbranch_execz .LBB4_4283
; %bb.4274:                             ;   in Loop: Header=BB4_3365 Depth=4
	v_bfrev_b32_e32 v5, 1
	s_mov_b32 s75, exec_lo
	v_cmpx_ne_u16_e32 0x80, v4
	s_cbranch_execz .LBB4_4282
; %bb.4275:                             ;   in Loop: Header=BB4_3365 Depth=4
	v_and_b32_e32 v5, 0x7c0000, v11
	v_bfe_u32 v4, v11, 16, 2
	s_delay_alu instid0(VALU_DEP_2) | instskip(SKIP_1) | instid1(SALU_CYCLE_1)
	v_cmp_ne_u32_e32 vcc_lo, 0x7c0000, v5
                                        ; implicit-def: $vgpr5
	s_and_saveexec_b32 s76, vcc_lo
	s_xor_b32 s76, exec_lo, s76
	s_cbranch_execz .LBB4_4279
; %bb.4276:                             ;   in Loop: Header=BB4_3365 Depth=4
	v_bfe_u32 v5, v11, 18, 5
	s_mov_b32 s77, exec_lo
	s_delay_alu instid0(VALU_DEP_1)
	v_cmpx_eq_u32_e32 0, v5
; %bb.4277:                             ;   in Loop: Header=BB4_3365 Depth=4
	v_clz_i32_u32_e32 v4, v4
	s_delay_alu instid0(VALU_DEP_1) | instskip(NEXT) | instid1(VALU_DEP_1)
	v_min_u32_e32 v8, 32, v4
	v_subrev_nc_u32_e32 v4, 29, v8
	s_delay_alu instid0(VALU_DEP_1) | instskip(SKIP_1) | instid1(VALU_DEP_2)
	v_lshlrev_b64_e32 v[4:5], v4, v[2:3]
	v_sub_nc_u32_e32 v5, 30, v8
	v_and_b32_e32 v4, 3, v4
; %bb.4278:                             ;   in Loop: Header=BB4_3365 Depth=4
	s_or_b32 exec_lo, exec_lo, s77
	v_lshlrev_b32_e32 v2, 24, v2
	s_delay_alu instid0(VALU_DEP_1) | instskip(NEXT) | instid1(VALU_DEP_1)
	v_and_b32_e32 v2, 0x80000000, v2
	v_lshl_add_u32 v2, v5, 23, v2
	s_delay_alu instid0(VALU_DEP_1) | instskip(NEXT) | instid1(VALU_DEP_1)
	v_lshl_or_b32 v2, v4, 21, v2
                                        ; implicit-def: $vgpr4
	v_add_nc_u32_e32 v5, 0x38000000, v2
                                        ; implicit-def: $vgpr2
.LBB4_4279:                             ;   in Loop: Header=BB4_3365 Depth=4
	s_and_not1_saveexec_b32 s76, s76
; %bb.4280:                             ;   in Loop: Header=BB4_3365 Depth=4
	v_bfe_i32 v2, v2, 0, 8
	s_delay_alu instid0(VALU_DEP_1) | instskip(SKIP_2) | instid1(VALU_DEP_2)
	v_cmp_lt_i16_e32 vcc_lo, -1, v2
	v_cndmask_b32_e32 v2, 0xff800000, v48, vcc_lo
	v_cmp_eq_u32_e32 vcc_lo, 0, v4
	v_cndmask_b32_e32 v5, 0x7f800001, v2, vcc_lo
; %bb.4281:                             ;   in Loop: Header=BB4_3365 Depth=4
	s_or_b32 exec_lo, exec_lo, s76
.LBB4_4282:                             ;   in Loop: Header=BB4_3365 Depth=4
	s_delay_alu instid0(SALU_CYCLE_1)
	s_or_b32 exec_lo, exec_lo, s75
.LBB4_4283:                             ;   in Loop: Header=BB4_3365 Depth=4
	s_delay_alu instid0(SALU_CYCLE_1) | instskip(NEXT) | instid1(VALU_DEP_1)
	s_or_b32 exec_lo, exec_lo, s13
	v_dual_mul_f32 v4, s74, v5 :: v_dual_mov_b32 v9, v3
                                        ; implicit-def: $vgpr64
	s_mov_b32 s13, exec_lo
	s_delay_alu instid0(VALU_DEP_1) | instskip(SKIP_2) | instid1(VALU_DEP_3)
	v_and_b32_e32 v8, 0x7f800000, v4
	v_and_b32_e32 v2, 0x7fffff, v4
	v_lshrrev_b32_e32 v5, 24, v4
	v_cmpx_ne_u64_e32 0x7f800000, v[8:9]
	s_xor_b32 s75, exec_lo, s13
	s_cbranch_execz .LBB4_4297
; %bb.4284:                             ;   in Loop: Header=BB4_3365 Depth=4
	v_and_b32_e32 v8, 0x7fffffff, v4
	v_mov_b32_e32 v9, v3
	v_and_b32_e32 v12, 0x80, v5
                                        ; implicit-def: $vgpr64
	s_mov_b32 s13, exec_lo
	s_delay_alu instid0(VALU_DEP_2)
	v_cmpx_gt_u64_e32 0x47600001, v[8:9]
	s_xor_b32 s76, exec_lo, s13
	s_cbranch_execz .LBB4_4294
; %bb.4285:                             ;   in Loop: Header=BB4_3365 Depth=4
	v_mov_b32_e32 v64, 0
	s_mov_b32 s77, exec_lo
	v_cmpx_ne_u32_e32 0, v4
	s_cbranch_execz .LBB4_4293
; %bb.4286:                             ;   in Loop: Header=BB4_3365 Depth=4
	v_bfe_u32 v13, v4, 23, 8
	v_or_b32_e32 v5, 0x800000, v2
	s_delay_alu instid0(VALU_DEP_2) | instskip(SKIP_2) | instid1(VALU_DEP_2)
	v_cmp_gt_u32_e64 s13, 0x72, v13
	v_sub_nc_u32_e32 v4, 0x71, v13
	v_cmp_eq_u32_e32 vcc_lo, 0, v13
	v_cndmask_b32_e64 v4, 0, v4, s13
	s_delay_alu instid0(VALU_DEP_1) | instskip(SKIP_1) | instid1(VALU_DEP_2)
	v_cndmask_b32_e64 v14, v4, 0x70, vcc_lo
	v_dual_cndmask_b32 v4, v5, v2 :: v_dual_mov_b32 v5, v3
	v_add_nc_u32_e32 v2, 21, v14
	s_delay_alu instid0(VALU_DEP_1) | instskip(SKIP_1) | instid1(VALU_DEP_1)
	v_lshlrev_b64_e64 v[8:9], v2, -1
	v_add_nc_u32_e32 v2, 20, v14
	v_lshlrev_b64_e64 v[86:87], v2, 1
	s_delay_alu instid0(VALU_DEP_3) | instskip(SKIP_2) | instid1(VALU_DEP_1)
	v_bfi_b32 v8, v8, 0, v4
	v_lshrrev_b64 v[4:5], v14, v[4:5]
	v_bfi_b32 v9, v9, 0, 0
	v_cmp_eq_u64_e64 s13, v[8:9], v[86:87]
	s_delay_alu instid0(VALU_DEP_3)
	v_mov_b64_e32 v[8:9], v[4:5]
	s_and_saveexec_b32 s78, s13
; %bb.4287:                             ;   in Loop: Header=BB4_3365 Depth=4
	v_bfe_u32 v8, v4, 21, 1
	v_mov_b32_e32 v9, v3
	s_delay_alu instid0(VALU_DEP_1) | instskip(NEXT) | instid1(VALU_DEP_1)
	v_add_nc_u64_e32 v[8:9], v[4:5], v[8:9]
	v_add_nc_u64_e32 v[8:9], -1, v[8:9]
; %bb.4288:                             ;   in Loop: Header=BB4_3365 Depth=4
	s_or_b32 exec_lo, exec_lo, s78
	v_add_nc_u32_e32 v2, 0xffffff81, v13
	v_lshrrev_b32_e32 v5, 23, v4
	s_mov_b32 s13, exec_lo
	s_delay_alu instid0(VALU_DEP_2) | instskip(NEXT) | instid1(VALU_DEP_1)
	v_cndmask_b32_e64 v2, v2, 0xffffff82, vcc_lo
	v_add3_u32 v9, v14, v2, v5
	v_and_b32_e32 v2, 0x1fffff, v8
                                        ; implicit-def: $vgpr8
	s_delay_alu instid0(VALU_DEP_1) | instskip(NEXT) | instid1(VALU_DEP_1)
	v_dual_add_nc_u32 v13, 14, v9 :: v_dual_add_nc_u32 v2, v2, v4
                                        ; implicit-def: $vgpr4_vgpr5
	v_cmpx_ne_u32_e32 0, v13
	s_xor_b32 s13, exec_lo, s13
; %bb.4289:                             ;   in Loop: Header=BB4_3365 Depth=4
	s_delay_alu instid0(VALU_DEP_2) | instskip(SKIP_1) | instid1(VALU_DEP_1)
	v_cmp_lt_u64_e32 vcc_lo, 0xffffff, v[2:3]
	v_add_nc_u32_e32 v4, 15, v9
	v_cndmask_b32_e32 v8, v13, v4, vcc_lo
	v_cndmask_b32_e64 v4, 0, 1, vcc_lo
	s_delay_alu instid0(VALU_DEP_1)
	v_lshrrev_b64 v[4:5], v4, v[2:3]
; %bb.4290:                             ;   in Loop: Header=BB4_3365 Depth=4
	s_and_not1_saveexec_b32 s13, s13
; %bb.4291:                             ;   in Loop: Header=BB4_3365 Depth=4
	v_mov_b64_e32 v[4:5], v[2:3]
	v_bfe_u32 v8, v2, 23, 1
; %bb.4292:                             ;   in Loop: Header=BB4_3365 Depth=4
	s_or_b32 exec_lo, exec_lo, s13
	s_delay_alu instid0(VALU_DEP_2) | instskip(NEXT) | instid1(VALU_DEP_2)
	v_lshrrev_b64 v[4:5], 21, v[4:5]
	v_cmp_gt_i32_e32 vcc_lo, 32, v8
	v_min_i32_e32 v2, 31, v8
	v_cmp_eq_u32_e64 s13, 0, v8
	s_delay_alu instid0(VALU_DEP_2) | instskip(SKIP_1) | instid1(VALU_DEP_2)
	v_dual_cndmask_b32 v5, 0, v5 :: v_dual_lshlrev_b32 v2, 2, v2
	v_cndmask_b32_e32 v4, 3, v4, vcc_lo
	v_and_b32_e32 v2, 0xfc, v2
	s_delay_alu instid0(VALU_DEP_2) | instskip(NEXT) | instid1(VALU_DEP_2)
	v_cmp_eq_u64_e32 vcc_lo, 0, v[4:5]
	v_and_or_b32 v2, v4, 3, v2
	s_and_b32 s13, s13, vcc_lo
	s_delay_alu instid0(VALU_DEP_1) | instid1(SALU_CYCLE_1)
	v_cndmask_b32_e64 v2, v2, 0, s13
	s_delay_alu instid0(VALU_DEP_1)
	v_or_b32_e32 v64, v2, v12
.LBB4_4293:                             ;   in Loop: Header=BB4_3365 Depth=4
	s_or_b32 exec_lo, exec_lo, s77
                                        ; implicit-def: $vgpr12
.LBB4_4294:                             ;   in Loop: Header=BB4_3365 Depth=4
	s_and_not1_saveexec_b32 s13, s76
; %bb.4295:                             ;   in Loop: Header=BB4_3365 Depth=4
	v_or_b32_e32 v64, 0x7b, v12
; %bb.4296:                             ;   in Loop: Header=BB4_3365 Depth=4
	s_or_b32 exec_lo, exec_lo, s13
                                        ; implicit-def: $vgpr4
                                        ; implicit-def: $vgpr5
.LBB4_4297:                             ;   in Loop: Header=BB4_3365 Depth=4
	s_and_not1_saveexec_b32 s13, s75
	s_cbranch_execz .LBB4_4303
; %bb.4298:                             ;   in Loop: Header=BB4_3365 Depth=4
	s_mov_b32 s75, exec_lo
                                        ; implicit-def: $vgpr64
	v_cmpx_ne_u64_e32 0, v[2:3]
	s_xor_b32 s75, exec_lo, s75
; %bb.4299:                             ;   in Loop: Header=BB4_3365 Depth=4
	v_or_b32_e32 v64, 0x7f, v5
                                        ; implicit-def: $vgpr4
; %bb.4300:                             ;   in Loop: Header=BB4_3365 Depth=4
	s_and_not1_saveexec_b32 s75, s75
; %bb.4301:                             ;   in Loop: Header=BB4_3365 Depth=4
	v_cmp_lt_i32_e32 vcc_lo, -1, v4
	v_cndmask_b32_e32 v64, 0xfc, v49, vcc_lo
; %bb.4302:                             ;   in Loop: Header=BB4_3365 Depth=4
	s_or_b32 exec_lo, exec_lo, s75
.LBB4_4303:                             ;   in Loop: Header=BB4_3365 Depth=4
	s_delay_alu instid0(SALU_CYCLE_1)
	s_or_b32 exec_lo, exec_lo, s13
	v_mov_b32_e32 v4, 0
	s_mov_b32 s13, exec_lo
	v_cmpx_lt_u64_e64 s[22:23], v[10:11]
	s_cbranch_execz .LBB4_4313
; %bb.4304:                             ;   in Loop: Header=BB4_3365 Depth=4
	v_lshrrev_b32_e32 v2, 24, v11
	v_bfrev_b32_e32 v4, 1
	s_mov_b32 s75, exec_lo
	s_delay_alu instid0(VALU_DEP_2)
	v_cmpx_ne_u32_e32 0x80, v2
	s_cbranch_execz .LBB4_4312
; %bb.4305:                             ;   in Loop: Header=BB4_3365 Depth=4
	v_and_b32_e32 v4, 0x7c000000, v11
	v_bfe_u32 v5, v11, 24, 2
	s_delay_alu instid0(VALU_DEP_2) | instskip(SKIP_1) | instid1(SALU_CYCLE_1)
	v_cmp_ne_u32_e32 vcc_lo, 0x7c000000, v4
                                        ; implicit-def: $vgpr4
	s_and_saveexec_b32 s76, vcc_lo
	s_xor_b32 s76, exec_lo, s76
	s_cbranch_execz .LBB4_4309
; %bb.4306:                             ;   in Loop: Header=BB4_3365 Depth=4
	v_bfe_u32 v4, v11, 26, 5
	s_mov_b32 s77, exec_lo
	s_delay_alu instid0(VALU_DEP_1)
	v_cmpx_eq_u32_e32 0, v4
; %bb.4307:                             ;   in Loop: Header=BB4_3365 Depth=4
	v_clz_i32_u32_e32 v4, v5
	s_delay_alu instid0(VALU_DEP_1) | instskip(NEXT) | instid1(VALU_DEP_1)
	v_min_u32_e32 v4, 32, v4
	v_subrev_nc_u32_e32 v5, 29, v4
	v_sub_nc_u32_e32 v4, 30, v4
	s_delay_alu instid0(VALU_DEP_2) | instskip(NEXT) | instid1(VALU_DEP_1)
	v_lshlrev_b64_e32 v[8:9], v5, v[2:3]
	v_and_b32_e32 v5, 3, v8
; %bb.4308:                             ;   in Loop: Header=BB4_3365 Depth=4
	s_or_b32 exec_lo, exec_lo, s77
	v_and_b32_e32 v2, 0x80000000, v11
                                        ; implicit-def: $vgpr10_vgpr11
	s_delay_alu instid0(VALU_DEP_1) | instskip(NEXT) | instid1(VALU_DEP_1)
	v_lshl_add_u32 v2, v4, 23, v2
	v_lshl_or_b32 v2, v5, 21, v2
                                        ; implicit-def: $vgpr5
	s_delay_alu instid0(VALU_DEP_1)
	v_add_nc_u32_e32 v4, 0x38000000, v2
.LBB4_4309:                             ;   in Loop: Header=BB4_3365 Depth=4
	s_and_not1_saveexec_b32 s76, s76
; %bb.4310:                             ;   in Loop: Header=BB4_3365 Depth=4
	v_cmp_lt_i64_e32 vcc_lo, -1, v[10:11]
	v_cndmask_b32_e32 v2, 0xff800000, v48, vcc_lo
	v_cmp_eq_u32_e32 vcc_lo, 0, v5
	s_delay_alu instid0(VALU_DEP_2)
	v_cndmask_b32_e32 v4, 0x7f800001, v2, vcc_lo
; %bb.4311:                             ;   in Loop: Header=BB4_3365 Depth=4
	s_or_b32 exec_lo, exec_lo, s76
.LBB4_4312:                             ;   in Loop: Header=BB4_3365 Depth=4
	s_delay_alu instid0(SALU_CYCLE_1)
	s_or_b32 exec_lo, exec_lo, s75
.LBB4_4313:                             ;   in Loop: Header=BB4_3365 Depth=4
	s_delay_alu instid0(SALU_CYCLE_1) | instskip(NEXT) | instid1(VALU_DEP_1)
	s_or_b32 exec_lo, exec_lo, s13
	v_dual_mul_f32 v4, s74, v4 :: v_dual_mov_b32 v9, v3
                                        ; implicit-def: $vgpr101
	s_mov_b32 s13, exec_lo
	s_delay_alu instid0(VALU_DEP_1) | instskip(SKIP_2) | instid1(VALU_DEP_3)
	v_and_b32_e32 v8, 0x7f800000, v4
	v_and_b32_e32 v2, 0x7fffff, v4
	v_lshrrev_b32_e32 v5, 24, v4
	v_cmpx_ne_u64_e32 0x7f800000, v[8:9]
	s_xor_b32 s74, exec_lo, s13
	s_cbranch_execz .LBB4_4327
; %bb.4314:                             ;   in Loop: Header=BB4_3365 Depth=4
	v_and_b32_e32 v8, 0x7fffffff, v4
	v_mov_b32_e32 v9, v3
	v_and_b32_e32 v10, 0x80, v5
                                        ; implicit-def: $vgpr101
	s_mov_b32 s13, exec_lo
	s_delay_alu instid0(VALU_DEP_2)
	v_cmpx_gt_u64_e32 0x47600001, v[8:9]
	s_xor_b32 s75, exec_lo, s13
	s_cbranch_execz .LBB4_4324
; %bb.4315:                             ;   in Loop: Header=BB4_3365 Depth=4
	v_mov_b32_e32 v101, 0
	s_mov_b32 s76, exec_lo
	v_cmpx_ne_u32_e32 0, v4
	s_cbranch_execz .LBB4_4323
; %bb.4316:                             ;   in Loop: Header=BB4_3365 Depth=4
	v_bfe_u32 v11, v4, 23, 8
	v_or_b32_e32 v5, 0x800000, v2
	s_delay_alu instid0(VALU_DEP_2) | instskip(SKIP_2) | instid1(VALU_DEP_2)
	v_cmp_gt_u32_e64 s13, 0x72, v11
	v_sub_nc_u32_e32 v4, 0x71, v11
	v_cmp_eq_u32_e32 vcc_lo, 0, v11
	v_cndmask_b32_e64 v4, 0, v4, s13
	s_delay_alu instid0(VALU_DEP_1) | instskip(SKIP_1) | instid1(VALU_DEP_2)
	v_cndmask_b32_e64 v12, v4, 0x70, vcc_lo
	v_dual_cndmask_b32 v4, v5, v2 :: v_dual_mov_b32 v5, v3
	v_add_nc_u32_e32 v2, 21, v12
	s_delay_alu instid0(VALU_DEP_1) | instskip(SKIP_1) | instid1(VALU_DEP_1)
	v_lshlrev_b64_e64 v[8:9], v2, -1
	v_add_nc_u32_e32 v2, 20, v12
	v_lshlrev_b64_e64 v[14:15], v2, 1
	s_delay_alu instid0(VALU_DEP_3) | instskip(SKIP_2) | instid1(VALU_DEP_1)
	v_bfi_b32 v8, v8, 0, v4
	v_lshrrev_b64 v[4:5], v12, v[4:5]
	v_bfi_b32 v9, v9, 0, 0
	v_cmp_eq_u64_e64 s13, v[8:9], v[14:15]
	s_delay_alu instid0(VALU_DEP_3)
	v_mov_b64_e32 v[8:9], v[4:5]
	s_and_saveexec_b32 s77, s13
; %bb.4317:                             ;   in Loop: Header=BB4_3365 Depth=4
	v_bfe_u32 v8, v4, 21, 1
	v_mov_b32_e32 v9, v3
	s_delay_alu instid0(VALU_DEP_1) | instskip(NEXT) | instid1(VALU_DEP_1)
	v_add_nc_u64_e32 v[8:9], v[4:5], v[8:9]
	v_add_nc_u64_e32 v[8:9], -1, v[8:9]
; %bb.4318:                             ;   in Loop: Header=BB4_3365 Depth=4
	s_or_b32 exec_lo, exec_lo, s77
	v_add_nc_u32_e32 v2, 0xffffff81, v11
	v_lshrrev_b32_e32 v5, 23, v4
	s_mov_b32 s13, exec_lo
	s_delay_alu instid0(VALU_DEP_2) | instskip(NEXT) | instid1(VALU_DEP_1)
	v_cndmask_b32_e64 v2, v2, 0xffffff82, vcc_lo
	v_add3_u32 v9, v12, v2, v5
	v_and_b32_e32 v2, 0x1fffff, v8
                                        ; implicit-def: $vgpr8
	s_delay_alu instid0(VALU_DEP_1) | instskip(NEXT) | instid1(VALU_DEP_1)
	v_dual_add_nc_u32 v11, 14, v9 :: v_dual_add_nc_u32 v2, v2, v4
                                        ; implicit-def: $vgpr4_vgpr5
	v_cmpx_ne_u32_e32 0, v11
	s_xor_b32 s13, exec_lo, s13
; %bb.4319:                             ;   in Loop: Header=BB4_3365 Depth=4
	s_delay_alu instid0(VALU_DEP_2) | instskip(SKIP_1) | instid1(VALU_DEP_1)
	v_cmp_lt_u64_e32 vcc_lo, 0xffffff, v[2:3]
	v_add_nc_u32_e32 v4, 15, v9
	v_cndmask_b32_e32 v8, v11, v4, vcc_lo
	v_cndmask_b32_e64 v4, 0, 1, vcc_lo
	s_delay_alu instid0(VALU_DEP_1)
	v_lshrrev_b64 v[4:5], v4, v[2:3]
; %bb.4320:                             ;   in Loop: Header=BB4_3365 Depth=4
	s_and_not1_saveexec_b32 s13, s13
; %bb.4321:                             ;   in Loop: Header=BB4_3365 Depth=4
	v_mov_b64_e32 v[4:5], v[2:3]
	v_bfe_u32 v8, v2, 23, 1
; %bb.4322:                             ;   in Loop: Header=BB4_3365 Depth=4
	s_or_b32 exec_lo, exec_lo, s13
	s_delay_alu instid0(VALU_DEP_2) | instskip(NEXT) | instid1(VALU_DEP_2)
	v_lshrrev_b64 v[4:5], 21, v[4:5]
	v_cmp_gt_i32_e32 vcc_lo, 32, v8
	v_min_i32_e32 v2, 31, v8
	v_cmp_eq_u32_e64 s13, 0, v8
	s_delay_alu instid0(VALU_DEP_2) | instskip(SKIP_1) | instid1(VALU_DEP_2)
	v_dual_cndmask_b32 v5, 0, v5 :: v_dual_lshlrev_b32 v2, 2, v2
	v_cndmask_b32_e32 v4, 3, v4, vcc_lo
	v_and_b32_e32 v2, 0xfc, v2
	s_delay_alu instid0(VALU_DEP_2) | instskip(NEXT) | instid1(VALU_DEP_2)
	v_cmp_eq_u64_e32 vcc_lo, 0, v[4:5]
	v_and_or_b32 v2, v4, 3, v2
	s_and_b32 s13, s13, vcc_lo
	s_delay_alu instid0(VALU_DEP_1) | instid1(SALU_CYCLE_1)
	v_cndmask_b32_e64 v2, v2, 0, s13
	s_delay_alu instid0(VALU_DEP_1)
	v_or_b32_e32 v101, v2, v10
.LBB4_4323:                             ;   in Loop: Header=BB4_3365 Depth=4
	s_or_b32 exec_lo, exec_lo, s76
                                        ; implicit-def: $vgpr10
.LBB4_4324:                             ;   in Loop: Header=BB4_3365 Depth=4
	s_and_not1_saveexec_b32 s13, s75
; %bb.4325:                             ;   in Loop: Header=BB4_3365 Depth=4
	v_or_b32_e32 v101, 0x7b, v10
; %bb.4326:                             ;   in Loop: Header=BB4_3365 Depth=4
	s_or_b32 exec_lo, exec_lo, s13
                                        ; implicit-def: $vgpr4
                                        ; implicit-def: $vgpr5
.LBB4_4327:                             ;   in Loop: Header=BB4_3365 Depth=4
	s_and_not1_saveexec_b32 s13, s74
	s_cbranch_execz .LBB4_4333
; %bb.4328:                             ;   in Loop: Header=BB4_3365 Depth=4
	s_mov_b32 s74, exec_lo
                                        ; implicit-def: $vgpr101
	v_cmpx_ne_u64_e32 0, v[2:3]
	s_xor_b32 s74, exec_lo, s74
; %bb.4329:                             ;   in Loop: Header=BB4_3365 Depth=4
	v_or_b32_e32 v101, 0x7f, v5
                                        ; implicit-def: $vgpr4
; %bb.4330:                             ;   in Loop: Header=BB4_3365 Depth=4
	s_and_not1_saveexec_b32 s74, s74
; %bb.4331:                             ;   in Loop: Header=BB4_3365 Depth=4
	v_cmp_lt_i32_e32 vcc_lo, -1, v4
	v_cndmask_b32_e32 v101, 0xfc, v49, vcc_lo
; %bb.4332:                             ;   in Loop: Header=BB4_3365 Depth=4
	s_or_b32 exec_lo, exec_lo, s74
.LBB4_4333:                             ;   in Loop: Header=BB4_3365 Depth=4
	s_delay_alu instid0(SALU_CYCLE_1)
	s_or_b32 exec_lo, exec_lo, s13
	s_clause 0x1
	global_load_b128 v[12:15], v[46:47], off th:TH_LOAD_NT
	global_load_b128 v[8:11], v[46:47], off offset:512 th:TH_LOAD_NT
	v_lshl_or_b32 v51, v17, 8, v16
	v_dual_lshlrev_b32 v2, 16, v20 :: v_dual_lshlrev_b32 v4, 24, v30
	s_mov_b32 s74, exec_lo
	v_mov_b32_e32 v5, 0
	s_delay_alu instid0(VALU_DEP_2)
	v_or3_b32 v2, v2, v4, v51
	v_mov_b32_e32 v4, 0
	s_wait_xcnt 0x0
	v_cmpx_ne_u32_e32 0, v16
	s_cbranch_execz .LBB4_4343
; %bb.4334:                             ;   in Loop: Header=BB4_3365 Depth=4
	v_bfrev_b32_e32 v5, 1
	s_mov_b32 s75, exec_lo
	v_cmpx_ne_u32_e32 0x80, v16
	s_cbranch_execz .LBB4_4342
; %bb.4335:                             ;   in Loop: Header=BB4_3365 Depth=4
	v_and_b32_e32 v5, 0x7c, v16
	v_and_b32_e32 v17, 3, v16
	s_delay_alu instid0(VALU_DEP_2) | instskip(SKIP_1) | instid1(SALU_CYCLE_1)
	v_cmp_ne_u32_e32 vcc_lo, 0x7c, v5
                                        ; implicit-def: $vgpr5
	s_and_saveexec_b32 s13, vcc_lo
	s_xor_b32 s13, exec_lo, s13
	s_cbranch_execz .LBB4_4339
; %bb.4336:                             ;   in Loop: Header=BB4_3365 Depth=4
	v_bfe_u32 v5, v16, 2, 5
	s_mov_b32 s76, exec_lo
	s_delay_alu instid0(VALU_DEP_1)
	v_cmpx_eq_u32_e32 0, v5
; %bb.4337:                             ;   in Loop: Header=BB4_3365 Depth=4
	v_clz_i32_u32_e32 v5, v17
	s_delay_alu instid0(VALU_DEP_1) | instskip(NEXT) | instid1(VALU_DEP_1)
	v_min_u32_e32 v5, 32, v5
	v_subrev_nc_u32_e32 v17, 29, v5
	s_delay_alu instid0(VALU_DEP_1) | instskip(NEXT) | instid1(VALU_DEP_1)
	v_lshlrev_b64_e32 v[86:87], v17, v[2:3]
	v_dual_sub_nc_u32 v5, 30, v5 :: v_dual_bitop2_b32 v17, 3, v86 bitop3:0x40
; %bb.4338:                             ;   in Loop: Header=BB4_3365 Depth=4
	s_or_b32 exec_lo, exec_lo, s76
	v_lshlrev_b32_e32 v16, 24, v16
	s_delay_alu instid0(VALU_DEP_1) | instskip(NEXT) | instid1(VALU_DEP_1)
	v_and_b32_e32 v16, 0x80000000, v16
	v_lshl_add_u32 v5, v5, 23, v16
                                        ; implicit-def: $vgpr16
	s_delay_alu instid0(VALU_DEP_1) | instskip(NEXT) | instid1(VALU_DEP_1)
	v_lshl_or_b32 v5, v17, 21, v5
                                        ; implicit-def: $vgpr17
	v_add_nc_u32_e32 v5, 0x38000000, v5
.LBB4_4339:                             ;   in Loop: Header=BB4_3365 Depth=4
	s_and_not1_saveexec_b32 s76, s13
; %bb.4340:                             ;   in Loop: Header=BB4_3365 Depth=4
	v_and_b32_e32 v5, 0x80, v16
	v_cmp_eq_u32_e32 vcc_lo, 0, v17
	s_delay_alu instid0(VALU_DEP_2) | instskip(NEXT) | instid1(VALU_DEP_1)
	v_cmp_eq_u32_e64 s13, 0, v5
	v_cndmask_b32_e64 v5, 0xff800000, v48, s13
	s_delay_alu instid0(VALU_DEP_1)
	v_cndmask_b32_e32 v5, 0x7f800001, v5, vcc_lo
; %bb.4341:                             ;   in Loop: Header=BB4_3365 Depth=4
	s_or_b32 exec_lo, exec_lo, s76
.LBB4_4342:                             ;   in Loop: Header=BB4_3365 Depth=4
	s_delay_alu instid0(SALU_CYCLE_1)
	s_or_b32 exec_lo, exec_lo, s75
.LBB4_4343:                             ;   in Loop: Header=BB4_3365 Depth=4
	s_delay_alu instid0(SALU_CYCLE_1) | instskip(SKIP_3) | instid1(VALU_DEP_1)
	s_or_b32 exec_lo, exec_lo, s74
	s_wait_loadcnt 0x1
	v_and_b32_e32 v16, 0xff, v12
	s_mov_b32 s74, exec_lo
	v_cmpx_ne_u16_e32 0, v16
	s_cbranch_execz .LBB4_4353
; %bb.4344:                             ;   in Loop: Header=BB4_3365 Depth=4
	v_bfe_i32 v17, v12, 0, 8
	v_bfrev_b32_e32 v4, 1
	s_mov_b32 s75, exec_lo
	s_delay_alu instid0(VALU_DEP_2)
	v_cmpx_ne_u16_e32 0xff80, v17
	s_cbranch_execz .LBB4_4352
; %bb.4345:                             ;   in Loop: Header=BB4_3365 Depth=4
	v_and_b32_e32 v4, 0x7c, v12
	v_and_b32_e32 v16, 3, v12
	s_delay_alu instid0(VALU_DEP_2) | instskip(SKIP_1) | instid1(SALU_CYCLE_1)
	v_cmp_ne_u32_e32 vcc_lo, 0x7c, v4
                                        ; implicit-def: $vgpr4
	s_and_saveexec_b32 s13, vcc_lo
	s_xor_b32 s13, exec_lo, s13
	s_cbranch_execz .LBB4_4349
; %bb.4346:                             ;   in Loop: Header=BB4_3365 Depth=4
	v_bfe_u32 v4, v12, 2, 5
	s_mov_b32 s76, exec_lo
	s_delay_alu instid0(VALU_DEP_1)
	v_cmpx_eq_u32_e32 0, v4
; %bb.4347:                             ;   in Loop: Header=BB4_3365 Depth=4
	v_clz_i32_u32_e32 v4, v16
	s_delay_alu instid0(VALU_DEP_1) | instskip(NEXT) | instid1(VALU_DEP_1)
	v_min_u32_e32 v4, 32, v4
	v_subrev_nc_u32_e32 v16, 29, v4
	v_sub_nc_u32_e32 v4, 30, v4
	s_delay_alu instid0(VALU_DEP_2) | instskip(NEXT) | instid1(VALU_DEP_1)
	v_lshlrev_b64_e32 v[16:17], v16, v[12:13]
	v_and_b32_e32 v16, 3, v16
; %bb.4348:                             ;   in Loop: Header=BB4_3365 Depth=4
	s_or_b32 exec_lo, exec_lo, s76
	v_lshlrev_b32_e32 v17, 24, v12
	s_delay_alu instid0(VALU_DEP_1) | instskip(NEXT) | instid1(VALU_DEP_1)
	v_and_b32_e32 v17, 0x80000000, v17
	v_lshl_add_u32 v4, v4, 23, v17
                                        ; implicit-def: $vgpr17
	s_delay_alu instid0(VALU_DEP_1) | instskip(NEXT) | instid1(VALU_DEP_1)
	v_lshl_or_b32 v4, v16, 21, v4
                                        ; implicit-def: $vgpr16
	v_add_nc_u32_e32 v4, 0x38000000, v4
.LBB4_4349:                             ;   in Loop: Header=BB4_3365 Depth=4
	s_and_not1_saveexec_b32 s76, s13
; %bb.4350:                             ;   in Loop: Header=BB4_3365 Depth=4
	v_cmp_lt_i16_e64 s13, -1, v17
	v_cmp_eq_u32_e32 vcc_lo, 0, v16
	s_delay_alu instid0(VALU_DEP_2) | instskip(NEXT) | instid1(VALU_DEP_1)
	v_cndmask_b32_e64 v4, 0xff800000, v48, s13
	v_cndmask_b32_e32 v4, 0x7f800001, v4, vcc_lo
; %bb.4351:                             ;   in Loop: Header=BB4_3365 Depth=4
	s_or_b32 exec_lo, exec_lo, s76
.LBB4_4352:                             ;   in Loop: Header=BB4_3365 Depth=4
	s_delay_alu instid0(SALU_CYCLE_1)
	s_or_b32 exec_lo, exec_lo, s75
.LBB4_4353:                             ;   in Loop: Header=BB4_3365 Depth=4
	s_delay_alu instid0(SALU_CYCLE_1) | instskip(NEXT) | instid1(VALU_DEP_1)
	s_or_b32 exec_lo, exec_lo, s74
	v_dual_add_f32 v16, v5, v4 :: v_dual_mov_b32 v87, v3
	v_mov_b32_e32 v5, v3
                                        ; implicit-def: $vgpr20
	s_mov_b32 s13, exec_lo
	s_delay_alu instid0(VALU_DEP_2) | instskip(SKIP_2) | instid1(VALU_DEP_3)
	v_and_b32_e32 v86, 0x7f800000, v16
	v_and_b32_e32 v4, 0x7fffff, v16
	v_lshrrev_b32_e32 v17, 24, v16
	v_cmpx_ne_u64_e32 0x7f800000, v[86:87]
	s_xor_b32 s74, exec_lo, s13
	s_cbranch_execz .LBB4_4367
; %bb.4354:                             ;   in Loop: Header=BB4_3365 Depth=4
	v_and_b32_e32 v86, 0x7fffffff, v16
	v_mov_b32_e32 v87, v3
	v_and_b32_e32 v30, 0x80, v17
                                        ; implicit-def: $vgpr20
	s_mov_b32 s13, exec_lo
	s_delay_alu instid0(VALU_DEP_2)
	v_cmpx_gt_u64_e32 0x47600001, v[86:87]
	s_xor_b32 s75, exec_lo, s13
	s_cbranch_execz .LBB4_4364
; %bb.4355:                             ;   in Loop: Header=BB4_3365 Depth=4
	v_mov_b32_e32 v20, 0
	s_mov_b32 s76, exec_lo
	v_cmpx_ne_u32_e32 0, v16
	s_cbranch_execz .LBB4_4363
; %bb.4356:                             ;   in Loop: Header=BB4_3365 Depth=4
	v_bfe_u32 v20, v16, 23, 8
	v_or_b32_e32 v17, 0x800000, v4
	s_delay_alu instid0(VALU_DEP_2) | instskip(SKIP_2) | instid1(VALU_DEP_2)
	v_cmp_gt_u32_e64 s13, 0x72, v20
	v_sub_nc_u32_e32 v16, 0x71, v20
	v_cmp_eq_u32_e32 vcc_lo, 0, v20
	v_cndmask_b32_e64 v16, 0, v16, s13
	s_delay_alu instid0(VALU_DEP_1) | instskip(NEXT) | instid1(VALU_DEP_1)
	v_cndmask_b32_e64 v86, v16, 0x70, vcc_lo
	v_dual_cndmask_b32 v4, v17, v4, vcc_lo :: v_dual_add_nc_u32 v16, 21, v86
	v_add_nc_u32_e32 v87, 20, v86
	s_delay_alu instid0(VALU_DEP_2) | instskip(NEXT) | instid1(VALU_DEP_2)
	v_lshlrev_b64_e64 v[16:17], v16, -1
	v_lshlrev_b64_e64 v[96:97], v87, 1
	s_delay_alu instid0(VALU_DEP_2) | instskip(SKIP_1) | instid1(VALU_DEP_4)
	v_bfi_b32 v16, v16, 0, v4
	v_lshrrev_b64 v[4:5], v86, v[4:5]
	v_bfi_b32 v17, v17, 0, 0
	s_delay_alu instid0(VALU_DEP_1) | instskip(NEXT) | instid1(VALU_DEP_3)
	v_cmp_eq_u64_e64 s13, v[16:17], v[96:97]
	v_mov_b64_e32 v[16:17], v[4:5]
	s_and_saveexec_b32 s77, s13
; %bb.4357:                             ;   in Loop: Header=BB4_3365 Depth=4
	v_bfe_u32 v16, v4, 21, 1
	v_mov_b32_e32 v17, v3
	s_delay_alu instid0(VALU_DEP_1) | instskip(NEXT) | instid1(VALU_DEP_1)
	v_add_nc_u64_e32 v[16:17], v[4:5], v[16:17]
	v_add_nc_u64_e32 v[16:17], -1, v[16:17]
; %bb.4358:                             ;   in Loop: Header=BB4_3365 Depth=4
	s_or_b32 exec_lo, exec_lo, s77
	v_add_nc_u32_e32 v5, 0xffffff81, v20
	v_lshrrev_b32_e32 v17, 23, v4
	s_mov_b32 s13, exec_lo
	s_delay_alu instid0(VALU_DEP_2) | instskip(NEXT) | instid1(VALU_DEP_1)
	v_cndmask_b32_e64 v5, v5, 0xffffff82, vcc_lo
	v_add3_u32 v20, v86, v5, v17
	v_and_b32_e32 v5, 0x1fffff, v16
                                        ; implicit-def: $vgpr16
	s_delay_alu instid0(VALU_DEP_2) | instskip(NEXT) | instid1(VALU_DEP_2)
	v_add_nc_u32_e32 v17, 14, v20
	v_dual_mov_b32 v5, v3 :: v_dual_add_nc_u32 v4, v5, v4
	s_delay_alu instid0(VALU_DEP_2)
	v_cmpx_ne_u32_e32 0, v17
	s_xor_b32 s13, exec_lo, s13
; %bb.4359:                             ;   in Loop: Header=BB4_3365 Depth=4
	s_delay_alu instid0(VALU_DEP_2) | instskip(SKIP_1) | instid1(VALU_DEP_1)
	v_cmp_lt_u64_e32 vcc_lo, 0xffffff, v[4:5]
	v_add_nc_u32_e32 v16, 15, v20
	v_cndmask_b32_e32 v16, v17, v16, vcc_lo
	v_cndmask_b32_e64 v17, 0, 1, vcc_lo
	s_delay_alu instid0(VALU_DEP_1)
	v_lshrrev_b64 v[4:5], v17, v[4:5]
; %bb.4360:                             ;   in Loop: Header=BB4_3365 Depth=4
	s_and_not1_saveexec_b32 s13, s13
; %bb.4361:                             ;   in Loop: Header=BB4_3365 Depth=4
	s_delay_alu instid0(VALU_DEP_1)
	v_bfe_u32 v16, v4, 23, 1
; %bb.4362:                             ;   in Loop: Header=BB4_3365 Depth=4
	s_or_b32 exec_lo, exec_lo, s13
	s_delay_alu instid0(VALU_DEP_2) | instskip(NEXT) | instid1(VALU_DEP_2)
	v_lshrrev_b64 v[4:5], 21, v[4:5]
	v_cmp_gt_i32_e32 vcc_lo, 32, v16
	v_min_i32_e32 v17, 31, v16
	v_cmp_eq_u32_e64 s13, 0, v16
	s_delay_alu instid0(VALU_DEP_4) | instskip(NEXT) | instid1(VALU_DEP_3)
	v_cndmask_b32_e32 v5, 0, v5, vcc_lo
	v_dual_cndmask_b32 v4, 3, v4 :: v_dual_lshlrev_b32 v17, 2, v17
	s_delay_alu instid0(VALU_DEP_1) | instskip(NEXT) | instid1(VALU_DEP_2)
	v_and_b32_e32 v17, 0xfc, v17
	v_cmp_eq_u64_e32 vcc_lo, 0, v[4:5]
	s_delay_alu instid0(VALU_DEP_2)
	v_and_or_b32 v4, v4, 3, v17
	s_and_b32 s13, s13, vcc_lo
	s_delay_alu instid0(VALU_DEP_1) | instid1(SALU_CYCLE_1)
	v_cndmask_b32_e64 v4, v4, 0, s13
	s_delay_alu instid0(VALU_DEP_1)
	v_or_b32_e32 v20, v4, v30
.LBB4_4363:                             ;   in Loop: Header=BB4_3365 Depth=4
	s_or_b32 exec_lo, exec_lo, s76
                                        ; implicit-def: $vgpr30
.LBB4_4364:                             ;   in Loop: Header=BB4_3365 Depth=4
	s_and_not1_saveexec_b32 s13, s75
; %bb.4365:                             ;   in Loop: Header=BB4_3365 Depth=4
	v_or_b32_e32 v20, 0x7b, v30
; %bb.4366:                             ;   in Loop: Header=BB4_3365 Depth=4
	s_or_b32 exec_lo, exec_lo, s13
                                        ; implicit-def: $vgpr16
                                        ; implicit-def: $vgpr4_vgpr5
                                        ; implicit-def: $vgpr17
.LBB4_4367:                             ;   in Loop: Header=BB4_3365 Depth=4
	s_and_not1_saveexec_b32 s13, s74
	s_cbranch_execz .LBB4_4373
; %bb.4368:                             ;   in Loop: Header=BB4_3365 Depth=4
	s_mov_b32 s74, exec_lo
                                        ; implicit-def: $vgpr20
	v_cmpx_ne_u64_e32 0, v[4:5]
	s_xor_b32 s74, exec_lo, s74
; %bb.4369:                             ;   in Loop: Header=BB4_3365 Depth=4
	v_or_b32_e32 v20, 0x7f, v17
                                        ; implicit-def: $vgpr16
; %bb.4370:                             ;   in Loop: Header=BB4_3365 Depth=4
	s_and_not1_saveexec_b32 s74, s74
; %bb.4371:                             ;   in Loop: Header=BB4_3365 Depth=4
	v_cmp_lt_i32_e32 vcc_lo, -1, v16
	v_cndmask_b32_e32 v20, 0xfc, v49, vcc_lo
; %bb.4372:                             ;   in Loop: Header=BB4_3365 Depth=4
	s_or_b32 exec_lo, exec_lo, s74
.LBB4_4373:                             ;   in Loop: Header=BB4_3365 Depth=4
	s_delay_alu instid0(SALU_CYCLE_1) | instskip(SKIP_3) | instid1(VALU_DEP_2)
	s_or_b32 exec_lo, exec_lo, s13
	v_lshrrev_b16 v4, 8, v51
	v_dual_mov_b32 v16, 0 :: v_dual_mov_b32 v17, 0
	s_mov_b32 s74, exec_lo
	v_cmpx_ne_u16_e32 0, v4
	s_cbranch_execz .LBB4_4383
; %bb.4374:                             ;   in Loop: Header=BB4_3365 Depth=4
	v_bfrev_b32_e32 v17, 1
	s_mov_b32 s75, exec_lo
	v_cmpx_ne_u16_e32 0x80, v4
	s_cbranch_execz .LBB4_4382
; %bb.4375:                             ;   in Loop: Header=BB4_3365 Depth=4
	v_and_b32_e32 v30, 0xffff, v4
	s_delay_alu instid0(VALU_DEP_1) | instskip(SKIP_1) | instid1(VALU_DEP_2)
	v_and_b32_e32 v17, 0x7c, v30
	v_and_b32_e32 v5, 3, v30
	v_cmp_ne_u32_e32 vcc_lo, 0x7c, v17
                                        ; implicit-def: $vgpr17
	s_and_saveexec_b32 s13, vcc_lo
	s_delay_alu instid0(SALU_CYCLE_1)
	s_xor_b32 s13, exec_lo, s13
	s_cbranch_execz .LBB4_4379
; %bb.4376:                             ;   in Loop: Header=BB4_3365 Depth=4
	v_bfe_u32 v17, v30, 2, 5
	s_mov_b32 s76, exec_lo
	s_delay_alu instid0(VALU_DEP_1)
	v_cmpx_eq_u32_e32 0, v17
	s_cbranch_execz .LBB4_4378
; %bb.4377:                             ;   in Loop: Header=BB4_3365 Depth=4
	v_clz_i32_u32_e32 v5, v5
	s_delay_alu instid0(VALU_DEP_1) | instskip(SKIP_1) | instid1(VALU_DEP_2)
	v_min_u32_e32 v17, 32, v5
	v_mov_b32_e32 v5, v3
	v_subrev_nc_u32_e32 v30, 29, v17
	v_sub_nc_u32_e32 v17, 30, v17
	s_delay_alu instid0(VALU_DEP_2) | instskip(NEXT) | instid1(VALU_DEP_1)
	v_lshlrev_b64_e32 v[4:5], v30, v[4:5]
	v_and_b32_e32 v5, 3, v4
.LBB4_4378:                             ;   in Loop: Header=BB4_3365 Depth=4
	s_or_b32 exec_lo, exec_lo, s76
	v_lshlrev_b32_e32 v4, 16, v51
                                        ; implicit-def: $vgpr51
	s_delay_alu instid0(VALU_DEP_1) | instskip(NEXT) | instid1(VALU_DEP_1)
	v_and_b32_e32 v4, 0x80000000, v4
	v_lshl_add_u32 v4, v17, 23, v4
	s_delay_alu instid0(VALU_DEP_1) | instskip(NEXT) | instid1(VALU_DEP_1)
	v_lshl_or_b32 v4, v5, 21, v4
                                        ; implicit-def: $vgpr5
	v_add_nc_u32_e32 v17, 0x38000000, v4
.LBB4_4379:                             ;   in Loop: Header=BB4_3365 Depth=4
	s_and_not1_saveexec_b32 s76, s13
; %bb.4380:                             ;   in Loop: Header=BB4_3365 Depth=4
	v_cmp_lt_i16_e64 s13, -1, v51
	v_cmp_eq_u32_e32 vcc_lo, 0, v5
	s_delay_alu instid0(VALU_DEP_2) | instskip(NEXT) | instid1(VALU_DEP_1)
	v_cndmask_b32_e64 v4, 0xff800000, v48, s13
	v_cndmask_b32_e32 v17, 0x7f800001, v4, vcc_lo
; %bb.4381:                             ;   in Loop: Header=BB4_3365 Depth=4
	s_or_b32 exec_lo, exec_lo, s76
.LBB4_4382:                             ;   in Loop: Header=BB4_3365 Depth=4
	s_delay_alu instid0(SALU_CYCLE_1)
	s_or_b32 exec_lo, exec_lo, s75
.LBB4_4383:                             ;   in Loop: Header=BB4_3365 Depth=4
	s_delay_alu instid0(SALU_CYCLE_1) | instskip(SKIP_2) | instid1(VALU_DEP_1)
	s_or_b32 exec_lo, exec_lo, s74
	v_lshrrev_b16 v4, 8, v12
	s_mov_b32 s74, exec_lo
	v_cmpx_ne_u16_e32 0, v4
	s_cbranch_execz .LBB4_4393
; %bb.4384:                             ;   in Loop: Header=BB4_3365 Depth=4
	v_bfrev_b32_e32 v16, 1
	s_mov_b32 s75, exec_lo
	v_cmpx_ne_u16_e32 0x80, v4
	s_cbranch_execz .LBB4_4392
; %bb.4385:                             ;   in Loop: Header=BB4_3365 Depth=4
	v_and_b32_e32 v30, 0xffff, v4
	s_delay_alu instid0(VALU_DEP_1) | instskip(SKIP_1) | instid1(VALU_DEP_2)
	v_and_b32_e32 v16, 0x7c, v30
	v_and_b32_e32 v5, 3, v30
	v_cmp_ne_u32_e32 vcc_lo, 0x7c, v16
                                        ; implicit-def: $vgpr16
	s_and_saveexec_b32 s13, vcc_lo
	s_delay_alu instid0(SALU_CYCLE_1)
	s_xor_b32 s13, exec_lo, s13
	s_cbranch_execz .LBB4_4389
; %bb.4386:                             ;   in Loop: Header=BB4_3365 Depth=4
	v_bfe_u32 v16, v30, 2, 5
	s_mov_b32 s76, exec_lo
	s_delay_alu instid0(VALU_DEP_1)
	v_cmpx_eq_u32_e32 0, v16
	s_cbranch_execz .LBB4_4388
; %bb.4387:                             ;   in Loop: Header=BB4_3365 Depth=4
	v_clz_i32_u32_e32 v5, v5
	s_delay_alu instid0(VALU_DEP_1) | instskip(SKIP_1) | instid1(VALU_DEP_2)
	v_min_u32_e32 v16, 32, v5
	v_mov_b32_e32 v5, v3
	v_subrev_nc_u32_e32 v30, 29, v16
	v_sub_nc_u32_e32 v16, 30, v16
	s_delay_alu instid0(VALU_DEP_2) | instskip(NEXT) | instid1(VALU_DEP_1)
	v_lshlrev_b64_e32 v[4:5], v30, v[4:5]
	v_and_b32_e32 v5, 3, v4
.LBB4_4388:                             ;   in Loop: Header=BB4_3365 Depth=4
	s_or_b32 exec_lo, exec_lo, s76
	v_lshlrev_b32_e32 v4, 16, v12
	s_delay_alu instid0(VALU_DEP_1) | instskip(NEXT) | instid1(VALU_DEP_1)
	v_and_b32_e32 v4, 0x80000000, v4
	v_lshl_add_u32 v4, v16, 23, v4
	s_delay_alu instid0(VALU_DEP_1) | instskip(NEXT) | instid1(VALU_DEP_1)
	v_lshl_or_b32 v4, v5, 21, v4
                                        ; implicit-def: $vgpr5
	v_add_nc_u32_e32 v16, 0x38000000, v4
.LBB4_4389:                             ;   in Loop: Header=BB4_3365 Depth=4
	s_and_not1_saveexec_b32 s76, s13
; %bb.4390:                             ;   in Loop: Header=BB4_3365 Depth=4
	v_cmp_lt_i16_e64 s13, -1, v12
	v_cmp_eq_u32_e32 vcc_lo, 0, v5
	s_delay_alu instid0(VALU_DEP_2) | instskip(NEXT) | instid1(VALU_DEP_1)
	v_cndmask_b32_e64 v4, 0xff800000, v48, s13
	v_cndmask_b32_e32 v16, 0x7f800001, v4, vcc_lo
; %bb.4391:                             ;   in Loop: Header=BB4_3365 Depth=4
	s_or_b32 exec_lo, exec_lo, s76
.LBB4_4392:                             ;   in Loop: Header=BB4_3365 Depth=4
	s_delay_alu instid0(SALU_CYCLE_1)
	s_or_b32 exec_lo, exec_lo, s75
.LBB4_4393:                             ;   in Loop: Header=BB4_3365 Depth=4
	s_delay_alu instid0(SALU_CYCLE_1) | instskip(NEXT) | instid1(VALU_DEP_1)
	s_or_b32 exec_lo, exec_lo, s74
	v_dual_add_f32 v16, v17, v16 :: v_dual_mov_b32 v87, v3
	v_mov_b32_e32 v5, v3
                                        ; implicit-def: $vgpr30
	s_mov_b32 s13, exec_lo
	s_delay_alu instid0(VALU_DEP_2) | instskip(SKIP_2) | instid1(VALU_DEP_3)
	v_and_b32_e32 v86, 0x7f800000, v16
	v_and_b32_e32 v4, 0x7fffff, v16
	v_lshrrev_b32_e32 v17, 24, v16
	v_cmpx_ne_u64_e32 0x7f800000, v[86:87]
	s_xor_b32 s74, exec_lo, s13
	s_cbranch_execz .LBB4_4407
; %bb.4394:                             ;   in Loop: Header=BB4_3365 Depth=4
	v_and_b32_e32 v86, 0x7fffffff, v16
	v_mov_b32_e32 v87, v3
	v_and_b32_e32 v51, 0x80, v17
                                        ; implicit-def: $vgpr30
	s_mov_b32 s13, exec_lo
	s_delay_alu instid0(VALU_DEP_2)
	v_cmpx_gt_u64_e32 0x47600001, v[86:87]
	s_xor_b32 s75, exec_lo, s13
	s_cbranch_execz .LBB4_4404
; %bb.4395:                             ;   in Loop: Header=BB4_3365 Depth=4
	v_mov_b32_e32 v30, 0
	s_mov_b32 s76, exec_lo
	v_cmpx_ne_u32_e32 0, v16
	s_cbranch_execz .LBB4_4403
; %bb.4396:                             ;   in Loop: Header=BB4_3365 Depth=4
	v_bfe_u32 v30, v16, 23, 8
	v_or_b32_e32 v17, 0x800000, v4
	s_delay_alu instid0(VALU_DEP_2) | instskip(SKIP_2) | instid1(VALU_DEP_2)
	v_cmp_gt_u32_e64 s13, 0x72, v30
	v_sub_nc_u32_e32 v16, 0x71, v30
	v_cmp_eq_u32_e32 vcc_lo, 0, v30
	v_cndmask_b32_e64 v16, 0, v16, s13
	s_delay_alu instid0(VALU_DEP_1) | instskip(NEXT) | instid1(VALU_DEP_1)
	v_cndmask_b32_e64 v86, v16, 0x70, vcc_lo
	v_dual_cndmask_b32 v4, v17, v4, vcc_lo :: v_dual_add_nc_u32 v16, 21, v86
	v_add_nc_u32_e32 v87, 20, v86
	s_delay_alu instid0(VALU_DEP_2) | instskip(NEXT) | instid1(VALU_DEP_2)
	v_lshlrev_b64_e64 v[16:17], v16, -1
	v_lshlrev_b64_e64 v[96:97], v87, 1
	s_delay_alu instid0(VALU_DEP_2) | instskip(SKIP_1) | instid1(VALU_DEP_4)
	v_bfi_b32 v16, v16, 0, v4
	v_lshrrev_b64 v[4:5], v86, v[4:5]
	v_bfi_b32 v17, v17, 0, 0
	s_delay_alu instid0(VALU_DEP_1) | instskip(NEXT) | instid1(VALU_DEP_3)
	v_cmp_eq_u64_e64 s13, v[16:17], v[96:97]
	v_mov_b64_e32 v[16:17], v[4:5]
	s_and_saveexec_b32 s77, s13
; %bb.4397:                             ;   in Loop: Header=BB4_3365 Depth=4
	v_bfe_u32 v16, v4, 21, 1
	v_mov_b32_e32 v17, v3
	s_delay_alu instid0(VALU_DEP_1) | instskip(NEXT) | instid1(VALU_DEP_1)
	v_add_nc_u64_e32 v[16:17], v[4:5], v[16:17]
	v_add_nc_u64_e32 v[16:17], -1, v[16:17]
; %bb.4398:                             ;   in Loop: Header=BB4_3365 Depth=4
	s_or_b32 exec_lo, exec_lo, s77
	v_add_nc_u32_e32 v5, 0xffffff81, v30
	v_lshrrev_b32_e32 v17, 23, v4
	s_mov_b32 s13, exec_lo
	s_delay_alu instid0(VALU_DEP_2) | instskip(NEXT) | instid1(VALU_DEP_1)
	v_cndmask_b32_e64 v5, v5, 0xffffff82, vcc_lo
	v_add3_u32 v30, v86, v5, v17
	v_and_b32_e32 v5, 0x1fffff, v16
                                        ; implicit-def: $vgpr16
	s_delay_alu instid0(VALU_DEP_1) | instskip(SKIP_1) | instid1(VALU_DEP_2)
	v_dual_add_nc_u32 v17, 14, v30 :: v_dual_add_nc_u32 v4, v5, v4
	v_mov_b32_e32 v5, v3
	v_cmpx_ne_u32_e32 0, v17
	s_xor_b32 s13, exec_lo, s13
; %bb.4399:                             ;   in Loop: Header=BB4_3365 Depth=4
	s_delay_alu instid0(VALU_DEP_2) | instskip(SKIP_1) | instid1(VALU_DEP_1)
	v_cmp_lt_u64_e32 vcc_lo, 0xffffff, v[4:5]
	v_add_nc_u32_e32 v16, 15, v30
	v_cndmask_b32_e32 v16, v17, v16, vcc_lo
	v_cndmask_b32_e64 v17, 0, 1, vcc_lo
	s_delay_alu instid0(VALU_DEP_1)
	v_lshrrev_b64 v[4:5], v17, v[4:5]
; %bb.4400:                             ;   in Loop: Header=BB4_3365 Depth=4
	s_and_not1_saveexec_b32 s13, s13
; %bb.4401:                             ;   in Loop: Header=BB4_3365 Depth=4
	s_delay_alu instid0(VALU_DEP_1)
	v_bfe_u32 v16, v4, 23, 1
; %bb.4402:                             ;   in Loop: Header=BB4_3365 Depth=4
	s_or_b32 exec_lo, exec_lo, s13
	s_delay_alu instid0(VALU_DEP_2) | instskip(NEXT) | instid1(VALU_DEP_2)
	v_lshrrev_b64 v[4:5], 21, v[4:5]
	v_cmp_gt_i32_e32 vcc_lo, 32, v16
	v_min_i32_e32 v17, 31, v16
	v_cmp_eq_u32_e64 s13, 0, v16
	s_delay_alu instid0(VALU_DEP_4) | instskip(NEXT) | instid1(VALU_DEP_3)
	v_cndmask_b32_e32 v5, 0, v5, vcc_lo
	v_dual_cndmask_b32 v4, 3, v4 :: v_dual_lshlrev_b32 v17, 2, v17
	s_delay_alu instid0(VALU_DEP_1) | instskip(NEXT) | instid1(VALU_DEP_2)
	v_and_b32_e32 v17, 0xfc, v17
	v_cmp_eq_u64_e32 vcc_lo, 0, v[4:5]
	s_delay_alu instid0(VALU_DEP_2)
	v_and_or_b32 v4, v4, 3, v17
	s_and_b32 s13, s13, vcc_lo
	s_delay_alu instid0(VALU_DEP_1) | instid1(SALU_CYCLE_1)
	v_cndmask_b32_e64 v4, v4, 0, s13
	s_delay_alu instid0(VALU_DEP_1)
	v_or_b32_e32 v30, v4, v51
.LBB4_4403:                             ;   in Loop: Header=BB4_3365 Depth=4
	s_or_b32 exec_lo, exec_lo, s76
                                        ; implicit-def: $vgpr51
.LBB4_4404:                             ;   in Loop: Header=BB4_3365 Depth=4
	s_and_not1_saveexec_b32 s13, s75
; %bb.4405:                             ;   in Loop: Header=BB4_3365 Depth=4
	v_or_b32_e32 v30, 0x7b, v51
; %bb.4406:                             ;   in Loop: Header=BB4_3365 Depth=4
	s_or_b32 exec_lo, exec_lo, s13
                                        ; implicit-def: $vgpr16
                                        ; implicit-def: $vgpr4_vgpr5
                                        ; implicit-def: $vgpr17
.LBB4_4407:                             ;   in Loop: Header=BB4_3365 Depth=4
	s_and_not1_saveexec_b32 s13, s74
	s_cbranch_execz .LBB4_4413
; %bb.4408:                             ;   in Loop: Header=BB4_3365 Depth=4
	s_mov_b32 s74, exec_lo
                                        ; implicit-def: $vgpr30
	v_cmpx_ne_u64_e32 0, v[4:5]
	s_xor_b32 s74, exec_lo, s74
; %bb.4409:                             ;   in Loop: Header=BB4_3365 Depth=4
	v_or_b32_e32 v30, 0x7f, v17
                                        ; implicit-def: $vgpr16
; %bb.4410:                             ;   in Loop: Header=BB4_3365 Depth=4
	s_and_not1_saveexec_b32 s74, s74
; %bb.4411:                             ;   in Loop: Header=BB4_3365 Depth=4
	v_cmp_lt_i32_e32 vcc_lo, -1, v16
	v_cndmask_b32_e32 v30, 0xfc, v49, vcc_lo
; %bb.4412:                             ;   in Loop: Header=BB4_3365 Depth=4
	s_or_b32 exec_lo, exec_lo, s74
.LBB4_4413:                             ;   in Loop: Header=BB4_3365 Depth=4
	s_delay_alu instid0(SALU_CYCLE_1) | instskip(SKIP_3) | instid1(VALU_DEP_2)
	s_or_b32 exec_lo, exec_lo, s13
	v_dual_mov_b32 v5, 0 :: v_dual_lshrrev_b32 v4, 16, v2
	v_mov_b32_e32 v16, 0
	s_mov_b32 s74, exec_lo
	v_and_b32_e32 v17, 0xff, v4
	s_delay_alu instid0(VALU_DEP_1)
	v_cmpx_ne_u16_e32 0, v17
	s_cbranch_execz .LBB4_4423
; %bb.4414:                             ;   in Loop: Header=BB4_3365 Depth=4
	v_bfrev_b32_e32 v16, 1
	s_mov_b32 s75, exec_lo
	v_cmpx_ne_u16_e32 0x80, v17
	s_cbranch_execz .LBB4_4422
; %bb.4415:                             ;   in Loop: Header=BB4_3365 Depth=4
	v_and_b32_e32 v16, 0x7c0000, v2
	v_bfe_u32 v17, v2, 16, 2
	s_delay_alu instid0(VALU_DEP_2) | instskip(SKIP_1) | instid1(SALU_CYCLE_1)
	v_cmp_ne_u32_e32 vcc_lo, 0x7c0000, v16
                                        ; implicit-def: $vgpr16
	s_and_saveexec_b32 s13, vcc_lo
	s_xor_b32 s13, exec_lo, s13
	s_cbranch_execz .LBB4_4419
; %bb.4416:                             ;   in Loop: Header=BB4_3365 Depth=4
	v_bfe_u32 v16, v2, 18, 5
	s_mov_b32 s76, exec_lo
	s_delay_alu instid0(VALU_DEP_1)
	v_cmpx_eq_u32_e32 0, v16
; %bb.4417:                             ;   in Loop: Header=BB4_3365 Depth=4
	v_clz_i32_u32_e32 v16, v17
	s_delay_alu instid0(VALU_DEP_1) | instskip(NEXT) | instid1(VALU_DEP_1)
	v_min_u32_e32 v16, 32, v16
	v_subrev_nc_u32_e32 v17, 29, v16
	s_delay_alu instid0(VALU_DEP_1) | instskip(NEXT) | instid1(VALU_DEP_1)
	v_lshlrev_b64_e32 v[86:87], v17, v[4:5]
	v_dual_sub_nc_u32 v16, 30, v16 :: v_dual_bitop2_b32 v17, 3, v86 bitop3:0x40
; %bb.4418:                             ;   in Loop: Header=BB4_3365 Depth=4
	s_or_b32 exec_lo, exec_lo, s76
	v_lshlrev_b32_e32 v4, 24, v4
	s_delay_alu instid0(VALU_DEP_1) | instskip(NEXT) | instid1(VALU_DEP_1)
	v_and_b32_e32 v4, 0x80000000, v4
	v_lshl_add_u32 v4, v16, 23, v4
	s_delay_alu instid0(VALU_DEP_1) | instskip(NEXT) | instid1(VALU_DEP_1)
	v_lshl_or_b32 v4, v17, 21, v4
                                        ; implicit-def: $vgpr17
	v_add_nc_u32_e32 v16, 0x38000000, v4
                                        ; implicit-def: $vgpr4
.LBB4_4419:                             ;   in Loop: Header=BB4_3365 Depth=4
	s_and_not1_saveexec_b32 s76, s13
; %bb.4420:                             ;   in Loop: Header=BB4_3365 Depth=4
	v_bfe_i32 v4, v4, 0, 8
	v_cmp_eq_u32_e32 vcc_lo, 0, v17
	s_delay_alu instid0(VALU_DEP_2) | instskip(NEXT) | instid1(VALU_DEP_1)
	v_cmp_lt_i16_e64 s13, -1, v4
	v_cndmask_b32_e64 v4, 0xff800000, v48, s13
	s_delay_alu instid0(VALU_DEP_1)
	v_cndmask_b32_e32 v16, 0x7f800001, v4, vcc_lo
; %bb.4421:                             ;   in Loop: Header=BB4_3365 Depth=4
	s_or_b32 exec_lo, exec_lo, s76
.LBB4_4422:                             ;   in Loop: Header=BB4_3365 Depth=4
	s_delay_alu instid0(SALU_CYCLE_1)
	s_or_b32 exec_lo, exec_lo, s75
.LBB4_4423:                             ;   in Loop: Header=BB4_3365 Depth=4
	s_delay_alu instid0(SALU_CYCLE_1) | instskip(SKIP_2) | instid1(VALU_DEP_1)
	s_or_b32 exec_lo, exec_lo, s74
	v_lshrrev_b32_e32 v4, 16, v12
	s_mov_b32 s74, exec_lo
	v_and_b32_e32 v17, 0xff, v4
	s_delay_alu instid0(VALU_DEP_1)
	v_cmpx_ne_u16_e32 0, v17
	s_cbranch_execz .LBB4_4433
; %bb.4424:                             ;   in Loop: Header=BB4_3365 Depth=4
	v_bfrev_b32_e32 v5, 1
	s_mov_b32 s75, exec_lo
	v_cmpx_ne_u16_e32 0x80, v17
	s_cbranch_execz .LBB4_4432
; %bb.4425:                             ;   in Loop: Header=BB4_3365 Depth=4
	v_and_b32_e32 v5, 0x7c0000, v12
	v_bfe_u32 v17, v12, 16, 2
	s_delay_alu instid0(VALU_DEP_2) | instskip(SKIP_1) | instid1(SALU_CYCLE_1)
	v_cmp_ne_u32_e32 vcc_lo, 0x7c0000, v5
                                        ; implicit-def: $vgpr5
	s_and_saveexec_b32 s13, vcc_lo
	s_xor_b32 s13, exec_lo, s13
	s_cbranch_execz .LBB4_4429
; %bb.4426:                             ;   in Loop: Header=BB4_3365 Depth=4
	v_bfe_u32 v5, v12, 18, 5
	s_mov_b32 s76, exec_lo
	s_delay_alu instid0(VALU_DEP_1)
	v_cmpx_eq_u32_e32 0, v5
; %bb.4427:                             ;   in Loop: Header=BB4_3365 Depth=4
	v_clz_i32_u32_e32 v5, v17
	s_delay_alu instid0(VALU_DEP_1) | instskip(NEXT) | instid1(VALU_DEP_1)
	v_min_u32_e32 v5, 32, v5
	v_subrev_nc_u32_e32 v17, 29, v5
	s_delay_alu instid0(VALU_DEP_1) | instskip(NEXT) | instid1(VALU_DEP_1)
	v_lshlrev_b64_e32 v[86:87], v17, v[4:5]
	v_dual_sub_nc_u32 v5, 30, v5 :: v_dual_bitop2_b32 v17, 3, v86 bitop3:0x40
; %bb.4428:                             ;   in Loop: Header=BB4_3365 Depth=4
	s_or_b32 exec_lo, exec_lo, s76
	v_lshlrev_b32_e32 v4, 24, v4
	s_delay_alu instid0(VALU_DEP_1) | instskip(NEXT) | instid1(VALU_DEP_1)
	v_and_b32_e32 v4, 0x80000000, v4
	v_lshl_add_u32 v4, v5, 23, v4
	s_delay_alu instid0(VALU_DEP_1) | instskip(NEXT) | instid1(VALU_DEP_1)
	v_lshl_or_b32 v4, v17, 21, v4
                                        ; implicit-def: $vgpr17
	v_add_nc_u32_e32 v5, 0x38000000, v4
                                        ; implicit-def: $vgpr4
.LBB4_4429:                             ;   in Loop: Header=BB4_3365 Depth=4
	s_and_not1_saveexec_b32 s76, s13
; %bb.4430:                             ;   in Loop: Header=BB4_3365 Depth=4
	v_bfe_i32 v4, v4, 0, 8
	v_cmp_eq_u32_e32 vcc_lo, 0, v17
	s_delay_alu instid0(VALU_DEP_2) | instskip(NEXT) | instid1(VALU_DEP_1)
	v_cmp_lt_i16_e64 s13, -1, v4
	v_cndmask_b32_e64 v4, 0xff800000, v48, s13
	s_delay_alu instid0(VALU_DEP_1)
	v_cndmask_b32_e32 v5, 0x7f800001, v4, vcc_lo
; %bb.4431:                             ;   in Loop: Header=BB4_3365 Depth=4
	s_or_b32 exec_lo, exec_lo, s76
.LBB4_4432:                             ;   in Loop: Header=BB4_3365 Depth=4
	s_delay_alu instid0(SALU_CYCLE_1)
	s_or_b32 exec_lo, exec_lo, s75
.LBB4_4433:                             ;   in Loop: Header=BB4_3365 Depth=4
	s_delay_alu instid0(SALU_CYCLE_1) | instskip(NEXT) | instid1(VALU_DEP_1)
	s_or_b32 exec_lo, exec_lo, s74
	v_dual_add_f32 v16, v16, v5 :: v_dual_mov_b32 v87, v3
	v_mov_b32_e32 v5, v3
                                        ; implicit-def: $vgpr51
	s_mov_b32 s13, exec_lo
	s_delay_alu instid0(VALU_DEP_2) | instskip(SKIP_2) | instid1(VALU_DEP_3)
	v_and_b32_e32 v86, 0x7f800000, v16
	v_and_b32_e32 v4, 0x7fffff, v16
	v_lshrrev_b32_e32 v17, 24, v16
	v_cmpx_ne_u64_e32 0x7f800000, v[86:87]
	s_xor_b32 s74, exec_lo, s13
	s_cbranch_execz .LBB4_4447
; %bb.4434:                             ;   in Loop: Header=BB4_3365 Depth=4
	v_and_b32_e32 v86, 0x7fffffff, v16
	v_mov_b32_e32 v87, v3
	v_and_b32_e32 v115, 0x80, v17
                                        ; implicit-def: $vgpr51
	s_mov_b32 s13, exec_lo
	s_delay_alu instid0(VALU_DEP_2)
	v_cmpx_gt_u64_e32 0x47600001, v[86:87]
	s_xor_b32 s75, exec_lo, s13
	s_cbranch_execz .LBB4_4444
; %bb.4435:                             ;   in Loop: Header=BB4_3365 Depth=4
	v_mov_b32_e32 v51, 0
	s_mov_b32 s76, exec_lo
	v_cmpx_ne_u32_e32 0, v16
	s_cbranch_execz .LBB4_4443
; %bb.4436:                             ;   in Loop: Header=BB4_3365 Depth=4
	v_bfe_u32 v51, v16, 23, 8
	v_or_b32_e32 v17, 0x800000, v4
	s_delay_alu instid0(VALU_DEP_2) | instskip(SKIP_2) | instid1(VALU_DEP_2)
	v_cmp_gt_u32_e64 s13, 0x72, v51
	v_sub_nc_u32_e32 v16, 0x71, v51
	v_cmp_eq_u32_e32 vcc_lo, 0, v51
	v_cndmask_b32_e64 v16, 0, v16, s13
	s_delay_alu instid0(VALU_DEP_1) | instskip(NEXT) | instid1(VALU_DEP_1)
	v_cndmask_b32_e64 v86, v16, 0x70, vcc_lo
	v_dual_cndmask_b32 v4, v17, v4, vcc_lo :: v_dual_add_nc_u32 v16, 21, v86
	v_add_nc_u32_e32 v87, 20, v86
	s_delay_alu instid0(VALU_DEP_2) | instskip(NEXT) | instid1(VALU_DEP_2)
	v_lshlrev_b64_e64 v[16:17], v16, -1
	v_lshlrev_b64_e64 v[96:97], v87, 1
	s_delay_alu instid0(VALU_DEP_2) | instskip(SKIP_1) | instid1(VALU_DEP_4)
	v_bfi_b32 v16, v16, 0, v4
	v_lshrrev_b64 v[4:5], v86, v[4:5]
	v_bfi_b32 v17, v17, 0, 0
	s_delay_alu instid0(VALU_DEP_1) | instskip(NEXT) | instid1(VALU_DEP_3)
	v_cmp_eq_u64_e64 s13, v[16:17], v[96:97]
	v_mov_b64_e32 v[16:17], v[4:5]
	s_and_saveexec_b32 s77, s13
; %bb.4437:                             ;   in Loop: Header=BB4_3365 Depth=4
	v_bfe_u32 v16, v4, 21, 1
	v_mov_b32_e32 v17, v3
	s_delay_alu instid0(VALU_DEP_1) | instskip(NEXT) | instid1(VALU_DEP_1)
	v_add_nc_u64_e32 v[16:17], v[4:5], v[16:17]
	v_add_nc_u64_e32 v[16:17], -1, v[16:17]
; %bb.4438:                             ;   in Loop: Header=BB4_3365 Depth=4
	s_or_b32 exec_lo, exec_lo, s77
	v_add_nc_u32_e32 v5, 0xffffff81, v51
	v_lshrrev_b32_e32 v17, 23, v4
	s_mov_b32 s13, exec_lo
	s_delay_alu instid0(VALU_DEP_2) | instskip(NEXT) | instid1(VALU_DEP_1)
	v_cndmask_b32_e64 v5, v5, 0xffffff82, vcc_lo
	v_add3_u32 v51, v86, v5, v17
	v_and_b32_e32 v5, 0x1fffff, v16
                                        ; implicit-def: $vgpr16
	s_delay_alu instid0(VALU_DEP_1) | instskip(SKIP_1) | instid1(VALU_DEP_2)
	v_dual_add_nc_u32 v17, 14, v51 :: v_dual_add_nc_u32 v4, v5, v4
	v_mov_b32_e32 v5, v3
	v_cmpx_ne_u32_e32 0, v17
	s_xor_b32 s13, exec_lo, s13
; %bb.4439:                             ;   in Loop: Header=BB4_3365 Depth=4
	s_delay_alu instid0(VALU_DEP_2) | instskip(SKIP_1) | instid1(VALU_DEP_1)
	v_cmp_lt_u64_e32 vcc_lo, 0xffffff, v[4:5]
	v_add_nc_u32_e32 v16, 15, v51
	v_cndmask_b32_e32 v16, v17, v16, vcc_lo
	v_cndmask_b32_e64 v17, 0, 1, vcc_lo
	s_delay_alu instid0(VALU_DEP_1)
	v_lshrrev_b64 v[4:5], v17, v[4:5]
; %bb.4440:                             ;   in Loop: Header=BB4_3365 Depth=4
	s_and_not1_saveexec_b32 s13, s13
; %bb.4441:                             ;   in Loop: Header=BB4_3365 Depth=4
	s_delay_alu instid0(VALU_DEP_1)
	v_bfe_u32 v16, v4, 23, 1
; %bb.4442:                             ;   in Loop: Header=BB4_3365 Depth=4
	s_or_b32 exec_lo, exec_lo, s13
	s_delay_alu instid0(VALU_DEP_2) | instskip(NEXT) | instid1(VALU_DEP_2)
	v_lshrrev_b64 v[4:5], 21, v[4:5]
	v_cmp_gt_i32_e32 vcc_lo, 32, v16
	v_min_i32_e32 v17, 31, v16
	v_cmp_eq_u32_e64 s13, 0, v16
	s_delay_alu instid0(VALU_DEP_4) | instskip(NEXT) | instid1(VALU_DEP_3)
	v_cndmask_b32_e32 v5, 0, v5, vcc_lo
	v_dual_cndmask_b32 v4, 3, v4 :: v_dual_lshlrev_b32 v17, 2, v17
	s_delay_alu instid0(VALU_DEP_1) | instskip(NEXT) | instid1(VALU_DEP_2)
	v_and_b32_e32 v17, 0xfc, v17
	v_cmp_eq_u64_e32 vcc_lo, 0, v[4:5]
	s_delay_alu instid0(VALU_DEP_2)
	v_and_or_b32 v4, v4, 3, v17
	s_and_b32 s13, s13, vcc_lo
	s_delay_alu instid0(VALU_DEP_1) | instid1(SALU_CYCLE_1)
	v_cndmask_b32_e64 v4, v4, 0, s13
	s_delay_alu instid0(VALU_DEP_1)
	v_or_b32_e32 v51, v4, v115
.LBB4_4443:                             ;   in Loop: Header=BB4_3365 Depth=4
	s_or_b32 exec_lo, exec_lo, s76
                                        ; implicit-def: $vgpr115
.LBB4_4444:                             ;   in Loop: Header=BB4_3365 Depth=4
	s_and_not1_saveexec_b32 s13, s75
; %bb.4445:                             ;   in Loop: Header=BB4_3365 Depth=4
	v_or_b32_e32 v51, 0x7b, v115
; %bb.4446:                             ;   in Loop: Header=BB4_3365 Depth=4
	s_or_b32 exec_lo, exec_lo, s13
                                        ; implicit-def: $vgpr16
                                        ; implicit-def: $vgpr4_vgpr5
                                        ; implicit-def: $vgpr17
.LBB4_4447:                             ;   in Loop: Header=BB4_3365 Depth=4
	s_and_not1_saveexec_b32 s13, s74
	s_cbranch_execz .LBB4_4453
; %bb.4448:                             ;   in Loop: Header=BB4_3365 Depth=4
	s_mov_b32 s74, exec_lo
                                        ; implicit-def: $vgpr51
	v_cmpx_ne_u64_e32 0, v[4:5]
	s_xor_b32 s74, exec_lo, s74
; %bb.4449:                             ;   in Loop: Header=BB4_3365 Depth=4
	v_or_b32_e32 v51, 0x7f, v17
                                        ; implicit-def: $vgpr16
; %bb.4450:                             ;   in Loop: Header=BB4_3365 Depth=4
	s_and_not1_saveexec_b32 s74, s74
; %bb.4451:                             ;   in Loop: Header=BB4_3365 Depth=4
	v_cmp_lt_i32_e32 vcc_lo, -1, v16
	v_cndmask_b32_e32 v51, 0xfc, v49, vcc_lo
; %bb.4452:                             ;   in Loop: Header=BB4_3365 Depth=4
	s_or_b32 exec_lo, exec_lo, s74
.LBB4_4453:                             ;   in Loop: Header=BB4_3365 Depth=4
	s_delay_alu instid0(SALU_CYCLE_1)
	s_or_b32 exec_lo, exec_lo, s13
	v_dual_mov_b32 v5, 0 :: v_dual_mov_b32 v16, 0
	s_mov_b32 s74, exec_lo
	v_cmpx_lt_u32_e32 0xffffff, v2
	s_cbranch_execz .LBB4_4463
; %bb.4454:                             ;   in Loop: Header=BB4_3365 Depth=4
	v_lshrrev_b32_e32 v4, 24, v2
	v_bfrev_b32_e32 v16, 1
	s_mov_b32 s75, exec_lo
	s_delay_alu instid0(VALU_DEP_2)
	v_cmpx_ne_u32_e32 0x80, v4
	s_cbranch_execz .LBB4_4462
; %bb.4455:                             ;   in Loop: Header=BB4_3365 Depth=4
	v_and_b32_e32 v16, 0x7c000000, v2
	v_bfe_u32 v17, v2, 24, 2
	s_delay_alu instid0(VALU_DEP_2) | instskip(SKIP_1) | instid1(SALU_CYCLE_1)
	v_cmp_ne_u32_e32 vcc_lo, 0x7c000000, v16
                                        ; implicit-def: $vgpr16
	s_and_saveexec_b32 s13, vcc_lo
	s_xor_b32 s13, exec_lo, s13
	s_cbranch_execz .LBB4_4459
; %bb.4456:                             ;   in Loop: Header=BB4_3365 Depth=4
	v_bfe_u32 v16, v2, 26, 5
	s_mov_b32 s76, exec_lo
	s_delay_alu instid0(VALU_DEP_1)
	v_cmpx_eq_u32_e32 0, v16
; %bb.4457:                             ;   in Loop: Header=BB4_3365 Depth=4
	v_clz_i32_u32_e32 v16, v17
	s_delay_alu instid0(VALU_DEP_1) | instskip(NEXT) | instid1(VALU_DEP_1)
	v_min_u32_e32 v16, 32, v16
	v_subrev_nc_u32_e32 v17, 29, v16
	s_delay_alu instid0(VALU_DEP_1) | instskip(NEXT) | instid1(VALU_DEP_1)
	v_lshlrev_b64_e32 v[86:87], v17, v[4:5]
	v_dual_sub_nc_u32 v16, 30, v16 :: v_dual_bitop2_b32 v17, 3, v86 bitop3:0x40
; %bb.4458:                             ;   in Loop: Header=BB4_3365 Depth=4
	s_or_b32 exec_lo, exec_lo, s76
	v_and_b32_e32 v2, 0x80000000, v2
	s_delay_alu instid0(VALU_DEP_1) | instskip(NEXT) | instid1(VALU_DEP_1)
	v_lshl_add_u32 v2, v16, 23, v2
	v_lshl_or_b32 v2, v17, 21, v2
                                        ; implicit-def: $vgpr17
	s_delay_alu instid0(VALU_DEP_1)
	v_add_nc_u32_e32 v16, 0x38000000, v2
.LBB4_4459:                             ;   in Loop: Header=BB4_3365 Depth=4
	s_and_not1_saveexec_b32 s76, s13
; %bb.4460:                             ;   in Loop: Header=BB4_3365 Depth=4
	v_cmp_lt_i32_e64 s13, -1, v2
	v_cmp_eq_u32_e32 vcc_lo, 0, v17
	s_delay_alu instid0(VALU_DEP_2) | instskip(NEXT) | instid1(VALU_DEP_1)
	v_cndmask_b32_e64 v2, 0xff800000, v48, s13
	v_cndmask_b32_e32 v16, 0x7f800001, v2, vcc_lo
; %bb.4461:                             ;   in Loop: Header=BB4_3365 Depth=4
	s_or_b32 exec_lo, exec_lo, s76
.LBB4_4462:                             ;   in Loop: Header=BB4_3365 Depth=4
	s_delay_alu instid0(SALU_CYCLE_1)
	s_or_b32 exec_lo, exec_lo, s75
.LBB4_4463:                             ;   in Loop: Header=BB4_3365 Depth=4
	s_delay_alu instid0(SALU_CYCLE_1) | instskip(NEXT) | instid1(SALU_CYCLE_1)
	s_or_b32 exec_lo, exec_lo, s74
	s_mov_b32 s74, exec_lo
	v_cmpx_lt_u32_e32 0xffffff, v12
	s_cbranch_execz .LBB4_4473
; %bb.4464:                             ;   in Loop: Header=BB4_3365 Depth=4
	v_lshrrev_b32_e32 v2, 24, v12
	v_bfrev_b32_e32 v5, 1
	s_mov_b32 s75, exec_lo
	s_delay_alu instid0(VALU_DEP_2)
	v_cmpx_ne_u32_e32 0x80, v2
	s_cbranch_execz .LBB4_4472
; %bb.4465:                             ;   in Loop: Header=BB4_3365 Depth=4
	v_and_b32_e32 v5, 0x7c000000, v12
	v_bfe_u32 v4, v12, 24, 2
	s_delay_alu instid0(VALU_DEP_2) | instskip(SKIP_1) | instid1(SALU_CYCLE_1)
	v_cmp_ne_u32_e32 vcc_lo, 0x7c000000, v5
                                        ; implicit-def: $vgpr5
	s_and_saveexec_b32 s13, vcc_lo
	s_xor_b32 s13, exec_lo, s13
	s_cbranch_execz .LBB4_4469
; %bb.4466:                             ;   in Loop: Header=BB4_3365 Depth=4
	v_bfe_u32 v5, v12, 26, 5
	s_mov_b32 s76, exec_lo
	s_delay_alu instid0(VALU_DEP_1)
	v_cmpx_eq_u32_e32 0, v5
; %bb.4467:                             ;   in Loop: Header=BB4_3365 Depth=4
	v_clz_i32_u32_e32 v4, v4
	s_delay_alu instid0(VALU_DEP_1) | instskip(NEXT) | instid1(VALU_DEP_1)
	v_min_u32_e32 v17, 32, v4
	v_subrev_nc_u32_e32 v4, 29, v17
	s_delay_alu instid0(VALU_DEP_1) | instskip(NEXT) | instid1(VALU_DEP_1)
	v_lshlrev_b64_e32 v[4:5], v4, v[2:3]
	v_dual_sub_nc_u32 v5, 30, v17 :: v_dual_bitop2_b32 v4, 3, v4 bitop3:0x40
; %bb.4468:                             ;   in Loop: Header=BB4_3365 Depth=4
	s_or_b32 exec_lo, exec_lo, s76
	v_and_b32_e32 v2, 0x80000000, v12
	s_delay_alu instid0(VALU_DEP_1) | instskip(NEXT) | instid1(VALU_DEP_1)
	v_lshl_add_u32 v2, v5, 23, v2
	v_lshl_or_b32 v2, v4, 21, v2
                                        ; implicit-def: $vgpr4
	s_delay_alu instid0(VALU_DEP_1)
	v_add_nc_u32_e32 v5, 0x38000000, v2
.LBB4_4469:                             ;   in Loop: Header=BB4_3365 Depth=4
	s_and_not1_saveexec_b32 s76, s13
; %bb.4470:                             ;   in Loop: Header=BB4_3365 Depth=4
	v_cmp_lt_i32_e64 s13, -1, v12
	v_cmp_eq_u32_e32 vcc_lo, 0, v4
	s_delay_alu instid0(VALU_DEP_2) | instskip(NEXT) | instid1(VALU_DEP_1)
	v_cndmask_b32_e64 v2, 0xff800000, v48, s13
	v_cndmask_b32_e32 v5, 0x7f800001, v2, vcc_lo
; %bb.4471:                             ;   in Loop: Header=BB4_3365 Depth=4
	s_or_b32 exec_lo, exec_lo, s76
.LBB4_4472:                             ;   in Loop: Header=BB4_3365 Depth=4
	s_delay_alu instid0(SALU_CYCLE_1)
	s_or_b32 exec_lo, exec_lo, s75
.LBB4_4473:                             ;   in Loop: Header=BB4_3365 Depth=4
	s_delay_alu instid0(SALU_CYCLE_1) | instskip(NEXT) | instid1(VALU_DEP_1)
	s_or_b32 exec_lo, exec_lo, s74
	v_dual_add_f32 v4, v16, v5 :: v_dual_mov_b32 v17, v3
                                        ; implicit-def: $vgpr115
	s_mov_b32 s13, exec_lo
	s_delay_alu instid0(VALU_DEP_1) | instskip(SKIP_2) | instid1(VALU_DEP_3)
	v_and_b32_e32 v16, 0x7f800000, v4
	v_and_b32_e32 v2, 0x7fffff, v4
	v_lshrrev_b32_e32 v5, 24, v4
	v_cmpx_ne_u64_e32 0x7f800000, v[16:17]
	s_xor_b32 s74, exec_lo, s13
	s_cbranch_execz .LBB4_4487
; %bb.4474:                             ;   in Loop: Header=BB4_3365 Depth=4
	v_and_b32_e32 v16, 0x7fffffff, v4
	v_mov_b32_e32 v17, v3
	v_and_b32_e32 v90, 0x80, v5
                                        ; implicit-def: $vgpr115
	s_mov_b32 s13, exec_lo
	s_delay_alu instid0(VALU_DEP_2)
	v_cmpx_gt_u64_e32 0x47600001, v[16:17]
	s_xor_b32 s75, exec_lo, s13
	s_cbranch_execz .LBB4_4484
; %bb.4475:                             ;   in Loop: Header=BB4_3365 Depth=4
	v_mov_b32_e32 v115, 0
	s_mov_b32 s76, exec_lo
	v_cmpx_ne_u32_e32 0, v4
	s_cbranch_execz .LBB4_4483
; %bb.4476:                             ;   in Loop: Header=BB4_3365 Depth=4
	v_bfe_u32 v115, v4, 23, 8
	v_or_b32_e32 v5, 0x800000, v2
	s_delay_alu instid0(VALU_DEP_2) | instskip(SKIP_2) | instid1(VALU_DEP_2)
	v_cmp_gt_u32_e64 s13, 0x72, v115
	v_sub_nc_u32_e32 v4, 0x71, v115
	v_cmp_eq_u32_e32 vcc_lo, 0, v115
	v_cndmask_b32_e64 v4, 0, v4, s13
	s_delay_alu instid0(VALU_DEP_1) | instskip(SKIP_1) | instid1(VALU_DEP_2)
	v_cndmask_b32_e64 v91, v4, 0x70, vcc_lo
	v_dual_cndmask_b32 v4, v5, v2 :: v_dual_mov_b32 v5, v3
	v_add_nc_u32_e32 v2, 21, v91
	s_delay_alu instid0(VALU_DEP_1) | instskip(SKIP_1) | instid1(VALU_DEP_1)
	v_lshlrev_b64_e64 v[16:17], v2, -1
	v_add_nc_u32_e32 v2, 20, v91
	v_lshlrev_b64_e64 v[86:87], v2, 1
	s_delay_alu instid0(VALU_DEP_3) | instskip(SKIP_2) | instid1(VALU_DEP_1)
	v_bfi_b32 v16, v16, 0, v4
	v_lshrrev_b64 v[4:5], v91, v[4:5]
	v_bfi_b32 v17, v17, 0, 0
	v_cmp_eq_u64_e64 s13, v[16:17], v[86:87]
	s_delay_alu instid0(VALU_DEP_3)
	v_mov_b64_e32 v[16:17], v[4:5]
	s_and_saveexec_b32 s77, s13
; %bb.4477:                             ;   in Loop: Header=BB4_3365 Depth=4
	v_bfe_u32 v16, v4, 21, 1
	v_mov_b32_e32 v17, v3
	s_delay_alu instid0(VALU_DEP_1) | instskip(NEXT) | instid1(VALU_DEP_1)
	v_add_nc_u64_e32 v[16:17], v[4:5], v[16:17]
	v_add_nc_u64_e32 v[16:17], -1, v[16:17]
; %bb.4478:                             ;   in Loop: Header=BB4_3365 Depth=4
	s_or_b32 exec_lo, exec_lo, s77
	v_add_nc_u32_e32 v2, 0xffffff81, v115
	v_lshrrev_b32_e32 v5, 23, v4
	s_mov_b32 s13, exec_lo
	s_delay_alu instid0(VALU_DEP_2) | instskip(NEXT) | instid1(VALU_DEP_1)
	v_cndmask_b32_e64 v2, v2, 0xffffff82, vcc_lo
	v_add3_u32 v86, v91, v2, v5
	v_and_b32_e32 v2, 0x1fffff, v16
                                        ; implicit-def: $vgpr16
	s_delay_alu instid0(VALU_DEP_1) | instskip(NEXT) | instid1(VALU_DEP_1)
	v_dual_add_nc_u32 v17, 14, v86 :: v_dual_add_nc_u32 v2, v2, v4
                                        ; implicit-def: $vgpr4_vgpr5
	v_cmpx_ne_u32_e32 0, v17
	s_xor_b32 s13, exec_lo, s13
; %bb.4479:                             ;   in Loop: Header=BB4_3365 Depth=4
	s_delay_alu instid0(VALU_DEP_2) | instskip(SKIP_1) | instid1(VALU_DEP_1)
	v_cmp_lt_u64_e32 vcc_lo, 0xffffff, v[2:3]
	v_add_nc_u32_e32 v4, 15, v86
	v_cndmask_b32_e32 v16, v17, v4, vcc_lo
	v_cndmask_b32_e64 v4, 0, 1, vcc_lo
	s_delay_alu instid0(VALU_DEP_1)
	v_lshrrev_b64 v[4:5], v4, v[2:3]
; %bb.4480:                             ;   in Loop: Header=BB4_3365 Depth=4
	s_and_not1_saveexec_b32 s13, s13
; %bb.4481:                             ;   in Loop: Header=BB4_3365 Depth=4
	v_mov_b64_e32 v[4:5], v[2:3]
	v_bfe_u32 v16, v2, 23, 1
; %bb.4482:                             ;   in Loop: Header=BB4_3365 Depth=4
	s_or_b32 exec_lo, exec_lo, s13
	s_delay_alu instid0(VALU_DEP_2) | instskip(NEXT) | instid1(VALU_DEP_2)
	v_lshrrev_b64 v[4:5], 21, v[4:5]
	v_cmp_gt_i32_e32 vcc_lo, 32, v16
	v_min_i32_e32 v2, 31, v16
	v_cmp_eq_u32_e64 s13, 0, v16
	s_delay_alu instid0(VALU_DEP_2) | instskip(SKIP_1) | instid1(VALU_DEP_2)
	v_dual_cndmask_b32 v5, 0, v5 :: v_dual_lshlrev_b32 v2, 2, v2
	v_cndmask_b32_e32 v4, 3, v4, vcc_lo
	v_and_b32_e32 v2, 0xfc, v2
	s_delay_alu instid0(VALU_DEP_2) | instskip(NEXT) | instid1(VALU_DEP_2)
	v_cmp_eq_u64_e32 vcc_lo, 0, v[4:5]
	v_and_or_b32 v2, v4, 3, v2
	s_and_b32 s13, s13, vcc_lo
	s_delay_alu instid0(VALU_DEP_1) | instid1(SALU_CYCLE_1)
	v_cndmask_b32_e64 v2, v2, 0, s13
	s_delay_alu instid0(VALU_DEP_1)
	v_or_b32_e32 v115, v2, v90
.LBB4_4483:                             ;   in Loop: Header=BB4_3365 Depth=4
	s_or_b32 exec_lo, exec_lo, s76
                                        ; implicit-def: $vgpr90
.LBB4_4484:                             ;   in Loop: Header=BB4_3365 Depth=4
	s_and_not1_saveexec_b32 s13, s75
; %bb.4485:                             ;   in Loop: Header=BB4_3365 Depth=4
	v_or_b32_e32 v115, 0x7b, v90
; %bb.4486:                             ;   in Loop: Header=BB4_3365 Depth=4
	s_or_b32 exec_lo, exec_lo, s13
                                        ; implicit-def: $vgpr4
                                        ; implicit-def: $vgpr5
.LBB4_4487:                             ;   in Loop: Header=BB4_3365 Depth=4
	s_and_not1_saveexec_b32 s13, s74
	s_cbranch_execz .LBB4_4493
; %bb.4488:                             ;   in Loop: Header=BB4_3365 Depth=4
	s_mov_b32 s74, exec_lo
                                        ; implicit-def: $vgpr115
	v_cmpx_ne_u64_e32 0, v[2:3]
	s_xor_b32 s74, exec_lo, s74
; %bb.4489:                             ;   in Loop: Header=BB4_3365 Depth=4
	v_or_b32_e32 v115, 0x7f, v5
                                        ; implicit-def: $vgpr4
; %bb.4490:                             ;   in Loop: Header=BB4_3365 Depth=4
	s_and_not1_saveexec_b32 s74, s74
; %bb.4491:                             ;   in Loop: Header=BB4_3365 Depth=4
	v_cmp_lt_i32_e32 vcc_lo, -1, v4
	v_cndmask_b32_e32 v115, 0xfc, v49, vcc_lo
; %bb.4492:                             ;   in Loop: Header=BB4_3365 Depth=4
	s_or_b32 exec_lo, exec_lo, s74
.LBB4_4493:                             ;   in Loop: Header=BB4_3365 Depth=4
	s_delay_alu instid0(SALU_CYCLE_1) | instskip(SKIP_4) | instid1(VALU_DEP_2)
	s_or_b32 exec_lo, exec_lo, s13
	v_lshl_or_b32 v62, v62, 8, v58
	v_dual_lshlrev_b32 v2, 16, v88 :: v_dual_lshlrev_b32 v4, 24, v89
	v_mov_b32_e32 v5, 0
	s_mov_b32 s74, exec_lo
	v_or3_b32 v2, v2, v4, v62
	v_mov_b32_e32 v4, 0
	v_cmpx_ne_u32_e32 0, v58
	s_cbranch_execz .LBB4_4503
; %bb.4494:                             ;   in Loop: Header=BB4_3365 Depth=4
	v_bfrev_b32_e32 v4, 1
	s_mov_b32 s75, exec_lo
	v_cmpx_ne_u32_e32 0x80, v58
	s_cbranch_execz .LBB4_4502
; %bb.4495:                             ;   in Loop: Header=BB4_3365 Depth=4
	v_and_b32_e32 v4, 0x7c, v58
	v_and_b32_e32 v16, 3, v58
	s_delay_alu instid0(VALU_DEP_2) | instskip(SKIP_1) | instid1(SALU_CYCLE_1)
	v_cmp_ne_u32_e32 vcc_lo, 0x7c, v4
                                        ; implicit-def: $vgpr4
	s_and_saveexec_b32 s13, vcc_lo
	s_xor_b32 s13, exec_lo, s13
	s_cbranch_execz .LBB4_4499
; %bb.4496:                             ;   in Loop: Header=BB4_3365 Depth=4
	v_bfe_u32 v4, v58, 2, 5
	s_mov_b32 s76, exec_lo
	s_delay_alu instid0(VALU_DEP_1)
	v_cmpx_eq_u32_e32 0, v4
; %bb.4497:                             ;   in Loop: Header=BB4_3365 Depth=4
	v_clz_i32_u32_e32 v4, v16
	s_delay_alu instid0(VALU_DEP_1) | instskip(NEXT) | instid1(VALU_DEP_1)
	v_min_u32_e32 v4, 32, v4
	v_subrev_nc_u32_e32 v16, 29, v4
	v_sub_nc_u32_e32 v4, 30, v4
	s_delay_alu instid0(VALU_DEP_2) | instskip(NEXT) | instid1(VALU_DEP_1)
	v_lshlrev_b64_e32 v[16:17], v16, v[2:3]
	v_and_b32_e32 v16, 3, v16
; %bb.4498:                             ;   in Loop: Header=BB4_3365 Depth=4
	s_or_b32 exec_lo, exec_lo, s76
	v_lshlrev_b32_e32 v17, 24, v58
                                        ; implicit-def: $vgpr58
	s_delay_alu instid0(VALU_DEP_1) | instskip(NEXT) | instid1(VALU_DEP_1)
	v_and_b32_e32 v17, 0x80000000, v17
	v_lshl_add_u32 v4, v4, 23, v17
	s_delay_alu instid0(VALU_DEP_1) | instskip(NEXT) | instid1(VALU_DEP_1)
	v_lshl_or_b32 v4, v16, 21, v4
                                        ; implicit-def: $vgpr16
	v_add_nc_u32_e32 v4, 0x38000000, v4
.LBB4_4499:                             ;   in Loop: Header=BB4_3365 Depth=4
	s_and_not1_saveexec_b32 s76, s13
; %bb.4500:                             ;   in Loop: Header=BB4_3365 Depth=4
	v_and_b32_e32 v4, 0x80, v58
	v_cmp_eq_u32_e32 vcc_lo, 0, v16
	s_delay_alu instid0(VALU_DEP_2) | instskip(NEXT) | instid1(VALU_DEP_1)
	v_cmp_eq_u32_e64 s13, 0, v4
	v_cndmask_b32_e64 v4, 0xff800000, v48, s13
	s_delay_alu instid0(VALU_DEP_1)
	v_cndmask_b32_e32 v4, 0x7f800001, v4, vcc_lo
; %bb.4501:                             ;   in Loop: Header=BB4_3365 Depth=4
	s_or_b32 exec_lo, exec_lo, s76
.LBB4_4502:                             ;   in Loop: Header=BB4_3365 Depth=4
	s_delay_alu instid0(SALU_CYCLE_1)
	s_or_b32 exec_lo, exec_lo, s75
.LBB4_4503:                             ;   in Loop: Header=BB4_3365 Depth=4
	s_delay_alu instid0(SALU_CYCLE_1) | instskip(SKIP_2) | instid1(VALU_DEP_1)
	s_or_b32 exec_lo, exec_lo, s74
	v_and_b32_e32 v16, 0xff, v13
	s_mov_b32 s74, exec_lo
	v_cmpx_ne_u16_e32 0, v16
	s_cbranch_execz .LBB4_4513
; %bb.4504:                             ;   in Loop: Header=BB4_3365 Depth=4
	v_bfrev_b32_e32 v5, 1
	s_mov_b32 s75, exec_lo
	v_cmpx_ne_u16_e32 0x80, v16
	s_cbranch_execz .LBB4_4512
; %bb.4505:                             ;   in Loop: Header=BB4_3365 Depth=4
	v_and_b32_e32 v5, 0x7c, v13
	v_and_b32_e32 v16, 3, v13
	s_delay_alu instid0(VALU_DEP_2) | instskip(SKIP_1) | instid1(SALU_CYCLE_1)
	v_cmp_ne_u32_e32 vcc_lo, 0x7c, v5
                                        ; implicit-def: $vgpr5
	s_and_saveexec_b32 s13, vcc_lo
	s_xor_b32 s13, exec_lo, s13
	s_cbranch_execz .LBB4_4509
; %bb.4506:                             ;   in Loop: Header=BB4_3365 Depth=4
	v_bfe_u32 v5, v13, 2, 5
	s_mov_b32 s76, exec_lo
	s_delay_alu instid0(VALU_DEP_1)
	v_cmpx_eq_u32_e32 0, v5
; %bb.4507:                             ;   in Loop: Header=BB4_3365 Depth=4
	v_clz_i32_u32_e32 v5, v16
	v_dual_mov_b32 v16, v13 :: v_dual_mov_b32 v17, v3
	s_delay_alu instid0(VALU_DEP_2) | instskip(NEXT) | instid1(VALU_DEP_1)
	v_min_u32_e32 v5, 32, v5
	v_subrev_nc_u32_e32 v86, 29, v5
	s_delay_alu instid0(VALU_DEP_1) | instskip(NEXT) | instid1(VALU_DEP_1)
	v_lshlrev_b64_e32 v[16:17], v86, v[16:17]
	v_dual_sub_nc_u32 v5, 30, v5 :: v_dual_bitop2_b32 v16, 3, v16 bitop3:0x40
; %bb.4508:                             ;   in Loop: Header=BB4_3365 Depth=4
	s_or_b32 exec_lo, exec_lo, s76
	v_lshlrev_b32_e32 v17, 24, v13
	s_delay_alu instid0(VALU_DEP_1) | instskip(NEXT) | instid1(VALU_DEP_1)
	v_and_b32_e32 v17, 0x80000000, v17
	v_lshl_add_u32 v5, v5, 23, v17
	s_delay_alu instid0(VALU_DEP_1) | instskip(NEXT) | instid1(VALU_DEP_1)
	v_lshl_or_b32 v5, v16, 21, v5
                                        ; implicit-def: $vgpr16
	v_add_nc_u32_e32 v5, 0x38000000, v5
.LBB4_4509:                             ;   in Loop: Header=BB4_3365 Depth=4
	s_and_not1_saveexec_b32 s76, s13
; %bb.4510:                             ;   in Loop: Header=BB4_3365 Depth=4
	v_bfe_i32 v5, v13, 0, 8
	v_cmp_eq_u32_e32 vcc_lo, 0, v16
	s_delay_alu instid0(VALU_DEP_2) | instskip(NEXT) | instid1(VALU_DEP_1)
	v_cmp_lt_i16_e64 s13, -1, v5
	v_cndmask_b32_e64 v5, 0xff800000, v48, s13
	s_delay_alu instid0(VALU_DEP_1)
	v_cndmask_b32_e32 v5, 0x7f800001, v5, vcc_lo
; %bb.4511:                             ;   in Loop: Header=BB4_3365 Depth=4
	s_or_b32 exec_lo, exec_lo, s76
.LBB4_4512:                             ;   in Loop: Header=BB4_3365 Depth=4
	s_delay_alu instid0(SALU_CYCLE_1)
	s_or_b32 exec_lo, exec_lo, s75
.LBB4_4513:                             ;   in Loop: Header=BB4_3365 Depth=4
	s_delay_alu instid0(SALU_CYCLE_1) | instskip(NEXT) | instid1(VALU_DEP_1)
	s_or_b32 exec_lo, exec_lo, s74
	v_dual_add_f32 v16, v4, v5 :: v_dual_mov_b32 v87, v3
	v_mov_b32_e32 v5, v3
                                        ; implicit-def: $vgpr58
	s_mov_b32 s13, exec_lo
	s_delay_alu instid0(VALU_DEP_2) | instskip(SKIP_2) | instid1(VALU_DEP_3)
	v_and_b32_e32 v86, 0x7f800000, v16
	v_and_b32_e32 v4, 0x7fffff, v16
	v_lshrrev_b32_e32 v17, 24, v16
	v_cmpx_ne_u64_e32 0x7f800000, v[86:87]
	s_xor_b32 s74, exec_lo, s13
	s_cbranch_execz .LBB4_4527
; %bb.4514:                             ;   in Loop: Header=BB4_3365 Depth=4
	v_and_b32_e32 v86, 0x7fffffff, v16
	v_mov_b32_e32 v87, v3
	v_and_b32_e32 v88, 0x80, v17
                                        ; implicit-def: $vgpr58
	s_mov_b32 s13, exec_lo
	s_delay_alu instid0(VALU_DEP_2)
	v_cmpx_gt_u64_e32 0x47600001, v[86:87]
	s_xor_b32 s75, exec_lo, s13
	s_cbranch_execz .LBB4_4524
; %bb.4515:                             ;   in Loop: Header=BB4_3365 Depth=4
	v_mov_b32_e32 v58, 0
	s_mov_b32 s76, exec_lo
	v_cmpx_ne_u32_e32 0, v16
	s_cbranch_execz .LBB4_4523
; %bb.4516:                             ;   in Loop: Header=BB4_3365 Depth=4
	v_bfe_u32 v58, v16, 23, 8
	v_or_b32_e32 v17, 0x800000, v4
	s_delay_alu instid0(VALU_DEP_2) | instskip(SKIP_2) | instid1(VALU_DEP_2)
	v_cmp_gt_u32_e64 s13, 0x72, v58
	v_sub_nc_u32_e32 v16, 0x71, v58
	v_cmp_eq_u32_e32 vcc_lo, 0, v58
	v_cndmask_b32_e64 v16, 0, v16, s13
	s_delay_alu instid0(VALU_DEP_1) | instskip(NEXT) | instid1(VALU_DEP_1)
	v_cndmask_b32_e64 v86, v16, 0x70, vcc_lo
	v_dual_cndmask_b32 v4, v17, v4, vcc_lo :: v_dual_add_nc_u32 v16, 21, v86
	v_add_nc_u32_e32 v87, 20, v86
	s_delay_alu instid0(VALU_DEP_2) | instskip(NEXT) | instid1(VALU_DEP_2)
	v_lshlrev_b64_e64 v[16:17], v16, -1
	v_lshlrev_b64_e64 v[96:97], v87, 1
	s_delay_alu instid0(VALU_DEP_2) | instskip(SKIP_1) | instid1(VALU_DEP_4)
	v_bfi_b32 v16, v16, 0, v4
	v_lshrrev_b64 v[4:5], v86, v[4:5]
	v_bfi_b32 v17, v17, 0, 0
	s_delay_alu instid0(VALU_DEP_1) | instskip(NEXT) | instid1(VALU_DEP_3)
	v_cmp_eq_u64_e64 s13, v[16:17], v[96:97]
	v_mov_b64_e32 v[16:17], v[4:5]
	s_and_saveexec_b32 s77, s13
; %bb.4517:                             ;   in Loop: Header=BB4_3365 Depth=4
	v_bfe_u32 v16, v4, 21, 1
	v_mov_b32_e32 v17, v3
	s_delay_alu instid0(VALU_DEP_1) | instskip(NEXT) | instid1(VALU_DEP_1)
	v_add_nc_u64_e32 v[16:17], v[4:5], v[16:17]
	v_add_nc_u64_e32 v[16:17], -1, v[16:17]
; %bb.4518:                             ;   in Loop: Header=BB4_3365 Depth=4
	s_or_b32 exec_lo, exec_lo, s77
	v_add_nc_u32_e32 v5, 0xffffff81, v58
	v_lshrrev_b32_e32 v17, 23, v4
	s_mov_b32 s13, exec_lo
	s_delay_alu instid0(VALU_DEP_2) | instskip(NEXT) | instid1(VALU_DEP_1)
	v_cndmask_b32_e64 v5, v5, 0xffffff82, vcc_lo
	v_add3_u32 v86, v86, v5, v17
	v_and_b32_e32 v5, 0x1fffff, v16
                                        ; implicit-def: $vgpr16
	s_delay_alu instid0(VALU_DEP_1) | instskip(SKIP_1) | instid1(VALU_DEP_2)
	v_dual_add_nc_u32 v17, 14, v86 :: v_dual_add_nc_u32 v4, v5, v4
	v_mov_b32_e32 v5, v3
	v_cmpx_ne_u32_e32 0, v17
	s_xor_b32 s13, exec_lo, s13
; %bb.4519:                             ;   in Loop: Header=BB4_3365 Depth=4
	s_delay_alu instid0(VALU_DEP_2) | instskip(SKIP_1) | instid1(VALU_DEP_1)
	v_cmp_lt_u64_e32 vcc_lo, 0xffffff, v[4:5]
	v_add_nc_u32_e32 v16, 15, v86
	v_cndmask_b32_e32 v16, v17, v16, vcc_lo
	v_cndmask_b32_e64 v17, 0, 1, vcc_lo
	s_delay_alu instid0(VALU_DEP_1)
	v_lshrrev_b64 v[4:5], v17, v[4:5]
; %bb.4520:                             ;   in Loop: Header=BB4_3365 Depth=4
	s_and_not1_saveexec_b32 s13, s13
; %bb.4521:                             ;   in Loop: Header=BB4_3365 Depth=4
	s_delay_alu instid0(VALU_DEP_1)
	v_bfe_u32 v16, v4, 23, 1
; %bb.4522:                             ;   in Loop: Header=BB4_3365 Depth=4
	s_or_b32 exec_lo, exec_lo, s13
	s_delay_alu instid0(VALU_DEP_2) | instskip(NEXT) | instid1(VALU_DEP_2)
	v_lshrrev_b64 v[4:5], 21, v[4:5]
	v_cmp_gt_i32_e32 vcc_lo, 32, v16
	v_min_i32_e32 v17, 31, v16
	v_cmp_eq_u32_e64 s13, 0, v16
	s_delay_alu instid0(VALU_DEP_4) | instskip(NEXT) | instid1(VALU_DEP_3)
	v_cndmask_b32_e32 v5, 0, v5, vcc_lo
	v_dual_cndmask_b32 v4, 3, v4 :: v_dual_lshlrev_b32 v17, 2, v17
	s_delay_alu instid0(VALU_DEP_1) | instskip(NEXT) | instid1(VALU_DEP_2)
	v_and_b32_e32 v17, 0xfc, v17
	v_cmp_eq_u64_e32 vcc_lo, 0, v[4:5]
	s_delay_alu instid0(VALU_DEP_2)
	v_and_or_b32 v4, v4, 3, v17
	s_and_b32 s13, s13, vcc_lo
	s_delay_alu instid0(VALU_DEP_1) | instid1(SALU_CYCLE_1)
	v_cndmask_b32_e64 v4, v4, 0, s13
	s_delay_alu instid0(VALU_DEP_1)
	v_or_b32_e32 v58, v4, v88
.LBB4_4523:                             ;   in Loop: Header=BB4_3365 Depth=4
	s_or_b32 exec_lo, exec_lo, s76
                                        ; implicit-def: $vgpr88
.LBB4_4524:                             ;   in Loop: Header=BB4_3365 Depth=4
	s_and_not1_saveexec_b32 s13, s75
; %bb.4525:                             ;   in Loop: Header=BB4_3365 Depth=4
	v_or_b32_e32 v58, 0x7b, v88
; %bb.4526:                             ;   in Loop: Header=BB4_3365 Depth=4
	s_or_b32 exec_lo, exec_lo, s13
                                        ; implicit-def: $vgpr16
                                        ; implicit-def: $vgpr4_vgpr5
                                        ; implicit-def: $vgpr17
.LBB4_4527:                             ;   in Loop: Header=BB4_3365 Depth=4
	s_and_not1_saveexec_b32 s13, s74
	s_cbranch_execz .LBB4_4533
; %bb.4528:                             ;   in Loop: Header=BB4_3365 Depth=4
	s_mov_b32 s74, exec_lo
                                        ; implicit-def: $vgpr58
	v_cmpx_ne_u64_e32 0, v[4:5]
	s_xor_b32 s74, exec_lo, s74
; %bb.4529:                             ;   in Loop: Header=BB4_3365 Depth=4
	v_or_b32_e32 v58, 0x7f, v17
                                        ; implicit-def: $vgpr16
; %bb.4530:                             ;   in Loop: Header=BB4_3365 Depth=4
	s_and_not1_saveexec_b32 s74, s74
; %bb.4531:                             ;   in Loop: Header=BB4_3365 Depth=4
	v_cmp_lt_i32_e32 vcc_lo, -1, v16
	v_cndmask_b32_e32 v58, 0xfc, v49, vcc_lo
; %bb.4532:                             ;   in Loop: Header=BB4_3365 Depth=4
	s_or_b32 exec_lo, exec_lo, s74
.LBB4_4533:                             ;   in Loop: Header=BB4_3365 Depth=4
	s_delay_alu instid0(SALU_CYCLE_1) | instskip(SKIP_3) | instid1(VALU_DEP_2)
	s_or_b32 exec_lo, exec_lo, s13
	v_lshrrev_b16 v4, 8, v62
	v_dual_mov_b32 v16, 0 :: v_dual_mov_b32 v17, 0
	s_mov_b32 s74, exec_lo
	v_cmpx_ne_u16_e32 0, v4
	s_cbranch_execz .LBB4_4543
; %bb.4534:                             ;   in Loop: Header=BB4_3365 Depth=4
	v_bfrev_b32_e32 v17, 1
	s_mov_b32 s75, exec_lo
	v_cmpx_ne_u16_e32 0x80, v4
	s_cbranch_execz .LBB4_4542
; %bb.4535:                             ;   in Loop: Header=BB4_3365 Depth=4
	v_and_b32_e32 v86, 0xffff, v4
	s_delay_alu instid0(VALU_DEP_1) | instskip(SKIP_1) | instid1(VALU_DEP_2)
	v_and_b32_e32 v17, 0x7c, v86
	v_and_b32_e32 v5, 3, v86
	v_cmp_ne_u32_e32 vcc_lo, 0x7c, v17
                                        ; implicit-def: $vgpr17
	s_and_saveexec_b32 s13, vcc_lo
	s_delay_alu instid0(SALU_CYCLE_1)
	s_xor_b32 s13, exec_lo, s13
	s_cbranch_execz .LBB4_4539
; %bb.4536:                             ;   in Loop: Header=BB4_3365 Depth=4
	v_bfe_u32 v17, v86, 2, 5
	s_mov_b32 s76, exec_lo
	s_delay_alu instid0(VALU_DEP_1)
	v_cmpx_eq_u32_e32 0, v17
	s_cbranch_execz .LBB4_4538
; %bb.4537:                             ;   in Loop: Header=BB4_3365 Depth=4
	v_clz_i32_u32_e32 v5, v5
	s_delay_alu instid0(VALU_DEP_1) | instskip(SKIP_1) | instid1(VALU_DEP_2)
	v_min_u32_e32 v17, 32, v5
	v_mov_b32_e32 v5, v3
	v_subrev_nc_u32_e32 v86, 29, v17
	v_sub_nc_u32_e32 v17, 30, v17
	s_delay_alu instid0(VALU_DEP_2) | instskip(NEXT) | instid1(VALU_DEP_1)
	v_lshlrev_b64_e32 v[4:5], v86, v[4:5]
	v_and_b32_e32 v5, 3, v4
.LBB4_4538:                             ;   in Loop: Header=BB4_3365 Depth=4
	s_or_b32 exec_lo, exec_lo, s76
	v_lshlrev_b32_e32 v4, 16, v62
                                        ; implicit-def: $vgpr62
	s_delay_alu instid0(VALU_DEP_1) | instskip(NEXT) | instid1(VALU_DEP_1)
	v_and_b32_e32 v4, 0x80000000, v4
	v_lshl_add_u32 v4, v17, 23, v4
	s_delay_alu instid0(VALU_DEP_1) | instskip(NEXT) | instid1(VALU_DEP_1)
	v_lshl_or_b32 v4, v5, 21, v4
                                        ; implicit-def: $vgpr5
	v_add_nc_u32_e32 v17, 0x38000000, v4
.LBB4_4539:                             ;   in Loop: Header=BB4_3365 Depth=4
	s_and_not1_saveexec_b32 s76, s13
; %bb.4540:                             ;   in Loop: Header=BB4_3365 Depth=4
	v_cmp_lt_i16_e64 s13, -1, v62
	v_cmp_eq_u32_e32 vcc_lo, 0, v5
	s_delay_alu instid0(VALU_DEP_2) | instskip(NEXT) | instid1(VALU_DEP_1)
	v_cndmask_b32_e64 v4, 0xff800000, v48, s13
	v_cndmask_b32_e32 v17, 0x7f800001, v4, vcc_lo
; %bb.4541:                             ;   in Loop: Header=BB4_3365 Depth=4
	s_or_b32 exec_lo, exec_lo, s76
.LBB4_4542:                             ;   in Loop: Header=BB4_3365 Depth=4
	s_delay_alu instid0(SALU_CYCLE_1)
	s_or_b32 exec_lo, exec_lo, s75
.LBB4_4543:                             ;   in Loop: Header=BB4_3365 Depth=4
	s_delay_alu instid0(SALU_CYCLE_1) | instskip(SKIP_2) | instid1(VALU_DEP_1)
	s_or_b32 exec_lo, exec_lo, s74
	v_lshrrev_b16 v4, 8, v13
	s_mov_b32 s74, exec_lo
	v_cmpx_ne_u16_e32 0, v4
	s_cbranch_execz .LBB4_4553
; %bb.4544:                             ;   in Loop: Header=BB4_3365 Depth=4
	v_bfrev_b32_e32 v16, 1
	s_mov_b32 s75, exec_lo
	v_cmpx_ne_u16_e32 0x80, v4
	s_cbranch_execz .LBB4_4552
; %bb.4545:                             ;   in Loop: Header=BB4_3365 Depth=4
	v_and_b32_e32 v86, 0xffff, v4
	s_delay_alu instid0(VALU_DEP_1) | instskip(SKIP_1) | instid1(VALU_DEP_2)
	v_and_b32_e32 v16, 0x7c, v86
	v_and_b32_e32 v5, 3, v86
	v_cmp_ne_u32_e32 vcc_lo, 0x7c, v16
                                        ; implicit-def: $vgpr16
	s_and_saveexec_b32 s13, vcc_lo
	s_delay_alu instid0(SALU_CYCLE_1)
	s_xor_b32 s13, exec_lo, s13
	s_cbranch_execz .LBB4_4549
; %bb.4546:                             ;   in Loop: Header=BB4_3365 Depth=4
	v_bfe_u32 v16, v86, 2, 5
	s_mov_b32 s76, exec_lo
	s_delay_alu instid0(VALU_DEP_1)
	v_cmpx_eq_u32_e32 0, v16
	s_cbranch_execz .LBB4_4548
; %bb.4547:                             ;   in Loop: Header=BB4_3365 Depth=4
	v_clz_i32_u32_e32 v5, v5
	s_delay_alu instid0(VALU_DEP_1) | instskip(SKIP_1) | instid1(VALU_DEP_2)
	v_min_u32_e32 v16, 32, v5
	v_mov_b32_e32 v5, v3
	v_subrev_nc_u32_e32 v86, 29, v16
	v_sub_nc_u32_e32 v16, 30, v16
	s_delay_alu instid0(VALU_DEP_2) | instskip(NEXT) | instid1(VALU_DEP_1)
	v_lshlrev_b64_e32 v[4:5], v86, v[4:5]
	v_and_b32_e32 v5, 3, v4
.LBB4_4548:                             ;   in Loop: Header=BB4_3365 Depth=4
	s_or_b32 exec_lo, exec_lo, s76
	v_lshlrev_b32_e32 v4, 16, v13
	s_delay_alu instid0(VALU_DEP_1) | instskip(NEXT) | instid1(VALU_DEP_1)
	v_and_b32_e32 v4, 0x80000000, v4
	v_lshl_add_u32 v4, v16, 23, v4
	s_delay_alu instid0(VALU_DEP_1) | instskip(NEXT) | instid1(VALU_DEP_1)
	v_lshl_or_b32 v4, v5, 21, v4
                                        ; implicit-def: $vgpr5
	v_add_nc_u32_e32 v16, 0x38000000, v4
.LBB4_4549:                             ;   in Loop: Header=BB4_3365 Depth=4
	s_and_not1_saveexec_b32 s76, s13
; %bb.4550:                             ;   in Loop: Header=BB4_3365 Depth=4
	v_cmp_lt_i16_e64 s13, -1, v13
	v_cmp_eq_u32_e32 vcc_lo, 0, v5
	s_delay_alu instid0(VALU_DEP_2) | instskip(NEXT) | instid1(VALU_DEP_1)
	v_cndmask_b32_e64 v4, 0xff800000, v48, s13
	v_cndmask_b32_e32 v16, 0x7f800001, v4, vcc_lo
; %bb.4551:                             ;   in Loop: Header=BB4_3365 Depth=4
	s_or_b32 exec_lo, exec_lo, s76
.LBB4_4552:                             ;   in Loop: Header=BB4_3365 Depth=4
	s_delay_alu instid0(SALU_CYCLE_1)
	s_or_b32 exec_lo, exec_lo, s75
.LBB4_4553:                             ;   in Loop: Header=BB4_3365 Depth=4
	s_delay_alu instid0(SALU_CYCLE_1) | instskip(NEXT) | instid1(VALU_DEP_1)
	s_or_b32 exec_lo, exec_lo, s74
	v_dual_add_f32 v16, v17, v16 :: v_dual_mov_b32 v87, v3
	v_mov_b32_e32 v5, v3
                                        ; implicit-def: $vgpr62
	s_mov_b32 s13, exec_lo
	s_delay_alu instid0(VALU_DEP_2) | instskip(SKIP_2) | instid1(VALU_DEP_3)
	v_and_b32_e32 v86, 0x7f800000, v16
	v_and_b32_e32 v4, 0x7fffff, v16
	v_lshrrev_b32_e32 v17, 24, v16
	v_cmpx_ne_u64_e32 0x7f800000, v[86:87]
	s_xor_b32 s74, exec_lo, s13
	s_cbranch_execz .LBB4_4567
; %bb.4554:                             ;   in Loop: Header=BB4_3365 Depth=4
	v_and_b32_e32 v86, 0x7fffffff, v16
	v_mov_b32_e32 v87, v3
	v_and_b32_e32 v88, 0x80, v17
                                        ; implicit-def: $vgpr62
	s_mov_b32 s13, exec_lo
	s_delay_alu instid0(VALU_DEP_2)
	v_cmpx_gt_u64_e32 0x47600001, v[86:87]
	s_xor_b32 s75, exec_lo, s13
	s_cbranch_execz .LBB4_4564
; %bb.4555:                             ;   in Loop: Header=BB4_3365 Depth=4
	v_mov_b32_e32 v62, 0
	s_mov_b32 s76, exec_lo
	v_cmpx_ne_u32_e32 0, v16
	s_cbranch_execz .LBB4_4563
; %bb.4556:                             ;   in Loop: Header=BB4_3365 Depth=4
	v_bfe_u32 v62, v16, 23, 8
	v_or_b32_e32 v17, 0x800000, v4
	s_delay_alu instid0(VALU_DEP_2) | instskip(SKIP_2) | instid1(VALU_DEP_2)
	v_cmp_gt_u32_e64 s13, 0x72, v62
	v_sub_nc_u32_e32 v16, 0x71, v62
	v_cmp_eq_u32_e32 vcc_lo, 0, v62
	v_cndmask_b32_e64 v16, 0, v16, s13
	s_delay_alu instid0(VALU_DEP_1) | instskip(NEXT) | instid1(VALU_DEP_1)
	v_cndmask_b32_e64 v86, v16, 0x70, vcc_lo
	v_dual_cndmask_b32 v4, v17, v4, vcc_lo :: v_dual_add_nc_u32 v16, 21, v86
	v_add_nc_u32_e32 v87, 20, v86
	s_delay_alu instid0(VALU_DEP_2) | instskip(NEXT) | instid1(VALU_DEP_2)
	v_lshlrev_b64_e64 v[16:17], v16, -1
	v_lshlrev_b64_e64 v[96:97], v87, 1
	s_delay_alu instid0(VALU_DEP_2) | instskip(SKIP_1) | instid1(VALU_DEP_4)
	v_bfi_b32 v16, v16, 0, v4
	v_lshrrev_b64 v[4:5], v86, v[4:5]
	v_bfi_b32 v17, v17, 0, 0
	s_delay_alu instid0(VALU_DEP_1) | instskip(NEXT) | instid1(VALU_DEP_3)
	v_cmp_eq_u64_e64 s13, v[16:17], v[96:97]
	v_mov_b64_e32 v[16:17], v[4:5]
	s_and_saveexec_b32 s77, s13
; %bb.4557:                             ;   in Loop: Header=BB4_3365 Depth=4
	v_bfe_u32 v16, v4, 21, 1
	v_mov_b32_e32 v17, v3
	s_delay_alu instid0(VALU_DEP_1) | instskip(NEXT) | instid1(VALU_DEP_1)
	v_add_nc_u64_e32 v[16:17], v[4:5], v[16:17]
	v_add_nc_u64_e32 v[16:17], -1, v[16:17]
; %bb.4558:                             ;   in Loop: Header=BB4_3365 Depth=4
	s_or_b32 exec_lo, exec_lo, s77
	v_add_nc_u32_e32 v5, 0xffffff81, v62
	v_lshrrev_b32_e32 v17, 23, v4
	s_mov_b32 s13, exec_lo
	s_delay_alu instid0(VALU_DEP_2) | instskip(NEXT) | instid1(VALU_DEP_1)
	v_cndmask_b32_e64 v5, v5, 0xffffff82, vcc_lo
	v_add3_u32 v86, v86, v5, v17
	v_and_b32_e32 v5, 0x1fffff, v16
                                        ; implicit-def: $vgpr16
	s_delay_alu instid0(VALU_DEP_1) | instskip(SKIP_1) | instid1(VALU_DEP_2)
	v_dual_add_nc_u32 v17, 14, v86 :: v_dual_add_nc_u32 v4, v5, v4
	v_mov_b32_e32 v5, v3
	v_cmpx_ne_u32_e32 0, v17
	s_xor_b32 s13, exec_lo, s13
; %bb.4559:                             ;   in Loop: Header=BB4_3365 Depth=4
	s_delay_alu instid0(VALU_DEP_2) | instskip(SKIP_1) | instid1(VALU_DEP_1)
	v_cmp_lt_u64_e32 vcc_lo, 0xffffff, v[4:5]
	v_add_nc_u32_e32 v16, 15, v86
	v_cndmask_b32_e32 v16, v17, v16, vcc_lo
	v_cndmask_b32_e64 v17, 0, 1, vcc_lo
	s_delay_alu instid0(VALU_DEP_1)
	v_lshrrev_b64 v[4:5], v17, v[4:5]
; %bb.4560:                             ;   in Loop: Header=BB4_3365 Depth=4
	s_and_not1_saveexec_b32 s13, s13
; %bb.4561:                             ;   in Loop: Header=BB4_3365 Depth=4
	s_delay_alu instid0(VALU_DEP_1)
	v_bfe_u32 v16, v4, 23, 1
; %bb.4562:                             ;   in Loop: Header=BB4_3365 Depth=4
	s_or_b32 exec_lo, exec_lo, s13
	s_delay_alu instid0(VALU_DEP_2) | instskip(NEXT) | instid1(VALU_DEP_2)
	v_lshrrev_b64 v[4:5], 21, v[4:5]
	v_cmp_gt_i32_e32 vcc_lo, 32, v16
	v_min_i32_e32 v17, 31, v16
	v_cmp_eq_u32_e64 s13, 0, v16
	s_delay_alu instid0(VALU_DEP_4) | instskip(NEXT) | instid1(VALU_DEP_3)
	v_cndmask_b32_e32 v5, 0, v5, vcc_lo
	v_dual_cndmask_b32 v4, 3, v4 :: v_dual_lshlrev_b32 v17, 2, v17
	s_delay_alu instid0(VALU_DEP_1) | instskip(NEXT) | instid1(VALU_DEP_2)
	v_and_b32_e32 v17, 0xfc, v17
	v_cmp_eq_u64_e32 vcc_lo, 0, v[4:5]
	s_delay_alu instid0(VALU_DEP_2)
	v_and_or_b32 v4, v4, 3, v17
	s_and_b32 s13, s13, vcc_lo
	s_delay_alu instid0(VALU_DEP_1) | instid1(SALU_CYCLE_1)
	v_cndmask_b32_e64 v4, v4, 0, s13
	s_delay_alu instid0(VALU_DEP_1)
	v_or_b32_e32 v62, v4, v88
.LBB4_4563:                             ;   in Loop: Header=BB4_3365 Depth=4
	s_or_b32 exec_lo, exec_lo, s76
                                        ; implicit-def: $vgpr88
.LBB4_4564:                             ;   in Loop: Header=BB4_3365 Depth=4
	s_and_not1_saveexec_b32 s13, s75
; %bb.4565:                             ;   in Loop: Header=BB4_3365 Depth=4
	v_or_b32_e32 v62, 0x7b, v88
; %bb.4566:                             ;   in Loop: Header=BB4_3365 Depth=4
	s_or_b32 exec_lo, exec_lo, s13
                                        ; implicit-def: $vgpr16
                                        ; implicit-def: $vgpr4_vgpr5
                                        ; implicit-def: $vgpr17
.LBB4_4567:                             ;   in Loop: Header=BB4_3365 Depth=4
	s_and_not1_saveexec_b32 s13, s74
	s_cbranch_execz .LBB4_4573
; %bb.4568:                             ;   in Loop: Header=BB4_3365 Depth=4
	s_mov_b32 s74, exec_lo
                                        ; implicit-def: $vgpr62
	v_cmpx_ne_u64_e32 0, v[4:5]
	s_xor_b32 s74, exec_lo, s74
; %bb.4569:                             ;   in Loop: Header=BB4_3365 Depth=4
	v_or_b32_e32 v62, 0x7f, v17
                                        ; implicit-def: $vgpr16
; %bb.4570:                             ;   in Loop: Header=BB4_3365 Depth=4
	s_and_not1_saveexec_b32 s74, s74
; %bb.4571:                             ;   in Loop: Header=BB4_3365 Depth=4
	v_cmp_lt_i32_e32 vcc_lo, -1, v16
	v_cndmask_b32_e32 v62, 0xfc, v49, vcc_lo
; %bb.4572:                             ;   in Loop: Header=BB4_3365 Depth=4
	s_or_b32 exec_lo, exec_lo, s74
.LBB4_4573:                             ;   in Loop: Header=BB4_3365 Depth=4
	s_delay_alu instid0(SALU_CYCLE_1) | instskip(SKIP_3) | instid1(VALU_DEP_2)
	s_or_b32 exec_lo, exec_lo, s13
	v_dual_mov_b32 v5, 0 :: v_dual_lshrrev_b32 v4, 16, v2
	v_mov_b32_e32 v16, 0
	s_mov_b32 s74, exec_lo
	v_and_b32_e32 v17, 0xff, v4
	s_delay_alu instid0(VALU_DEP_1)
	v_cmpx_ne_u16_e32 0, v17
	s_cbranch_execz .LBB4_4583
; %bb.4574:                             ;   in Loop: Header=BB4_3365 Depth=4
	v_bfrev_b32_e32 v16, 1
	s_mov_b32 s75, exec_lo
	v_cmpx_ne_u16_e32 0x80, v17
	s_cbranch_execz .LBB4_4582
; %bb.4575:                             ;   in Loop: Header=BB4_3365 Depth=4
	v_and_b32_e32 v16, 0x7c0000, v2
	v_bfe_u32 v17, v2, 16, 2
	s_delay_alu instid0(VALU_DEP_2) | instskip(SKIP_1) | instid1(SALU_CYCLE_1)
	v_cmp_ne_u32_e32 vcc_lo, 0x7c0000, v16
                                        ; implicit-def: $vgpr16
	s_and_saveexec_b32 s13, vcc_lo
	s_xor_b32 s13, exec_lo, s13
	s_cbranch_execz .LBB4_4579
; %bb.4576:                             ;   in Loop: Header=BB4_3365 Depth=4
	v_bfe_u32 v16, v2, 18, 5
	s_mov_b32 s76, exec_lo
	s_delay_alu instid0(VALU_DEP_1)
	v_cmpx_eq_u32_e32 0, v16
; %bb.4577:                             ;   in Loop: Header=BB4_3365 Depth=4
	v_clz_i32_u32_e32 v16, v17
	s_delay_alu instid0(VALU_DEP_1) | instskip(NEXT) | instid1(VALU_DEP_1)
	v_min_u32_e32 v16, 32, v16
	v_subrev_nc_u32_e32 v17, 29, v16
	s_delay_alu instid0(VALU_DEP_1) | instskip(NEXT) | instid1(VALU_DEP_1)
	v_lshlrev_b64_e32 v[86:87], v17, v[4:5]
	v_dual_sub_nc_u32 v16, 30, v16 :: v_dual_bitop2_b32 v17, 3, v86 bitop3:0x40
; %bb.4578:                             ;   in Loop: Header=BB4_3365 Depth=4
	s_or_b32 exec_lo, exec_lo, s76
	v_lshlrev_b32_e32 v4, 24, v4
	s_delay_alu instid0(VALU_DEP_1) | instskip(NEXT) | instid1(VALU_DEP_1)
	v_and_b32_e32 v4, 0x80000000, v4
	v_lshl_add_u32 v4, v16, 23, v4
	s_delay_alu instid0(VALU_DEP_1) | instskip(NEXT) | instid1(VALU_DEP_1)
	v_lshl_or_b32 v4, v17, 21, v4
                                        ; implicit-def: $vgpr17
	v_add_nc_u32_e32 v16, 0x38000000, v4
                                        ; implicit-def: $vgpr4
.LBB4_4579:                             ;   in Loop: Header=BB4_3365 Depth=4
	s_and_not1_saveexec_b32 s76, s13
; %bb.4580:                             ;   in Loop: Header=BB4_3365 Depth=4
	v_bfe_i32 v4, v4, 0, 8
	v_cmp_eq_u32_e32 vcc_lo, 0, v17
	s_delay_alu instid0(VALU_DEP_2) | instskip(NEXT) | instid1(VALU_DEP_1)
	v_cmp_lt_i16_e64 s13, -1, v4
	v_cndmask_b32_e64 v4, 0xff800000, v48, s13
	s_delay_alu instid0(VALU_DEP_1)
	v_cndmask_b32_e32 v16, 0x7f800001, v4, vcc_lo
; %bb.4581:                             ;   in Loop: Header=BB4_3365 Depth=4
	s_or_b32 exec_lo, exec_lo, s76
.LBB4_4582:                             ;   in Loop: Header=BB4_3365 Depth=4
	s_delay_alu instid0(SALU_CYCLE_1)
	s_or_b32 exec_lo, exec_lo, s75
.LBB4_4583:                             ;   in Loop: Header=BB4_3365 Depth=4
	s_delay_alu instid0(SALU_CYCLE_1) | instskip(SKIP_2) | instid1(VALU_DEP_1)
	s_or_b32 exec_lo, exec_lo, s74
	v_lshrrev_b32_e32 v4, 16, v13
	s_mov_b32 s74, exec_lo
	v_and_b32_e32 v17, 0xff, v4
	s_delay_alu instid0(VALU_DEP_1)
	v_cmpx_ne_u16_e32 0, v17
	s_cbranch_execz .LBB4_4593
; %bb.4584:                             ;   in Loop: Header=BB4_3365 Depth=4
	v_bfrev_b32_e32 v5, 1
	s_mov_b32 s75, exec_lo
	v_cmpx_ne_u16_e32 0x80, v17
	s_cbranch_execz .LBB4_4592
; %bb.4585:                             ;   in Loop: Header=BB4_3365 Depth=4
	v_and_b32_e32 v5, 0x7c0000, v13
	v_bfe_u32 v17, v13, 16, 2
	s_delay_alu instid0(VALU_DEP_2) | instskip(SKIP_1) | instid1(SALU_CYCLE_1)
	v_cmp_ne_u32_e32 vcc_lo, 0x7c0000, v5
                                        ; implicit-def: $vgpr5
	s_and_saveexec_b32 s13, vcc_lo
	s_xor_b32 s13, exec_lo, s13
	s_cbranch_execz .LBB4_4589
; %bb.4586:                             ;   in Loop: Header=BB4_3365 Depth=4
	v_bfe_u32 v5, v13, 18, 5
	s_mov_b32 s76, exec_lo
	s_delay_alu instid0(VALU_DEP_1)
	v_cmpx_eq_u32_e32 0, v5
; %bb.4587:                             ;   in Loop: Header=BB4_3365 Depth=4
	v_clz_i32_u32_e32 v5, v17
	s_delay_alu instid0(VALU_DEP_1) | instskip(NEXT) | instid1(VALU_DEP_1)
	v_min_u32_e32 v5, 32, v5
	v_subrev_nc_u32_e32 v17, 29, v5
	s_delay_alu instid0(VALU_DEP_1) | instskip(NEXT) | instid1(VALU_DEP_1)
	v_lshlrev_b64_e32 v[86:87], v17, v[4:5]
	v_dual_sub_nc_u32 v5, 30, v5 :: v_dual_bitop2_b32 v17, 3, v86 bitop3:0x40
; %bb.4588:                             ;   in Loop: Header=BB4_3365 Depth=4
	s_or_b32 exec_lo, exec_lo, s76
	v_lshlrev_b32_e32 v4, 24, v4
	s_delay_alu instid0(VALU_DEP_1) | instskip(NEXT) | instid1(VALU_DEP_1)
	v_and_b32_e32 v4, 0x80000000, v4
	v_lshl_add_u32 v4, v5, 23, v4
	s_delay_alu instid0(VALU_DEP_1) | instskip(NEXT) | instid1(VALU_DEP_1)
	v_lshl_or_b32 v4, v17, 21, v4
                                        ; implicit-def: $vgpr17
	v_add_nc_u32_e32 v5, 0x38000000, v4
                                        ; implicit-def: $vgpr4
.LBB4_4589:                             ;   in Loop: Header=BB4_3365 Depth=4
	s_and_not1_saveexec_b32 s76, s13
; %bb.4590:                             ;   in Loop: Header=BB4_3365 Depth=4
	v_bfe_i32 v4, v4, 0, 8
	v_cmp_eq_u32_e32 vcc_lo, 0, v17
	s_delay_alu instid0(VALU_DEP_2) | instskip(NEXT) | instid1(VALU_DEP_1)
	v_cmp_lt_i16_e64 s13, -1, v4
	v_cndmask_b32_e64 v4, 0xff800000, v48, s13
	s_delay_alu instid0(VALU_DEP_1)
	v_cndmask_b32_e32 v5, 0x7f800001, v4, vcc_lo
; %bb.4591:                             ;   in Loop: Header=BB4_3365 Depth=4
	s_or_b32 exec_lo, exec_lo, s76
.LBB4_4592:                             ;   in Loop: Header=BB4_3365 Depth=4
	s_delay_alu instid0(SALU_CYCLE_1)
	s_or_b32 exec_lo, exec_lo, s75
.LBB4_4593:                             ;   in Loop: Header=BB4_3365 Depth=4
	s_delay_alu instid0(SALU_CYCLE_1) | instskip(NEXT) | instid1(VALU_DEP_1)
	s_or_b32 exec_lo, exec_lo, s74
	v_dual_add_f32 v17, v16, v5 :: v_dual_mov_b32 v87, v3
	v_mov_b32_e32 v5, v3
                                        ; implicit-def: $vgpr16
	s_delay_alu instid0(VALU_DEP_2) | instskip(SKIP_1) | instid1(VALU_DEP_2)
	v_and_b32_e32 v86, 0x7f800000, v17
	v_and_b32_e32 v4, 0x7fffff, v17
	v_cmp_ne_u64_e32 vcc_lo, 0x7f800000, v[86:87]
	v_lshrrev_b32_e32 v86, 24, v17
	s_and_saveexec_b32 s13, vcc_lo
	s_delay_alu instid0(SALU_CYCLE_1)
	s_xor_b32 s74, exec_lo, s13
	s_cbranch_execz .LBB4_4607
; %bb.4594:                             ;   in Loop: Header=BB4_3365 Depth=4
	v_and_b32_e32 v96, 0x7fffffff, v17
	v_mov_b32_e32 v97, v3
	v_and_b32_e32 v88, 0x80, v86
                                        ; implicit-def: $vgpr16
	s_mov_b32 s13, exec_lo
	s_delay_alu instid0(VALU_DEP_2)
	v_cmpx_gt_u64_e32 0x47600001, v[96:97]
	s_xor_b32 s75, exec_lo, s13
	s_cbranch_execz .LBB4_4604
; %bb.4595:                             ;   in Loop: Header=BB4_3365 Depth=4
	v_mov_b32_e32 v16, 0
	s_mov_b32 s76, exec_lo
	v_cmpx_ne_u32_e32 0, v17
	s_cbranch_execz .LBB4_4603
; %bb.4596:                             ;   in Loop: Header=BB4_3365 Depth=4
	v_bfe_u32 v89, v17, 23, 8
	v_or_b32_e32 v17, 0x800000, v4
	s_delay_alu instid0(VALU_DEP_2) | instskip(SKIP_2) | instid1(VALU_DEP_2)
	v_cmp_gt_u32_e64 s13, 0x72, v89
	v_sub_nc_u32_e32 v16, 0x71, v89
	v_cmp_eq_u32_e32 vcc_lo, 0, v89
	v_cndmask_b32_e64 v16, 0, v16, s13
	s_delay_alu instid0(VALU_DEP_1) | instskip(NEXT) | instid1(VALU_DEP_1)
	v_cndmask_b32_e64 v86, v16, 0x70, vcc_lo
	v_dual_cndmask_b32 v4, v17, v4, vcc_lo :: v_dual_add_nc_u32 v16, 21, v86
	v_add_nc_u32_e32 v87, 20, v86
	s_delay_alu instid0(VALU_DEP_2) | instskip(NEXT) | instid1(VALU_DEP_2)
	v_lshlrev_b64_e64 v[16:17], v16, -1
	v_lshlrev_b64_e64 v[96:97], v87, 1
	s_delay_alu instid0(VALU_DEP_2) | instskip(SKIP_1) | instid1(VALU_DEP_4)
	v_bfi_b32 v16, v16, 0, v4
	v_lshrrev_b64 v[4:5], v86, v[4:5]
	v_bfi_b32 v17, v17, 0, 0
	s_delay_alu instid0(VALU_DEP_1) | instskip(NEXT) | instid1(VALU_DEP_3)
	v_cmp_eq_u64_e64 s13, v[16:17], v[96:97]
	v_mov_b64_e32 v[16:17], v[4:5]
	s_and_saveexec_b32 s77, s13
; %bb.4597:                             ;   in Loop: Header=BB4_3365 Depth=4
	v_bfe_u32 v16, v4, 21, 1
	v_mov_b32_e32 v17, v3
	s_delay_alu instid0(VALU_DEP_1) | instskip(NEXT) | instid1(VALU_DEP_1)
	v_add_nc_u64_e32 v[16:17], v[4:5], v[16:17]
	v_add_nc_u64_e32 v[16:17], -1, v[16:17]
; %bb.4598:                             ;   in Loop: Header=BB4_3365 Depth=4
	s_or_b32 exec_lo, exec_lo, s77
	v_add_nc_u32_e32 v5, 0xffffff81, v89
	v_lshrrev_b32_e32 v17, 23, v4
	s_mov_b32 s13, exec_lo
	s_delay_alu instid0(VALU_DEP_2) | instskip(NEXT) | instid1(VALU_DEP_1)
	v_cndmask_b32_e64 v5, v5, 0xffffff82, vcc_lo
	v_add3_u32 v86, v86, v5, v17
	v_and_b32_e32 v5, 0x1fffff, v16
                                        ; implicit-def: $vgpr16
	s_delay_alu instid0(VALU_DEP_1) | instskip(SKIP_1) | instid1(VALU_DEP_2)
	v_dual_add_nc_u32 v17, 14, v86 :: v_dual_add_nc_u32 v4, v5, v4
	v_mov_b32_e32 v5, v3
	v_cmpx_ne_u32_e32 0, v17
	s_xor_b32 s13, exec_lo, s13
; %bb.4599:                             ;   in Loop: Header=BB4_3365 Depth=4
	s_delay_alu instid0(VALU_DEP_2) | instskip(SKIP_1) | instid1(VALU_DEP_1)
	v_cmp_lt_u64_e32 vcc_lo, 0xffffff, v[4:5]
	v_add_nc_u32_e32 v16, 15, v86
	v_cndmask_b32_e32 v16, v17, v16, vcc_lo
	v_cndmask_b32_e64 v17, 0, 1, vcc_lo
	s_delay_alu instid0(VALU_DEP_1)
	v_lshrrev_b64 v[4:5], v17, v[4:5]
; %bb.4600:                             ;   in Loop: Header=BB4_3365 Depth=4
	s_and_not1_saveexec_b32 s13, s13
; %bb.4601:                             ;   in Loop: Header=BB4_3365 Depth=4
	s_delay_alu instid0(VALU_DEP_1)
	v_bfe_u32 v16, v4, 23, 1
; %bb.4602:                             ;   in Loop: Header=BB4_3365 Depth=4
	s_or_b32 exec_lo, exec_lo, s13
	s_delay_alu instid0(VALU_DEP_2) | instskip(NEXT) | instid1(VALU_DEP_2)
	v_lshrrev_b64 v[4:5], 21, v[4:5]
	v_cmp_gt_i32_e32 vcc_lo, 32, v16
	v_min_i32_e32 v17, 31, v16
	v_cmp_eq_u32_e64 s13, 0, v16
	s_delay_alu instid0(VALU_DEP_4) | instskip(NEXT) | instid1(VALU_DEP_3)
	v_cndmask_b32_e32 v5, 0, v5, vcc_lo
	v_dual_cndmask_b32 v4, 3, v4 :: v_dual_lshlrev_b32 v17, 2, v17
	s_delay_alu instid0(VALU_DEP_1) | instskip(NEXT) | instid1(VALU_DEP_2)
	v_and_b32_e32 v17, 0xfc, v17
	v_cmp_eq_u64_e32 vcc_lo, 0, v[4:5]
	s_delay_alu instid0(VALU_DEP_2)
	v_and_or_b32 v4, v4, 3, v17
	s_and_b32 s13, s13, vcc_lo
	s_delay_alu instid0(VALU_DEP_1) | instid1(SALU_CYCLE_1)
	v_cndmask_b32_e64 v4, v4, 0, s13
	s_delay_alu instid0(VALU_DEP_1)
	v_or_b32_e32 v16, v4, v88
.LBB4_4603:                             ;   in Loop: Header=BB4_3365 Depth=4
	s_or_b32 exec_lo, exec_lo, s76
                                        ; implicit-def: $vgpr88
.LBB4_4604:                             ;   in Loop: Header=BB4_3365 Depth=4
	s_and_not1_saveexec_b32 s13, s75
; %bb.4605:                             ;   in Loop: Header=BB4_3365 Depth=4
	v_or_b32_e32 v16, 0x7b, v88
; %bb.4606:                             ;   in Loop: Header=BB4_3365 Depth=4
	s_or_b32 exec_lo, exec_lo, s13
                                        ; implicit-def: $vgpr17
                                        ; implicit-def: $vgpr4_vgpr5
                                        ; implicit-def: $vgpr86
.LBB4_4607:                             ;   in Loop: Header=BB4_3365 Depth=4
	s_and_not1_saveexec_b32 s13, s74
	s_cbranch_execz .LBB4_4613
; %bb.4608:                             ;   in Loop: Header=BB4_3365 Depth=4
	s_mov_b32 s74, exec_lo
                                        ; implicit-def: $vgpr16
	v_cmpx_ne_u64_e32 0, v[4:5]
	s_xor_b32 s74, exec_lo, s74
; %bb.4609:                             ;   in Loop: Header=BB4_3365 Depth=4
	v_or_b32_e32 v16, 0x7f, v86
                                        ; implicit-def: $vgpr17
; %bb.4610:                             ;   in Loop: Header=BB4_3365 Depth=4
	s_and_not1_saveexec_b32 s74, s74
; %bb.4611:                             ;   in Loop: Header=BB4_3365 Depth=4
	v_cmp_lt_i32_e32 vcc_lo, -1, v17
	v_cndmask_b32_e32 v16, 0xfc, v49, vcc_lo
; %bb.4612:                             ;   in Loop: Header=BB4_3365 Depth=4
	s_or_b32 exec_lo, exec_lo, s74
.LBB4_4613:                             ;   in Loop: Header=BB4_3365 Depth=4
	s_delay_alu instid0(SALU_CYCLE_1)
	s_or_b32 exec_lo, exec_lo, s13
	v_dual_mov_b32 v5, 0 :: v_dual_mov_b32 v17, 0
	s_mov_b32 s74, exec_lo
	v_cmpx_lt_u32_e32 0xffffff, v2
	s_cbranch_execz .LBB4_4623
; %bb.4614:                             ;   in Loop: Header=BB4_3365 Depth=4
	v_lshrrev_b32_e32 v4, 24, v2
	v_bfrev_b32_e32 v17, 1
	s_mov_b32 s75, exec_lo
	s_delay_alu instid0(VALU_DEP_2)
	v_cmpx_ne_u32_e32 0x80, v4
	s_cbranch_execz .LBB4_4622
; %bb.4615:                             ;   in Loop: Header=BB4_3365 Depth=4
	v_and_b32_e32 v17, 0x7c000000, v2
	v_bfe_u32 v86, v2, 24, 2
	s_delay_alu instid0(VALU_DEP_2) | instskip(SKIP_1) | instid1(SALU_CYCLE_1)
	v_cmp_ne_u32_e32 vcc_lo, 0x7c000000, v17
                                        ; implicit-def: $vgpr17
	s_and_saveexec_b32 s13, vcc_lo
	s_xor_b32 s13, exec_lo, s13
	s_cbranch_execz .LBB4_4619
; %bb.4616:                             ;   in Loop: Header=BB4_3365 Depth=4
	v_bfe_u32 v17, v2, 26, 5
	s_mov_b32 s76, exec_lo
	s_delay_alu instid0(VALU_DEP_1)
	v_cmpx_eq_u32_e32 0, v17
; %bb.4617:                             ;   in Loop: Header=BB4_3365 Depth=4
	v_clz_i32_u32_e32 v17, v86
	s_delay_alu instid0(VALU_DEP_1) | instskip(NEXT) | instid1(VALU_DEP_1)
	v_min_u32_e32 v17, 32, v17
	v_subrev_nc_u32_e32 v86, 29, v17
	s_delay_alu instid0(VALU_DEP_1) | instskip(NEXT) | instid1(VALU_DEP_1)
	v_lshlrev_b64_e32 v[86:87], v86, v[4:5]
	v_dual_sub_nc_u32 v17, 30, v17 :: v_dual_bitop2_b32 v86, 3, v86 bitop3:0x40
; %bb.4618:                             ;   in Loop: Header=BB4_3365 Depth=4
	s_or_b32 exec_lo, exec_lo, s76
	v_and_b32_e32 v2, 0x80000000, v2
	s_delay_alu instid0(VALU_DEP_1) | instskip(NEXT) | instid1(VALU_DEP_1)
	v_lshl_add_u32 v2, v17, 23, v2
	v_lshl_or_b32 v2, v86, 21, v2
                                        ; implicit-def: $vgpr86
	s_delay_alu instid0(VALU_DEP_1)
	v_add_nc_u32_e32 v17, 0x38000000, v2
.LBB4_4619:                             ;   in Loop: Header=BB4_3365 Depth=4
	s_and_not1_saveexec_b32 s76, s13
; %bb.4620:                             ;   in Loop: Header=BB4_3365 Depth=4
	v_cmp_lt_i32_e64 s13, -1, v2
	v_cmp_eq_u32_e32 vcc_lo, 0, v86
	s_delay_alu instid0(VALU_DEP_2) | instskip(NEXT) | instid1(VALU_DEP_1)
	v_cndmask_b32_e64 v2, 0xff800000, v48, s13
	v_cndmask_b32_e32 v17, 0x7f800001, v2, vcc_lo
; %bb.4621:                             ;   in Loop: Header=BB4_3365 Depth=4
	s_or_b32 exec_lo, exec_lo, s76
.LBB4_4622:                             ;   in Loop: Header=BB4_3365 Depth=4
	s_delay_alu instid0(SALU_CYCLE_1)
	s_or_b32 exec_lo, exec_lo, s75
.LBB4_4623:                             ;   in Loop: Header=BB4_3365 Depth=4
	s_delay_alu instid0(SALU_CYCLE_1) | instskip(NEXT) | instid1(SALU_CYCLE_1)
	s_or_b32 exec_lo, exec_lo, s74
	s_mov_b32 s74, exec_lo
	v_cmpx_lt_u64_e64 s[22:23], v[12:13]
	s_cbranch_execz .LBB4_4633
; %bb.4624:                             ;   in Loop: Header=BB4_3365 Depth=4
	v_lshrrev_b32_e32 v2, 24, v13
	v_bfrev_b32_e32 v5, 1
	s_mov_b32 s75, exec_lo
	s_delay_alu instid0(VALU_DEP_2)
	v_cmpx_ne_u32_e32 0x80, v2
	s_cbranch_execz .LBB4_4632
; %bb.4625:                             ;   in Loop: Header=BB4_3365 Depth=4
	v_and_b32_e32 v5, 0x7c000000, v13
	v_bfe_u32 v4, v13, 24, 2
	s_delay_alu instid0(VALU_DEP_2) | instskip(SKIP_1) | instid1(SALU_CYCLE_1)
	v_cmp_ne_u32_e32 vcc_lo, 0x7c000000, v5
                                        ; implicit-def: $vgpr5
	s_and_saveexec_b32 s13, vcc_lo
	s_xor_b32 s13, exec_lo, s13
	s_cbranch_execz .LBB4_4629
; %bb.4626:                             ;   in Loop: Header=BB4_3365 Depth=4
	v_bfe_u32 v5, v13, 26, 5
	s_mov_b32 s76, exec_lo
	s_delay_alu instid0(VALU_DEP_1)
	v_cmpx_eq_u32_e32 0, v5
; %bb.4627:                             ;   in Loop: Header=BB4_3365 Depth=4
	v_clz_i32_u32_e32 v4, v4
	s_delay_alu instid0(VALU_DEP_1) | instskip(NEXT) | instid1(VALU_DEP_1)
	v_min_u32_e32 v86, 32, v4
	v_subrev_nc_u32_e32 v4, 29, v86
	s_delay_alu instid0(VALU_DEP_1) | instskip(NEXT) | instid1(VALU_DEP_1)
	v_lshlrev_b64_e32 v[4:5], v4, v[2:3]
	v_dual_sub_nc_u32 v5, 30, v86 :: v_dual_bitop2_b32 v4, 3, v4 bitop3:0x40
; %bb.4628:                             ;   in Loop: Header=BB4_3365 Depth=4
	s_or_b32 exec_lo, exec_lo, s76
	v_and_b32_e32 v2, 0x80000000, v13
	s_delay_alu instid0(VALU_DEP_1) | instskip(NEXT) | instid1(VALU_DEP_1)
	v_lshl_add_u32 v2, v5, 23, v2
	v_lshl_or_b32 v2, v4, 21, v2
                                        ; implicit-def: $vgpr4
	s_delay_alu instid0(VALU_DEP_1)
	v_add_nc_u32_e32 v5, 0x38000000, v2
.LBB4_4629:                             ;   in Loop: Header=BB4_3365 Depth=4
	s_and_not1_saveexec_b32 s76, s13
; %bb.4630:                             ;   in Loop: Header=BB4_3365 Depth=4
	v_cmp_lt_i64_e64 s13, -1, v[12:13]
	v_cmp_eq_u32_e32 vcc_lo, 0, v4
	s_delay_alu instid0(VALU_DEP_2) | instskip(NEXT) | instid1(VALU_DEP_1)
	v_cndmask_b32_e64 v2, 0xff800000, v48, s13
	v_cndmask_b32_e32 v5, 0x7f800001, v2, vcc_lo
; %bb.4631:                             ;   in Loop: Header=BB4_3365 Depth=4
	s_or_b32 exec_lo, exec_lo, s76
.LBB4_4632:                             ;   in Loop: Header=BB4_3365 Depth=4
	s_delay_alu instid0(SALU_CYCLE_1)
	s_or_b32 exec_lo, exec_lo, s75
.LBB4_4633:                             ;   in Loop: Header=BB4_3365 Depth=4
	s_delay_alu instid0(SALU_CYCLE_1) | instskip(NEXT) | instid1(VALU_DEP_1)
	s_or_b32 exec_lo, exec_lo, s74
	v_dual_add_f32 v4, v17, v5 :: v_dual_mov_b32 v13, v3
                                        ; implicit-def: $vgpr17
	s_mov_b32 s13, exec_lo
	s_delay_alu instid0(VALU_DEP_1) | instskip(SKIP_2) | instid1(VALU_DEP_3)
	v_and_b32_e32 v12, 0x7f800000, v4
	v_and_b32_e32 v2, 0x7fffff, v4
	v_lshrrev_b32_e32 v5, 24, v4
	v_cmpx_ne_u64_e32 0x7f800000, v[12:13]
	s_xor_b32 s74, exec_lo, s13
	s_cbranch_execz .LBB4_4647
; %bb.4634:                             ;   in Loop: Header=BB4_3365 Depth=4
	v_and_b32_e32 v12, 0x7fffffff, v4
	v_mov_b32_e32 v13, v3
	v_and_b32_e32 v88, 0x80, v5
                                        ; implicit-def: $vgpr17
	s_mov_b32 s13, exec_lo
	s_delay_alu instid0(VALU_DEP_2)
	v_cmpx_gt_u64_e32 0x47600001, v[12:13]
	s_xor_b32 s75, exec_lo, s13
	s_cbranch_execz .LBB4_4644
; %bb.4635:                             ;   in Loop: Header=BB4_3365 Depth=4
	v_mov_b32_e32 v17, 0
	s_mov_b32 s76, exec_lo
	v_cmpx_ne_u32_e32 0, v4
	s_cbranch_execz .LBB4_4643
; %bb.4636:                             ;   in Loop: Header=BB4_3365 Depth=4
	v_bfe_u32 v17, v4, 23, 8
	v_or_b32_e32 v5, 0x800000, v2
	s_delay_alu instid0(VALU_DEP_2) | instskip(SKIP_2) | instid1(VALU_DEP_2)
	v_cmp_gt_u32_e64 s13, 0x72, v17
	v_sub_nc_u32_e32 v4, 0x71, v17
	v_cmp_eq_u32_e32 vcc_lo, 0, v17
	v_cndmask_b32_e64 v4, 0, v4, s13
	s_delay_alu instid0(VALU_DEP_1) | instskip(SKIP_1) | instid1(VALU_DEP_2)
	v_cndmask_b32_e64 v89, v4, 0x70, vcc_lo
	v_dual_cndmask_b32 v4, v5, v2 :: v_dual_mov_b32 v5, v3
	v_add_nc_u32_e32 v2, 21, v89
	s_delay_alu instid0(VALU_DEP_1) | instskip(SKIP_1) | instid1(VALU_DEP_1)
	v_lshlrev_b64_e64 v[12:13], v2, -1
	v_add_nc_u32_e32 v2, 20, v89
	v_lshlrev_b64_e64 v[86:87], v2, 1
	s_delay_alu instid0(VALU_DEP_3) | instskip(SKIP_2) | instid1(VALU_DEP_1)
	v_bfi_b32 v12, v12, 0, v4
	v_lshrrev_b64 v[4:5], v89, v[4:5]
	v_bfi_b32 v13, v13, 0, 0
	v_cmp_eq_u64_e64 s13, v[12:13], v[86:87]
	s_delay_alu instid0(VALU_DEP_3)
	v_mov_b64_e32 v[12:13], v[4:5]
	s_and_saveexec_b32 s77, s13
; %bb.4637:                             ;   in Loop: Header=BB4_3365 Depth=4
	v_bfe_u32 v12, v4, 21, 1
	v_mov_b32_e32 v13, v3
	s_delay_alu instid0(VALU_DEP_1) | instskip(NEXT) | instid1(VALU_DEP_1)
	v_add_nc_u64_e32 v[12:13], v[4:5], v[12:13]
	v_add_nc_u64_e32 v[12:13], -1, v[12:13]
; %bb.4638:                             ;   in Loop: Header=BB4_3365 Depth=4
	s_or_b32 exec_lo, exec_lo, s77
	v_add_nc_u32_e32 v2, 0xffffff81, v17
	v_lshrrev_b32_e32 v5, 23, v4
	s_mov_b32 s13, exec_lo
	s_delay_alu instid0(VALU_DEP_2) | instskip(NEXT) | instid1(VALU_DEP_1)
	v_cndmask_b32_e64 v2, v2, 0xffffff82, vcc_lo
	v_add3_u32 v17, v89, v2, v5
	v_and_b32_e32 v2, 0x1fffff, v12
                                        ; implicit-def: $vgpr12
	s_delay_alu instid0(VALU_DEP_1) | instskip(NEXT) | instid1(VALU_DEP_1)
	v_dual_add_nc_u32 v13, 14, v17 :: v_dual_add_nc_u32 v2, v2, v4
                                        ; implicit-def: $vgpr4_vgpr5
	v_cmpx_ne_u32_e32 0, v13
	s_xor_b32 s13, exec_lo, s13
; %bb.4639:                             ;   in Loop: Header=BB4_3365 Depth=4
	s_delay_alu instid0(VALU_DEP_2) | instskip(SKIP_1) | instid1(VALU_DEP_1)
	v_cmp_lt_u64_e32 vcc_lo, 0xffffff, v[2:3]
	v_add_nc_u32_e32 v4, 15, v17
	v_cndmask_b32_e32 v12, v13, v4, vcc_lo
	v_cndmask_b32_e64 v4, 0, 1, vcc_lo
	s_delay_alu instid0(VALU_DEP_1)
	v_lshrrev_b64 v[4:5], v4, v[2:3]
; %bb.4640:                             ;   in Loop: Header=BB4_3365 Depth=4
	s_and_not1_saveexec_b32 s13, s13
; %bb.4641:                             ;   in Loop: Header=BB4_3365 Depth=4
	v_mov_b64_e32 v[4:5], v[2:3]
	v_bfe_u32 v12, v2, 23, 1
; %bb.4642:                             ;   in Loop: Header=BB4_3365 Depth=4
	s_or_b32 exec_lo, exec_lo, s13
	s_delay_alu instid0(VALU_DEP_2) | instskip(NEXT) | instid1(VALU_DEP_2)
	v_lshrrev_b64 v[4:5], 21, v[4:5]
	v_cmp_gt_i32_e32 vcc_lo, 32, v12
	v_min_i32_e32 v2, 31, v12
	v_cmp_eq_u32_e64 s13, 0, v12
	s_delay_alu instid0(VALU_DEP_2) | instskip(SKIP_1) | instid1(VALU_DEP_2)
	v_dual_cndmask_b32 v5, 0, v5 :: v_dual_lshlrev_b32 v2, 2, v2
	v_cndmask_b32_e32 v4, 3, v4, vcc_lo
	v_and_b32_e32 v2, 0xfc, v2
	s_delay_alu instid0(VALU_DEP_2) | instskip(NEXT) | instid1(VALU_DEP_2)
	v_cmp_eq_u64_e32 vcc_lo, 0, v[4:5]
	v_and_or_b32 v2, v4, 3, v2
	s_and_b32 s13, s13, vcc_lo
	s_delay_alu instid0(VALU_DEP_1) | instid1(SALU_CYCLE_1)
	v_cndmask_b32_e64 v2, v2, 0, s13
	s_delay_alu instid0(VALU_DEP_1)
	v_or_b32_e32 v17, v2, v88
.LBB4_4643:                             ;   in Loop: Header=BB4_3365 Depth=4
	s_or_b32 exec_lo, exec_lo, s76
                                        ; implicit-def: $vgpr88
.LBB4_4644:                             ;   in Loop: Header=BB4_3365 Depth=4
	s_and_not1_saveexec_b32 s13, s75
; %bb.4645:                             ;   in Loop: Header=BB4_3365 Depth=4
	v_or_b32_e32 v17, 0x7b, v88
; %bb.4646:                             ;   in Loop: Header=BB4_3365 Depth=4
	s_or_b32 exec_lo, exec_lo, s13
                                        ; implicit-def: $vgpr4
                                        ; implicit-def: $vgpr5
.LBB4_4647:                             ;   in Loop: Header=BB4_3365 Depth=4
	s_and_not1_saveexec_b32 s13, s74
	s_cbranch_execz .LBB4_4653
; %bb.4648:                             ;   in Loop: Header=BB4_3365 Depth=4
	s_mov_b32 s74, exec_lo
                                        ; implicit-def: $vgpr17
	v_cmpx_ne_u64_e32 0, v[2:3]
	s_xor_b32 s74, exec_lo, s74
; %bb.4649:                             ;   in Loop: Header=BB4_3365 Depth=4
	v_or_b32_e32 v17, 0x7f, v5
                                        ; implicit-def: $vgpr4
; %bb.4650:                             ;   in Loop: Header=BB4_3365 Depth=4
	s_and_not1_saveexec_b32 s74, s74
; %bb.4651:                             ;   in Loop: Header=BB4_3365 Depth=4
	v_cmp_lt_i32_e32 vcc_lo, -1, v4
	v_cndmask_b32_e32 v17, 0xfc, v49, vcc_lo
; %bb.4652:                             ;   in Loop: Header=BB4_3365 Depth=4
	s_or_b32 exec_lo, exec_lo, s74
.LBB4_4653:                             ;   in Loop: Header=BB4_3365 Depth=4
	s_delay_alu instid0(SALU_CYCLE_1) | instskip(SKIP_4) | instid1(VALU_DEP_2)
	s_or_b32 exec_lo, exec_lo, s13
	v_lshl_or_b32 v76, v76, 8, v74
	v_dual_lshlrev_b32 v2, 16, v78 :: v_dual_lshlrev_b32 v4, 24, v79
	s_mov_b32 s74, exec_lo
	v_mov_b32_e32 v5, 0
	v_or3_b32 v2, v2, v4, v76
	v_mov_b32_e32 v4, 0
	v_cmpx_ne_u32_e32 0, v74
	s_cbranch_execz .LBB4_4663
; %bb.4654:                             ;   in Loop: Header=BB4_3365 Depth=4
	v_bfrev_b32_e32 v5, 1
	s_mov_b32 s75, exec_lo
	v_cmpx_ne_u32_e32 0x80, v74
	s_cbranch_execz .LBB4_4662
; %bb.4655:                             ;   in Loop: Header=BB4_3365 Depth=4
	v_and_b32_e32 v5, 0x7c, v74
	v_and_b32_e32 v12, 3, v74
	s_delay_alu instid0(VALU_DEP_2) | instskip(SKIP_1) | instid1(SALU_CYCLE_1)
	v_cmp_ne_u32_e32 vcc_lo, 0x7c, v5
                                        ; implicit-def: $vgpr5
	s_and_saveexec_b32 s13, vcc_lo
	s_xor_b32 s13, exec_lo, s13
	s_cbranch_execz .LBB4_4659
; %bb.4656:                             ;   in Loop: Header=BB4_3365 Depth=4
	v_bfe_u32 v5, v74, 2, 5
	s_mov_b32 s76, exec_lo
	s_delay_alu instid0(VALU_DEP_1)
	v_cmpx_eq_u32_e32 0, v5
; %bb.4657:                             ;   in Loop: Header=BB4_3365 Depth=4
	v_clz_i32_u32_e32 v5, v12
	s_delay_alu instid0(VALU_DEP_1) | instskip(NEXT) | instid1(VALU_DEP_1)
	v_min_u32_e32 v5, 32, v5
	v_subrev_nc_u32_e32 v12, 29, v5
	s_delay_alu instid0(VALU_DEP_1) | instskip(NEXT) | instid1(VALU_DEP_1)
	v_lshlrev_b64_e32 v[12:13], v12, v[2:3]
	v_dual_sub_nc_u32 v5, 30, v5 :: v_dual_bitop2_b32 v12, 3, v12 bitop3:0x40
; %bb.4658:                             ;   in Loop: Header=BB4_3365 Depth=4
	s_or_b32 exec_lo, exec_lo, s76
	v_lshlrev_b32_e32 v13, 24, v74
                                        ; implicit-def: $vgpr74
	s_delay_alu instid0(VALU_DEP_1) | instskip(NEXT) | instid1(VALU_DEP_1)
	v_and_b32_e32 v13, 0x80000000, v13
	v_lshl_add_u32 v5, v5, 23, v13
	s_delay_alu instid0(VALU_DEP_1) | instskip(NEXT) | instid1(VALU_DEP_1)
	v_lshl_or_b32 v5, v12, 21, v5
                                        ; implicit-def: $vgpr12
	v_add_nc_u32_e32 v5, 0x38000000, v5
.LBB4_4659:                             ;   in Loop: Header=BB4_3365 Depth=4
	s_and_not1_saveexec_b32 s76, s13
; %bb.4660:                             ;   in Loop: Header=BB4_3365 Depth=4
	v_and_b32_e32 v5, 0x80, v74
	v_cmp_eq_u32_e32 vcc_lo, 0, v12
	s_delay_alu instid0(VALU_DEP_2) | instskip(NEXT) | instid1(VALU_DEP_1)
	v_cmp_eq_u32_e64 s13, 0, v5
	v_cndmask_b32_e64 v5, 0xff800000, v48, s13
	s_delay_alu instid0(VALU_DEP_1)
	v_cndmask_b32_e32 v5, 0x7f800001, v5, vcc_lo
; %bb.4661:                             ;   in Loop: Header=BB4_3365 Depth=4
	s_or_b32 exec_lo, exec_lo, s76
.LBB4_4662:                             ;   in Loop: Header=BB4_3365 Depth=4
	s_delay_alu instid0(SALU_CYCLE_1)
	s_or_b32 exec_lo, exec_lo, s75
.LBB4_4663:                             ;   in Loop: Header=BB4_3365 Depth=4
	s_delay_alu instid0(SALU_CYCLE_1) | instskip(SKIP_2) | instid1(VALU_DEP_1)
	s_or_b32 exec_lo, exec_lo, s74
	v_and_b32_e32 v12, 0xff, v14
	s_mov_b32 s74, exec_lo
	v_cmpx_ne_u16_e32 0, v12
	s_cbranch_execz .LBB4_4673
; %bb.4664:                             ;   in Loop: Header=BB4_3365 Depth=4
	v_bfe_i32 v13, v14, 0, 8
	v_bfrev_b32_e32 v4, 1
	s_mov_b32 s75, exec_lo
	s_delay_alu instid0(VALU_DEP_2)
	v_cmpx_ne_u16_e32 0xff80, v13
	s_cbranch_execz .LBB4_4672
; %bb.4665:                             ;   in Loop: Header=BB4_3365 Depth=4
	v_and_b32_e32 v4, 0x7c, v14
	v_and_b32_e32 v12, 3, v14
	s_delay_alu instid0(VALU_DEP_2) | instskip(SKIP_1) | instid1(SALU_CYCLE_1)
	v_cmp_ne_u32_e32 vcc_lo, 0x7c, v4
                                        ; implicit-def: $vgpr4
	s_and_saveexec_b32 s13, vcc_lo
	s_xor_b32 s13, exec_lo, s13
	s_cbranch_execz .LBB4_4669
; %bb.4666:                             ;   in Loop: Header=BB4_3365 Depth=4
	v_bfe_u32 v4, v14, 2, 5
	s_mov_b32 s76, exec_lo
	s_delay_alu instid0(VALU_DEP_1)
	v_cmpx_eq_u32_e32 0, v4
; %bb.4667:                             ;   in Loop: Header=BB4_3365 Depth=4
	v_clz_i32_u32_e32 v4, v12
	s_delay_alu instid0(VALU_DEP_1) | instskip(NEXT) | instid1(VALU_DEP_1)
	v_min_u32_e32 v4, 32, v4
	v_subrev_nc_u32_e32 v12, 29, v4
	v_sub_nc_u32_e32 v4, 30, v4
	s_delay_alu instid0(VALU_DEP_2) | instskip(NEXT) | instid1(VALU_DEP_1)
	v_lshlrev_b64_e32 v[12:13], v12, v[14:15]
	v_and_b32_e32 v12, 3, v12
; %bb.4668:                             ;   in Loop: Header=BB4_3365 Depth=4
	s_or_b32 exec_lo, exec_lo, s76
	v_lshlrev_b32_e32 v13, 24, v14
	s_delay_alu instid0(VALU_DEP_1) | instskip(NEXT) | instid1(VALU_DEP_1)
	v_and_b32_e32 v13, 0x80000000, v13
	v_lshl_add_u32 v4, v4, 23, v13
                                        ; implicit-def: $vgpr13
	s_delay_alu instid0(VALU_DEP_1) | instskip(NEXT) | instid1(VALU_DEP_1)
	v_lshl_or_b32 v4, v12, 21, v4
                                        ; implicit-def: $vgpr12
	v_add_nc_u32_e32 v4, 0x38000000, v4
.LBB4_4669:                             ;   in Loop: Header=BB4_3365 Depth=4
	s_and_not1_saveexec_b32 s76, s13
; %bb.4670:                             ;   in Loop: Header=BB4_3365 Depth=4
	v_cmp_lt_i16_e64 s13, -1, v13
	v_cmp_eq_u32_e32 vcc_lo, 0, v12
	s_delay_alu instid0(VALU_DEP_2) | instskip(NEXT) | instid1(VALU_DEP_1)
	v_cndmask_b32_e64 v4, 0xff800000, v48, s13
	v_cndmask_b32_e32 v4, 0x7f800001, v4, vcc_lo
; %bb.4671:                             ;   in Loop: Header=BB4_3365 Depth=4
	s_or_b32 exec_lo, exec_lo, s76
.LBB4_4672:                             ;   in Loop: Header=BB4_3365 Depth=4
	s_delay_alu instid0(SALU_CYCLE_1)
	s_or_b32 exec_lo, exec_lo, s75
.LBB4_4673:                             ;   in Loop: Header=BB4_3365 Depth=4
	s_delay_alu instid0(SALU_CYCLE_1) | instskip(NEXT) | instid1(VALU_DEP_1)
	s_or_b32 exec_lo, exec_lo, s74
	v_dual_add_f32 v12, v5, v4 :: v_dual_mov_b32 v87, v3
	v_mov_b32_e32 v5, v3
                                        ; implicit-def: $vgpr74
	s_mov_b32 s13, exec_lo
	s_delay_alu instid0(VALU_DEP_2) | instskip(SKIP_2) | instid1(VALU_DEP_3)
	v_and_b32_e32 v86, 0x7f800000, v12
	v_and_b32_e32 v4, 0x7fffff, v12
	v_lshrrev_b32_e32 v13, 24, v12
	v_cmpx_ne_u64_e32 0x7f800000, v[86:87]
	s_xor_b32 s74, exec_lo, s13
	s_cbranch_execz .LBB4_4687
; %bb.4674:                             ;   in Loop: Header=BB4_3365 Depth=4
	v_and_b32_e32 v86, 0x7fffffff, v12
	v_mov_b32_e32 v87, v3
	v_and_b32_e32 v78, 0x80, v13
                                        ; implicit-def: $vgpr74
	s_mov_b32 s13, exec_lo
	s_delay_alu instid0(VALU_DEP_2)
	v_cmpx_gt_u64_e32 0x47600001, v[86:87]
	s_xor_b32 s75, exec_lo, s13
	s_cbranch_execz .LBB4_4684
; %bb.4675:                             ;   in Loop: Header=BB4_3365 Depth=4
	v_mov_b32_e32 v74, 0
	s_mov_b32 s76, exec_lo
	v_cmpx_ne_u32_e32 0, v12
	s_cbranch_execz .LBB4_4683
; %bb.4676:                             ;   in Loop: Header=BB4_3365 Depth=4
	v_bfe_u32 v74, v12, 23, 8
	v_or_b32_e32 v13, 0x800000, v4
	s_delay_alu instid0(VALU_DEP_2) | instskip(SKIP_2) | instid1(VALU_DEP_2)
	v_cmp_gt_u32_e64 s13, 0x72, v74
	v_sub_nc_u32_e32 v12, 0x71, v74
	v_cmp_eq_u32_e32 vcc_lo, 0, v74
	v_cndmask_b32_e64 v12, 0, v12, s13
	s_delay_alu instid0(VALU_DEP_1) | instskip(NEXT) | instid1(VALU_DEP_1)
	v_cndmask_b32_e64 v86, v12, 0x70, vcc_lo
	v_dual_cndmask_b32 v4, v13, v4, vcc_lo :: v_dual_add_nc_u32 v12, 21, v86
	v_add_nc_u32_e32 v87, 20, v86
	s_delay_alu instid0(VALU_DEP_2) | instskip(NEXT) | instid1(VALU_DEP_2)
	v_lshlrev_b64_e64 v[12:13], v12, -1
	v_lshlrev_b64_e64 v[96:97], v87, 1
	s_delay_alu instid0(VALU_DEP_2) | instskip(SKIP_1) | instid1(VALU_DEP_4)
	v_bfi_b32 v12, v12, 0, v4
	v_lshrrev_b64 v[4:5], v86, v[4:5]
	v_bfi_b32 v13, v13, 0, 0
	s_delay_alu instid0(VALU_DEP_1) | instskip(NEXT) | instid1(VALU_DEP_3)
	v_cmp_eq_u64_e64 s13, v[12:13], v[96:97]
	v_mov_b64_e32 v[12:13], v[4:5]
	s_and_saveexec_b32 s77, s13
; %bb.4677:                             ;   in Loop: Header=BB4_3365 Depth=4
	v_bfe_u32 v12, v4, 21, 1
	v_mov_b32_e32 v13, v3
	s_delay_alu instid0(VALU_DEP_1) | instskip(NEXT) | instid1(VALU_DEP_1)
	v_add_nc_u64_e32 v[12:13], v[4:5], v[12:13]
	v_add_nc_u64_e32 v[12:13], -1, v[12:13]
; %bb.4678:                             ;   in Loop: Header=BB4_3365 Depth=4
	s_or_b32 exec_lo, exec_lo, s77
	v_add_nc_u32_e32 v5, 0xffffff81, v74
	v_lshrrev_b32_e32 v13, 23, v4
	s_mov_b32 s13, exec_lo
	s_delay_alu instid0(VALU_DEP_2) | instskip(NEXT) | instid1(VALU_DEP_1)
	v_cndmask_b32_e64 v5, v5, 0xffffff82, vcc_lo
	v_add3_u32 v86, v86, v5, v13
	v_and_b32_e32 v5, 0x1fffff, v12
                                        ; implicit-def: $vgpr12
	s_delay_alu instid0(VALU_DEP_1) | instskip(SKIP_1) | instid1(VALU_DEP_2)
	v_dual_add_nc_u32 v13, 14, v86 :: v_dual_add_nc_u32 v4, v5, v4
	v_mov_b32_e32 v5, v3
	v_cmpx_ne_u32_e32 0, v13
	s_xor_b32 s13, exec_lo, s13
; %bb.4679:                             ;   in Loop: Header=BB4_3365 Depth=4
	s_delay_alu instid0(VALU_DEP_2) | instskip(SKIP_1) | instid1(VALU_DEP_1)
	v_cmp_lt_u64_e32 vcc_lo, 0xffffff, v[4:5]
	v_add_nc_u32_e32 v12, 15, v86
	v_cndmask_b32_e32 v12, v13, v12, vcc_lo
	v_cndmask_b32_e64 v13, 0, 1, vcc_lo
	s_delay_alu instid0(VALU_DEP_1)
	v_lshrrev_b64 v[4:5], v13, v[4:5]
; %bb.4680:                             ;   in Loop: Header=BB4_3365 Depth=4
	s_and_not1_saveexec_b32 s13, s13
; %bb.4681:                             ;   in Loop: Header=BB4_3365 Depth=4
	s_delay_alu instid0(VALU_DEP_1)
	v_bfe_u32 v12, v4, 23, 1
; %bb.4682:                             ;   in Loop: Header=BB4_3365 Depth=4
	s_or_b32 exec_lo, exec_lo, s13
	s_delay_alu instid0(VALU_DEP_2) | instskip(NEXT) | instid1(VALU_DEP_2)
	v_lshrrev_b64 v[4:5], 21, v[4:5]
	v_cmp_gt_i32_e32 vcc_lo, 32, v12
	v_min_i32_e32 v13, 31, v12
	v_cmp_eq_u32_e64 s13, 0, v12
	s_delay_alu instid0(VALU_DEP_4) | instskip(NEXT) | instid1(VALU_DEP_3)
	v_cndmask_b32_e32 v5, 0, v5, vcc_lo
	v_dual_cndmask_b32 v4, 3, v4 :: v_dual_lshlrev_b32 v13, 2, v13
	s_delay_alu instid0(VALU_DEP_1) | instskip(NEXT) | instid1(VALU_DEP_2)
	v_and_b32_e32 v13, 0xfc, v13
	v_cmp_eq_u64_e32 vcc_lo, 0, v[4:5]
	s_delay_alu instid0(VALU_DEP_2)
	v_and_or_b32 v4, v4, 3, v13
	s_and_b32 s13, s13, vcc_lo
	s_delay_alu instid0(VALU_DEP_1) | instid1(SALU_CYCLE_1)
	v_cndmask_b32_e64 v4, v4, 0, s13
	s_delay_alu instid0(VALU_DEP_1)
	v_or_b32_e32 v74, v4, v78
.LBB4_4683:                             ;   in Loop: Header=BB4_3365 Depth=4
	s_or_b32 exec_lo, exec_lo, s76
                                        ; implicit-def: $vgpr78
.LBB4_4684:                             ;   in Loop: Header=BB4_3365 Depth=4
	s_and_not1_saveexec_b32 s13, s75
; %bb.4685:                             ;   in Loop: Header=BB4_3365 Depth=4
	v_or_b32_e32 v74, 0x7b, v78
; %bb.4686:                             ;   in Loop: Header=BB4_3365 Depth=4
	s_or_b32 exec_lo, exec_lo, s13
                                        ; implicit-def: $vgpr12
                                        ; implicit-def: $vgpr4_vgpr5
                                        ; implicit-def: $vgpr13
.LBB4_4687:                             ;   in Loop: Header=BB4_3365 Depth=4
	s_and_not1_saveexec_b32 s13, s74
	s_cbranch_execz .LBB4_4693
; %bb.4688:                             ;   in Loop: Header=BB4_3365 Depth=4
	s_mov_b32 s74, exec_lo
                                        ; implicit-def: $vgpr74
	v_cmpx_ne_u64_e32 0, v[4:5]
	s_xor_b32 s74, exec_lo, s74
; %bb.4689:                             ;   in Loop: Header=BB4_3365 Depth=4
	v_or_b32_e32 v74, 0x7f, v13
                                        ; implicit-def: $vgpr12
; %bb.4690:                             ;   in Loop: Header=BB4_3365 Depth=4
	s_and_not1_saveexec_b32 s74, s74
; %bb.4691:                             ;   in Loop: Header=BB4_3365 Depth=4
	v_cmp_lt_i32_e32 vcc_lo, -1, v12
	v_cndmask_b32_e32 v74, 0xfc, v49, vcc_lo
; %bb.4692:                             ;   in Loop: Header=BB4_3365 Depth=4
	s_or_b32 exec_lo, exec_lo, s74
.LBB4_4693:                             ;   in Loop: Header=BB4_3365 Depth=4
	s_delay_alu instid0(SALU_CYCLE_1) | instskip(SKIP_3) | instid1(VALU_DEP_2)
	s_or_b32 exec_lo, exec_lo, s13
	v_lshrrev_b16 v4, 8, v76
	v_dual_mov_b32 v12, 0 :: v_dual_mov_b32 v13, 0
	s_mov_b32 s74, exec_lo
	v_cmpx_ne_u16_e32 0, v4
	s_cbranch_execz .LBB4_4703
; %bb.4694:                             ;   in Loop: Header=BB4_3365 Depth=4
	v_bfrev_b32_e32 v13, 1
	s_mov_b32 s75, exec_lo
	v_cmpx_ne_u16_e32 0x80, v4
	s_cbranch_execz .LBB4_4702
; %bb.4695:                             ;   in Loop: Header=BB4_3365 Depth=4
	v_and_b32_e32 v86, 0xffff, v4
	s_delay_alu instid0(VALU_DEP_1) | instskip(SKIP_1) | instid1(VALU_DEP_2)
	v_and_b32_e32 v13, 0x7c, v86
	v_and_b32_e32 v5, 3, v86
	v_cmp_ne_u32_e32 vcc_lo, 0x7c, v13
                                        ; implicit-def: $vgpr13
	s_and_saveexec_b32 s13, vcc_lo
	s_delay_alu instid0(SALU_CYCLE_1)
	s_xor_b32 s13, exec_lo, s13
	s_cbranch_execz .LBB4_4699
; %bb.4696:                             ;   in Loop: Header=BB4_3365 Depth=4
	v_bfe_u32 v13, v86, 2, 5
	s_mov_b32 s76, exec_lo
	s_delay_alu instid0(VALU_DEP_1)
	v_cmpx_eq_u32_e32 0, v13
	s_cbranch_execz .LBB4_4698
; %bb.4697:                             ;   in Loop: Header=BB4_3365 Depth=4
	v_clz_i32_u32_e32 v5, v5
	s_delay_alu instid0(VALU_DEP_1) | instskip(SKIP_1) | instid1(VALU_DEP_2)
	v_min_u32_e32 v13, 32, v5
	v_mov_b32_e32 v5, v3
	v_subrev_nc_u32_e32 v86, 29, v13
	v_sub_nc_u32_e32 v13, 30, v13
	s_delay_alu instid0(VALU_DEP_2) | instskip(NEXT) | instid1(VALU_DEP_1)
	v_lshlrev_b64_e32 v[4:5], v86, v[4:5]
	v_and_b32_e32 v5, 3, v4
.LBB4_4698:                             ;   in Loop: Header=BB4_3365 Depth=4
	s_or_b32 exec_lo, exec_lo, s76
	v_lshlrev_b32_e32 v4, 16, v76
                                        ; implicit-def: $vgpr76
	s_delay_alu instid0(VALU_DEP_1) | instskip(NEXT) | instid1(VALU_DEP_1)
	v_and_b32_e32 v4, 0x80000000, v4
	v_lshl_add_u32 v4, v13, 23, v4
	s_delay_alu instid0(VALU_DEP_1) | instskip(NEXT) | instid1(VALU_DEP_1)
	v_lshl_or_b32 v4, v5, 21, v4
                                        ; implicit-def: $vgpr5
	v_add_nc_u32_e32 v13, 0x38000000, v4
.LBB4_4699:                             ;   in Loop: Header=BB4_3365 Depth=4
	s_and_not1_saveexec_b32 s76, s13
; %bb.4700:                             ;   in Loop: Header=BB4_3365 Depth=4
	v_cmp_lt_i16_e64 s13, -1, v76
	v_cmp_eq_u32_e32 vcc_lo, 0, v5
	s_delay_alu instid0(VALU_DEP_2) | instskip(NEXT) | instid1(VALU_DEP_1)
	v_cndmask_b32_e64 v4, 0xff800000, v48, s13
	v_cndmask_b32_e32 v13, 0x7f800001, v4, vcc_lo
; %bb.4701:                             ;   in Loop: Header=BB4_3365 Depth=4
	s_or_b32 exec_lo, exec_lo, s76
.LBB4_4702:                             ;   in Loop: Header=BB4_3365 Depth=4
	s_delay_alu instid0(SALU_CYCLE_1)
	s_or_b32 exec_lo, exec_lo, s75
.LBB4_4703:                             ;   in Loop: Header=BB4_3365 Depth=4
	s_delay_alu instid0(SALU_CYCLE_1) | instskip(SKIP_2) | instid1(VALU_DEP_1)
	s_or_b32 exec_lo, exec_lo, s74
	v_lshrrev_b16 v4, 8, v14
	s_mov_b32 s74, exec_lo
	v_cmpx_ne_u16_e32 0, v4
	s_cbranch_execz .LBB4_4713
; %bb.4704:                             ;   in Loop: Header=BB4_3365 Depth=4
	v_bfrev_b32_e32 v12, 1
	s_mov_b32 s75, exec_lo
	v_cmpx_ne_u16_e32 0x80, v4
	s_cbranch_execz .LBB4_4712
; %bb.4705:                             ;   in Loop: Header=BB4_3365 Depth=4
	v_and_b32_e32 v86, 0xffff, v4
	s_delay_alu instid0(VALU_DEP_1) | instskip(SKIP_1) | instid1(VALU_DEP_2)
	v_and_b32_e32 v12, 0x7c, v86
	v_and_b32_e32 v5, 3, v86
	v_cmp_ne_u32_e32 vcc_lo, 0x7c, v12
                                        ; implicit-def: $vgpr12
	s_and_saveexec_b32 s13, vcc_lo
	s_delay_alu instid0(SALU_CYCLE_1)
	s_xor_b32 s13, exec_lo, s13
	s_cbranch_execz .LBB4_4709
; %bb.4706:                             ;   in Loop: Header=BB4_3365 Depth=4
	v_bfe_u32 v12, v86, 2, 5
	s_mov_b32 s76, exec_lo
	s_delay_alu instid0(VALU_DEP_1)
	v_cmpx_eq_u32_e32 0, v12
	s_cbranch_execz .LBB4_4708
; %bb.4707:                             ;   in Loop: Header=BB4_3365 Depth=4
	v_clz_i32_u32_e32 v5, v5
	s_delay_alu instid0(VALU_DEP_1) | instskip(SKIP_1) | instid1(VALU_DEP_2)
	v_min_u32_e32 v12, 32, v5
	v_mov_b32_e32 v5, v3
	v_subrev_nc_u32_e32 v86, 29, v12
	v_sub_nc_u32_e32 v12, 30, v12
	s_delay_alu instid0(VALU_DEP_2) | instskip(NEXT) | instid1(VALU_DEP_1)
	v_lshlrev_b64_e32 v[4:5], v86, v[4:5]
	v_and_b32_e32 v5, 3, v4
.LBB4_4708:                             ;   in Loop: Header=BB4_3365 Depth=4
	s_or_b32 exec_lo, exec_lo, s76
	v_lshlrev_b32_e32 v4, 16, v14
	s_delay_alu instid0(VALU_DEP_1) | instskip(NEXT) | instid1(VALU_DEP_1)
	v_and_b32_e32 v4, 0x80000000, v4
	v_lshl_add_u32 v4, v12, 23, v4
	s_delay_alu instid0(VALU_DEP_1) | instskip(NEXT) | instid1(VALU_DEP_1)
	v_lshl_or_b32 v4, v5, 21, v4
                                        ; implicit-def: $vgpr5
	v_add_nc_u32_e32 v12, 0x38000000, v4
.LBB4_4709:                             ;   in Loop: Header=BB4_3365 Depth=4
	s_and_not1_saveexec_b32 s76, s13
; %bb.4710:                             ;   in Loop: Header=BB4_3365 Depth=4
	v_cmp_lt_i16_e64 s13, -1, v14
	v_cmp_eq_u32_e32 vcc_lo, 0, v5
	s_delay_alu instid0(VALU_DEP_2) | instskip(NEXT) | instid1(VALU_DEP_1)
	v_cndmask_b32_e64 v4, 0xff800000, v48, s13
	v_cndmask_b32_e32 v12, 0x7f800001, v4, vcc_lo
; %bb.4711:                             ;   in Loop: Header=BB4_3365 Depth=4
	s_or_b32 exec_lo, exec_lo, s76
.LBB4_4712:                             ;   in Loop: Header=BB4_3365 Depth=4
	s_delay_alu instid0(SALU_CYCLE_1)
	s_or_b32 exec_lo, exec_lo, s75
.LBB4_4713:                             ;   in Loop: Header=BB4_3365 Depth=4
	s_delay_alu instid0(SALU_CYCLE_1) | instskip(NEXT) | instid1(VALU_DEP_1)
	s_or_b32 exec_lo, exec_lo, s74
	v_dual_add_f32 v12, v13, v12 :: v_dual_mov_b32 v87, v3
	v_mov_b32_e32 v5, v3
                                        ; implicit-def: $vgpr76
	s_mov_b32 s13, exec_lo
	s_delay_alu instid0(VALU_DEP_2) | instskip(SKIP_2) | instid1(VALU_DEP_3)
	v_and_b32_e32 v86, 0x7f800000, v12
	v_and_b32_e32 v4, 0x7fffff, v12
	v_lshrrev_b32_e32 v13, 24, v12
	v_cmpx_ne_u64_e32 0x7f800000, v[86:87]
	s_xor_b32 s74, exec_lo, s13
	s_cbranch_execz .LBB4_4727
; %bb.4714:                             ;   in Loop: Header=BB4_3365 Depth=4
	v_and_b32_e32 v86, 0x7fffffff, v12
	v_mov_b32_e32 v87, v3
	v_and_b32_e32 v78, 0x80, v13
                                        ; implicit-def: $vgpr76
	s_mov_b32 s13, exec_lo
	s_delay_alu instid0(VALU_DEP_2)
	v_cmpx_gt_u64_e32 0x47600001, v[86:87]
	s_xor_b32 s75, exec_lo, s13
	s_cbranch_execz .LBB4_4724
; %bb.4715:                             ;   in Loop: Header=BB4_3365 Depth=4
	v_mov_b32_e32 v76, 0
	s_mov_b32 s76, exec_lo
	v_cmpx_ne_u32_e32 0, v12
	s_cbranch_execz .LBB4_4723
; %bb.4716:                             ;   in Loop: Header=BB4_3365 Depth=4
	v_bfe_u32 v76, v12, 23, 8
	v_or_b32_e32 v13, 0x800000, v4
	s_delay_alu instid0(VALU_DEP_2) | instskip(SKIP_2) | instid1(VALU_DEP_2)
	v_cmp_gt_u32_e64 s13, 0x72, v76
	v_sub_nc_u32_e32 v12, 0x71, v76
	v_cmp_eq_u32_e32 vcc_lo, 0, v76
	v_cndmask_b32_e64 v12, 0, v12, s13
	s_delay_alu instid0(VALU_DEP_1) | instskip(NEXT) | instid1(VALU_DEP_1)
	v_cndmask_b32_e64 v86, v12, 0x70, vcc_lo
	v_dual_cndmask_b32 v4, v13, v4, vcc_lo :: v_dual_add_nc_u32 v12, 21, v86
	v_add_nc_u32_e32 v87, 20, v86
	s_delay_alu instid0(VALU_DEP_2) | instskip(NEXT) | instid1(VALU_DEP_2)
	v_lshlrev_b64_e64 v[12:13], v12, -1
	v_lshlrev_b64_e64 v[96:97], v87, 1
	s_delay_alu instid0(VALU_DEP_2) | instskip(SKIP_1) | instid1(VALU_DEP_4)
	v_bfi_b32 v12, v12, 0, v4
	v_lshrrev_b64 v[4:5], v86, v[4:5]
	v_bfi_b32 v13, v13, 0, 0
	s_delay_alu instid0(VALU_DEP_1) | instskip(NEXT) | instid1(VALU_DEP_3)
	v_cmp_eq_u64_e64 s13, v[12:13], v[96:97]
	v_mov_b64_e32 v[12:13], v[4:5]
	s_and_saveexec_b32 s77, s13
; %bb.4717:                             ;   in Loop: Header=BB4_3365 Depth=4
	v_bfe_u32 v12, v4, 21, 1
	v_mov_b32_e32 v13, v3
	s_delay_alu instid0(VALU_DEP_1) | instskip(NEXT) | instid1(VALU_DEP_1)
	v_add_nc_u64_e32 v[12:13], v[4:5], v[12:13]
	v_add_nc_u64_e32 v[12:13], -1, v[12:13]
; %bb.4718:                             ;   in Loop: Header=BB4_3365 Depth=4
	s_or_b32 exec_lo, exec_lo, s77
	v_add_nc_u32_e32 v5, 0xffffff81, v76
	v_lshrrev_b32_e32 v13, 23, v4
	s_mov_b32 s13, exec_lo
	s_delay_alu instid0(VALU_DEP_2) | instskip(NEXT) | instid1(VALU_DEP_1)
	v_cndmask_b32_e64 v5, v5, 0xffffff82, vcc_lo
	v_add3_u32 v86, v86, v5, v13
	v_and_b32_e32 v5, 0x1fffff, v12
                                        ; implicit-def: $vgpr12
	s_delay_alu instid0(VALU_DEP_1) | instskip(SKIP_1) | instid1(VALU_DEP_2)
	v_dual_add_nc_u32 v13, 14, v86 :: v_dual_add_nc_u32 v4, v5, v4
	v_mov_b32_e32 v5, v3
	v_cmpx_ne_u32_e32 0, v13
	s_xor_b32 s13, exec_lo, s13
; %bb.4719:                             ;   in Loop: Header=BB4_3365 Depth=4
	s_delay_alu instid0(VALU_DEP_2) | instskip(SKIP_1) | instid1(VALU_DEP_1)
	v_cmp_lt_u64_e32 vcc_lo, 0xffffff, v[4:5]
	v_add_nc_u32_e32 v12, 15, v86
	v_cndmask_b32_e32 v12, v13, v12, vcc_lo
	v_cndmask_b32_e64 v13, 0, 1, vcc_lo
	s_delay_alu instid0(VALU_DEP_1)
	v_lshrrev_b64 v[4:5], v13, v[4:5]
; %bb.4720:                             ;   in Loop: Header=BB4_3365 Depth=4
	s_and_not1_saveexec_b32 s13, s13
; %bb.4721:                             ;   in Loop: Header=BB4_3365 Depth=4
	s_delay_alu instid0(VALU_DEP_1)
	v_bfe_u32 v12, v4, 23, 1
; %bb.4722:                             ;   in Loop: Header=BB4_3365 Depth=4
	s_or_b32 exec_lo, exec_lo, s13
	s_delay_alu instid0(VALU_DEP_2) | instskip(NEXT) | instid1(VALU_DEP_2)
	v_lshrrev_b64 v[4:5], 21, v[4:5]
	v_cmp_gt_i32_e32 vcc_lo, 32, v12
	v_min_i32_e32 v13, 31, v12
	v_cmp_eq_u32_e64 s13, 0, v12
	s_delay_alu instid0(VALU_DEP_4) | instskip(NEXT) | instid1(VALU_DEP_3)
	v_cndmask_b32_e32 v5, 0, v5, vcc_lo
	v_dual_cndmask_b32 v4, 3, v4 :: v_dual_lshlrev_b32 v13, 2, v13
	s_delay_alu instid0(VALU_DEP_1) | instskip(NEXT) | instid1(VALU_DEP_2)
	v_and_b32_e32 v13, 0xfc, v13
	v_cmp_eq_u64_e32 vcc_lo, 0, v[4:5]
	s_delay_alu instid0(VALU_DEP_2)
	v_and_or_b32 v4, v4, 3, v13
	s_and_b32 s13, s13, vcc_lo
	s_delay_alu instid0(VALU_DEP_1) | instid1(SALU_CYCLE_1)
	v_cndmask_b32_e64 v4, v4, 0, s13
	s_delay_alu instid0(VALU_DEP_1)
	v_or_b32_e32 v76, v4, v78
.LBB4_4723:                             ;   in Loop: Header=BB4_3365 Depth=4
	s_or_b32 exec_lo, exec_lo, s76
                                        ; implicit-def: $vgpr78
.LBB4_4724:                             ;   in Loop: Header=BB4_3365 Depth=4
	s_and_not1_saveexec_b32 s13, s75
; %bb.4725:                             ;   in Loop: Header=BB4_3365 Depth=4
	v_or_b32_e32 v76, 0x7b, v78
; %bb.4726:                             ;   in Loop: Header=BB4_3365 Depth=4
	s_or_b32 exec_lo, exec_lo, s13
                                        ; implicit-def: $vgpr12
                                        ; implicit-def: $vgpr4_vgpr5
                                        ; implicit-def: $vgpr13
.LBB4_4727:                             ;   in Loop: Header=BB4_3365 Depth=4
	s_and_not1_saveexec_b32 s13, s74
	s_cbranch_execz .LBB4_4733
; %bb.4728:                             ;   in Loop: Header=BB4_3365 Depth=4
	s_mov_b32 s74, exec_lo
                                        ; implicit-def: $vgpr76
	v_cmpx_ne_u64_e32 0, v[4:5]
	s_xor_b32 s74, exec_lo, s74
; %bb.4729:                             ;   in Loop: Header=BB4_3365 Depth=4
	v_or_b32_e32 v76, 0x7f, v13
                                        ; implicit-def: $vgpr12
; %bb.4730:                             ;   in Loop: Header=BB4_3365 Depth=4
	s_and_not1_saveexec_b32 s74, s74
; %bb.4731:                             ;   in Loop: Header=BB4_3365 Depth=4
	v_cmp_lt_i32_e32 vcc_lo, -1, v12
	v_cndmask_b32_e32 v76, 0xfc, v49, vcc_lo
; %bb.4732:                             ;   in Loop: Header=BB4_3365 Depth=4
	s_or_b32 exec_lo, exec_lo, s74
.LBB4_4733:                             ;   in Loop: Header=BB4_3365 Depth=4
	s_delay_alu instid0(SALU_CYCLE_1) | instskip(SKIP_3) | instid1(VALU_DEP_2)
	s_or_b32 exec_lo, exec_lo, s13
	v_dual_mov_b32 v5, 0 :: v_dual_lshrrev_b32 v4, 16, v2
	v_mov_b32_e32 v12, 0
	s_mov_b32 s74, exec_lo
	v_and_b32_e32 v13, 0xff, v4
	s_delay_alu instid0(VALU_DEP_1)
	v_cmpx_ne_u16_e32 0, v13
	s_cbranch_execz .LBB4_4743
; %bb.4734:                             ;   in Loop: Header=BB4_3365 Depth=4
	v_bfrev_b32_e32 v12, 1
	s_mov_b32 s75, exec_lo
	v_cmpx_ne_u16_e32 0x80, v13
	s_cbranch_execz .LBB4_4742
; %bb.4735:                             ;   in Loop: Header=BB4_3365 Depth=4
	v_and_b32_e32 v12, 0x7c0000, v2
	v_bfe_u32 v13, v2, 16, 2
	s_delay_alu instid0(VALU_DEP_2) | instskip(SKIP_1) | instid1(SALU_CYCLE_1)
	v_cmp_ne_u32_e32 vcc_lo, 0x7c0000, v12
                                        ; implicit-def: $vgpr12
	s_and_saveexec_b32 s13, vcc_lo
	s_xor_b32 s13, exec_lo, s13
	s_cbranch_execz .LBB4_4739
; %bb.4736:                             ;   in Loop: Header=BB4_3365 Depth=4
	v_bfe_u32 v12, v2, 18, 5
	s_mov_b32 s76, exec_lo
	s_delay_alu instid0(VALU_DEP_1)
	v_cmpx_eq_u32_e32 0, v12
; %bb.4737:                             ;   in Loop: Header=BB4_3365 Depth=4
	v_clz_i32_u32_e32 v12, v13
	s_delay_alu instid0(VALU_DEP_1) | instskip(NEXT) | instid1(VALU_DEP_1)
	v_min_u32_e32 v12, 32, v12
	v_subrev_nc_u32_e32 v13, 29, v12
	s_delay_alu instid0(VALU_DEP_1) | instskip(NEXT) | instid1(VALU_DEP_1)
	v_lshlrev_b64_e32 v[86:87], v13, v[4:5]
	v_dual_sub_nc_u32 v12, 30, v12 :: v_dual_bitop2_b32 v13, 3, v86 bitop3:0x40
; %bb.4738:                             ;   in Loop: Header=BB4_3365 Depth=4
	s_or_b32 exec_lo, exec_lo, s76
	v_lshlrev_b32_e32 v4, 24, v4
	s_delay_alu instid0(VALU_DEP_1) | instskip(NEXT) | instid1(VALU_DEP_1)
	v_and_b32_e32 v4, 0x80000000, v4
	v_lshl_add_u32 v4, v12, 23, v4
	s_delay_alu instid0(VALU_DEP_1) | instskip(NEXT) | instid1(VALU_DEP_1)
	v_lshl_or_b32 v4, v13, 21, v4
                                        ; implicit-def: $vgpr13
	v_add_nc_u32_e32 v12, 0x38000000, v4
                                        ; implicit-def: $vgpr4
.LBB4_4739:                             ;   in Loop: Header=BB4_3365 Depth=4
	s_and_not1_saveexec_b32 s76, s13
; %bb.4740:                             ;   in Loop: Header=BB4_3365 Depth=4
	v_bfe_i32 v4, v4, 0, 8
	v_cmp_eq_u32_e32 vcc_lo, 0, v13
	s_delay_alu instid0(VALU_DEP_2) | instskip(NEXT) | instid1(VALU_DEP_1)
	v_cmp_lt_i16_e64 s13, -1, v4
	v_cndmask_b32_e64 v4, 0xff800000, v48, s13
	s_delay_alu instid0(VALU_DEP_1)
	v_cndmask_b32_e32 v12, 0x7f800001, v4, vcc_lo
; %bb.4741:                             ;   in Loop: Header=BB4_3365 Depth=4
	s_or_b32 exec_lo, exec_lo, s76
.LBB4_4742:                             ;   in Loop: Header=BB4_3365 Depth=4
	s_delay_alu instid0(SALU_CYCLE_1)
	s_or_b32 exec_lo, exec_lo, s75
.LBB4_4743:                             ;   in Loop: Header=BB4_3365 Depth=4
	s_delay_alu instid0(SALU_CYCLE_1) | instskip(SKIP_2) | instid1(VALU_DEP_1)
	s_or_b32 exec_lo, exec_lo, s74
	v_lshrrev_b32_e32 v4, 16, v14
	s_mov_b32 s74, exec_lo
	v_and_b32_e32 v13, 0xff, v4
	s_delay_alu instid0(VALU_DEP_1)
	v_cmpx_ne_u16_e32 0, v13
	s_cbranch_execz .LBB4_4753
; %bb.4744:                             ;   in Loop: Header=BB4_3365 Depth=4
	v_bfrev_b32_e32 v5, 1
	s_mov_b32 s75, exec_lo
	v_cmpx_ne_u16_e32 0x80, v13
	s_cbranch_execz .LBB4_4752
; %bb.4745:                             ;   in Loop: Header=BB4_3365 Depth=4
	v_and_b32_e32 v5, 0x7c0000, v14
	v_bfe_u32 v13, v14, 16, 2
	s_delay_alu instid0(VALU_DEP_2) | instskip(SKIP_1) | instid1(SALU_CYCLE_1)
	v_cmp_ne_u32_e32 vcc_lo, 0x7c0000, v5
                                        ; implicit-def: $vgpr5
	s_and_saveexec_b32 s13, vcc_lo
	s_xor_b32 s13, exec_lo, s13
	s_cbranch_execz .LBB4_4749
; %bb.4746:                             ;   in Loop: Header=BB4_3365 Depth=4
	v_bfe_u32 v5, v14, 18, 5
	s_mov_b32 s76, exec_lo
	s_delay_alu instid0(VALU_DEP_1)
	v_cmpx_eq_u32_e32 0, v5
; %bb.4747:                             ;   in Loop: Header=BB4_3365 Depth=4
	v_clz_i32_u32_e32 v5, v13
	s_delay_alu instid0(VALU_DEP_1) | instskip(NEXT) | instid1(VALU_DEP_1)
	v_min_u32_e32 v5, 32, v5
	v_subrev_nc_u32_e32 v13, 29, v5
	s_delay_alu instid0(VALU_DEP_1) | instskip(NEXT) | instid1(VALU_DEP_1)
	v_lshlrev_b64_e32 v[86:87], v13, v[4:5]
	v_dual_sub_nc_u32 v5, 30, v5 :: v_dual_bitop2_b32 v13, 3, v86 bitop3:0x40
; %bb.4748:                             ;   in Loop: Header=BB4_3365 Depth=4
	s_or_b32 exec_lo, exec_lo, s76
	v_lshlrev_b32_e32 v4, 24, v4
	s_delay_alu instid0(VALU_DEP_1) | instskip(NEXT) | instid1(VALU_DEP_1)
	v_and_b32_e32 v4, 0x80000000, v4
	v_lshl_add_u32 v4, v5, 23, v4
	s_delay_alu instid0(VALU_DEP_1) | instskip(NEXT) | instid1(VALU_DEP_1)
	v_lshl_or_b32 v4, v13, 21, v4
                                        ; implicit-def: $vgpr13
	v_add_nc_u32_e32 v5, 0x38000000, v4
                                        ; implicit-def: $vgpr4
.LBB4_4749:                             ;   in Loop: Header=BB4_3365 Depth=4
	s_and_not1_saveexec_b32 s76, s13
; %bb.4750:                             ;   in Loop: Header=BB4_3365 Depth=4
	v_bfe_i32 v4, v4, 0, 8
	v_cmp_eq_u32_e32 vcc_lo, 0, v13
	s_delay_alu instid0(VALU_DEP_2) | instskip(NEXT) | instid1(VALU_DEP_1)
	v_cmp_lt_i16_e64 s13, -1, v4
	v_cndmask_b32_e64 v4, 0xff800000, v48, s13
	s_delay_alu instid0(VALU_DEP_1)
	v_cndmask_b32_e32 v5, 0x7f800001, v4, vcc_lo
; %bb.4751:                             ;   in Loop: Header=BB4_3365 Depth=4
	s_or_b32 exec_lo, exec_lo, s76
.LBB4_4752:                             ;   in Loop: Header=BB4_3365 Depth=4
	s_delay_alu instid0(SALU_CYCLE_1)
	s_or_b32 exec_lo, exec_lo, s75
.LBB4_4753:                             ;   in Loop: Header=BB4_3365 Depth=4
	s_delay_alu instid0(SALU_CYCLE_1) | instskip(NEXT) | instid1(VALU_DEP_1)
	s_or_b32 exec_lo, exec_lo, s74
	v_dual_add_f32 v12, v12, v5 :: v_dual_mov_b32 v87, v3
	v_mov_b32_e32 v5, v3
                                        ; implicit-def: $vgpr78
	s_mov_b32 s13, exec_lo
	s_delay_alu instid0(VALU_DEP_2) | instskip(SKIP_2) | instid1(VALU_DEP_3)
	v_and_b32_e32 v86, 0x7f800000, v12
	v_and_b32_e32 v4, 0x7fffff, v12
	v_lshrrev_b32_e32 v13, 24, v12
	v_cmpx_ne_u64_e32 0x7f800000, v[86:87]
	s_xor_b32 s74, exec_lo, s13
	s_cbranch_execz .LBB4_4767
; %bb.4754:                             ;   in Loop: Header=BB4_3365 Depth=4
	v_and_b32_e32 v86, 0x7fffffff, v12
	v_mov_b32_e32 v87, v3
	v_and_b32_e32 v79, 0x80, v13
                                        ; implicit-def: $vgpr78
	s_mov_b32 s13, exec_lo
	s_delay_alu instid0(VALU_DEP_2)
	v_cmpx_gt_u64_e32 0x47600001, v[86:87]
	s_xor_b32 s75, exec_lo, s13
	s_cbranch_execz .LBB4_4764
; %bb.4755:                             ;   in Loop: Header=BB4_3365 Depth=4
	v_mov_b32_e32 v78, 0
	s_mov_b32 s76, exec_lo
	v_cmpx_ne_u32_e32 0, v12
	s_cbranch_execz .LBB4_4763
; %bb.4756:                             ;   in Loop: Header=BB4_3365 Depth=4
	v_bfe_u32 v78, v12, 23, 8
	v_or_b32_e32 v13, 0x800000, v4
	s_delay_alu instid0(VALU_DEP_2) | instskip(SKIP_2) | instid1(VALU_DEP_2)
	v_cmp_gt_u32_e64 s13, 0x72, v78
	v_sub_nc_u32_e32 v12, 0x71, v78
	v_cmp_eq_u32_e32 vcc_lo, 0, v78
	v_cndmask_b32_e64 v12, 0, v12, s13
	s_delay_alu instid0(VALU_DEP_1) | instskip(NEXT) | instid1(VALU_DEP_1)
	v_cndmask_b32_e64 v86, v12, 0x70, vcc_lo
	v_dual_cndmask_b32 v4, v13, v4, vcc_lo :: v_dual_add_nc_u32 v12, 21, v86
	v_add_nc_u32_e32 v87, 20, v86
	s_delay_alu instid0(VALU_DEP_2) | instskip(NEXT) | instid1(VALU_DEP_2)
	v_lshlrev_b64_e64 v[12:13], v12, -1
	v_lshlrev_b64_e64 v[96:97], v87, 1
	s_delay_alu instid0(VALU_DEP_2) | instskip(SKIP_1) | instid1(VALU_DEP_4)
	v_bfi_b32 v12, v12, 0, v4
	v_lshrrev_b64 v[4:5], v86, v[4:5]
	v_bfi_b32 v13, v13, 0, 0
	s_delay_alu instid0(VALU_DEP_1) | instskip(NEXT) | instid1(VALU_DEP_3)
	v_cmp_eq_u64_e64 s13, v[12:13], v[96:97]
	v_mov_b64_e32 v[12:13], v[4:5]
	s_and_saveexec_b32 s77, s13
; %bb.4757:                             ;   in Loop: Header=BB4_3365 Depth=4
	v_bfe_u32 v12, v4, 21, 1
	v_mov_b32_e32 v13, v3
	s_delay_alu instid0(VALU_DEP_1) | instskip(NEXT) | instid1(VALU_DEP_1)
	v_add_nc_u64_e32 v[12:13], v[4:5], v[12:13]
	v_add_nc_u64_e32 v[12:13], -1, v[12:13]
; %bb.4758:                             ;   in Loop: Header=BB4_3365 Depth=4
	s_or_b32 exec_lo, exec_lo, s77
	v_add_nc_u32_e32 v5, 0xffffff81, v78
	v_lshrrev_b32_e32 v13, 23, v4
	s_mov_b32 s13, exec_lo
	s_delay_alu instid0(VALU_DEP_2) | instskip(NEXT) | instid1(VALU_DEP_1)
	v_cndmask_b32_e64 v5, v5, 0xffffff82, vcc_lo
	v_add3_u32 v86, v86, v5, v13
	v_and_b32_e32 v5, 0x1fffff, v12
                                        ; implicit-def: $vgpr12
	s_delay_alu instid0(VALU_DEP_1) | instskip(SKIP_1) | instid1(VALU_DEP_2)
	v_dual_add_nc_u32 v13, 14, v86 :: v_dual_add_nc_u32 v4, v5, v4
	v_mov_b32_e32 v5, v3
	v_cmpx_ne_u32_e32 0, v13
	s_xor_b32 s13, exec_lo, s13
; %bb.4759:                             ;   in Loop: Header=BB4_3365 Depth=4
	s_delay_alu instid0(VALU_DEP_2) | instskip(SKIP_1) | instid1(VALU_DEP_1)
	v_cmp_lt_u64_e32 vcc_lo, 0xffffff, v[4:5]
	v_add_nc_u32_e32 v12, 15, v86
	v_cndmask_b32_e32 v12, v13, v12, vcc_lo
	v_cndmask_b32_e64 v13, 0, 1, vcc_lo
	s_delay_alu instid0(VALU_DEP_1)
	v_lshrrev_b64 v[4:5], v13, v[4:5]
; %bb.4760:                             ;   in Loop: Header=BB4_3365 Depth=4
	s_and_not1_saveexec_b32 s13, s13
; %bb.4761:                             ;   in Loop: Header=BB4_3365 Depth=4
	s_delay_alu instid0(VALU_DEP_1)
	v_bfe_u32 v12, v4, 23, 1
; %bb.4762:                             ;   in Loop: Header=BB4_3365 Depth=4
	s_or_b32 exec_lo, exec_lo, s13
	s_delay_alu instid0(VALU_DEP_2) | instskip(NEXT) | instid1(VALU_DEP_2)
	v_lshrrev_b64 v[4:5], 21, v[4:5]
	v_cmp_gt_i32_e32 vcc_lo, 32, v12
	v_min_i32_e32 v13, 31, v12
	v_cmp_eq_u32_e64 s13, 0, v12
	s_delay_alu instid0(VALU_DEP_4) | instskip(NEXT) | instid1(VALU_DEP_3)
	v_cndmask_b32_e32 v5, 0, v5, vcc_lo
	v_dual_cndmask_b32 v4, 3, v4 :: v_dual_lshlrev_b32 v13, 2, v13
	s_delay_alu instid0(VALU_DEP_1) | instskip(NEXT) | instid1(VALU_DEP_2)
	v_and_b32_e32 v13, 0xfc, v13
	v_cmp_eq_u64_e32 vcc_lo, 0, v[4:5]
	s_delay_alu instid0(VALU_DEP_2)
	v_and_or_b32 v4, v4, 3, v13
	s_and_b32 s13, s13, vcc_lo
	s_delay_alu instid0(VALU_DEP_1) | instid1(SALU_CYCLE_1)
	v_cndmask_b32_e64 v4, v4, 0, s13
	s_delay_alu instid0(VALU_DEP_1)
	v_or_b32_e32 v78, v4, v79
.LBB4_4763:                             ;   in Loop: Header=BB4_3365 Depth=4
	s_or_b32 exec_lo, exec_lo, s76
                                        ; implicit-def: $vgpr79
.LBB4_4764:                             ;   in Loop: Header=BB4_3365 Depth=4
	s_and_not1_saveexec_b32 s13, s75
; %bb.4765:                             ;   in Loop: Header=BB4_3365 Depth=4
	v_or_b32_e32 v78, 0x7b, v79
; %bb.4766:                             ;   in Loop: Header=BB4_3365 Depth=4
	s_or_b32 exec_lo, exec_lo, s13
                                        ; implicit-def: $vgpr12
                                        ; implicit-def: $vgpr4_vgpr5
                                        ; implicit-def: $vgpr13
.LBB4_4767:                             ;   in Loop: Header=BB4_3365 Depth=4
	s_and_not1_saveexec_b32 s13, s74
	s_cbranch_execz .LBB4_4773
; %bb.4768:                             ;   in Loop: Header=BB4_3365 Depth=4
	s_mov_b32 s74, exec_lo
                                        ; implicit-def: $vgpr78
	v_cmpx_ne_u64_e32 0, v[4:5]
	s_xor_b32 s74, exec_lo, s74
; %bb.4769:                             ;   in Loop: Header=BB4_3365 Depth=4
	v_or_b32_e32 v78, 0x7f, v13
                                        ; implicit-def: $vgpr12
; %bb.4770:                             ;   in Loop: Header=BB4_3365 Depth=4
	s_and_not1_saveexec_b32 s74, s74
; %bb.4771:                             ;   in Loop: Header=BB4_3365 Depth=4
	v_cmp_lt_i32_e32 vcc_lo, -1, v12
	v_cndmask_b32_e32 v78, 0xfc, v49, vcc_lo
; %bb.4772:                             ;   in Loop: Header=BB4_3365 Depth=4
	s_or_b32 exec_lo, exec_lo, s74
.LBB4_4773:                             ;   in Loop: Header=BB4_3365 Depth=4
	s_delay_alu instid0(SALU_CYCLE_1)
	s_or_b32 exec_lo, exec_lo, s13
	v_dual_mov_b32 v5, 0 :: v_dual_mov_b32 v12, 0
	s_mov_b32 s74, exec_lo
	v_cmpx_lt_u32_e32 0xffffff, v2
	s_cbranch_execz .LBB4_4783
; %bb.4774:                             ;   in Loop: Header=BB4_3365 Depth=4
	v_lshrrev_b32_e32 v4, 24, v2
	v_bfrev_b32_e32 v12, 1
	s_mov_b32 s75, exec_lo
	s_delay_alu instid0(VALU_DEP_2)
	v_cmpx_ne_u32_e32 0x80, v4
	s_cbranch_execz .LBB4_4782
; %bb.4775:                             ;   in Loop: Header=BB4_3365 Depth=4
	v_and_b32_e32 v12, 0x7c000000, v2
	v_bfe_u32 v13, v2, 24, 2
	s_delay_alu instid0(VALU_DEP_2) | instskip(SKIP_1) | instid1(SALU_CYCLE_1)
	v_cmp_ne_u32_e32 vcc_lo, 0x7c000000, v12
                                        ; implicit-def: $vgpr12
	s_and_saveexec_b32 s13, vcc_lo
	s_xor_b32 s13, exec_lo, s13
	s_cbranch_execz .LBB4_4779
; %bb.4776:                             ;   in Loop: Header=BB4_3365 Depth=4
	v_bfe_u32 v12, v2, 26, 5
	s_mov_b32 s76, exec_lo
	s_delay_alu instid0(VALU_DEP_1)
	v_cmpx_eq_u32_e32 0, v12
; %bb.4777:                             ;   in Loop: Header=BB4_3365 Depth=4
	v_clz_i32_u32_e32 v12, v13
	s_delay_alu instid0(VALU_DEP_1) | instskip(NEXT) | instid1(VALU_DEP_1)
	v_min_u32_e32 v12, 32, v12
	v_subrev_nc_u32_e32 v13, 29, v12
	s_delay_alu instid0(VALU_DEP_1) | instskip(NEXT) | instid1(VALU_DEP_1)
	v_lshlrev_b64_e32 v[86:87], v13, v[4:5]
	v_dual_sub_nc_u32 v12, 30, v12 :: v_dual_bitop2_b32 v13, 3, v86 bitop3:0x40
; %bb.4778:                             ;   in Loop: Header=BB4_3365 Depth=4
	s_or_b32 exec_lo, exec_lo, s76
	v_and_b32_e32 v2, 0x80000000, v2
	s_delay_alu instid0(VALU_DEP_1) | instskip(NEXT) | instid1(VALU_DEP_1)
	v_lshl_add_u32 v2, v12, 23, v2
	v_lshl_or_b32 v2, v13, 21, v2
                                        ; implicit-def: $vgpr13
	s_delay_alu instid0(VALU_DEP_1)
	v_add_nc_u32_e32 v12, 0x38000000, v2
.LBB4_4779:                             ;   in Loop: Header=BB4_3365 Depth=4
	s_and_not1_saveexec_b32 s76, s13
; %bb.4780:                             ;   in Loop: Header=BB4_3365 Depth=4
	v_cmp_lt_i32_e64 s13, -1, v2
	v_cmp_eq_u32_e32 vcc_lo, 0, v13
	s_delay_alu instid0(VALU_DEP_2) | instskip(NEXT) | instid1(VALU_DEP_1)
	v_cndmask_b32_e64 v2, 0xff800000, v48, s13
	v_cndmask_b32_e32 v12, 0x7f800001, v2, vcc_lo
; %bb.4781:                             ;   in Loop: Header=BB4_3365 Depth=4
	s_or_b32 exec_lo, exec_lo, s76
.LBB4_4782:                             ;   in Loop: Header=BB4_3365 Depth=4
	s_delay_alu instid0(SALU_CYCLE_1)
	s_or_b32 exec_lo, exec_lo, s75
.LBB4_4783:                             ;   in Loop: Header=BB4_3365 Depth=4
	s_delay_alu instid0(SALU_CYCLE_1) | instskip(NEXT) | instid1(SALU_CYCLE_1)
	s_or_b32 exec_lo, exec_lo, s74
	s_mov_b32 s74, exec_lo
	v_cmpx_lt_u32_e32 0xffffff, v14
	s_cbranch_execz .LBB4_4793
; %bb.4784:                             ;   in Loop: Header=BB4_3365 Depth=4
	v_lshrrev_b32_e32 v2, 24, v14
	v_bfrev_b32_e32 v5, 1
	s_mov_b32 s75, exec_lo
	s_delay_alu instid0(VALU_DEP_2)
	v_cmpx_ne_u32_e32 0x80, v2
	s_cbranch_execz .LBB4_4792
; %bb.4785:                             ;   in Loop: Header=BB4_3365 Depth=4
	v_and_b32_e32 v5, 0x7c000000, v14
	v_bfe_u32 v4, v14, 24, 2
	s_delay_alu instid0(VALU_DEP_2) | instskip(SKIP_1) | instid1(SALU_CYCLE_1)
	v_cmp_ne_u32_e32 vcc_lo, 0x7c000000, v5
                                        ; implicit-def: $vgpr5
	s_and_saveexec_b32 s13, vcc_lo
	s_xor_b32 s13, exec_lo, s13
	s_cbranch_execz .LBB4_4789
; %bb.4786:                             ;   in Loop: Header=BB4_3365 Depth=4
	v_bfe_u32 v5, v14, 26, 5
	s_mov_b32 s76, exec_lo
	s_delay_alu instid0(VALU_DEP_1)
	v_cmpx_eq_u32_e32 0, v5
; %bb.4787:                             ;   in Loop: Header=BB4_3365 Depth=4
	v_clz_i32_u32_e32 v4, v4
	s_delay_alu instid0(VALU_DEP_1) | instskip(NEXT) | instid1(VALU_DEP_1)
	v_min_u32_e32 v13, 32, v4
	v_subrev_nc_u32_e32 v4, 29, v13
	s_delay_alu instid0(VALU_DEP_1) | instskip(NEXT) | instid1(VALU_DEP_1)
	v_lshlrev_b64_e32 v[4:5], v4, v[2:3]
	v_dual_sub_nc_u32 v5, 30, v13 :: v_dual_bitop2_b32 v4, 3, v4 bitop3:0x40
; %bb.4788:                             ;   in Loop: Header=BB4_3365 Depth=4
	s_or_b32 exec_lo, exec_lo, s76
	v_and_b32_e32 v2, 0x80000000, v14
	s_delay_alu instid0(VALU_DEP_1) | instskip(NEXT) | instid1(VALU_DEP_1)
	v_lshl_add_u32 v2, v5, 23, v2
	v_lshl_or_b32 v2, v4, 21, v2
                                        ; implicit-def: $vgpr4
	s_delay_alu instid0(VALU_DEP_1)
	v_add_nc_u32_e32 v5, 0x38000000, v2
.LBB4_4789:                             ;   in Loop: Header=BB4_3365 Depth=4
	s_and_not1_saveexec_b32 s76, s13
; %bb.4790:                             ;   in Loop: Header=BB4_3365 Depth=4
	v_cmp_lt_i32_e64 s13, -1, v14
	v_cmp_eq_u32_e32 vcc_lo, 0, v4
	s_delay_alu instid0(VALU_DEP_2) | instskip(NEXT) | instid1(VALU_DEP_1)
	v_cndmask_b32_e64 v2, 0xff800000, v48, s13
	v_cndmask_b32_e32 v5, 0x7f800001, v2, vcc_lo
; %bb.4791:                             ;   in Loop: Header=BB4_3365 Depth=4
	s_or_b32 exec_lo, exec_lo, s76
.LBB4_4792:                             ;   in Loop: Header=BB4_3365 Depth=4
	s_delay_alu instid0(SALU_CYCLE_1)
	s_or_b32 exec_lo, exec_lo, s75
.LBB4_4793:                             ;   in Loop: Header=BB4_3365 Depth=4
	s_delay_alu instid0(SALU_CYCLE_1) | instskip(NEXT) | instid1(VALU_DEP_1)
	s_or_b32 exec_lo, exec_lo, s74
	v_dual_add_f32 v4, v12, v5 :: v_dual_mov_b32 v13, v3
                                        ; implicit-def: $vgpr79
	s_mov_b32 s13, exec_lo
	s_delay_alu instid0(VALU_DEP_1) | instskip(SKIP_2) | instid1(VALU_DEP_3)
	v_and_b32_e32 v12, 0x7f800000, v4
	v_and_b32_e32 v2, 0x7fffff, v4
	v_lshrrev_b32_e32 v5, 24, v4
	v_cmpx_ne_u64_e32 0x7f800000, v[12:13]
	s_xor_b32 s74, exec_lo, s13
	s_cbranch_execz .LBB4_4807
; %bb.4794:                             ;   in Loop: Header=BB4_3365 Depth=4
	v_and_b32_e32 v12, 0x7fffffff, v4
	v_mov_b32_e32 v13, v3
	v_and_b32_e32 v88, 0x80, v5
                                        ; implicit-def: $vgpr79
	s_mov_b32 s13, exec_lo
	s_delay_alu instid0(VALU_DEP_2)
	v_cmpx_gt_u64_e32 0x47600001, v[12:13]
	s_xor_b32 s75, exec_lo, s13
	s_cbranch_execz .LBB4_4804
; %bb.4795:                             ;   in Loop: Header=BB4_3365 Depth=4
	v_mov_b32_e32 v79, 0
	s_mov_b32 s76, exec_lo
	v_cmpx_ne_u32_e32 0, v4
	s_cbranch_execz .LBB4_4803
; %bb.4796:                             ;   in Loop: Header=BB4_3365 Depth=4
	v_bfe_u32 v79, v4, 23, 8
	v_or_b32_e32 v5, 0x800000, v2
	s_delay_alu instid0(VALU_DEP_2) | instskip(SKIP_2) | instid1(VALU_DEP_2)
	v_cmp_gt_u32_e64 s13, 0x72, v79
	v_sub_nc_u32_e32 v4, 0x71, v79
	v_cmp_eq_u32_e32 vcc_lo, 0, v79
	v_cndmask_b32_e64 v4, 0, v4, s13
	s_delay_alu instid0(VALU_DEP_1) | instskip(SKIP_1) | instid1(VALU_DEP_2)
	v_cndmask_b32_e64 v89, v4, 0x70, vcc_lo
	v_dual_cndmask_b32 v4, v5, v2 :: v_dual_mov_b32 v5, v3
	v_add_nc_u32_e32 v2, 21, v89
	s_delay_alu instid0(VALU_DEP_1) | instskip(SKIP_1) | instid1(VALU_DEP_1)
	v_lshlrev_b64_e64 v[12:13], v2, -1
	v_add_nc_u32_e32 v2, 20, v89
	v_lshlrev_b64_e64 v[86:87], v2, 1
	s_delay_alu instid0(VALU_DEP_3) | instskip(SKIP_2) | instid1(VALU_DEP_1)
	v_bfi_b32 v12, v12, 0, v4
	v_lshrrev_b64 v[4:5], v89, v[4:5]
	v_bfi_b32 v13, v13, 0, 0
	v_cmp_eq_u64_e64 s13, v[12:13], v[86:87]
	s_delay_alu instid0(VALU_DEP_3)
	v_mov_b64_e32 v[12:13], v[4:5]
	s_and_saveexec_b32 s77, s13
; %bb.4797:                             ;   in Loop: Header=BB4_3365 Depth=4
	v_bfe_u32 v12, v4, 21, 1
	v_mov_b32_e32 v13, v3
	s_delay_alu instid0(VALU_DEP_1) | instskip(NEXT) | instid1(VALU_DEP_1)
	v_add_nc_u64_e32 v[12:13], v[4:5], v[12:13]
	v_add_nc_u64_e32 v[12:13], -1, v[12:13]
; %bb.4798:                             ;   in Loop: Header=BB4_3365 Depth=4
	s_or_b32 exec_lo, exec_lo, s77
	v_add_nc_u32_e32 v2, 0xffffff81, v79
	v_lshrrev_b32_e32 v5, 23, v4
	s_mov_b32 s13, exec_lo
	s_delay_alu instid0(VALU_DEP_2) | instskip(NEXT) | instid1(VALU_DEP_1)
	v_cndmask_b32_e64 v2, v2, 0xffffff82, vcc_lo
	v_add3_u32 v86, v89, v2, v5
	v_and_b32_e32 v2, 0x1fffff, v12
                                        ; implicit-def: $vgpr12
	s_delay_alu instid0(VALU_DEP_1) | instskip(NEXT) | instid1(VALU_DEP_1)
	v_dual_add_nc_u32 v13, 14, v86 :: v_dual_add_nc_u32 v2, v2, v4
                                        ; implicit-def: $vgpr4_vgpr5
	v_cmpx_ne_u32_e32 0, v13
	s_xor_b32 s13, exec_lo, s13
; %bb.4799:                             ;   in Loop: Header=BB4_3365 Depth=4
	s_delay_alu instid0(VALU_DEP_2) | instskip(SKIP_1) | instid1(VALU_DEP_1)
	v_cmp_lt_u64_e32 vcc_lo, 0xffffff, v[2:3]
	v_add_nc_u32_e32 v4, 15, v86
	v_cndmask_b32_e32 v12, v13, v4, vcc_lo
	v_cndmask_b32_e64 v4, 0, 1, vcc_lo
	s_delay_alu instid0(VALU_DEP_1)
	v_lshrrev_b64 v[4:5], v4, v[2:3]
; %bb.4800:                             ;   in Loop: Header=BB4_3365 Depth=4
	s_and_not1_saveexec_b32 s13, s13
; %bb.4801:                             ;   in Loop: Header=BB4_3365 Depth=4
	v_mov_b64_e32 v[4:5], v[2:3]
	v_bfe_u32 v12, v2, 23, 1
; %bb.4802:                             ;   in Loop: Header=BB4_3365 Depth=4
	s_or_b32 exec_lo, exec_lo, s13
	s_delay_alu instid0(VALU_DEP_2) | instskip(NEXT) | instid1(VALU_DEP_2)
	v_lshrrev_b64 v[4:5], 21, v[4:5]
	v_cmp_gt_i32_e32 vcc_lo, 32, v12
	v_min_i32_e32 v2, 31, v12
	v_cmp_eq_u32_e64 s13, 0, v12
	s_delay_alu instid0(VALU_DEP_2) | instskip(SKIP_1) | instid1(VALU_DEP_2)
	v_dual_cndmask_b32 v5, 0, v5 :: v_dual_lshlrev_b32 v2, 2, v2
	v_cndmask_b32_e32 v4, 3, v4, vcc_lo
	v_and_b32_e32 v2, 0xfc, v2
	s_delay_alu instid0(VALU_DEP_2) | instskip(NEXT) | instid1(VALU_DEP_2)
	v_cmp_eq_u64_e32 vcc_lo, 0, v[4:5]
	v_and_or_b32 v2, v4, 3, v2
	s_and_b32 s13, s13, vcc_lo
	s_delay_alu instid0(VALU_DEP_1) | instid1(SALU_CYCLE_1)
	v_cndmask_b32_e64 v2, v2, 0, s13
	s_delay_alu instid0(VALU_DEP_1)
	v_or_b32_e32 v79, v2, v88
.LBB4_4803:                             ;   in Loop: Header=BB4_3365 Depth=4
	s_or_b32 exec_lo, exec_lo, s76
                                        ; implicit-def: $vgpr88
.LBB4_4804:                             ;   in Loop: Header=BB4_3365 Depth=4
	s_and_not1_saveexec_b32 s13, s75
; %bb.4805:                             ;   in Loop: Header=BB4_3365 Depth=4
	v_or_b32_e32 v79, 0x7b, v88
; %bb.4806:                             ;   in Loop: Header=BB4_3365 Depth=4
	s_or_b32 exec_lo, exec_lo, s13
                                        ; implicit-def: $vgpr4
                                        ; implicit-def: $vgpr5
.LBB4_4807:                             ;   in Loop: Header=BB4_3365 Depth=4
	s_and_not1_saveexec_b32 s13, s74
	s_cbranch_execz .LBB4_4813
; %bb.4808:                             ;   in Loop: Header=BB4_3365 Depth=4
	s_mov_b32 s74, exec_lo
                                        ; implicit-def: $vgpr79
	v_cmpx_ne_u64_e32 0, v[2:3]
	s_xor_b32 s74, exec_lo, s74
; %bb.4809:                             ;   in Loop: Header=BB4_3365 Depth=4
	v_or_b32_e32 v79, 0x7f, v5
                                        ; implicit-def: $vgpr4
; %bb.4810:                             ;   in Loop: Header=BB4_3365 Depth=4
	s_and_not1_saveexec_b32 s74, s74
; %bb.4811:                             ;   in Loop: Header=BB4_3365 Depth=4
	v_cmp_lt_i32_e32 vcc_lo, -1, v4
	v_cndmask_b32_e32 v79, 0xfc, v49, vcc_lo
; %bb.4812:                             ;   in Loop: Header=BB4_3365 Depth=4
	s_or_b32 exec_lo, exec_lo, s74
.LBB4_4813:                             ;   in Loop: Header=BB4_3365 Depth=4
	s_delay_alu instid0(SALU_CYCLE_1) | instskip(SKIP_4) | instid1(VALU_DEP_2)
	s_or_b32 exec_lo, exec_lo, s13
	v_dual_lshlrev_b32 v2, 24, v77 :: v_dual_lshlrev_b32 v4, 16, v75
	v_lshl_or_b32 v72, v72, 8, v61
	v_mov_b32_e32 v5, 0
	s_mov_b32 s74, exec_lo
	v_or3_b32 v2, v4, v2, v72
	v_mov_b32_e32 v4, 0
	v_cmpx_ne_u32_e32 0, v61
	s_cbranch_execz .LBB4_4823
; %bb.4814:                             ;   in Loop: Header=BB4_3365 Depth=4
	v_bfrev_b32_e32 v4, 1
	s_mov_b32 s75, exec_lo
	v_cmpx_ne_u32_e32 0x80, v61
	s_cbranch_execz .LBB4_4822
; %bb.4815:                             ;   in Loop: Header=BB4_3365 Depth=4
	v_and_b32_e32 v4, 0x7c, v61
	v_and_b32_e32 v12, 3, v61
	s_delay_alu instid0(VALU_DEP_2) | instskip(SKIP_1) | instid1(SALU_CYCLE_1)
	v_cmp_ne_u32_e32 vcc_lo, 0x7c, v4
                                        ; implicit-def: $vgpr4
	s_and_saveexec_b32 s13, vcc_lo
	s_xor_b32 s13, exec_lo, s13
	s_cbranch_execz .LBB4_4819
; %bb.4816:                             ;   in Loop: Header=BB4_3365 Depth=4
	v_bfe_u32 v4, v61, 2, 5
	s_mov_b32 s76, exec_lo
	s_delay_alu instid0(VALU_DEP_1)
	v_cmpx_eq_u32_e32 0, v4
; %bb.4817:                             ;   in Loop: Header=BB4_3365 Depth=4
	v_clz_i32_u32_e32 v4, v12
	s_delay_alu instid0(VALU_DEP_1) | instskip(NEXT) | instid1(VALU_DEP_1)
	v_min_u32_e32 v4, 32, v4
	v_subrev_nc_u32_e32 v12, 29, v4
	v_sub_nc_u32_e32 v4, 30, v4
	s_delay_alu instid0(VALU_DEP_2) | instskip(NEXT) | instid1(VALU_DEP_1)
	v_lshlrev_b64_e32 v[12:13], v12, v[2:3]
	v_and_b32_e32 v12, 3, v12
; %bb.4818:                             ;   in Loop: Header=BB4_3365 Depth=4
	s_or_b32 exec_lo, exec_lo, s76
	v_lshlrev_b32_e32 v13, 24, v61
                                        ; implicit-def: $vgpr61
	s_delay_alu instid0(VALU_DEP_1) | instskip(NEXT) | instid1(VALU_DEP_1)
	v_and_b32_e32 v13, 0x80000000, v13
	v_lshl_add_u32 v4, v4, 23, v13
	s_delay_alu instid0(VALU_DEP_1) | instskip(NEXT) | instid1(VALU_DEP_1)
	v_lshl_or_b32 v4, v12, 21, v4
                                        ; implicit-def: $vgpr12
	v_add_nc_u32_e32 v4, 0x38000000, v4
.LBB4_4819:                             ;   in Loop: Header=BB4_3365 Depth=4
	s_and_not1_saveexec_b32 s76, s13
; %bb.4820:                             ;   in Loop: Header=BB4_3365 Depth=4
	v_and_b32_e32 v4, 0x80, v61
	v_cmp_eq_u32_e32 vcc_lo, 0, v12
	s_delay_alu instid0(VALU_DEP_2) | instskip(NEXT) | instid1(VALU_DEP_1)
	v_cmp_eq_u32_e64 s13, 0, v4
	v_cndmask_b32_e64 v4, 0xff800000, v48, s13
	s_delay_alu instid0(VALU_DEP_1)
	v_cndmask_b32_e32 v4, 0x7f800001, v4, vcc_lo
; %bb.4821:                             ;   in Loop: Header=BB4_3365 Depth=4
	s_or_b32 exec_lo, exec_lo, s76
.LBB4_4822:                             ;   in Loop: Header=BB4_3365 Depth=4
	s_delay_alu instid0(SALU_CYCLE_1)
	s_or_b32 exec_lo, exec_lo, s75
.LBB4_4823:                             ;   in Loop: Header=BB4_3365 Depth=4
	s_delay_alu instid0(SALU_CYCLE_1) | instskip(SKIP_2) | instid1(VALU_DEP_1)
	s_or_b32 exec_lo, exec_lo, s74
	v_and_b32_e32 v12, 0xff, v15
	s_mov_b32 s74, exec_lo
	v_cmpx_ne_u16_e32 0, v12
	s_cbranch_execz .LBB4_4833
; %bb.4824:                             ;   in Loop: Header=BB4_3365 Depth=4
	v_bfrev_b32_e32 v5, 1
	s_mov_b32 s75, exec_lo
	v_cmpx_ne_u16_e32 0x80, v12
	s_cbranch_execz .LBB4_4832
; %bb.4825:                             ;   in Loop: Header=BB4_3365 Depth=4
	v_and_b32_e32 v5, 0x7c, v15
	v_and_b32_e32 v12, 3, v15
	s_delay_alu instid0(VALU_DEP_2) | instskip(SKIP_1) | instid1(SALU_CYCLE_1)
	v_cmp_ne_u32_e32 vcc_lo, 0x7c, v5
                                        ; implicit-def: $vgpr5
	s_and_saveexec_b32 s13, vcc_lo
	s_xor_b32 s13, exec_lo, s13
	s_cbranch_execz .LBB4_4829
; %bb.4826:                             ;   in Loop: Header=BB4_3365 Depth=4
	v_bfe_u32 v5, v15, 2, 5
	s_mov_b32 s76, exec_lo
	s_delay_alu instid0(VALU_DEP_1)
	v_cmpx_eq_u32_e32 0, v5
; %bb.4827:                             ;   in Loop: Header=BB4_3365 Depth=4
	v_clz_i32_u32_e32 v5, v12
	v_dual_mov_b32 v12, v15 :: v_dual_mov_b32 v13, v3
	s_delay_alu instid0(VALU_DEP_2) | instskip(NEXT) | instid1(VALU_DEP_1)
	v_min_u32_e32 v5, 32, v5
	v_subrev_nc_u32_e32 v86, 29, v5
	s_delay_alu instid0(VALU_DEP_1) | instskip(NEXT) | instid1(VALU_DEP_1)
	v_lshlrev_b64_e32 v[12:13], v86, v[12:13]
	v_dual_sub_nc_u32 v5, 30, v5 :: v_dual_bitop2_b32 v12, 3, v12 bitop3:0x40
; %bb.4828:                             ;   in Loop: Header=BB4_3365 Depth=4
	s_or_b32 exec_lo, exec_lo, s76
	v_lshlrev_b32_e32 v13, 24, v15
	s_delay_alu instid0(VALU_DEP_1) | instskip(NEXT) | instid1(VALU_DEP_1)
	v_and_b32_e32 v13, 0x80000000, v13
	v_lshl_add_u32 v5, v5, 23, v13
	s_delay_alu instid0(VALU_DEP_1) | instskip(NEXT) | instid1(VALU_DEP_1)
	v_lshl_or_b32 v5, v12, 21, v5
                                        ; implicit-def: $vgpr12
	v_add_nc_u32_e32 v5, 0x38000000, v5
.LBB4_4829:                             ;   in Loop: Header=BB4_3365 Depth=4
	s_and_not1_saveexec_b32 s76, s13
; %bb.4830:                             ;   in Loop: Header=BB4_3365 Depth=4
	v_bfe_i32 v5, v15, 0, 8
	v_cmp_eq_u32_e32 vcc_lo, 0, v12
	s_delay_alu instid0(VALU_DEP_2) | instskip(NEXT) | instid1(VALU_DEP_1)
	v_cmp_lt_i16_e64 s13, -1, v5
	v_cndmask_b32_e64 v5, 0xff800000, v48, s13
	s_delay_alu instid0(VALU_DEP_1)
	v_cndmask_b32_e32 v5, 0x7f800001, v5, vcc_lo
; %bb.4831:                             ;   in Loop: Header=BB4_3365 Depth=4
	s_or_b32 exec_lo, exec_lo, s76
.LBB4_4832:                             ;   in Loop: Header=BB4_3365 Depth=4
	s_delay_alu instid0(SALU_CYCLE_1)
	s_or_b32 exec_lo, exec_lo, s75
.LBB4_4833:                             ;   in Loop: Header=BB4_3365 Depth=4
	s_delay_alu instid0(SALU_CYCLE_1) | instskip(NEXT) | instid1(VALU_DEP_1)
	s_or_b32 exec_lo, exec_lo, s74
	v_dual_add_f32 v12, v4, v5 :: v_dual_mov_b32 v87, v3
	v_mov_b32_e32 v5, v3
                                        ; implicit-def: $vgpr61
	s_mov_b32 s13, exec_lo
	s_delay_alu instid0(VALU_DEP_2) | instskip(SKIP_2) | instid1(VALU_DEP_3)
	v_and_b32_e32 v86, 0x7f800000, v12
	v_and_b32_e32 v4, 0x7fffff, v12
	v_lshrrev_b32_e32 v13, 24, v12
	v_cmpx_ne_u64_e32 0x7f800000, v[86:87]
	s_xor_b32 s74, exec_lo, s13
	s_cbranch_execz .LBB4_4847
; %bb.4834:                             ;   in Loop: Header=BB4_3365 Depth=4
	v_and_b32_e32 v86, 0x7fffffff, v12
	v_mov_b32_e32 v87, v3
	v_and_b32_e32 v75, 0x80, v13
                                        ; implicit-def: $vgpr61
	s_mov_b32 s13, exec_lo
	s_delay_alu instid0(VALU_DEP_2)
	v_cmpx_gt_u64_e32 0x47600001, v[86:87]
	s_xor_b32 s75, exec_lo, s13
	s_cbranch_execz .LBB4_4844
; %bb.4835:                             ;   in Loop: Header=BB4_3365 Depth=4
	v_mov_b32_e32 v61, 0
	s_mov_b32 s76, exec_lo
	v_cmpx_ne_u32_e32 0, v12
	s_cbranch_execz .LBB4_4843
; %bb.4836:                             ;   in Loop: Header=BB4_3365 Depth=4
	v_bfe_u32 v61, v12, 23, 8
	v_or_b32_e32 v13, 0x800000, v4
	s_delay_alu instid0(VALU_DEP_2) | instskip(SKIP_2) | instid1(VALU_DEP_2)
	v_cmp_gt_u32_e64 s13, 0x72, v61
	v_sub_nc_u32_e32 v12, 0x71, v61
	v_cmp_eq_u32_e32 vcc_lo, 0, v61
	v_cndmask_b32_e64 v12, 0, v12, s13
	s_delay_alu instid0(VALU_DEP_1) | instskip(NEXT) | instid1(VALU_DEP_1)
	v_cndmask_b32_e64 v86, v12, 0x70, vcc_lo
	v_dual_cndmask_b32 v4, v13, v4, vcc_lo :: v_dual_add_nc_u32 v12, 21, v86
	v_add_nc_u32_e32 v87, 20, v86
	s_delay_alu instid0(VALU_DEP_2) | instskip(NEXT) | instid1(VALU_DEP_2)
	v_lshlrev_b64_e64 v[12:13], v12, -1
	v_lshlrev_b64_e64 v[96:97], v87, 1
	s_delay_alu instid0(VALU_DEP_2) | instskip(SKIP_1) | instid1(VALU_DEP_4)
	v_bfi_b32 v12, v12, 0, v4
	v_lshrrev_b64 v[4:5], v86, v[4:5]
	v_bfi_b32 v13, v13, 0, 0
	s_delay_alu instid0(VALU_DEP_1) | instskip(NEXT) | instid1(VALU_DEP_3)
	v_cmp_eq_u64_e64 s13, v[12:13], v[96:97]
	v_mov_b64_e32 v[12:13], v[4:5]
	s_and_saveexec_b32 s77, s13
; %bb.4837:                             ;   in Loop: Header=BB4_3365 Depth=4
	v_bfe_u32 v12, v4, 21, 1
	v_mov_b32_e32 v13, v3
	s_delay_alu instid0(VALU_DEP_1) | instskip(NEXT) | instid1(VALU_DEP_1)
	v_add_nc_u64_e32 v[12:13], v[4:5], v[12:13]
	v_add_nc_u64_e32 v[12:13], -1, v[12:13]
; %bb.4838:                             ;   in Loop: Header=BB4_3365 Depth=4
	s_or_b32 exec_lo, exec_lo, s77
	v_add_nc_u32_e32 v5, 0xffffff81, v61
	v_lshrrev_b32_e32 v13, 23, v4
	s_mov_b32 s13, exec_lo
	s_delay_alu instid0(VALU_DEP_2) | instskip(NEXT) | instid1(VALU_DEP_1)
	v_cndmask_b32_e64 v5, v5, 0xffffff82, vcc_lo
	v_add3_u32 v86, v86, v5, v13
	v_and_b32_e32 v5, 0x1fffff, v12
                                        ; implicit-def: $vgpr12
	s_delay_alu instid0(VALU_DEP_1) | instskip(SKIP_1) | instid1(VALU_DEP_2)
	v_dual_add_nc_u32 v13, 14, v86 :: v_dual_add_nc_u32 v4, v5, v4
	v_mov_b32_e32 v5, v3
	v_cmpx_ne_u32_e32 0, v13
	s_xor_b32 s13, exec_lo, s13
; %bb.4839:                             ;   in Loop: Header=BB4_3365 Depth=4
	s_delay_alu instid0(VALU_DEP_2) | instskip(SKIP_1) | instid1(VALU_DEP_1)
	v_cmp_lt_u64_e32 vcc_lo, 0xffffff, v[4:5]
	v_add_nc_u32_e32 v12, 15, v86
	v_cndmask_b32_e32 v12, v13, v12, vcc_lo
	v_cndmask_b32_e64 v13, 0, 1, vcc_lo
	s_delay_alu instid0(VALU_DEP_1)
	v_lshrrev_b64 v[4:5], v13, v[4:5]
; %bb.4840:                             ;   in Loop: Header=BB4_3365 Depth=4
	s_and_not1_saveexec_b32 s13, s13
; %bb.4841:                             ;   in Loop: Header=BB4_3365 Depth=4
	s_delay_alu instid0(VALU_DEP_1)
	v_bfe_u32 v12, v4, 23, 1
; %bb.4842:                             ;   in Loop: Header=BB4_3365 Depth=4
	s_or_b32 exec_lo, exec_lo, s13
	s_delay_alu instid0(VALU_DEP_2) | instskip(NEXT) | instid1(VALU_DEP_2)
	v_lshrrev_b64 v[4:5], 21, v[4:5]
	v_cmp_gt_i32_e32 vcc_lo, 32, v12
	v_min_i32_e32 v13, 31, v12
	v_cmp_eq_u32_e64 s13, 0, v12
	s_delay_alu instid0(VALU_DEP_4) | instskip(NEXT) | instid1(VALU_DEP_3)
	v_cndmask_b32_e32 v5, 0, v5, vcc_lo
	v_dual_cndmask_b32 v4, 3, v4 :: v_dual_lshlrev_b32 v13, 2, v13
	s_delay_alu instid0(VALU_DEP_1) | instskip(NEXT) | instid1(VALU_DEP_2)
	v_and_b32_e32 v13, 0xfc, v13
	v_cmp_eq_u64_e32 vcc_lo, 0, v[4:5]
	s_delay_alu instid0(VALU_DEP_2)
	v_and_or_b32 v4, v4, 3, v13
	s_and_b32 s13, s13, vcc_lo
	s_delay_alu instid0(VALU_DEP_1) | instid1(SALU_CYCLE_1)
	v_cndmask_b32_e64 v4, v4, 0, s13
	s_delay_alu instid0(VALU_DEP_1)
	v_or_b32_e32 v61, v4, v75
.LBB4_4843:                             ;   in Loop: Header=BB4_3365 Depth=4
	s_or_b32 exec_lo, exec_lo, s76
                                        ; implicit-def: $vgpr75
.LBB4_4844:                             ;   in Loop: Header=BB4_3365 Depth=4
	s_and_not1_saveexec_b32 s13, s75
; %bb.4845:                             ;   in Loop: Header=BB4_3365 Depth=4
	v_or_b32_e32 v61, 0x7b, v75
; %bb.4846:                             ;   in Loop: Header=BB4_3365 Depth=4
	s_or_b32 exec_lo, exec_lo, s13
                                        ; implicit-def: $vgpr12
                                        ; implicit-def: $vgpr4_vgpr5
                                        ; implicit-def: $vgpr13
.LBB4_4847:                             ;   in Loop: Header=BB4_3365 Depth=4
	s_and_not1_saveexec_b32 s13, s74
	s_cbranch_execz .LBB4_4853
; %bb.4848:                             ;   in Loop: Header=BB4_3365 Depth=4
	s_mov_b32 s74, exec_lo
                                        ; implicit-def: $vgpr61
	v_cmpx_ne_u64_e32 0, v[4:5]
	s_xor_b32 s74, exec_lo, s74
; %bb.4849:                             ;   in Loop: Header=BB4_3365 Depth=4
	v_or_b32_e32 v61, 0x7f, v13
                                        ; implicit-def: $vgpr12
; %bb.4850:                             ;   in Loop: Header=BB4_3365 Depth=4
	s_and_not1_saveexec_b32 s74, s74
; %bb.4851:                             ;   in Loop: Header=BB4_3365 Depth=4
	v_cmp_lt_i32_e32 vcc_lo, -1, v12
	v_cndmask_b32_e32 v61, 0xfc, v49, vcc_lo
; %bb.4852:                             ;   in Loop: Header=BB4_3365 Depth=4
	s_or_b32 exec_lo, exec_lo, s74
.LBB4_4853:                             ;   in Loop: Header=BB4_3365 Depth=4
	s_delay_alu instid0(SALU_CYCLE_1) | instskip(SKIP_3) | instid1(VALU_DEP_2)
	s_or_b32 exec_lo, exec_lo, s13
	v_lshrrev_b16 v4, 8, v72
	v_dual_mov_b32 v12, 0 :: v_dual_mov_b32 v13, 0
	s_mov_b32 s74, exec_lo
	v_cmpx_ne_u16_e32 0, v4
	s_cbranch_execz .LBB4_4863
; %bb.4854:                             ;   in Loop: Header=BB4_3365 Depth=4
	v_bfrev_b32_e32 v13, 1
	s_mov_b32 s75, exec_lo
	v_cmpx_ne_u16_e32 0x80, v4
	s_cbranch_execz .LBB4_4862
; %bb.4855:                             ;   in Loop: Header=BB4_3365 Depth=4
	v_and_b32_e32 v86, 0xffff, v4
	s_delay_alu instid0(VALU_DEP_1) | instskip(SKIP_1) | instid1(VALU_DEP_2)
	v_and_b32_e32 v13, 0x7c, v86
	v_and_b32_e32 v5, 3, v86
	v_cmp_ne_u32_e32 vcc_lo, 0x7c, v13
                                        ; implicit-def: $vgpr13
	s_and_saveexec_b32 s13, vcc_lo
	s_delay_alu instid0(SALU_CYCLE_1)
	s_xor_b32 s13, exec_lo, s13
	s_cbranch_execz .LBB4_4859
; %bb.4856:                             ;   in Loop: Header=BB4_3365 Depth=4
	v_bfe_u32 v13, v86, 2, 5
	s_mov_b32 s76, exec_lo
	s_delay_alu instid0(VALU_DEP_1)
	v_cmpx_eq_u32_e32 0, v13
	s_cbranch_execz .LBB4_4858
; %bb.4857:                             ;   in Loop: Header=BB4_3365 Depth=4
	v_clz_i32_u32_e32 v5, v5
	s_delay_alu instid0(VALU_DEP_1) | instskip(SKIP_1) | instid1(VALU_DEP_2)
	v_min_u32_e32 v13, 32, v5
	v_mov_b32_e32 v5, v3
	v_subrev_nc_u32_e32 v86, 29, v13
	v_sub_nc_u32_e32 v13, 30, v13
	s_delay_alu instid0(VALU_DEP_2) | instskip(NEXT) | instid1(VALU_DEP_1)
	v_lshlrev_b64_e32 v[4:5], v86, v[4:5]
	v_and_b32_e32 v5, 3, v4
.LBB4_4858:                             ;   in Loop: Header=BB4_3365 Depth=4
	s_or_b32 exec_lo, exec_lo, s76
	v_lshlrev_b32_e32 v4, 16, v72
                                        ; implicit-def: $vgpr72
	s_delay_alu instid0(VALU_DEP_1) | instskip(NEXT) | instid1(VALU_DEP_1)
	v_and_b32_e32 v4, 0x80000000, v4
	v_lshl_add_u32 v4, v13, 23, v4
	s_delay_alu instid0(VALU_DEP_1) | instskip(NEXT) | instid1(VALU_DEP_1)
	v_lshl_or_b32 v4, v5, 21, v4
                                        ; implicit-def: $vgpr5
	v_add_nc_u32_e32 v13, 0x38000000, v4
.LBB4_4859:                             ;   in Loop: Header=BB4_3365 Depth=4
	s_and_not1_saveexec_b32 s76, s13
; %bb.4860:                             ;   in Loop: Header=BB4_3365 Depth=4
	v_cmp_lt_i16_e64 s13, -1, v72
	v_cmp_eq_u32_e32 vcc_lo, 0, v5
	s_delay_alu instid0(VALU_DEP_2) | instskip(NEXT) | instid1(VALU_DEP_1)
	v_cndmask_b32_e64 v4, 0xff800000, v48, s13
	v_cndmask_b32_e32 v13, 0x7f800001, v4, vcc_lo
; %bb.4861:                             ;   in Loop: Header=BB4_3365 Depth=4
	s_or_b32 exec_lo, exec_lo, s76
.LBB4_4862:                             ;   in Loop: Header=BB4_3365 Depth=4
	s_delay_alu instid0(SALU_CYCLE_1)
	s_or_b32 exec_lo, exec_lo, s75
.LBB4_4863:                             ;   in Loop: Header=BB4_3365 Depth=4
	s_delay_alu instid0(SALU_CYCLE_1) | instskip(SKIP_2) | instid1(VALU_DEP_1)
	s_or_b32 exec_lo, exec_lo, s74
	v_lshrrev_b16 v4, 8, v15
	s_mov_b32 s74, exec_lo
	v_cmpx_ne_u16_e32 0, v4
	s_cbranch_execz .LBB4_4873
; %bb.4864:                             ;   in Loop: Header=BB4_3365 Depth=4
	v_bfrev_b32_e32 v12, 1
	s_mov_b32 s75, exec_lo
	v_cmpx_ne_u16_e32 0x80, v4
	s_cbranch_execz .LBB4_4872
; %bb.4865:                             ;   in Loop: Header=BB4_3365 Depth=4
	v_and_b32_e32 v86, 0xffff, v4
	s_delay_alu instid0(VALU_DEP_1) | instskip(SKIP_1) | instid1(VALU_DEP_2)
	v_and_b32_e32 v12, 0x7c, v86
	v_and_b32_e32 v5, 3, v86
	v_cmp_ne_u32_e32 vcc_lo, 0x7c, v12
                                        ; implicit-def: $vgpr12
	s_and_saveexec_b32 s13, vcc_lo
	s_delay_alu instid0(SALU_CYCLE_1)
	s_xor_b32 s13, exec_lo, s13
	s_cbranch_execz .LBB4_4869
; %bb.4866:                             ;   in Loop: Header=BB4_3365 Depth=4
	v_bfe_u32 v12, v86, 2, 5
	s_mov_b32 s76, exec_lo
	s_delay_alu instid0(VALU_DEP_1)
	v_cmpx_eq_u32_e32 0, v12
	s_cbranch_execz .LBB4_4868
; %bb.4867:                             ;   in Loop: Header=BB4_3365 Depth=4
	v_clz_i32_u32_e32 v5, v5
	s_delay_alu instid0(VALU_DEP_1) | instskip(SKIP_1) | instid1(VALU_DEP_2)
	v_min_u32_e32 v12, 32, v5
	v_mov_b32_e32 v5, v3
	v_subrev_nc_u32_e32 v86, 29, v12
	v_sub_nc_u32_e32 v12, 30, v12
	s_delay_alu instid0(VALU_DEP_2) | instskip(NEXT) | instid1(VALU_DEP_1)
	v_lshlrev_b64_e32 v[4:5], v86, v[4:5]
	v_and_b32_e32 v5, 3, v4
.LBB4_4868:                             ;   in Loop: Header=BB4_3365 Depth=4
	s_or_b32 exec_lo, exec_lo, s76
	v_lshlrev_b32_e32 v4, 16, v15
	s_delay_alu instid0(VALU_DEP_1) | instskip(NEXT) | instid1(VALU_DEP_1)
	v_and_b32_e32 v4, 0x80000000, v4
	v_lshl_add_u32 v4, v12, 23, v4
	s_delay_alu instid0(VALU_DEP_1) | instskip(NEXT) | instid1(VALU_DEP_1)
	v_lshl_or_b32 v4, v5, 21, v4
                                        ; implicit-def: $vgpr5
	v_add_nc_u32_e32 v12, 0x38000000, v4
.LBB4_4869:                             ;   in Loop: Header=BB4_3365 Depth=4
	s_and_not1_saveexec_b32 s76, s13
; %bb.4870:                             ;   in Loop: Header=BB4_3365 Depth=4
	v_cmp_lt_i16_e64 s13, -1, v15
	v_cmp_eq_u32_e32 vcc_lo, 0, v5
	s_delay_alu instid0(VALU_DEP_2) | instskip(NEXT) | instid1(VALU_DEP_1)
	v_cndmask_b32_e64 v4, 0xff800000, v48, s13
	v_cndmask_b32_e32 v12, 0x7f800001, v4, vcc_lo
; %bb.4871:                             ;   in Loop: Header=BB4_3365 Depth=4
	s_or_b32 exec_lo, exec_lo, s76
.LBB4_4872:                             ;   in Loop: Header=BB4_3365 Depth=4
	s_delay_alu instid0(SALU_CYCLE_1)
	s_or_b32 exec_lo, exec_lo, s75
.LBB4_4873:                             ;   in Loop: Header=BB4_3365 Depth=4
	s_delay_alu instid0(SALU_CYCLE_1) | instskip(NEXT) | instid1(VALU_DEP_1)
	s_or_b32 exec_lo, exec_lo, s74
	v_dual_add_f32 v12, v13, v12 :: v_dual_mov_b32 v87, v3
	v_mov_b32_e32 v5, v3
                                        ; implicit-def: $vgpr72
	s_mov_b32 s13, exec_lo
	s_delay_alu instid0(VALU_DEP_2) | instskip(SKIP_2) | instid1(VALU_DEP_3)
	v_and_b32_e32 v86, 0x7f800000, v12
	v_and_b32_e32 v4, 0x7fffff, v12
	v_lshrrev_b32_e32 v13, 24, v12
	v_cmpx_ne_u64_e32 0x7f800000, v[86:87]
	s_xor_b32 s74, exec_lo, s13
	s_cbranch_execz .LBB4_4887
; %bb.4874:                             ;   in Loop: Header=BB4_3365 Depth=4
	v_and_b32_e32 v86, 0x7fffffff, v12
	v_mov_b32_e32 v87, v3
	v_and_b32_e32 v75, 0x80, v13
                                        ; implicit-def: $vgpr72
	s_mov_b32 s13, exec_lo
	s_delay_alu instid0(VALU_DEP_2)
	v_cmpx_gt_u64_e32 0x47600001, v[86:87]
	s_xor_b32 s75, exec_lo, s13
	s_cbranch_execz .LBB4_4884
; %bb.4875:                             ;   in Loop: Header=BB4_3365 Depth=4
	v_mov_b32_e32 v72, 0
	s_mov_b32 s76, exec_lo
	v_cmpx_ne_u32_e32 0, v12
	s_cbranch_execz .LBB4_4883
; %bb.4876:                             ;   in Loop: Header=BB4_3365 Depth=4
	v_bfe_u32 v72, v12, 23, 8
	v_or_b32_e32 v13, 0x800000, v4
	s_delay_alu instid0(VALU_DEP_2) | instskip(SKIP_2) | instid1(VALU_DEP_2)
	v_cmp_gt_u32_e64 s13, 0x72, v72
	v_sub_nc_u32_e32 v12, 0x71, v72
	v_cmp_eq_u32_e32 vcc_lo, 0, v72
	v_cndmask_b32_e64 v12, 0, v12, s13
	s_delay_alu instid0(VALU_DEP_1) | instskip(NEXT) | instid1(VALU_DEP_1)
	v_cndmask_b32_e64 v86, v12, 0x70, vcc_lo
	v_dual_cndmask_b32 v4, v13, v4, vcc_lo :: v_dual_add_nc_u32 v12, 21, v86
	v_add_nc_u32_e32 v87, 20, v86
	s_delay_alu instid0(VALU_DEP_2) | instskip(NEXT) | instid1(VALU_DEP_2)
	v_lshlrev_b64_e64 v[12:13], v12, -1
	v_lshlrev_b64_e64 v[96:97], v87, 1
	s_delay_alu instid0(VALU_DEP_2) | instskip(SKIP_1) | instid1(VALU_DEP_4)
	v_bfi_b32 v12, v12, 0, v4
	v_lshrrev_b64 v[4:5], v86, v[4:5]
	v_bfi_b32 v13, v13, 0, 0
	s_delay_alu instid0(VALU_DEP_1) | instskip(NEXT) | instid1(VALU_DEP_3)
	v_cmp_eq_u64_e64 s13, v[12:13], v[96:97]
	v_mov_b64_e32 v[12:13], v[4:5]
	s_and_saveexec_b32 s77, s13
; %bb.4877:                             ;   in Loop: Header=BB4_3365 Depth=4
	v_bfe_u32 v12, v4, 21, 1
	v_mov_b32_e32 v13, v3
	s_delay_alu instid0(VALU_DEP_1) | instskip(NEXT) | instid1(VALU_DEP_1)
	v_add_nc_u64_e32 v[12:13], v[4:5], v[12:13]
	v_add_nc_u64_e32 v[12:13], -1, v[12:13]
; %bb.4878:                             ;   in Loop: Header=BB4_3365 Depth=4
	s_or_b32 exec_lo, exec_lo, s77
	v_add_nc_u32_e32 v5, 0xffffff81, v72
	v_lshrrev_b32_e32 v13, 23, v4
	s_mov_b32 s13, exec_lo
	s_delay_alu instid0(VALU_DEP_2) | instskip(NEXT) | instid1(VALU_DEP_1)
	v_cndmask_b32_e64 v5, v5, 0xffffff82, vcc_lo
	v_add3_u32 v86, v86, v5, v13
	v_and_b32_e32 v5, 0x1fffff, v12
                                        ; implicit-def: $vgpr12
	s_delay_alu instid0(VALU_DEP_1) | instskip(SKIP_1) | instid1(VALU_DEP_2)
	v_dual_add_nc_u32 v13, 14, v86 :: v_dual_add_nc_u32 v4, v5, v4
	v_mov_b32_e32 v5, v3
	v_cmpx_ne_u32_e32 0, v13
	s_xor_b32 s13, exec_lo, s13
; %bb.4879:                             ;   in Loop: Header=BB4_3365 Depth=4
	s_delay_alu instid0(VALU_DEP_2) | instskip(SKIP_1) | instid1(VALU_DEP_1)
	v_cmp_lt_u64_e32 vcc_lo, 0xffffff, v[4:5]
	v_add_nc_u32_e32 v12, 15, v86
	v_cndmask_b32_e32 v12, v13, v12, vcc_lo
	v_cndmask_b32_e64 v13, 0, 1, vcc_lo
	s_delay_alu instid0(VALU_DEP_1)
	v_lshrrev_b64 v[4:5], v13, v[4:5]
; %bb.4880:                             ;   in Loop: Header=BB4_3365 Depth=4
	s_and_not1_saveexec_b32 s13, s13
; %bb.4881:                             ;   in Loop: Header=BB4_3365 Depth=4
	s_delay_alu instid0(VALU_DEP_1)
	v_bfe_u32 v12, v4, 23, 1
; %bb.4882:                             ;   in Loop: Header=BB4_3365 Depth=4
	s_or_b32 exec_lo, exec_lo, s13
	s_delay_alu instid0(VALU_DEP_2) | instskip(NEXT) | instid1(VALU_DEP_2)
	v_lshrrev_b64 v[4:5], 21, v[4:5]
	v_cmp_gt_i32_e32 vcc_lo, 32, v12
	v_min_i32_e32 v13, 31, v12
	v_cmp_eq_u32_e64 s13, 0, v12
	s_delay_alu instid0(VALU_DEP_4) | instskip(NEXT) | instid1(VALU_DEP_3)
	v_cndmask_b32_e32 v5, 0, v5, vcc_lo
	v_dual_cndmask_b32 v4, 3, v4 :: v_dual_lshlrev_b32 v13, 2, v13
	s_delay_alu instid0(VALU_DEP_1) | instskip(NEXT) | instid1(VALU_DEP_2)
	v_and_b32_e32 v13, 0xfc, v13
	v_cmp_eq_u64_e32 vcc_lo, 0, v[4:5]
	s_delay_alu instid0(VALU_DEP_2)
	v_and_or_b32 v4, v4, 3, v13
	s_and_b32 s13, s13, vcc_lo
	s_delay_alu instid0(VALU_DEP_1) | instid1(SALU_CYCLE_1)
	v_cndmask_b32_e64 v4, v4, 0, s13
	s_delay_alu instid0(VALU_DEP_1)
	v_or_b32_e32 v72, v4, v75
.LBB4_4883:                             ;   in Loop: Header=BB4_3365 Depth=4
	s_or_b32 exec_lo, exec_lo, s76
                                        ; implicit-def: $vgpr75
.LBB4_4884:                             ;   in Loop: Header=BB4_3365 Depth=4
	s_and_not1_saveexec_b32 s13, s75
; %bb.4885:                             ;   in Loop: Header=BB4_3365 Depth=4
	v_or_b32_e32 v72, 0x7b, v75
; %bb.4886:                             ;   in Loop: Header=BB4_3365 Depth=4
	s_or_b32 exec_lo, exec_lo, s13
                                        ; implicit-def: $vgpr12
                                        ; implicit-def: $vgpr4_vgpr5
                                        ; implicit-def: $vgpr13
.LBB4_4887:                             ;   in Loop: Header=BB4_3365 Depth=4
	s_and_not1_saveexec_b32 s13, s74
	s_cbranch_execz .LBB4_4893
; %bb.4888:                             ;   in Loop: Header=BB4_3365 Depth=4
	s_mov_b32 s74, exec_lo
                                        ; implicit-def: $vgpr72
	v_cmpx_ne_u64_e32 0, v[4:5]
	s_xor_b32 s74, exec_lo, s74
; %bb.4889:                             ;   in Loop: Header=BB4_3365 Depth=4
	v_or_b32_e32 v72, 0x7f, v13
                                        ; implicit-def: $vgpr12
; %bb.4890:                             ;   in Loop: Header=BB4_3365 Depth=4
	s_and_not1_saveexec_b32 s74, s74
; %bb.4891:                             ;   in Loop: Header=BB4_3365 Depth=4
	v_cmp_lt_i32_e32 vcc_lo, -1, v12
	v_cndmask_b32_e32 v72, 0xfc, v49, vcc_lo
; %bb.4892:                             ;   in Loop: Header=BB4_3365 Depth=4
	s_or_b32 exec_lo, exec_lo, s74
.LBB4_4893:                             ;   in Loop: Header=BB4_3365 Depth=4
	s_delay_alu instid0(SALU_CYCLE_1) | instskip(SKIP_3) | instid1(VALU_DEP_2)
	s_or_b32 exec_lo, exec_lo, s13
	v_dual_mov_b32 v5, 0 :: v_dual_lshrrev_b32 v4, 16, v2
	v_mov_b32_e32 v12, 0
	s_mov_b32 s74, exec_lo
	v_and_b32_e32 v13, 0xff, v4
	s_delay_alu instid0(VALU_DEP_1)
	v_cmpx_ne_u16_e32 0, v13
	s_cbranch_execz .LBB4_4903
; %bb.4894:                             ;   in Loop: Header=BB4_3365 Depth=4
	v_bfrev_b32_e32 v12, 1
	s_mov_b32 s75, exec_lo
	v_cmpx_ne_u16_e32 0x80, v13
	s_cbranch_execz .LBB4_4902
; %bb.4895:                             ;   in Loop: Header=BB4_3365 Depth=4
	v_and_b32_e32 v12, 0x7c0000, v2
	v_bfe_u32 v13, v2, 16, 2
	s_delay_alu instid0(VALU_DEP_2) | instskip(SKIP_1) | instid1(SALU_CYCLE_1)
	v_cmp_ne_u32_e32 vcc_lo, 0x7c0000, v12
                                        ; implicit-def: $vgpr12
	s_and_saveexec_b32 s13, vcc_lo
	s_xor_b32 s13, exec_lo, s13
	s_cbranch_execz .LBB4_4899
; %bb.4896:                             ;   in Loop: Header=BB4_3365 Depth=4
	v_bfe_u32 v12, v2, 18, 5
	s_mov_b32 s76, exec_lo
	s_delay_alu instid0(VALU_DEP_1)
	v_cmpx_eq_u32_e32 0, v12
; %bb.4897:                             ;   in Loop: Header=BB4_3365 Depth=4
	v_clz_i32_u32_e32 v12, v13
	s_delay_alu instid0(VALU_DEP_1) | instskip(NEXT) | instid1(VALU_DEP_1)
	v_min_u32_e32 v12, 32, v12
	v_subrev_nc_u32_e32 v13, 29, v12
	s_delay_alu instid0(VALU_DEP_1) | instskip(NEXT) | instid1(VALU_DEP_1)
	v_lshlrev_b64_e32 v[86:87], v13, v[4:5]
	v_dual_sub_nc_u32 v12, 30, v12 :: v_dual_bitop2_b32 v13, 3, v86 bitop3:0x40
; %bb.4898:                             ;   in Loop: Header=BB4_3365 Depth=4
	s_or_b32 exec_lo, exec_lo, s76
	v_lshlrev_b32_e32 v4, 24, v4
	s_delay_alu instid0(VALU_DEP_1) | instskip(NEXT) | instid1(VALU_DEP_1)
	v_and_b32_e32 v4, 0x80000000, v4
	v_lshl_add_u32 v4, v12, 23, v4
	s_delay_alu instid0(VALU_DEP_1) | instskip(NEXT) | instid1(VALU_DEP_1)
	v_lshl_or_b32 v4, v13, 21, v4
                                        ; implicit-def: $vgpr13
	v_add_nc_u32_e32 v12, 0x38000000, v4
                                        ; implicit-def: $vgpr4
.LBB4_4899:                             ;   in Loop: Header=BB4_3365 Depth=4
	s_and_not1_saveexec_b32 s76, s13
; %bb.4900:                             ;   in Loop: Header=BB4_3365 Depth=4
	v_bfe_i32 v4, v4, 0, 8
	v_cmp_eq_u32_e32 vcc_lo, 0, v13
	s_delay_alu instid0(VALU_DEP_2) | instskip(NEXT) | instid1(VALU_DEP_1)
	v_cmp_lt_i16_e64 s13, -1, v4
	v_cndmask_b32_e64 v4, 0xff800000, v48, s13
	s_delay_alu instid0(VALU_DEP_1)
	v_cndmask_b32_e32 v12, 0x7f800001, v4, vcc_lo
; %bb.4901:                             ;   in Loop: Header=BB4_3365 Depth=4
	s_or_b32 exec_lo, exec_lo, s76
.LBB4_4902:                             ;   in Loop: Header=BB4_3365 Depth=4
	s_delay_alu instid0(SALU_CYCLE_1)
	s_or_b32 exec_lo, exec_lo, s75
.LBB4_4903:                             ;   in Loop: Header=BB4_3365 Depth=4
	s_delay_alu instid0(SALU_CYCLE_1) | instskip(SKIP_2) | instid1(VALU_DEP_1)
	s_or_b32 exec_lo, exec_lo, s74
	v_lshrrev_b32_e32 v4, 16, v15
	s_mov_b32 s74, exec_lo
	v_and_b32_e32 v13, 0xff, v4
	s_delay_alu instid0(VALU_DEP_1)
	v_cmpx_ne_u16_e32 0, v13
	s_cbranch_execz .LBB4_4913
; %bb.4904:                             ;   in Loop: Header=BB4_3365 Depth=4
	v_bfrev_b32_e32 v5, 1
	s_mov_b32 s75, exec_lo
	v_cmpx_ne_u16_e32 0x80, v13
	s_cbranch_execz .LBB4_4912
; %bb.4905:                             ;   in Loop: Header=BB4_3365 Depth=4
	v_and_b32_e32 v5, 0x7c0000, v15
	v_bfe_u32 v13, v15, 16, 2
	s_delay_alu instid0(VALU_DEP_2) | instskip(SKIP_1) | instid1(SALU_CYCLE_1)
	v_cmp_ne_u32_e32 vcc_lo, 0x7c0000, v5
                                        ; implicit-def: $vgpr5
	s_and_saveexec_b32 s13, vcc_lo
	s_xor_b32 s13, exec_lo, s13
	s_cbranch_execz .LBB4_4909
; %bb.4906:                             ;   in Loop: Header=BB4_3365 Depth=4
	v_bfe_u32 v5, v15, 18, 5
	s_mov_b32 s76, exec_lo
	s_delay_alu instid0(VALU_DEP_1)
	v_cmpx_eq_u32_e32 0, v5
; %bb.4907:                             ;   in Loop: Header=BB4_3365 Depth=4
	v_clz_i32_u32_e32 v5, v13
	s_delay_alu instid0(VALU_DEP_1) | instskip(NEXT) | instid1(VALU_DEP_1)
	v_min_u32_e32 v5, 32, v5
	v_subrev_nc_u32_e32 v13, 29, v5
	s_delay_alu instid0(VALU_DEP_1) | instskip(NEXT) | instid1(VALU_DEP_1)
	v_lshlrev_b64_e32 v[86:87], v13, v[4:5]
	v_dual_sub_nc_u32 v5, 30, v5 :: v_dual_bitop2_b32 v13, 3, v86 bitop3:0x40
; %bb.4908:                             ;   in Loop: Header=BB4_3365 Depth=4
	s_or_b32 exec_lo, exec_lo, s76
	v_lshlrev_b32_e32 v4, 24, v4
	s_delay_alu instid0(VALU_DEP_1) | instskip(NEXT) | instid1(VALU_DEP_1)
	v_and_b32_e32 v4, 0x80000000, v4
	v_lshl_add_u32 v4, v5, 23, v4
	s_delay_alu instid0(VALU_DEP_1) | instskip(NEXT) | instid1(VALU_DEP_1)
	v_lshl_or_b32 v4, v13, 21, v4
                                        ; implicit-def: $vgpr13
	v_add_nc_u32_e32 v5, 0x38000000, v4
                                        ; implicit-def: $vgpr4
.LBB4_4909:                             ;   in Loop: Header=BB4_3365 Depth=4
	s_and_not1_saveexec_b32 s76, s13
; %bb.4910:                             ;   in Loop: Header=BB4_3365 Depth=4
	v_bfe_i32 v4, v4, 0, 8
	v_cmp_eq_u32_e32 vcc_lo, 0, v13
	s_delay_alu instid0(VALU_DEP_2) | instskip(NEXT) | instid1(VALU_DEP_1)
	v_cmp_lt_i16_e64 s13, -1, v4
	v_cndmask_b32_e64 v4, 0xff800000, v48, s13
	s_delay_alu instid0(VALU_DEP_1)
	v_cndmask_b32_e32 v5, 0x7f800001, v4, vcc_lo
; %bb.4911:                             ;   in Loop: Header=BB4_3365 Depth=4
	s_or_b32 exec_lo, exec_lo, s76
.LBB4_4912:                             ;   in Loop: Header=BB4_3365 Depth=4
	s_delay_alu instid0(SALU_CYCLE_1)
	s_or_b32 exec_lo, exec_lo, s75
.LBB4_4913:                             ;   in Loop: Header=BB4_3365 Depth=4
	s_delay_alu instid0(SALU_CYCLE_1) | instskip(NEXT) | instid1(VALU_DEP_1)
	s_or_b32 exec_lo, exec_lo, s74
	v_dual_add_f32 v12, v12, v5 :: v_dual_mov_b32 v87, v3
	v_mov_b32_e32 v5, v3
                                        ; implicit-def: $vgpr75
	s_mov_b32 s13, exec_lo
	s_delay_alu instid0(VALU_DEP_2) | instskip(SKIP_2) | instid1(VALU_DEP_3)
	v_and_b32_e32 v86, 0x7f800000, v12
	v_and_b32_e32 v4, 0x7fffff, v12
	v_lshrrev_b32_e32 v13, 24, v12
	v_cmpx_ne_u64_e32 0x7f800000, v[86:87]
	s_xor_b32 s74, exec_lo, s13
	s_cbranch_execz .LBB4_4927
; %bb.4914:                             ;   in Loop: Header=BB4_3365 Depth=4
	v_and_b32_e32 v86, 0x7fffffff, v12
	v_mov_b32_e32 v87, v3
	v_and_b32_e32 v77, 0x80, v13
                                        ; implicit-def: $vgpr75
	s_mov_b32 s13, exec_lo
	s_delay_alu instid0(VALU_DEP_2)
	v_cmpx_gt_u64_e32 0x47600001, v[86:87]
	s_xor_b32 s75, exec_lo, s13
	s_cbranch_execz .LBB4_4924
; %bb.4915:                             ;   in Loop: Header=BB4_3365 Depth=4
	v_mov_b32_e32 v75, 0
	s_mov_b32 s76, exec_lo
	v_cmpx_ne_u32_e32 0, v12
	s_cbranch_execz .LBB4_4923
; %bb.4916:                             ;   in Loop: Header=BB4_3365 Depth=4
	v_bfe_u32 v75, v12, 23, 8
	v_or_b32_e32 v13, 0x800000, v4
	s_delay_alu instid0(VALU_DEP_2) | instskip(SKIP_2) | instid1(VALU_DEP_2)
	v_cmp_gt_u32_e64 s13, 0x72, v75
	v_sub_nc_u32_e32 v12, 0x71, v75
	v_cmp_eq_u32_e32 vcc_lo, 0, v75
	v_cndmask_b32_e64 v12, 0, v12, s13
	s_delay_alu instid0(VALU_DEP_1) | instskip(NEXT) | instid1(VALU_DEP_1)
	v_cndmask_b32_e64 v86, v12, 0x70, vcc_lo
	v_dual_cndmask_b32 v4, v13, v4, vcc_lo :: v_dual_add_nc_u32 v12, 21, v86
	v_add_nc_u32_e32 v87, 20, v86
	s_delay_alu instid0(VALU_DEP_2) | instskip(NEXT) | instid1(VALU_DEP_2)
	v_lshlrev_b64_e64 v[12:13], v12, -1
	v_lshlrev_b64_e64 v[96:97], v87, 1
	s_delay_alu instid0(VALU_DEP_2) | instskip(SKIP_1) | instid1(VALU_DEP_4)
	v_bfi_b32 v12, v12, 0, v4
	v_lshrrev_b64 v[4:5], v86, v[4:5]
	v_bfi_b32 v13, v13, 0, 0
	s_delay_alu instid0(VALU_DEP_1) | instskip(NEXT) | instid1(VALU_DEP_3)
	v_cmp_eq_u64_e64 s13, v[12:13], v[96:97]
	v_mov_b64_e32 v[12:13], v[4:5]
	s_and_saveexec_b32 s77, s13
; %bb.4917:                             ;   in Loop: Header=BB4_3365 Depth=4
	v_bfe_u32 v12, v4, 21, 1
	v_mov_b32_e32 v13, v3
	s_delay_alu instid0(VALU_DEP_1) | instskip(NEXT) | instid1(VALU_DEP_1)
	v_add_nc_u64_e32 v[12:13], v[4:5], v[12:13]
	v_add_nc_u64_e32 v[12:13], -1, v[12:13]
; %bb.4918:                             ;   in Loop: Header=BB4_3365 Depth=4
	s_or_b32 exec_lo, exec_lo, s77
	v_add_nc_u32_e32 v5, 0xffffff81, v75
	v_lshrrev_b32_e32 v13, 23, v4
	s_mov_b32 s13, exec_lo
	s_delay_alu instid0(VALU_DEP_2) | instskip(NEXT) | instid1(VALU_DEP_1)
	v_cndmask_b32_e64 v5, v5, 0xffffff82, vcc_lo
	v_add3_u32 v86, v86, v5, v13
	v_and_b32_e32 v5, 0x1fffff, v12
                                        ; implicit-def: $vgpr12
	s_delay_alu instid0(VALU_DEP_1) | instskip(SKIP_1) | instid1(VALU_DEP_2)
	v_dual_add_nc_u32 v13, 14, v86 :: v_dual_add_nc_u32 v4, v5, v4
	v_mov_b32_e32 v5, v3
	v_cmpx_ne_u32_e32 0, v13
	s_xor_b32 s13, exec_lo, s13
; %bb.4919:                             ;   in Loop: Header=BB4_3365 Depth=4
	s_delay_alu instid0(VALU_DEP_2) | instskip(SKIP_1) | instid1(VALU_DEP_1)
	v_cmp_lt_u64_e32 vcc_lo, 0xffffff, v[4:5]
	v_add_nc_u32_e32 v12, 15, v86
	v_cndmask_b32_e32 v12, v13, v12, vcc_lo
	v_cndmask_b32_e64 v13, 0, 1, vcc_lo
	s_delay_alu instid0(VALU_DEP_1)
	v_lshrrev_b64 v[4:5], v13, v[4:5]
; %bb.4920:                             ;   in Loop: Header=BB4_3365 Depth=4
	s_and_not1_saveexec_b32 s13, s13
; %bb.4921:                             ;   in Loop: Header=BB4_3365 Depth=4
	s_delay_alu instid0(VALU_DEP_1)
	v_bfe_u32 v12, v4, 23, 1
; %bb.4922:                             ;   in Loop: Header=BB4_3365 Depth=4
	s_or_b32 exec_lo, exec_lo, s13
	s_delay_alu instid0(VALU_DEP_2) | instskip(NEXT) | instid1(VALU_DEP_2)
	v_lshrrev_b64 v[4:5], 21, v[4:5]
	v_cmp_gt_i32_e32 vcc_lo, 32, v12
	v_min_i32_e32 v13, 31, v12
	v_cmp_eq_u32_e64 s13, 0, v12
	s_delay_alu instid0(VALU_DEP_4) | instskip(NEXT) | instid1(VALU_DEP_3)
	v_cndmask_b32_e32 v5, 0, v5, vcc_lo
	v_dual_cndmask_b32 v4, 3, v4 :: v_dual_lshlrev_b32 v13, 2, v13
	s_delay_alu instid0(VALU_DEP_1) | instskip(NEXT) | instid1(VALU_DEP_2)
	v_and_b32_e32 v13, 0xfc, v13
	v_cmp_eq_u64_e32 vcc_lo, 0, v[4:5]
	s_delay_alu instid0(VALU_DEP_2)
	v_and_or_b32 v4, v4, 3, v13
	s_and_b32 s13, s13, vcc_lo
	s_delay_alu instid0(VALU_DEP_1) | instid1(SALU_CYCLE_1)
	v_cndmask_b32_e64 v4, v4, 0, s13
	s_delay_alu instid0(VALU_DEP_1)
	v_or_b32_e32 v75, v4, v77
.LBB4_4923:                             ;   in Loop: Header=BB4_3365 Depth=4
	s_or_b32 exec_lo, exec_lo, s76
                                        ; implicit-def: $vgpr77
.LBB4_4924:                             ;   in Loop: Header=BB4_3365 Depth=4
	s_and_not1_saveexec_b32 s13, s75
; %bb.4925:                             ;   in Loop: Header=BB4_3365 Depth=4
	v_or_b32_e32 v75, 0x7b, v77
; %bb.4926:                             ;   in Loop: Header=BB4_3365 Depth=4
	s_or_b32 exec_lo, exec_lo, s13
                                        ; implicit-def: $vgpr12
                                        ; implicit-def: $vgpr4_vgpr5
                                        ; implicit-def: $vgpr13
.LBB4_4927:                             ;   in Loop: Header=BB4_3365 Depth=4
	s_and_not1_saveexec_b32 s13, s74
	s_cbranch_execz .LBB4_4933
; %bb.4928:                             ;   in Loop: Header=BB4_3365 Depth=4
	s_mov_b32 s74, exec_lo
                                        ; implicit-def: $vgpr75
	v_cmpx_ne_u64_e32 0, v[4:5]
	s_xor_b32 s74, exec_lo, s74
; %bb.4929:                             ;   in Loop: Header=BB4_3365 Depth=4
	v_or_b32_e32 v75, 0x7f, v13
                                        ; implicit-def: $vgpr12
; %bb.4930:                             ;   in Loop: Header=BB4_3365 Depth=4
	s_and_not1_saveexec_b32 s74, s74
; %bb.4931:                             ;   in Loop: Header=BB4_3365 Depth=4
	v_cmp_lt_i32_e32 vcc_lo, -1, v12
	v_cndmask_b32_e32 v75, 0xfc, v49, vcc_lo
; %bb.4932:                             ;   in Loop: Header=BB4_3365 Depth=4
	s_or_b32 exec_lo, exec_lo, s74
.LBB4_4933:                             ;   in Loop: Header=BB4_3365 Depth=4
	s_delay_alu instid0(SALU_CYCLE_1)
	s_or_b32 exec_lo, exec_lo, s13
	v_dual_mov_b32 v5, 0 :: v_dual_mov_b32 v12, 0
	s_mov_b32 s74, exec_lo
	v_cmpx_lt_u32_e32 0xffffff, v2
	s_cbranch_execz .LBB4_4943
; %bb.4934:                             ;   in Loop: Header=BB4_3365 Depth=4
	v_lshrrev_b32_e32 v4, 24, v2
	v_bfrev_b32_e32 v12, 1
	s_mov_b32 s75, exec_lo
	s_delay_alu instid0(VALU_DEP_2)
	v_cmpx_ne_u32_e32 0x80, v4
	s_cbranch_execz .LBB4_4942
; %bb.4935:                             ;   in Loop: Header=BB4_3365 Depth=4
	v_and_b32_e32 v12, 0x7c000000, v2
	v_bfe_u32 v13, v2, 24, 2
	s_delay_alu instid0(VALU_DEP_2) | instskip(SKIP_1) | instid1(SALU_CYCLE_1)
	v_cmp_ne_u32_e32 vcc_lo, 0x7c000000, v12
                                        ; implicit-def: $vgpr12
	s_and_saveexec_b32 s13, vcc_lo
	s_xor_b32 s13, exec_lo, s13
	s_cbranch_execz .LBB4_4939
; %bb.4936:                             ;   in Loop: Header=BB4_3365 Depth=4
	v_bfe_u32 v12, v2, 26, 5
	s_mov_b32 s76, exec_lo
	s_delay_alu instid0(VALU_DEP_1)
	v_cmpx_eq_u32_e32 0, v12
; %bb.4937:                             ;   in Loop: Header=BB4_3365 Depth=4
	v_clz_i32_u32_e32 v12, v13
	s_delay_alu instid0(VALU_DEP_1) | instskip(NEXT) | instid1(VALU_DEP_1)
	v_min_u32_e32 v12, 32, v12
	v_subrev_nc_u32_e32 v13, 29, v12
	s_delay_alu instid0(VALU_DEP_1) | instskip(NEXT) | instid1(VALU_DEP_1)
	v_lshlrev_b64_e32 v[86:87], v13, v[4:5]
	v_dual_sub_nc_u32 v12, 30, v12 :: v_dual_bitop2_b32 v13, 3, v86 bitop3:0x40
; %bb.4938:                             ;   in Loop: Header=BB4_3365 Depth=4
	s_or_b32 exec_lo, exec_lo, s76
	v_and_b32_e32 v2, 0x80000000, v2
	s_delay_alu instid0(VALU_DEP_1) | instskip(NEXT) | instid1(VALU_DEP_1)
	v_lshl_add_u32 v2, v12, 23, v2
	v_lshl_or_b32 v2, v13, 21, v2
                                        ; implicit-def: $vgpr13
	s_delay_alu instid0(VALU_DEP_1)
	v_add_nc_u32_e32 v12, 0x38000000, v2
.LBB4_4939:                             ;   in Loop: Header=BB4_3365 Depth=4
	s_and_not1_saveexec_b32 s76, s13
; %bb.4940:                             ;   in Loop: Header=BB4_3365 Depth=4
	v_cmp_lt_i32_e64 s13, -1, v2
	v_cmp_eq_u32_e32 vcc_lo, 0, v13
	s_delay_alu instid0(VALU_DEP_2) | instskip(NEXT) | instid1(VALU_DEP_1)
	v_cndmask_b32_e64 v2, 0xff800000, v48, s13
	v_cndmask_b32_e32 v12, 0x7f800001, v2, vcc_lo
; %bb.4941:                             ;   in Loop: Header=BB4_3365 Depth=4
	s_or_b32 exec_lo, exec_lo, s76
.LBB4_4942:                             ;   in Loop: Header=BB4_3365 Depth=4
	s_delay_alu instid0(SALU_CYCLE_1)
	s_or_b32 exec_lo, exec_lo, s75
.LBB4_4943:                             ;   in Loop: Header=BB4_3365 Depth=4
	s_delay_alu instid0(SALU_CYCLE_1) | instskip(NEXT) | instid1(SALU_CYCLE_1)
	s_or_b32 exec_lo, exec_lo, s74
	s_mov_b32 s74, exec_lo
	v_cmpx_lt_u64_e64 s[22:23], v[14:15]
	s_cbranch_execz .LBB4_4953
; %bb.4944:                             ;   in Loop: Header=BB4_3365 Depth=4
	v_lshrrev_b32_e32 v2, 24, v15
	v_bfrev_b32_e32 v5, 1
	s_mov_b32 s75, exec_lo
	s_delay_alu instid0(VALU_DEP_2)
	v_cmpx_ne_u32_e32 0x80, v2
	s_cbranch_execz .LBB4_4952
; %bb.4945:                             ;   in Loop: Header=BB4_3365 Depth=4
	v_and_b32_e32 v5, 0x7c000000, v15
	v_bfe_u32 v4, v15, 24, 2
	s_delay_alu instid0(VALU_DEP_2) | instskip(SKIP_1) | instid1(SALU_CYCLE_1)
	v_cmp_ne_u32_e32 vcc_lo, 0x7c000000, v5
                                        ; implicit-def: $vgpr5
	s_and_saveexec_b32 s13, vcc_lo
	s_xor_b32 s13, exec_lo, s13
	s_cbranch_execz .LBB4_4949
; %bb.4946:                             ;   in Loop: Header=BB4_3365 Depth=4
	v_bfe_u32 v5, v15, 26, 5
	s_mov_b32 s76, exec_lo
	s_delay_alu instid0(VALU_DEP_1)
	v_cmpx_eq_u32_e32 0, v5
; %bb.4947:                             ;   in Loop: Header=BB4_3365 Depth=4
	v_clz_i32_u32_e32 v4, v4
	s_delay_alu instid0(VALU_DEP_1) | instskip(NEXT) | instid1(VALU_DEP_1)
	v_min_u32_e32 v13, 32, v4
	v_subrev_nc_u32_e32 v4, 29, v13
	s_delay_alu instid0(VALU_DEP_1) | instskip(NEXT) | instid1(VALU_DEP_1)
	v_lshlrev_b64_e32 v[4:5], v4, v[2:3]
	v_dual_sub_nc_u32 v5, 30, v13 :: v_dual_bitop2_b32 v4, 3, v4 bitop3:0x40
; %bb.4948:                             ;   in Loop: Header=BB4_3365 Depth=4
	s_or_b32 exec_lo, exec_lo, s76
	v_and_b32_e32 v2, 0x80000000, v15
                                        ; implicit-def: $vgpr14_vgpr15
	s_delay_alu instid0(VALU_DEP_1) | instskip(NEXT) | instid1(VALU_DEP_1)
	v_lshl_add_u32 v2, v5, 23, v2
	v_lshl_or_b32 v2, v4, 21, v2
                                        ; implicit-def: $vgpr4
	s_delay_alu instid0(VALU_DEP_1)
	v_add_nc_u32_e32 v5, 0x38000000, v2
.LBB4_4949:                             ;   in Loop: Header=BB4_3365 Depth=4
	s_and_not1_saveexec_b32 s76, s13
; %bb.4950:                             ;   in Loop: Header=BB4_3365 Depth=4
	v_cmp_lt_i64_e64 s13, -1, v[14:15]
	v_cmp_eq_u32_e32 vcc_lo, 0, v4
	s_delay_alu instid0(VALU_DEP_2) | instskip(NEXT) | instid1(VALU_DEP_1)
	v_cndmask_b32_e64 v2, 0xff800000, v48, s13
	v_cndmask_b32_e32 v5, 0x7f800001, v2, vcc_lo
; %bb.4951:                             ;   in Loop: Header=BB4_3365 Depth=4
	s_or_b32 exec_lo, exec_lo, s76
.LBB4_4952:                             ;   in Loop: Header=BB4_3365 Depth=4
	s_delay_alu instid0(SALU_CYCLE_1)
	s_or_b32 exec_lo, exec_lo, s75
.LBB4_4953:                             ;   in Loop: Header=BB4_3365 Depth=4
	s_delay_alu instid0(SALU_CYCLE_1) | instskip(NEXT) | instid1(VALU_DEP_1)
	s_or_b32 exec_lo, exec_lo, s74
	v_dual_add_f32 v4, v12, v5 :: v_dual_mov_b32 v13, v3
                                        ; implicit-def: $vgpr14
	s_mov_b32 s13, exec_lo
	s_delay_alu instid0(VALU_DEP_1) | instskip(SKIP_2) | instid1(VALU_DEP_3)
	v_and_b32_e32 v12, 0x7f800000, v4
	v_and_b32_e32 v2, 0x7fffff, v4
	v_lshrrev_b32_e32 v5, 24, v4
	v_cmpx_ne_u64_e32 0x7f800000, v[12:13]
	s_xor_b32 s74, exec_lo, s13
	s_cbranch_execz .LBB4_4967
; %bb.4954:                             ;   in Loop: Header=BB4_3365 Depth=4
	v_and_b32_e32 v12, 0x7fffffff, v4
	v_mov_b32_e32 v13, v3
	v_and_b32_e32 v15, 0x80, v5
                                        ; implicit-def: $vgpr14
	s_mov_b32 s13, exec_lo
	s_delay_alu instid0(VALU_DEP_2)
	v_cmpx_gt_u64_e32 0x47600001, v[12:13]
	s_xor_b32 s75, exec_lo, s13
	s_cbranch_execz .LBB4_4964
; %bb.4955:                             ;   in Loop: Header=BB4_3365 Depth=4
	v_mov_b32_e32 v14, 0
	s_mov_b32 s76, exec_lo
	v_cmpx_ne_u32_e32 0, v4
	s_cbranch_execz .LBB4_4963
; %bb.4956:                             ;   in Loop: Header=BB4_3365 Depth=4
	v_bfe_u32 v14, v4, 23, 8
	v_or_b32_e32 v5, 0x800000, v2
	s_delay_alu instid0(VALU_DEP_2) | instskip(SKIP_2) | instid1(VALU_DEP_2)
	v_cmp_gt_u32_e64 s13, 0x72, v14
	v_sub_nc_u32_e32 v4, 0x71, v14
	v_cmp_eq_u32_e32 vcc_lo, 0, v14
	v_cndmask_b32_e64 v4, 0, v4, s13
	s_delay_alu instid0(VALU_DEP_1) | instskip(SKIP_1) | instid1(VALU_DEP_2)
	v_cndmask_b32_e64 v77, v4, 0x70, vcc_lo
	v_dual_cndmask_b32 v4, v5, v2 :: v_dual_mov_b32 v5, v3
	v_add_nc_u32_e32 v2, 21, v77
	s_delay_alu instid0(VALU_DEP_1) | instskip(SKIP_1) | instid1(VALU_DEP_1)
	v_lshlrev_b64_e64 v[12:13], v2, -1
	v_add_nc_u32_e32 v2, 20, v77
	v_lshlrev_b64_e64 v[86:87], v2, 1
	s_delay_alu instid0(VALU_DEP_3) | instskip(SKIP_2) | instid1(VALU_DEP_1)
	v_bfi_b32 v12, v12, 0, v4
	v_lshrrev_b64 v[4:5], v77, v[4:5]
	v_bfi_b32 v13, v13, 0, 0
	v_cmp_eq_u64_e64 s13, v[12:13], v[86:87]
	s_delay_alu instid0(VALU_DEP_3)
	v_mov_b64_e32 v[12:13], v[4:5]
	s_and_saveexec_b32 s77, s13
; %bb.4957:                             ;   in Loop: Header=BB4_3365 Depth=4
	v_bfe_u32 v12, v4, 21, 1
	v_mov_b32_e32 v13, v3
	s_delay_alu instid0(VALU_DEP_1) | instskip(NEXT) | instid1(VALU_DEP_1)
	v_add_nc_u64_e32 v[12:13], v[4:5], v[12:13]
	v_add_nc_u64_e32 v[12:13], -1, v[12:13]
; %bb.4958:                             ;   in Loop: Header=BB4_3365 Depth=4
	s_or_b32 exec_lo, exec_lo, s77
	v_add_nc_u32_e32 v2, 0xffffff81, v14
	v_lshrrev_b32_e32 v5, 23, v4
	s_mov_b32 s13, exec_lo
	s_delay_alu instid0(VALU_DEP_2) | instskip(NEXT) | instid1(VALU_DEP_1)
	v_cndmask_b32_e64 v2, v2, 0xffffff82, vcc_lo
	v_add3_u32 v14, v77, v2, v5
	v_and_b32_e32 v2, 0x1fffff, v12
                                        ; implicit-def: $vgpr12
	s_delay_alu instid0(VALU_DEP_1) | instskip(NEXT) | instid1(VALU_DEP_1)
	v_dual_add_nc_u32 v13, 14, v14 :: v_dual_add_nc_u32 v2, v2, v4
                                        ; implicit-def: $vgpr4_vgpr5
	v_cmpx_ne_u32_e32 0, v13
	s_xor_b32 s13, exec_lo, s13
; %bb.4959:                             ;   in Loop: Header=BB4_3365 Depth=4
	s_delay_alu instid0(VALU_DEP_2) | instskip(SKIP_1) | instid1(VALU_DEP_1)
	v_cmp_lt_u64_e32 vcc_lo, 0xffffff, v[2:3]
	v_add_nc_u32_e32 v4, 15, v14
	v_cndmask_b32_e32 v12, v13, v4, vcc_lo
	v_cndmask_b32_e64 v4, 0, 1, vcc_lo
	s_delay_alu instid0(VALU_DEP_1)
	v_lshrrev_b64 v[4:5], v4, v[2:3]
; %bb.4960:                             ;   in Loop: Header=BB4_3365 Depth=4
	s_and_not1_saveexec_b32 s13, s13
; %bb.4961:                             ;   in Loop: Header=BB4_3365 Depth=4
	v_mov_b64_e32 v[4:5], v[2:3]
	v_bfe_u32 v12, v2, 23, 1
; %bb.4962:                             ;   in Loop: Header=BB4_3365 Depth=4
	s_or_b32 exec_lo, exec_lo, s13
	s_delay_alu instid0(VALU_DEP_2) | instskip(NEXT) | instid1(VALU_DEP_2)
	v_lshrrev_b64 v[4:5], 21, v[4:5]
	v_cmp_gt_i32_e32 vcc_lo, 32, v12
	v_min_i32_e32 v2, 31, v12
	v_cmp_eq_u32_e64 s13, 0, v12
	s_delay_alu instid0(VALU_DEP_2) | instskip(SKIP_1) | instid1(VALU_DEP_2)
	v_dual_cndmask_b32 v5, 0, v5 :: v_dual_lshlrev_b32 v2, 2, v2
	v_cndmask_b32_e32 v4, 3, v4, vcc_lo
	v_and_b32_e32 v2, 0xfc, v2
	s_delay_alu instid0(VALU_DEP_2) | instskip(NEXT) | instid1(VALU_DEP_2)
	v_cmp_eq_u64_e32 vcc_lo, 0, v[4:5]
	v_and_or_b32 v2, v4, 3, v2
	s_and_b32 s13, s13, vcc_lo
	s_delay_alu instid0(VALU_DEP_1) | instid1(SALU_CYCLE_1)
	v_cndmask_b32_e64 v2, v2, 0, s13
	s_delay_alu instid0(VALU_DEP_1)
	v_or_b32_e32 v14, v2, v15
.LBB4_4963:                             ;   in Loop: Header=BB4_3365 Depth=4
	s_or_b32 exec_lo, exec_lo, s76
                                        ; implicit-def: $vgpr15
.LBB4_4964:                             ;   in Loop: Header=BB4_3365 Depth=4
	s_and_not1_saveexec_b32 s13, s75
; %bb.4965:                             ;   in Loop: Header=BB4_3365 Depth=4
	v_or_b32_e32 v14, 0x7b, v15
; %bb.4966:                             ;   in Loop: Header=BB4_3365 Depth=4
	s_or_b32 exec_lo, exec_lo, s13
                                        ; implicit-def: $vgpr4
                                        ; implicit-def: $vgpr5
.LBB4_4967:                             ;   in Loop: Header=BB4_3365 Depth=4
	s_and_not1_saveexec_b32 s13, s74
	s_cbranch_execz .LBB4_4973
; %bb.4968:                             ;   in Loop: Header=BB4_3365 Depth=4
	s_mov_b32 s74, exec_lo
                                        ; implicit-def: $vgpr14
	v_cmpx_ne_u64_e32 0, v[2:3]
	s_xor_b32 s74, exec_lo, s74
; %bb.4969:                             ;   in Loop: Header=BB4_3365 Depth=4
	v_or_b32_e32 v14, 0x7f, v5
                                        ; implicit-def: $vgpr4
; %bb.4970:                             ;   in Loop: Header=BB4_3365 Depth=4
	s_and_not1_saveexec_b32 s74, s74
; %bb.4971:                             ;   in Loop: Header=BB4_3365 Depth=4
	v_cmp_lt_i32_e32 vcc_lo, -1, v4
	v_cndmask_b32_e32 v14, 0xfc, v49, vcc_lo
; %bb.4972:                             ;   in Loop: Header=BB4_3365 Depth=4
	s_or_b32 exec_lo, exec_lo, s74
.LBB4_4973:                             ;   in Loop: Header=BB4_3365 Depth=4
	s_delay_alu instid0(SALU_CYCLE_1) | instskip(SKIP_4) | instid1(VALU_DEP_2)
	s_or_b32 exec_lo, exec_lo, s13
	v_lshl_or_b32 v59, v59, 8, v66
	v_dual_lshlrev_b32 v2, 16, v63 :: v_dual_lshlrev_b32 v5, 24, v73
	v_mov_b32_e32 v4, 0
	s_mov_b32 s13, exec_lo
	v_or3_b32 v2, v2, v5, v59
	v_mov_b32_e32 v5, 0
	v_cmpx_ne_u32_e32 0, v66
	s_cbranch_execz .LBB4_4983
; %bb.4974:                             ;   in Loop: Header=BB4_3365 Depth=4
	v_bfrev_b32_e32 v5, 1
	s_mov_b32 s74, exec_lo
	v_cmpx_ne_u32_e32 0x80, v66
	s_cbranch_execz .LBB4_4982
; %bb.4975:                             ;   in Loop: Header=BB4_3365 Depth=4
	v_and_b32_e32 v5, 0x7c, v66
	v_and_b32_e32 v12, 3, v66
	s_delay_alu instid0(VALU_DEP_2) | instskip(SKIP_1) | instid1(SALU_CYCLE_1)
	v_cmp_ne_u32_e32 vcc_lo, 0x7c, v5
                                        ; implicit-def: $vgpr5
	s_and_saveexec_b32 s75, vcc_lo
	s_xor_b32 s75, exec_lo, s75
	s_cbranch_execz .LBB4_4979
; %bb.4976:                             ;   in Loop: Header=BB4_3365 Depth=4
	v_bfe_u32 v5, v66, 2, 5
	s_mov_b32 s76, exec_lo
	s_delay_alu instid0(VALU_DEP_1)
	v_cmpx_eq_u32_e32 0, v5
; %bb.4977:                             ;   in Loop: Header=BB4_3365 Depth=4
	v_clz_i32_u32_e32 v5, v12
	s_delay_alu instid0(VALU_DEP_1) | instskip(NEXT) | instid1(VALU_DEP_1)
	v_min_u32_e32 v5, 32, v5
	v_subrev_nc_u32_e32 v12, 29, v5
	s_delay_alu instid0(VALU_DEP_1) | instskip(NEXT) | instid1(VALU_DEP_1)
	v_lshlrev_b64_e32 v[12:13], v12, v[2:3]
	v_dual_sub_nc_u32 v5, 30, v5 :: v_dual_bitop2_b32 v12, 3, v12 bitop3:0x40
; %bb.4978:                             ;   in Loop: Header=BB4_3365 Depth=4
	s_or_b32 exec_lo, exec_lo, s76
	v_lshlrev_b32_e32 v13, 24, v66
                                        ; implicit-def: $vgpr66
	s_delay_alu instid0(VALU_DEP_1) | instskip(NEXT) | instid1(VALU_DEP_1)
	v_and_b32_e32 v13, 0x80000000, v13
	v_lshl_add_u32 v5, v5, 23, v13
	s_delay_alu instid0(VALU_DEP_1) | instskip(NEXT) | instid1(VALU_DEP_1)
	v_lshl_or_b32 v5, v12, 21, v5
                                        ; implicit-def: $vgpr12
	v_add_nc_u32_e32 v5, 0x38000000, v5
.LBB4_4979:                             ;   in Loop: Header=BB4_3365 Depth=4
	s_and_not1_saveexec_b32 s75, s75
; %bb.4980:                             ;   in Loop: Header=BB4_3365 Depth=4
	v_and_b32_e32 v5, 0x80, v66
	s_delay_alu instid0(VALU_DEP_1) | instskip(SKIP_2) | instid1(VALU_DEP_2)
	v_cmp_eq_u32_e32 vcc_lo, 0, v5
	v_cndmask_b32_e32 v5, 0xff800000, v48, vcc_lo
	v_cmp_eq_u32_e32 vcc_lo, 0, v12
	v_cndmask_b32_e32 v5, 0x7f800001, v5, vcc_lo
; %bb.4981:                             ;   in Loop: Header=BB4_3365 Depth=4
	s_or_b32 exec_lo, exec_lo, s75
.LBB4_4982:                             ;   in Loop: Header=BB4_3365 Depth=4
	s_delay_alu instid0(SALU_CYCLE_1)
	s_or_b32 exec_lo, exec_lo, s74
.LBB4_4983:                             ;   in Loop: Header=BB4_3365 Depth=4
	s_delay_alu instid0(SALU_CYCLE_1) | instskip(SKIP_3) | instid1(VALU_DEP_1)
	s_or_b32 exec_lo, exec_lo, s13
	s_wait_loadcnt 0x0
	v_and_b32_e32 v12, 0xff, v8
	s_mov_b32 s13, exec_lo
	v_cmpx_ne_u16_e32 0, v12
	s_cbranch_execz .LBB4_4993
; %bb.4984:                             ;   in Loop: Header=BB4_3365 Depth=4
	v_bfe_i32 v13, v8, 0, 8
	v_bfrev_b32_e32 v4, 1
	s_mov_b32 s74, exec_lo
	s_delay_alu instid0(VALU_DEP_2)
	v_cmpx_ne_u16_e32 0xff80, v13
	s_cbranch_execz .LBB4_4992
; %bb.4985:                             ;   in Loop: Header=BB4_3365 Depth=4
	v_and_b32_e32 v4, 0x7c, v8
	v_and_b32_e32 v12, 3, v8
	s_delay_alu instid0(VALU_DEP_2) | instskip(SKIP_1) | instid1(SALU_CYCLE_1)
	v_cmp_ne_u32_e32 vcc_lo, 0x7c, v4
                                        ; implicit-def: $vgpr4
	s_and_saveexec_b32 s75, vcc_lo
	s_xor_b32 s75, exec_lo, s75
	s_cbranch_execz .LBB4_4989
; %bb.4986:                             ;   in Loop: Header=BB4_3365 Depth=4
	v_bfe_u32 v4, v8, 2, 5
	s_mov_b32 s76, exec_lo
	s_delay_alu instid0(VALU_DEP_1)
	v_cmpx_eq_u32_e32 0, v4
; %bb.4987:                             ;   in Loop: Header=BB4_3365 Depth=4
	v_clz_i32_u32_e32 v4, v12
	s_delay_alu instid0(VALU_DEP_1) | instskip(NEXT) | instid1(VALU_DEP_1)
	v_min_u32_e32 v4, 32, v4
	v_subrev_nc_u32_e32 v12, 29, v4
	v_sub_nc_u32_e32 v4, 30, v4
	s_delay_alu instid0(VALU_DEP_2) | instskip(NEXT) | instid1(VALU_DEP_1)
	v_lshlrev_b64_e32 v[12:13], v12, v[8:9]
	v_and_b32_e32 v12, 3, v12
; %bb.4988:                             ;   in Loop: Header=BB4_3365 Depth=4
	s_or_b32 exec_lo, exec_lo, s76
	v_lshlrev_b32_e32 v13, 24, v8
	s_delay_alu instid0(VALU_DEP_1) | instskip(NEXT) | instid1(VALU_DEP_1)
	v_and_b32_e32 v13, 0x80000000, v13
	v_lshl_add_u32 v4, v4, 23, v13
                                        ; implicit-def: $vgpr13
	s_delay_alu instid0(VALU_DEP_1) | instskip(NEXT) | instid1(VALU_DEP_1)
	v_lshl_or_b32 v4, v12, 21, v4
                                        ; implicit-def: $vgpr12
	v_add_nc_u32_e32 v4, 0x38000000, v4
.LBB4_4989:                             ;   in Loop: Header=BB4_3365 Depth=4
	s_and_not1_saveexec_b32 s75, s75
; %bb.4990:                             ;   in Loop: Header=BB4_3365 Depth=4
	v_cmp_lt_i16_e32 vcc_lo, -1, v13
	v_cndmask_b32_e32 v4, 0xff800000, v48, vcc_lo
	v_cmp_eq_u32_e32 vcc_lo, 0, v12
	s_delay_alu instid0(VALU_DEP_2)
	v_cndmask_b32_e32 v4, 0x7f800001, v4, vcc_lo
; %bb.4991:                             ;   in Loop: Header=BB4_3365 Depth=4
	s_or_b32 exec_lo, exec_lo, s75
.LBB4_4992:                             ;   in Loop: Header=BB4_3365 Depth=4
	s_delay_alu instid0(SALU_CYCLE_1)
	s_or_b32 exec_lo, exec_lo, s74
.LBB4_4993:                             ;   in Loop: Header=BB4_3365 Depth=4
	s_delay_alu instid0(SALU_CYCLE_1) | instskip(NEXT) | instid1(VALU_DEP_1)
	s_or_b32 exec_lo, exec_lo, s13
	v_dual_add_f32 v12, v5, v4 :: v_dual_mov_b32 v87, v3
	v_mov_b32_e32 v5, v3
                                        ; implicit-def: $vgpr15
	s_mov_b32 s13, exec_lo
	s_delay_alu instid0(VALU_DEP_2) | instskip(SKIP_2) | instid1(VALU_DEP_3)
	v_and_b32_e32 v86, 0x7f800000, v12
	v_and_b32_e32 v4, 0x7fffff, v12
	v_lshrrev_b32_e32 v13, 24, v12
	v_cmpx_ne_u64_e32 0x7f800000, v[86:87]
	s_xor_b32 s74, exec_lo, s13
	s_cbranch_execz .LBB4_5007
; %bb.4994:                             ;   in Loop: Header=BB4_3365 Depth=4
	v_and_b32_e32 v86, 0x7fffffff, v12
	v_mov_b32_e32 v87, v3
	v_and_b32_e32 v66, 0x80, v13
                                        ; implicit-def: $vgpr15
	s_mov_b32 s13, exec_lo
	s_delay_alu instid0(VALU_DEP_2)
	v_cmpx_gt_u64_e32 0x47600001, v[86:87]
	s_xor_b32 s75, exec_lo, s13
	s_cbranch_execz .LBB4_5004
; %bb.4995:                             ;   in Loop: Header=BB4_3365 Depth=4
	v_mov_b32_e32 v15, 0
	s_mov_b32 s76, exec_lo
	v_cmpx_ne_u32_e32 0, v12
	s_cbranch_execz .LBB4_5003
; %bb.4996:                             ;   in Loop: Header=BB4_3365 Depth=4
	v_bfe_u32 v15, v12, 23, 8
	v_or_b32_e32 v13, 0x800000, v4
	s_delay_alu instid0(VALU_DEP_2) | instskip(SKIP_2) | instid1(VALU_DEP_2)
	v_cmp_gt_u32_e64 s13, 0x72, v15
	v_sub_nc_u32_e32 v12, 0x71, v15
	v_cmp_eq_u32_e32 vcc_lo, 0, v15
	v_cndmask_b32_e64 v12, 0, v12, s13
	s_delay_alu instid0(VALU_DEP_1) | instskip(NEXT) | instid1(VALU_DEP_1)
	v_cndmask_b32_e64 v86, v12, 0x70, vcc_lo
	v_dual_cndmask_b32 v4, v13, v4, vcc_lo :: v_dual_add_nc_u32 v12, 21, v86
	v_add_nc_u32_e32 v87, 20, v86
	s_delay_alu instid0(VALU_DEP_2) | instskip(NEXT) | instid1(VALU_DEP_2)
	v_lshlrev_b64_e64 v[12:13], v12, -1
	v_lshlrev_b64_e64 v[96:97], v87, 1
	s_delay_alu instid0(VALU_DEP_2) | instskip(SKIP_1) | instid1(VALU_DEP_4)
	v_bfi_b32 v12, v12, 0, v4
	v_lshrrev_b64 v[4:5], v86, v[4:5]
	v_bfi_b32 v13, v13, 0, 0
	s_delay_alu instid0(VALU_DEP_1) | instskip(NEXT) | instid1(VALU_DEP_3)
	v_cmp_eq_u64_e64 s13, v[12:13], v[96:97]
	v_mov_b64_e32 v[12:13], v[4:5]
	s_and_saveexec_b32 s77, s13
; %bb.4997:                             ;   in Loop: Header=BB4_3365 Depth=4
	v_bfe_u32 v12, v4, 21, 1
	v_mov_b32_e32 v13, v3
	s_delay_alu instid0(VALU_DEP_1) | instskip(NEXT) | instid1(VALU_DEP_1)
	v_add_nc_u64_e32 v[12:13], v[4:5], v[12:13]
	v_add_nc_u64_e32 v[12:13], -1, v[12:13]
; %bb.4998:                             ;   in Loop: Header=BB4_3365 Depth=4
	s_or_b32 exec_lo, exec_lo, s77
	v_add_nc_u32_e32 v5, 0xffffff81, v15
	v_lshrrev_b32_e32 v13, 23, v4
	s_mov_b32 s13, exec_lo
	s_delay_alu instid0(VALU_DEP_2) | instskip(NEXT) | instid1(VALU_DEP_1)
	v_cndmask_b32_e64 v5, v5, 0xffffff82, vcc_lo
	v_add3_u32 v15, v86, v5, v13
	v_and_b32_e32 v5, 0x1fffff, v12
                                        ; implicit-def: $vgpr12
	s_delay_alu instid0(VALU_DEP_1) | instskip(SKIP_1) | instid1(VALU_DEP_2)
	v_dual_add_nc_u32 v13, 14, v15 :: v_dual_add_nc_u32 v4, v5, v4
	v_mov_b32_e32 v5, v3
	v_cmpx_ne_u32_e32 0, v13
	s_xor_b32 s13, exec_lo, s13
; %bb.4999:                             ;   in Loop: Header=BB4_3365 Depth=4
	s_delay_alu instid0(VALU_DEP_2) | instskip(SKIP_1) | instid1(VALU_DEP_1)
	v_cmp_lt_u64_e32 vcc_lo, 0xffffff, v[4:5]
	v_add_nc_u32_e32 v12, 15, v15
	v_cndmask_b32_e32 v12, v13, v12, vcc_lo
	v_cndmask_b32_e64 v13, 0, 1, vcc_lo
	s_delay_alu instid0(VALU_DEP_1)
	v_lshrrev_b64 v[4:5], v13, v[4:5]
; %bb.5000:                             ;   in Loop: Header=BB4_3365 Depth=4
	s_and_not1_saveexec_b32 s13, s13
; %bb.5001:                             ;   in Loop: Header=BB4_3365 Depth=4
	s_delay_alu instid0(VALU_DEP_1)
	v_bfe_u32 v12, v4, 23, 1
; %bb.5002:                             ;   in Loop: Header=BB4_3365 Depth=4
	s_or_b32 exec_lo, exec_lo, s13
	s_delay_alu instid0(VALU_DEP_2) | instskip(NEXT) | instid1(VALU_DEP_2)
	v_lshrrev_b64 v[4:5], 21, v[4:5]
	v_cmp_gt_i32_e32 vcc_lo, 32, v12
	v_min_i32_e32 v13, 31, v12
	v_cmp_eq_u32_e64 s13, 0, v12
	s_delay_alu instid0(VALU_DEP_4) | instskip(NEXT) | instid1(VALU_DEP_3)
	v_cndmask_b32_e32 v5, 0, v5, vcc_lo
	v_dual_cndmask_b32 v4, 3, v4 :: v_dual_lshlrev_b32 v13, 2, v13
	s_delay_alu instid0(VALU_DEP_1) | instskip(NEXT) | instid1(VALU_DEP_2)
	v_and_b32_e32 v13, 0xfc, v13
	v_cmp_eq_u64_e32 vcc_lo, 0, v[4:5]
	s_delay_alu instid0(VALU_DEP_2)
	v_and_or_b32 v4, v4, 3, v13
	s_and_b32 s13, s13, vcc_lo
	s_delay_alu instid0(VALU_DEP_1) | instid1(SALU_CYCLE_1)
	v_cndmask_b32_e64 v4, v4, 0, s13
	s_delay_alu instid0(VALU_DEP_1)
	v_or_b32_e32 v15, v4, v66
.LBB4_5003:                             ;   in Loop: Header=BB4_3365 Depth=4
	s_or_b32 exec_lo, exec_lo, s76
                                        ; implicit-def: $vgpr66
.LBB4_5004:                             ;   in Loop: Header=BB4_3365 Depth=4
	s_and_not1_saveexec_b32 s13, s75
; %bb.5005:                             ;   in Loop: Header=BB4_3365 Depth=4
	v_or_b32_e32 v15, 0x7b, v66
; %bb.5006:                             ;   in Loop: Header=BB4_3365 Depth=4
	s_or_b32 exec_lo, exec_lo, s13
                                        ; implicit-def: $vgpr12
                                        ; implicit-def: $vgpr4_vgpr5
                                        ; implicit-def: $vgpr13
.LBB4_5007:                             ;   in Loop: Header=BB4_3365 Depth=4
	s_and_not1_saveexec_b32 s13, s74
	s_cbranch_execz .LBB4_5013
; %bb.5008:                             ;   in Loop: Header=BB4_3365 Depth=4
	s_mov_b32 s74, exec_lo
                                        ; implicit-def: $vgpr15
	v_cmpx_ne_u64_e32 0, v[4:5]
	s_xor_b32 s74, exec_lo, s74
; %bb.5009:                             ;   in Loop: Header=BB4_3365 Depth=4
	v_or_b32_e32 v15, 0x7f, v13
                                        ; implicit-def: $vgpr12
; %bb.5010:                             ;   in Loop: Header=BB4_3365 Depth=4
	s_and_not1_saveexec_b32 s74, s74
; %bb.5011:                             ;   in Loop: Header=BB4_3365 Depth=4
	v_cmp_lt_i32_e32 vcc_lo, -1, v12
	v_cndmask_b32_e32 v15, 0xfc, v49, vcc_lo
; %bb.5012:                             ;   in Loop: Header=BB4_3365 Depth=4
	s_or_b32 exec_lo, exec_lo, s74
.LBB4_5013:                             ;   in Loop: Header=BB4_3365 Depth=4
	s_delay_alu instid0(SALU_CYCLE_1) | instskip(SKIP_3) | instid1(VALU_DEP_2)
	s_or_b32 exec_lo, exec_lo, s13
	v_lshrrev_b16 v4, 8, v59
	v_dual_mov_b32 v12, 0 :: v_dual_mov_b32 v13, 0
	s_mov_b32 s13, exec_lo
	v_cmpx_ne_u16_e32 0, v4
	s_cbranch_execz .LBB4_5023
; %bb.5014:                             ;   in Loop: Header=BB4_3365 Depth=4
	v_bfrev_b32_e32 v13, 1
	s_mov_b32 s74, exec_lo
	v_cmpx_ne_u16_e32 0x80, v4
	s_cbranch_execz .LBB4_5022
; %bb.5015:                             ;   in Loop: Header=BB4_3365 Depth=4
	v_and_b32_e32 v66, 0xffff, v4
	s_delay_alu instid0(VALU_DEP_1) | instskip(SKIP_1) | instid1(VALU_DEP_2)
	v_and_b32_e32 v13, 0x7c, v66
	v_and_b32_e32 v5, 3, v66
	v_cmp_ne_u32_e32 vcc_lo, 0x7c, v13
                                        ; implicit-def: $vgpr13
	s_and_saveexec_b32 s75, vcc_lo
	s_delay_alu instid0(SALU_CYCLE_1)
	s_xor_b32 s75, exec_lo, s75
	s_cbranch_execz .LBB4_5019
; %bb.5016:                             ;   in Loop: Header=BB4_3365 Depth=4
	v_bfe_u32 v13, v66, 2, 5
	s_mov_b32 s76, exec_lo
	s_delay_alu instid0(VALU_DEP_1)
	v_cmpx_eq_u32_e32 0, v13
	s_cbranch_execz .LBB4_5018
; %bb.5017:                             ;   in Loop: Header=BB4_3365 Depth=4
	v_clz_i32_u32_e32 v5, v5
	s_delay_alu instid0(VALU_DEP_1) | instskip(SKIP_1) | instid1(VALU_DEP_2)
	v_min_u32_e32 v13, 32, v5
	v_mov_b32_e32 v5, v3
	v_subrev_nc_u32_e32 v66, 29, v13
	v_sub_nc_u32_e32 v13, 30, v13
	s_delay_alu instid0(VALU_DEP_2) | instskip(NEXT) | instid1(VALU_DEP_1)
	v_lshlrev_b64_e32 v[4:5], v66, v[4:5]
	v_and_b32_e32 v5, 3, v4
.LBB4_5018:                             ;   in Loop: Header=BB4_3365 Depth=4
	s_or_b32 exec_lo, exec_lo, s76
	v_lshlrev_b32_e32 v4, 16, v59
                                        ; implicit-def: $vgpr59
	s_delay_alu instid0(VALU_DEP_1) | instskip(NEXT) | instid1(VALU_DEP_1)
	v_and_b32_e32 v4, 0x80000000, v4
	v_lshl_add_u32 v4, v13, 23, v4
	s_delay_alu instid0(VALU_DEP_1) | instskip(NEXT) | instid1(VALU_DEP_1)
	v_lshl_or_b32 v4, v5, 21, v4
                                        ; implicit-def: $vgpr5
	v_add_nc_u32_e32 v13, 0x38000000, v4
.LBB4_5019:                             ;   in Loop: Header=BB4_3365 Depth=4
	s_and_not1_saveexec_b32 s75, s75
; %bb.5020:                             ;   in Loop: Header=BB4_3365 Depth=4
	v_cmp_lt_i16_e32 vcc_lo, -1, v59
	v_cndmask_b32_e32 v4, 0xff800000, v48, vcc_lo
	v_cmp_eq_u32_e32 vcc_lo, 0, v5
	s_delay_alu instid0(VALU_DEP_2)
	v_cndmask_b32_e32 v13, 0x7f800001, v4, vcc_lo
; %bb.5021:                             ;   in Loop: Header=BB4_3365 Depth=4
	s_or_b32 exec_lo, exec_lo, s75
.LBB4_5022:                             ;   in Loop: Header=BB4_3365 Depth=4
	s_delay_alu instid0(SALU_CYCLE_1)
	s_or_b32 exec_lo, exec_lo, s74
.LBB4_5023:                             ;   in Loop: Header=BB4_3365 Depth=4
	s_delay_alu instid0(SALU_CYCLE_1) | instskip(SKIP_2) | instid1(VALU_DEP_1)
	s_or_b32 exec_lo, exec_lo, s13
	v_lshrrev_b16 v4, 8, v8
	s_mov_b32 s13, exec_lo
	v_cmpx_ne_u16_e32 0, v4
	s_cbranch_execz .LBB4_5033
; %bb.5024:                             ;   in Loop: Header=BB4_3365 Depth=4
	v_bfrev_b32_e32 v12, 1
	s_mov_b32 s74, exec_lo
	v_cmpx_ne_u16_e32 0x80, v4
	s_cbranch_execz .LBB4_5032
; %bb.5025:                             ;   in Loop: Header=BB4_3365 Depth=4
	v_and_b32_e32 v66, 0xffff, v4
	s_delay_alu instid0(VALU_DEP_1) | instskip(SKIP_1) | instid1(VALU_DEP_2)
	v_and_b32_e32 v12, 0x7c, v66
	v_and_b32_e32 v5, 3, v66
	v_cmp_ne_u32_e32 vcc_lo, 0x7c, v12
                                        ; implicit-def: $vgpr12
	s_and_saveexec_b32 s75, vcc_lo
	s_delay_alu instid0(SALU_CYCLE_1)
	s_xor_b32 s75, exec_lo, s75
	s_cbranch_execz .LBB4_5029
; %bb.5026:                             ;   in Loop: Header=BB4_3365 Depth=4
	v_bfe_u32 v12, v66, 2, 5
	s_mov_b32 s76, exec_lo
	s_delay_alu instid0(VALU_DEP_1)
	v_cmpx_eq_u32_e32 0, v12
	s_cbranch_execz .LBB4_5028
; %bb.5027:                             ;   in Loop: Header=BB4_3365 Depth=4
	v_clz_i32_u32_e32 v5, v5
	s_delay_alu instid0(VALU_DEP_1) | instskip(SKIP_1) | instid1(VALU_DEP_2)
	v_min_u32_e32 v12, 32, v5
	v_mov_b32_e32 v5, v3
	v_subrev_nc_u32_e32 v66, 29, v12
	v_sub_nc_u32_e32 v12, 30, v12
	s_delay_alu instid0(VALU_DEP_2) | instskip(NEXT) | instid1(VALU_DEP_1)
	v_lshlrev_b64_e32 v[4:5], v66, v[4:5]
	v_and_b32_e32 v5, 3, v4
.LBB4_5028:                             ;   in Loop: Header=BB4_3365 Depth=4
	s_or_b32 exec_lo, exec_lo, s76
	v_lshlrev_b32_e32 v4, 16, v8
	s_delay_alu instid0(VALU_DEP_1) | instskip(NEXT) | instid1(VALU_DEP_1)
	v_and_b32_e32 v4, 0x80000000, v4
	v_lshl_add_u32 v4, v12, 23, v4
	s_delay_alu instid0(VALU_DEP_1) | instskip(NEXT) | instid1(VALU_DEP_1)
	v_lshl_or_b32 v4, v5, 21, v4
                                        ; implicit-def: $vgpr5
	v_add_nc_u32_e32 v12, 0x38000000, v4
.LBB4_5029:                             ;   in Loop: Header=BB4_3365 Depth=4
	s_and_not1_saveexec_b32 s75, s75
; %bb.5030:                             ;   in Loop: Header=BB4_3365 Depth=4
	v_cmp_lt_i16_e32 vcc_lo, -1, v8
	v_cndmask_b32_e32 v4, 0xff800000, v48, vcc_lo
	v_cmp_eq_u32_e32 vcc_lo, 0, v5
	s_delay_alu instid0(VALU_DEP_2)
	v_cndmask_b32_e32 v12, 0x7f800001, v4, vcc_lo
; %bb.5031:                             ;   in Loop: Header=BB4_3365 Depth=4
	s_or_b32 exec_lo, exec_lo, s75
.LBB4_5032:                             ;   in Loop: Header=BB4_3365 Depth=4
	s_delay_alu instid0(SALU_CYCLE_1)
	s_or_b32 exec_lo, exec_lo, s74
.LBB4_5033:                             ;   in Loop: Header=BB4_3365 Depth=4
	s_delay_alu instid0(SALU_CYCLE_1) | instskip(NEXT) | instid1(VALU_DEP_1)
	s_or_b32 exec_lo, exec_lo, s13
	v_dual_add_f32 v12, v13, v12 :: v_dual_mov_b32 v87, v3
	v_mov_b32_e32 v5, v3
                                        ; implicit-def: $vgpr66
	s_mov_b32 s13, exec_lo
	s_delay_alu instid0(VALU_DEP_2) | instskip(SKIP_2) | instid1(VALU_DEP_3)
	v_and_b32_e32 v86, 0x7f800000, v12
	v_and_b32_e32 v4, 0x7fffff, v12
	v_lshrrev_b32_e32 v13, 24, v12
	v_cmpx_ne_u64_e32 0x7f800000, v[86:87]
	s_xor_b32 s74, exec_lo, s13
	s_cbranch_execz .LBB4_5047
; %bb.5034:                             ;   in Loop: Header=BB4_3365 Depth=4
	v_and_b32_e32 v86, 0x7fffffff, v12
	v_mov_b32_e32 v87, v3
	v_and_b32_e32 v59, 0x80, v13
                                        ; implicit-def: $vgpr66
	s_mov_b32 s13, exec_lo
	s_delay_alu instid0(VALU_DEP_2)
	v_cmpx_gt_u64_e32 0x47600001, v[86:87]
	s_xor_b32 s75, exec_lo, s13
	s_cbranch_execz .LBB4_5044
; %bb.5035:                             ;   in Loop: Header=BB4_3365 Depth=4
	v_mov_b32_e32 v66, 0
	s_mov_b32 s76, exec_lo
	v_cmpx_ne_u32_e32 0, v12
	s_cbranch_execz .LBB4_5043
; %bb.5036:                             ;   in Loop: Header=BB4_3365 Depth=4
	v_bfe_u32 v66, v12, 23, 8
	v_or_b32_e32 v13, 0x800000, v4
	s_delay_alu instid0(VALU_DEP_2) | instskip(SKIP_2) | instid1(VALU_DEP_2)
	v_cmp_gt_u32_e64 s13, 0x72, v66
	v_sub_nc_u32_e32 v12, 0x71, v66
	v_cmp_eq_u32_e32 vcc_lo, 0, v66
	v_cndmask_b32_e64 v12, 0, v12, s13
	s_delay_alu instid0(VALU_DEP_1) | instskip(NEXT) | instid1(VALU_DEP_1)
	v_cndmask_b32_e64 v86, v12, 0x70, vcc_lo
	v_dual_cndmask_b32 v4, v13, v4, vcc_lo :: v_dual_add_nc_u32 v12, 21, v86
	v_add_nc_u32_e32 v87, 20, v86
	s_delay_alu instid0(VALU_DEP_2) | instskip(NEXT) | instid1(VALU_DEP_2)
	v_lshlrev_b64_e64 v[12:13], v12, -1
	v_lshlrev_b64_e64 v[96:97], v87, 1
	s_delay_alu instid0(VALU_DEP_2) | instskip(SKIP_1) | instid1(VALU_DEP_4)
	v_bfi_b32 v12, v12, 0, v4
	v_lshrrev_b64 v[4:5], v86, v[4:5]
	v_bfi_b32 v13, v13, 0, 0
	s_delay_alu instid0(VALU_DEP_1) | instskip(NEXT) | instid1(VALU_DEP_3)
	v_cmp_eq_u64_e64 s13, v[12:13], v[96:97]
	v_mov_b64_e32 v[12:13], v[4:5]
	s_and_saveexec_b32 s77, s13
; %bb.5037:                             ;   in Loop: Header=BB4_3365 Depth=4
	v_bfe_u32 v12, v4, 21, 1
	v_mov_b32_e32 v13, v3
	s_delay_alu instid0(VALU_DEP_1) | instskip(NEXT) | instid1(VALU_DEP_1)
	v_add_nc_u64_e32 v[12:13], v[4:5], v[12:13]
	v_add_nc_u64_e32 v[12:13], -1, v[12:13]
; %bb.5038:                             ;   in Loop: Header=BB4_3365 Depth=4
	s_or_b32 exec_lo, exec_lo, s77
	v_add_nc_u32_e32 v5, 0xffffff81, v66
	v_lshrrev_b32_e32 v13, 23, v4
	s_mov_b32 s13, exec_lo
	s_delay_alu instid0(VALU_DEP_2) | instskip(NEXT) | instid1(VALU_DEP_1)
	v_cndmask_b32_e64 v5, v5, 0xffffff82, vcc_lo
	v_add3_u32 v66, v86, v5, v13
	v_and_b32_e32 v5, 0x1fffff, v12
                                        ; implicit-def: $vgpr12
	s_delay_alu instid0(VALU_DEP_1) | instskip(SKIP_1) | instid1(VALU_DEP_2)
	v_dual_add_nc_u32 v13, 14, v66 :: v_dual_add_nc_u32 v4, v5, v4
	v_mov_b32_e32 v5, v3
	v_cmpx_ne_u32_e32 0, v13
	s_xor_b32 s13, exec_lo, s13
; %bb.5039:                             ;   in Loop: Header=BB4_3365 Depth=4
	s_delay_alu instid0(VALU_DEP_2) | instskip(SKIP_1) | instid1(VALU_DEP_1)
	v_cmp_lt_u64_e32 vcc_lo, 0xffffff, v[4:5]
	v_add_nc_u32_e32 v12, 15, v66
	v_cndmask_b32_e32 v12, v13, v12, vcc_lo
	v_cndmask_b32_e64 v13, 0, 1, vcc_lo
	s_delay_alu instid0(VALU_DEP_1)
	v_lshrrev_b64 v[4:5], v13, v[4:5]
; %bb.5040:                             ;   in Loop: Header=BB4_3365 Depth=4
	s_and_not1_saveexec_b32 s13, s13
; %bb.5041:                             ;   in Loop: Header=BB4_3365 Depth=4
	s_delay_alu instid0(VALU_DEP_1)
	v_bfe_u32 v12, v4, 23, 1
; %bb.5042:                             ;   in Loop: Header=BB4_3365 Depth=4
	s_or_b32 exec_lo, exec_lo, s13
	s_delay_alu instid0(VALU_DEP_2) | instskip(NEXT) | instid1(VALU_DEP_2)
	v_lshrrev_b64 v[4:5], 21, v[4:5]
	v_cmp_gt_i32_e32 vcc_lo, 32, v12
	v_min_i32_e32 v13, 31, v12
	v_cmp_eq_u32_e64 s13, 0, v12
	s_delay_alu instid0(VALU_DEP_4) | instskip(NEXT) | instid1(VALU_DEP_3)
	v_cndmask_b32_e32 v5, 0, v5, vcc_lo
	v_dual_cndmask_b32 v4, 3, v4 :: v_dual_lshlrev_b32 v13, 2, v13
	s_delay_alu instid0(VALU_DEP_1) | instskip(NEXT) | instid1(VALU_DEP_2)
	v_and_b32_e32 v13, 0xfc, v13
	v_cmp_eq_u64_e32 vcc_lo, 0, v[4:5]
	s_delay_alu instid0(VALU_DEP_2)
	v_and_or_b32 v4, v4, 3, v13
	s_and_b32 s13, s13, vcc_lo
	s_delay_alu instid0(VALU_DEP_1) | instid1(SALU_CYCLE_1)
	v_cndmask_b32_e64 v4, v4, 0, s13
	s_delay_alu instid0(VALU_DEP_1)
	v_or_b32_e32 v66, v4, v59
.LBB4_5043:                             ;   in Loop: Header=BB4_3365 Depth=4
	s_or_b32 exec_lo, exec_lo, s76
                                        ; implicit-def: $vgpr59
.LBB4_5044:                             ;   in Loop: Header=BB4_3365 Depth=4
	s_and_not1_saveexec_b32 s13, s75
; %bb.5045:                             ;   in Loop: Header=BB4_3365 Depth=4
	v_or_b32_e32 v66, 0x7b, v59
; %bb.5046:                             ;   in Loop: Header=BB4_3365 Depth=4
	s_or_b32 exec_lo, exec_lo, s13
                                        ; implicit-def: $vgpr12
                                        ; implicit-def: $vgpr4_vgpr5
                                        ; implicit-def: $vgpr13
.LBB4_5047:                             ;   in Loop: Header=BB4_3365 Depth=4
	s_and_not1_saveexec_b32 s13, s74
	s_cbranch_execz .LBB4_5053
; %bb.5048:                             ;   in Loop: Header=BB4_3365 Depth=4
	s_mov_b32 s74, exec_lo
                                        ; implicit-def: $vgpr66
	v_cmpx_ne_u64_e32 0, v[4:5]
	s_xor_b32 s74, exec_lo, s74
; %bb.5049:                             ;   in Loop: Header=BB4_3365 Depth=4
	v_or_b32_e32 v66, 0x7f, v13
                                        ; implicit-def: $vgpr12
; %bb.5050:                             ;   in Loop: Header=BB4_3365 Depth=4
	s_and_not1_saveexec_b32 s74, s74
; %bb.5051:                             ;   in Loop: Header=BB4_3365 Depth=4
	v_cmp_lt_i32_e32 vcc_lo, -1, v12
	v_cndmask_b32_e32 v66, 0xfc, v49, vcc_lo
; %bb.5052:                             ;   in Loop: Header=BB4_3365 Depth=4
	s_or_b32 exec_lo, exec_lo, s74
.LBB4_5053:                             ;   in Loop: Header=BB4_3365 Depth=4
	s_delay_alu instid0(SALU_CYCLE_1) | instskip(SKIP_3) | instid1(VALU_DEP_2)
	s_or_b32 exec_lo, exec_lo, s13
	v_dual_mov_b32 v5, 0 :: v_dual_lshrrev_b32 v4, 16, v2
	v_mov_b32_e32 v12, 0
	s_mov_b32 s74, exec_lo
	v_and_b32_e32 v13, 0xff, v4
	s_delay_alu instid0(VALU_DEP_1)
	v_cmpx_ne_u16_e32 0, v13
	s_cbranch_execz .LBB4_5063
; %bb.5054:                             ;   in Loop: Header=BB4_3365 Depth=4
	v_bfrev_b32_e32 v12, 1
	s_mov_b32 s75, exec_lo
	v_cmpx_ne_u16_e32 0x80, v13
	s_cbranch_execz .LBB4_5062
; %bb.5055:                             ;   in Loop: Header=BB4_3365 Depth=4
	v_and_b32_e32 v12, 0x7c0000, v2
	v_bfe_u32 v13, v2, 16, 2
	s_delay_alu instid0(VALU_DEP_2) | instskip(SKIP_1) | instid1(SALU_CYCLE_1)
	v_cmp_ne_u32_e32 vcc_lo, 0x7c0000, v12
                                        ; implicit-def: $vgpr12
	s_and_saveexec_b32 s13, vcc_lo
	s_xor_b32 s13, exec_lo, s13
	s_cbranch_execz .LBB4_5059
; %bb.5056:                             ;   in Loop: Header=BB4_3365 Depth=4
	v_bfe_u32 v12, v2, 18, 5
	s_mov_b32 s76, exec_lo
	s_delay_alu instid0(VALU_DEP_1)
	v_cmpx_eq_u32_e32 0, v12
; %bb.5057:                             ;   in Loop: Header=BB4_3365 Depth=4
	v_clz_i32_u32_e32 v12, v13
	s_delay_alu instid0(VALU_DEP_1) | instskip(NEXT) | instid1(VALU_DEP_1)
	v_min_u32_e32 v12, 32, v12
	v_subrev_nc_u32_e32 v13, 29, v12
	s_delay_alu instid0(VALU_DEP_1) | instskip(NEXT) | instid1(VALU_DEP_1)
	v_lshlrev_b64_e32 v[86:87], v13, v[4:5]
	v_dual_sub_nc_u32 v12, 30, v12 :: v_dual_bitop2_b32 v13, 3, v86 bitop3:0x40
; %bb.5058:                             ;   in Loop: Header=BB4_3365 Depth=4
	s_or_b32 exec_lo, exec_lo, s76
	v_lshlrev_b32_e32 v4, 24, v4
	s_delay_alu instid0(VALU_DEP_1) | instskip(NEXT) | instid1(VALU_DEP_1)
	v_and_b32_e32 v4, 0x80000000, v4
	v_lshl_add_u32 v4, v12, 23, v4
	s_delay_alu instid0(VALU_DEP_1) | instskip(NEXT) | instid1(VALU_DEP_1)
	v_lshl_or_b32 v4, v13, 21, v4
                                        ; implicit-def: $vgpr13
	v_add_nc_u32_e32 v12, 0x38000000, v4
                                        ; implicit-def: $vgpr4
.LBB4_5059:                             ;   in Loop: Header=BB4_3365 Depth=4
	s_and_not1_saveexec_b32 s76, s13
; %bb.5060:                             ;   in Loop: Header=BB4_3365 Depth=4
	v_bfe_i32 v4, v4, 0, 8
	v_cmp_eq_u32_e32 vcc_lo, 0, v13
	s_delay_alu instid0(VALU_DEP_2) | instskip(NEXT) | instid1(VALU_DEP_1)
	v_cmp_lt_i16_e64 s13, -1, v4
	v_cndmask_b32_e64 v4, 0xff800000, v48, s13
	s_delay_alu instid0(VALU_DEP_1)
	v_cndmask_b32_e32 v12, 0x7f800001, v4, vcc_lo
; %bb.5061:                             ;   in Loop: Header=BB4_3365 Depth=4
	s_or_b32 exec_lo, exec_lo, s76
.LBB4_5062:                             ;   in Loop: Header=BB4_3365 Depth=4
	s_delay_alu instid0(SALU_CYCLE_1)
	s_or_b32 exec_lo, exec_lo, s75
.LBB4_5063:                             ;   in Loop: Header=BB4_3365 Depth=4
	s_delay_alu instid0(SALU_CYCLE_1) | instskip(SKIP_2) | instid1(VALU_DEP_1)
	s_or_b32 exec_lo, exec_lo, s74
	v_lshrrev_b32_e32 v4, 16, v8
	s_mov_b32 s74, exec_lo
	v_and_b32_e32 v13, 0xff, v4
	s_delay_alu instid0(VALU_DEP_1)
	v_cmpx_ne_u16_e32 0, v13
	s_cbranch_execz .LBB4_5073
; %bb.5064:                             ;   in Loop: Header=BB4_3365 Depth=4
	v_bfrev_b32_e32 v5, 1
	s_mov_b32 s75, exec_lo
	v_cmpx_ne_u16_e32 0x80, v13
	s_cbranch_execz .LBB4_5072
; %bb.5065:                             ;   in Loop: Header=BB4_3365 Depth=4
	v_and_b32_e32 v5, 0x7c0000, v8
	v_bfe_u32 v13, v8, 16, 2
	s_delay_alu instid0(VALU_DEP_2) | instskip(SKIP_1) | instid1(SALU_CYCLE_1)
	v_cmp_ne_u32_e32 vcc_lo, 0x7c0000, v5
                                        ; implicit-def: $vgpr5
	s_and_saveexec_b32 s13, vcc_lo
	s_xor_b32 s13, exec_lo, s13
	s_cbranch_execz .LBB4_5069
; %bb.5066:                             ;   in Loop: Header=BB4_3365 Depth=4
	v_bfe_u32 v5, v8, 18, 5
	s_mov_b32 s76, exec_lo
	s_delay_alu instid0(VALU_DEP_1)
	v_cmpx_eq_u32_e32 0, v5
; %bb.5067:                             ;   in Loop: Header=BB4_3365 Depth=4
	v_clz_i32_u32_e32 v5, v13
	s_delay_alu instid0(VALU_DEP_1) | instskip(NEXT) | instid1(VALU_DEP_1)
	v_min_u32_e32 v5, 32, v5
	v_subrev_nc_u32_e32 v13, 29, v5
	s_delay_alu instid0(VALU_DEP_1) | instskip(NEXT) | instid1(VALU_DEP_1)
	v_lshlrev_b64_e32 v[86:87], v13, v[4:5]
	v_dual_sub_nc_u32 v5, 30, v5 :: v_dual_bitop2_b32 v13, 3, v86 bitop3:0x40
; %bb.5068:                             ;   in Loop: Header=BB4_3365 Depth=4
	s_or_b32 exec_lo, exec_lo, s76
	v_lshlrev_b32_e32 v4, 24, v4
	s_delay_alu instid0(VALU_DEP_1) | instskip(NEXT) | instid1(VALU_DEP_1)
	v_and_b32_e32 v4, 0x80000000, v4
	v_lshl_add_u32 v4, v5, 23, v4
	s_delay_alu instid0(VALU_DEP_1) | instskip(NEXT) | instid1(VALU_DEP_1)
	v_lshl_or_b32 v4, v13, 21, v4
                                        ; implicit-def: $vgpr13
	v_add_nc_u32_e32 v5, 0x38000000, v4
                                        ; implicit-def: $vgpr4
.LBB4_5069:                             ;   in Loop: Header=BB4_3365 Depth=4
	s_and_not1_saveexec_b32 s76, s13
; %bb.5070:                             ;   in Loop: Header=BB4_3365 Depth=4
	v_bfe_i32 v4, v4, 0, 8
	v_cmp_eq_u32_e32 vcc_lo, 0, v13
	s_delay_alu instid0(VALU_DEP_2) | instskip(NEXT) | instid1(VALU_DEP_1)
	v_cmp_lt_i16_e64 s13, -1, v4
	v_cndmask_b32_e64 v4, 0xff800000, v48, s13
	s_delay_alu instid0(VALU_DEP_1)
	v_cndmask_b32_e32 v5, 0x7f800001, v4, vcc_lo
; %bb.5071:                             ;   in Loop: Header=BB4_3365 Depth=4
	s_or_b32 exec_lo, exec_lo, s76
.LBB4_5072:                             ;   in Loop: Header=BB4_3365 Depth=4
	s_delay_alu instid0(SALU_CYCLE_1)
	s_or_b32 exec_lo, exec_lo, s75
.LBB4_5073:                             ;   in Loop: Header=BB4_3365 Depth=4
	s_delay_alu instid0(SALU_CYCLE_1) | instskip(NEXT) | instid1(VALU_DEP_1)
	s_or_b32 exec_lo, exec_lo, s74
	v_dual_add_f32 v12, v12, v5 :: v_dual_mov_b32 v87, v3
	v_mov_b32_e32 v5, v3
                                        ; implicit-def: $vgpr59
	s_mov_b32 s13, exec_lo
	s_delay_alu instid0(VALU_DEP_2) | instskip(SKIP_2) | instid1(VALU_DEP_3)
	v_and_b32_e32 v86, 0x7f800000, v12
	v_and_b32_e32 v4, 0x7fffff, v12
	v_lshrrev_b32_e32 v13, 24, v12
	v_cmpx_ne_u64_e32 0x7f800000, v[86:87]
	s_xor_b32 s74, exec_lo, s13
	s_cbranch_execz .LBB4_5087
; %bb.5074:                             ;   in Loop: Header=BB4_3365 Depth=4
	v_and_b32_e32 v86, 0x7fffffff, v12
	v_mov_b32_e32 v87, v3
	v_and_b32_e32 v63, 0x80, v13
                                        ; implicit-def: $vgpr59
	s_mov_b32 s13, exec_lo
	s_delay_alu instid0(VALU_DEP_2)
	v_cmpx_gt_u64_e32 0x47600001, v[86:87]
	s_xor_b32 s75, exec_lo, s13
	s_cbranch_execz .LBB4_5084
; %bb.5075:                             ;   in Loop: Header=BB4_3365 Depth=4
	v_mov_b32_e32 v59, 0
	s_mov_b32 s76, exec_lo
	v_cmpx_ne_u32_e32 0, v12
	s_cbranch_execz .LBB4_5083
; %bb.5076:                             ;   in Loop: Header=BB4_3365 Depth=4
	v_bfe_u32 v59, v12, 23, 8
	v_or_b32_e32 v13, 0x800000, v4
	s_delay_alu instid0(VALU_DEP_2) | instskip(SKIP_2) | instid1(VALU_DEP_2)
	v_cmp_gt_u32_e64 s13, 0x72, v59
	v_sub_nc_u32_e32 v12, 0x71, v59
	v_cmp_eq_u32_e32 vcc_lo, 0, v59
	v_cndmask_b32_e64 v12, 0, v12, s13
	s_delay_alu instid0(VALU_DEP_1) | instskip(NEXT) | instid1(VALU_DEP_1)
	v_cndmask_b32_e64 v86, v12, 0x70, vcc_lo
	v_dual_cndmask_b32 v4, v13, v4, vcc_lo :: v_dual_add_nc_u32 v12, 21, v86
	v_add_nc_u32_e32 v87, 20, v86
	s_delay_alu instid0(VALU_DEP_2) | instskip(NEXT) | instid1(VALU_DEP_2)
	v_lshlrev_b64_e64 v[12:13], v12, -1
	v_lshlrev_b64_e64 v[96:97], v87, 1
	s_delay_alu instid0(VALU_DEP_2) | instskip(SKIP_1) | instid1(VALU_DEP_4)
	v_bfi_b32 v12, v12, 0, v4
	v_lshrrev_b64 v[4:5], v86, v[4:5]
	v_bfi_b32 v13, v13, 0, 0
	s_delay_alu instid0(VALU_DEP_1) | instskip(NEXT) | instid1(VALU_DEP_3)
	v_cmp_eq_u64_e64 s13, v[12:13], v[96:97]
	v_mov_b64_e32 v[12:13], v[4:5]
	s_and_saveexec_b32 s77, s13
; %bb.5077:                             ;   in Loop: Header=BB4_3365 Depth=4
	v_bfe_u32 v12, v4, 21, 1
	v_mov_b32_e32 v13, v3
	s_delay_alu instid0(VALU_DEP_1) | instskip(NEXT) | instid1(VALU_DEP_1)
	v_add_nc_u64_e32 v[12:13], v[4:5], v[12:13]
	v_add_nc_u64_e32 v[12:13], -1, v[12:13]
; %bb.5078:                             ;   in Loop: Header=BB4_3365 Depth=4
	s_or_b32 exec_lo, exec_lo, s77
	v_add_nc_u32_e32 v5, 0xffffff81, v59
	v_lshrrev_b32_e32 v13, 23, v4
	s_mov_b32 s13, exec_lo
	s_delay_alu instid0(VALU_DEP_2) | instskip(NEXT) | instid1(VALU_DEP_1)
	v_cndmask_b32_e64 v5, v5, 0xffffff82, vcc_lo
	v_add3_u32 v86, v86, v5, v13
	v_and_b32_e32 v5, 0x1fffff, v12
                                        ; implicit-def: $vgpr12
	s_delay_alu instid0(VALU_DEP_1) | instskip(SKIP_1) | instid1(VALU_DEP_2)
	v_dual_add_nc_u32 v13, 14, v86 :: v_dual_add_nc_u32 v4, v5, v4
	v_mov_b32_e32 v5, v3
	v_cmpx_ne_u32_e32 0, v13
	s_xor_b32 s13, exec_lo, s13
; %bb.5079:                             ;   in Loop: Header=BB4_3365 Depth=4
	s_delay_alu instid0(VALU_DEP_2) | instskip(SKIP_1) | instid1(VALU_DEP_1)
	v_cmp_lt_u64_e32 vcc_lo, 0xffffff, v[4:5]
	v_add_nc_u32_e32 v12, 15, v86
	v_cndmask_b32_e32 v12, v13, v12, vcc_lo
	v_cndmask_b32_e64 v13, 0, 1, vcc_lo
	s_delay_alu instid0(VALU_DEP_1)
	v_lshrrev_b64 v[4:5], v13, v[4:5]
; %bb.5080:                             ;   in Loop: Header=BB4_3365 Depth=4
	s_and_not1_saveexec_b32 s13, s13
; %bb.5081:                             ;   in Loop: Header=BB4_3365 Depth=4
	s_delay_alu instid0(VALU_DEP_1)
	v_bfe_u32 v12, v4, 23, 1
; %bb.5082:                             ;   in Loop: Header=BB4_3365 Depth=4
	s_or_b32 exec_lo, exec_lo, s13
	s_delay_alu instid0(VALU_DEP_2) | instskip(NEXT) | instid1(VALU_DEP_2)
	v_lshrrev_b64 v[4:5], 21, v[4:5]
	v_cmp_gt_i32_e32 vcc_lo, 32, v12
	v_min_i32_e32 v13, 31, v12
	v_cmp_eq_u32_e64 s13, 0, v12
	s_delay_alu instid0(VALU_DEP_4) | instskip(NEXT) | instid1(VALU_DEP_3)
	v_cndmask_b32_e32 v5, 0, v5, vcc_lo
	v_dual_cndmask_b32 v4, 3, v4 :: v_dual_lshlrev_b32 v13, 2, v13
	s_delay_alu instid0(VALU_DEP_1) | instskip(NEXT) | instid1(VALU_DEP_2)
	v_and_b32_e32 v13, 0xfc, v13
	v_cmp_eq_u64_e32 vcc_lo, 0, v[4:5]
	s_delay_alu instid0(VALU_DEP_2)
	v_and_or_b32 v4, v4, 3, v13
	s_and_b32 s13, s13, vcc_lo
	s_delay_alu instid0(VALU_DEP_1) | instid1(SALU_CYCLE_1)
	v_cndmask_b32_e64 v4, v4, 0, s13
	s_delay_alu instid0(VALU_DEP_1)
	v_or_b32_e32 v59, v4, v63
.LBB4_5083:                             ;   in Loop: Header=BB4_3365 Depth=4
	s_or_b32 exec_lo, exec_lo, s76
                                        ; implicit-def: $vgpr63
.LBB4_5084:                             ;   in Loop: Header=BB4_3365 Depth=4
	s_and_not1_saveexec_b32 s13, s75
; %bb.5085:                             ;   in Loop: Header=BB4_3365 Depth=4
	v_or_b32_e32 v59, 0x7b, v63
; %bb.5086:                             ;   in Loop: Header=BB4_3365 Depth=4
	s_or_b32 exec_lo, exec_lo, s13
                                        ; implicit-def: $vgpr12
                                        ; implicit-def: $vgpr4_vgpr5
                                        ; implicit-def: $vgpr13
.LBB4_5087:                             ;   in Loop: Header=BB4_3365 Depth=4
	s_and_not1_saveexec_b32 s13, s74
	s_cbranch_execz .LBB4_5093
; %bb.5088:                             ;   in Loop: Header=BB4_3365 Depth=4
	s_mov_b32 s74, exec_lo
                                        ; implicit-def: $vgpr59
	v_cmpx_ne_u64_e32 0, v[4:5]
	s_xor_b32 s74, exec_lo, s74
; %bb.5089:                             ;   in Loop: Header=BB4_3365 Depth=4
	v_or_b32_e32 v59, 0x7f, v13
                                        ; implicit-def: $vgpr12
; %bb.5090:                             ;   in Loop: Header=BB4_3365 Depth=4
	s_and_not1_saveexec_b32 s74, s74
; %bb.5091:                             ;   in Loop: Header=BB4_3365 Depth=4
	v_cmp_lt_i32_e32 vcc_lo, -1, v12
	v_cndmask_b32_e32 v59, 0xfc, v49, vcc_lo
; %bb.5092:                             ;   in Loop: Header=BB4_3365 Depth=4
	s_or_b32 exec_lo, exec_lo, s74
.LBB4_5093:                             ;   in Loop: Header=BB4_3365 Depth=4
	s_delay_alu instid0(SALU_CYCLE_1)
	s_or_b32 exec_lo, exec_lo, s13
	v_dual_mov_b32 v5, 0 :: v_dual_mov_b32 v12, 0
	s_mov_b32 s13, exec_lo
	v_cmpx_lt_u32_e32 0xffffff, v2
	s_cbranch_execz .LBB4_5103
; %bb.5094:                             ;   in Loop: Header=BB4_3365 Depth=4
	v_lshrrev_b32_e32 v4, 24, v2
	v_bfrev_b32_e32 v12, 1
	s_mov_b32 s74, exec_lo
	s_delay_alu instid0(VALU_DEP_2)
	v_cmpx_ne_u32_e32 0x80, v4
	s_cbranch_execz .LBB4_5102
; %bb.5095:                             ;   in Loop: Header=BB4_3365 Depth=4
	v_and_b32_e32 v12, 0x7c000000, v2
	v_bfe_u32 v13, v2, 24, 2
	s_delay_alu instid0(VALU_DEP_2) | instskip(SKIP_1) | instid1(SALU_CYCLE_1)
	v_cmp_ne_u32_e32 vcc_lo, 0x7c000000, v12
                                        ; implicit-def: $vgpr12
	s_and_saveexec_b32 s75, vcc_lo
	s_xor_b32 s75, exec_lo, s75
	s_cbranch_execz .LBB4_5099
; %bb.5096:                             ;   in Loop: Header=BB4_3365 Depth=4
	v_bfe_u32 v12, v2, 26, 5
	s_mov_b32 s76, exec_lo
	s_delay_alu instid0(VALU_DEP_1)
	v_cmpx_eq_u32_e32 0, v12
; %bb.5097:                             ;   in Loop: Header=BB4_3365 Depth=4
	v_clz_i32_u32_e32 v12, v13
	s_delay_alu instid0(VALU_DEP_1) | instskip(NEXT) | instid1(VALU_DEP_1)
	v_min_u32_e32 v12, 32, v12
	v_subrev_nc_u32_e32 v13, 29, v12
	s_delay_alu instid0(VALU_DEP_1) | instskip(NEXT) | instid1(VALU_DEP_1)
	v_lshlrev_b64_e32 v[86:87], v13, v[4:5]
	v_dual_sub_nc_u32 v12, 30, v12 :: v_dual_bitop2_b32 v13, 3, v86 bitop3:0x40
; %bb.5098:                             ;   in Loop: Header=BB4_3365 Depth=4
	s_or_b32 exec_lo, exec_lo, s76
	v_and_b32_e32 v2, 0x80000000, v2
	s_delay_alu instid0(VALU_DEP_1) | instskip(NEXT) | instid1(VALU_DEP_1)
	v_lshl_add_u32 v2, v12, 23, v2
	v_lshl_or_b32 v2, v13, 21, v2
                                        ; implicit-def: $vgpr13
	s_delay_alu instid0(VALU_DEP_1)
	v_add_nc_u32_e32 v12, 0x38000000, v2
.LBB4_5099:                             ;   in Loop: Header=BB4_3365 Depth=4
	s_and_not1_saveexec_b32 s75, s75
; %bb.5100:                             ;   in Loop: Header=BB4_3365 Depth=4
	v_cmp_lt_i32_e32 vcc_lo, -1, v2
	v_cndmask_b32_e32 v2, 0xff800000, v48, vcc_lo
	v_cmp_eq_u32_e32 vcc_lo, 0, v13
	s_delay_alu instid0(VALU_DEP_2)
	v_cndmask_b32_e32 v12, 0x7f800001, v2, vcc_lo
; %bb.5101:                             ;   in Loop: Header=BB4_3365 Depth=4
	s_or_b32 exec_lo, exec_lo, s75
.LBB4_5102:                             ;   in Loop: Header=BB4_3365 Depth=4
	s_delay_alu instid0(SALU_CYCLE_1)
	s_or_b32 exec_lo, exec_lo, s74
.LBB4_5103:                             ;   in Loop: Header=BB4_3365 Depth=4
	s_delay_alu instid0(SALU_CYCLE_1) | instskip(NEXT) | instid1(SALU_CYCLE_1)
	s_or_b32 exec_lo, exec_lo, s13
	s_mov_b32 s13, exec_lo
	v_cmpx_lt_u32_e32 0xffffff, v8
	s_cbranch_execz .LBB4_5113
; %bb.5104:                             ;   in Loop: Header=BB4_3365 Depth=4
	v_lshrrev_b32_e32 v2, 24, v8
	v_bfrev_b32_e32 v5, 1
	s_mov_b32 s74, exec_lo
	s_delay_alu instid0(VALU_DEP_2)
	v_cmpx_ne_u32_e32 0x80, v2
	s_cbranch_execz .LBB4_5112
; %bb.5105:                             ;   in Loop: Header=BB4_3365 Depth=4
	v_and_b32_e32 v5, 0x7c000000, v8
	v_bfe_u32 v4, v8, 24, 2
	s_delay_alu instid0(VALU_DEP_2) | instskip(SKIP_1) | instid1(SALU_CYCLE_1)
	v_cmp_ne_u32_e32 vcc_lo, 0x7c000000, v5
                                        ; implicit-def: $vgpr5
	s_and_saveexec_b32 s75, vcc_lo
	s_xor_b32 s75, exec_lo, s75
	s_cbranch_execz .LBB4_5109
; %bb.5106:                             ;   in Loop: Header=BB4_3365 Depth=4
	v_bfe_u32 v5, v8, 26, 5
	s_mov_b32 s76, exec_lo
	s_delay_alu instid0(VALU_DEP_1)
	v_cmpx_eq_u32_e32 0, v5
; %bb.5107:                             ;   in Loop: Header=BB4_3365 Depth=4
	v_clz_i32_u32_e32 v4, v4
	s_delay_alu instid0(VALU_DEP_1) | instskip(NEXT) | instid1(VALU_DEP_1)
	v_min_u32_e32 v13, 32, v4
	v_subrev_nc_u32_e32 v4, 29, v13
	s_delay_alu instid0(VALU_DEP_1) | instskip(NEXT) | instid1(VALU_DEP_1)
	v_lshlrev_b64_e32 v[4:5], v4, v[2:3]
	v_dual_sub_nc_u32 v5, 30, v13 :: v_dual_bitop2_b32 v4, 3, v4 bitop3:0x40
; %bb.5108:                             ;   in Loop: Header=BB4_3365 Depth=4
	s_or_b32 exec_lo, exec_lo, s76
	v_and_b32_e32 v2, 0x80000000, v8
	s_delay_alu instid0(VALU_DEP_1) | instskip(NEXT) | instid1(VALU_DEP_1)
	v_lshl_add_u32 v2, v5, 23, v2
	v_lshl_or_b32 v2, v4, 21, v2
                                        ; implicit-def: $vgpr4
	s_delay_alu instid0(VALU_DEP_1)
	v_add_nc_u32_e32 v5, 0x38000000, v2
.LBB4_5109:                             ;   in Loop: Header=BB4_3365 Depth=4
	s_and_not1_saveexec_b32 s75, s75
; %bb.5110:                             ;   in Loop: Header=BB4_3365 Depth=4
	v_cmp_lt_i32_e32 vcc_lo, -1, v8
	v_cndmask_b32_e32 v2, 0xff800000, v48, vcc_lo
	v_cmp_eq_u32_e32 vcc_lo, 0, v4
	s_delay_alu instid0(VALU_DEP_2)
	v_cndmask_b32_e32 v5, 0x7f800001, v2, vcc_lo
; %bb.5111:                             ;   in Loop: Header=BB4_3365 Depth=4
	s_or_b32 exec_lo, exec_lo, s75
.LBB4_5112:                             ;   in Loop: Header=BB4_3365 Depth=4
	s_delay_alu instid0(SALU_CYCLE_1)
	s_or_b32 exec_lo, exec_lo, s74
.LBB4_5113:                             ;   in Loop: Header=BB4_3365 Depth=4
	s_delay_alu instid0(SALU_CYCLE_1) | instskip(NEXT) | instid1(VALU_DEP_1)
	s_or_b32 exec_lo, exec_lo, s13
	v_dual_add_f32 v4, v12, v5 :: v_dual_mov_b32 v13, v3
                                        ; implicit-def: $vgpr63
	s_mov_b32 s13, exec_lo
	s_delay_alu instid0(VALU_DEP_1) | instskip(SKIP_2) | instid1(VALU_DEP_3)
	v_and_b32_e32 v12, 0x7f800000, v4
	v_and_b32_e32 v2, 0x7fffff, v4
	v_lshrrev_b32_e32 v5, 24, v4
	v_cmpx_ne_u64_e32 0x7f800000, v[12:13]
	s_xor_b32 s74, exec_lo, s13
	s_cbranch_execz .LBB4_5127
; %bb.5114:                             ;   in Loop: Header=BB4_3365 Depth=4
	v_and_b32_e32 v12, 0x7fffffff, v4
	v_mov_b32_e32 v13, v3
	v_and_b32_e32 v73, 0x80, v5
                                        ; implicit-def: $vgpr63
	s_mov_b32 s13, exec_lo
	s_delay_alu instid0(VALU_DEP_2)
	v_cmpx_gt_u64_e32 0x47600001, v[12:13]
	s_xor_b32 s75, exec_lo, s13
	s_cbranch_execz .LBB4_5124
; %bb.5115:                             ;   in Loop: Header=BB4_3365 Depth=4
	v_mov_b32_e32 v63, 0
	s_mov_b32 s76, exec_lo
	v_cmpx_ne_u32_e32 0, v4
	s_cbranch_execz .LBB4_5123
; %bb.5116:                             ;   in Loop: Header=BB4_3365 Depth=4
	v_bfe_u32 v63, v4, 23, 8
	v_or_b32_e32 v5, 0x800000, v2
	s_delay_alu instid0(VALU_DEP_2) | instskip(SKIP_2) | instid1(VALU_DEP_2)
	v_cmp_gt_u32_e64 s13, 0x72, v63
	v_sub_nc_u32_e32 v4, 0x71, v63
	v_cmp_eq_u32_e32 vcc_lo, 0, v63
	v_cndmask_b32_e64 v4, 0, v4, s13
	s_delay_alu instid0(VALU_DEP_1) | instskip(SKIP_1) | instid1(VALU_DEP_2)
	v_cndmask_b32_e64 v77, v4, 0x70, vcc_lo
	v_dual_cndmask_b32 v4, v5, v2 :: v_dual_mov_b32 v5, v3
	v_add_nc_u32_e32 v2, 21, v77
	s_delay_alu instid0(VALU_DEP_1) | instskip(SKIP_1) | instid1(VALU_DEP_1)
	v_lshlrev_b64_e64 v[12:13], v2, -1
	v_add_nc_u32_e32 v2, 20, v77
	v_lshlrev_b64_e64 v[86:87], v2, 1
	s_delay_alu instid0(VALU_DEP_3) | instskip(SKIP_2) | instid1(VALU_DEP_1)
	v_bfi_b32 v12, v12, 0, v4
	v_lshrrev_b64 v[4:5], v77, v[4:5]
	v_bfi_b32 v13, v13, 0, 0
	v_cmp_eq_u64_e64 s13, v[12:13], v[86:87]
	s_delay_alu instid0(VALU_DEP_3)
	v_mov_b64_e32 v[12:13], v[4:5]
	s_and_saveexec_b32 s77, s13
; %bb.5117:                             ;   in Loop: Header=BB4_3365 Depth=4
	v_bfe_u32 v12, v4, 21, 1
	v_mov_b32_e32 v13, v3
	s_delay_alu instid0(VALU_DEP_1) | instskip(NEXT) | instid1(VALU_DEP_1)
	v_add_nc_u64_e32 v[12:13], v[4:5], v[12:13]
	v_add_nc_u64_e32 v[12:13], -1, v[12:13]
; %bb.5118:                             ;   in Loop: Header=BB4_3365 Depth=4
	s_or_b32 exec_lo, exec_lo, s77
	v_add_nc_u32_e32 v2, 0xffffff81, v63
	v_lshrrev_b32_e32 v5, 23, v4
	s_mov_b32 s13, exec_lo
	s_delay_alu instid0(VALU_DEP_2) | instskip(NEXT) | instid1(VALU_DEP_1)
	v_cndmask_b32_e64 v2, v2, 0xffffff82, vcc_lo
	v_add3_u32 v86, v77, v2, v5
	v_and_b32_e32 v2, 0x1fffff, v12
                                        ; implicit-def: $vgpr12
	s_delay_alu instid0(VALU_DEP_1) | instskip(NEXT) | instid1(VALU_DEP_1)
	v_dual_add_nc_u32 v13, 14, v86 :: v_dual_add_nc_u32 v2, v2, v4
                                        ; implicit-def: $vgpr4_vgpr5
	v_cmpx_ne_u32_e32 0, v13
	s_xor_b32 s13, exec_lo, s13
; %bb.5119:                             ;   in Loop: Header=BB4_3365 Depth=4
	s_delay_alu instid0(VALU_DEP_2) | instskip(SKIP_1) | instid1(VALU_DEP_1)
	v_cmp_lt_u64_e32 vcc_lo, 0xffffff, v[2:3]
	v_add_nc_u32_e32 v4, 15, v86
	v_cndmask_b32_e32 v12, v13, v4, vcc_lo
	v_cndmask_b32_e64 v4, 0, 1, vcc_lo
	s_delay_alu instid0(VALU_DEP_1)
	v_lshrrev_b64 v[4:5], v4, v[2:3]
; %bb.5120:                             ;   in Loop: Header=BB4_3365 Depth=4
	s_and_not1_saveexec_b32 s13, s13
; %bb.5121:                             ;   in Loop: Header=BB4_3365 Depth=4
	v_mov_b64_e32 v[4:5], v[2:3]
	v_bfe_u32 v12, v2, 23, 1
; %bb.5122:                             ;   in Loop: Header=BB4_3365 Depth=4
	s_or_b32 exec_lo, exec_lo, s13
	s_delay_alu instid0(VALU_DEP_2) | instskip(NEXT) | instid1(VALU_DEP_2)
	v_lshrrev_b64 v[4:5], 21, v[4:5]
	v_cmp_gt_i32_e32 vcc_lo, 32, v12
	v_min_i32_e32 v2, 31, v12
	v_cmp_eq_u32_e64 s13, 0, v12
	s_delay_alu instid0(VALU_DEP_2) | instskip(SKIP_1) | instid1(VALU_DEP_2)
	v_dual_cndmask_b32 v5, 0, v5 :: v_dual_lshlrev_b32 v2, 2, v2
	v_cndmask_b32_e32 v4, 3, v4, vcc_lo
	v_and_b32_e32 v2, 0xfc, v2
	s_delay_alu instid0(VALU_DEP_2) | instskip(NEXT) | instid1(VALU_DEP_2)
	v_cmp_eq_u64_e32 vcc_lo, 0, v[4:5]
	v_and_or_b32 v2, v4, 3, v2
	s_and_b32 s13, s13, vcc_lo
	s_delay_alu instid0(VALU_DEP_1) | instid1(SALU_CYCLE_1)
	v_cndmask_b32_e64 v2, v2, 0, s13
	s_delay_alu instid0(VALU_DEP_1)
	v_or_b32_e32 v63, v2, v73
.LBB4_5123:                             ;   in Loop: Header=BB4_3365 Depth=4
	s_or_b32 exec_lo, exec_lo, s76
                                        ; implicit-def: $vgpr73
.LBB4_5124:                             ;   in Loop: Header=BB4_3365 Depth=4
	s_and_not1_saveexec_b32 s13, s75
; %bb.5125:                             ;   in Loop: Header=BB4_3365 Depth=4
	v_or_b32_e32 v63, 0x7b, v73
; %bb.5126:                             ;   in Loop: Header=BB4_3365 Depth=4
	s_or_b32 exec_lo, exec_lo, s13
                                        ; implicit-def: $vgpr4
                                        ; implicit-def: $vgpr5
.LBB4_5127:                             ;   in Loop: Header=BB4_3365 Depth=4
	s_and_not1_saveexec_b32 s13, s74
	s_cbranch_execz .LBB4_5133
; %bb.5128:                             ;   in Loop: Header=BB4_3365 Depth=4
	s_mov_b32 s74, exec_lo
                                        ; implicit-def: $vgpr63
	v_cmpx_ne_u64_e32 0, v[2:3]
	s_xor_b32 s74, exec_lo, s74
; %bb.5129:                             ;   in Loop: Header=BB4_3365 Depth=4
	v_or_b32_e32 v63, 0x7f, v5
                                        ; implicit-def: $vgpr4
; %bb.5130:                             ;   in Loop: Header=BB4_3365 Depth=4
	s_and_not1_saveexec_b32 s74, s74
; %bb.5131:                             ;   in Loop: Header=BB4_3365 Depth=4
	v_cmp_lt_i32_e32 vcc_lo, -1, v4
	v_cndmask_b32_e32 v63, 0xfc, v49, vcc_lo
; %bb.5132:                             ;   in Loop: Header=BB4_3365 Depth=4
	s_or_b32 exec_lo, exec_lo, s74
.LBB4_5133:                             ;   in Loop: Header=BB4_3365 Depth=4
	s_delay_alu instid0(SALU_CYCLE_1) | instskip(SKIP_4) | instid1(VALU_DEP_2)
	s_or_b32 exec_lo, exec_lo, s13
	v_lshl_or_b32 v56, v56, 8, v100
	v_dual_lshlrev_b32 v2, 16, v57 :: v_dual_lshlrev_b32 v4, 24, v60
	v_mov_b32_e32 v5, 0
	s_mov_b32 s13, exec_lo
	v_or3_b32 v2, v2, v4, v56
	v_mov_b32_e32 v4, 0
	v_cmpx_ne_u32_e32 0, v100
	s_cbranch_execz .LBB4_5143
; %bb.5134:                             ;   in Loop: Header=BB4_3365 Depth=4
	v_bfrev_b32_e32 v4, 1
	s_mov_b32 s74, exec_lo
	v_cmpx_ne_u32_e32 0x80, v100
	s_cbranch_execz .LBB4_5142
; %bb.5135:                             ;   in Loop: Header=BB4_3365 Depth=4
	v_and_b32_e32 v4, 0x7c, v100
	v_and_b32_e32 v12, 3, v100
	s_delay_alu instid0(VALU_DEP_2) | instskip(SKIP_1) | instid1(SALU_CYCLE_1)
	v_cmp_ne_u32_e32 vcc_lo, 0x7c, v4
                                        ; implicit-def: $vgpr4
	s_and_saveexec_b32 s75, vcc_lo
	s_xor_b32 s75, exec_lo, s75
	s_cbranch_execz .LBB4_5139
; %bb.5136:                             ;   in Loop: Header=BB4_3365 Depth=4
	v_bfe_u32 v4, v100, 2, 5
	s_mov_b32 s76, exec_lo
	s_delay_alu instid0(VALU_DEP_1)
	v_cmpx_eq_u32_e32 0, v4
; %bb.5137:                             ;   in Loop: Header=BB4_3365 Depth=4
	v_clz_i32_u32_e32 v4, v12
	s_delay_alu instid0(VALU_DEP_1) | instskip(NEXT) | instid1(VALU_DEP_1)
	v_min_u32_e32 v4, 32, v4
	v_subrev_nc_u32_e32 v12, 29, v4
	v_sub_nc_u32_e32 v4, 30, v4
	s_delay_alu instid0(VALU_DEP_2) | instskip(NEXT) | instid1(VALU_DEP_1)
	v_lshlrev_b64_e32 v[12:13], v12, v[2:3]
	v_and_b32_e32 v12, 3, v12
; %bb.5138:                             ;   in Loop: Header=BB4_3365 Depth=4
	s_or_b32 exec_lo, exec_lo, s76
	v_lshlrev_b32_e32 v13, 24, v100
                                        ; implicit-def: $vgpr100
	s_delay_alu instid0(VALU_DEP_1) | instskip(NEXT) | instid1(VALU_DEP_1)
	v_and_b32_e32 v13, 0x80000000, v13
	v_lshl_add_u32 v4, v4, 23, v13
	s_delay_alu instid0(VALU_DEP_1) | instskip(NEXT) | instid1(VALU_DEP_1)
	v_lshl_or_b32 v4, v12, 21, v4
                                        ; implicit-def: $vgpr12
	v_add_nc_u32_e32 v4, 0x38000000, v4
.LBB4_5139:                             ;   in Loop: Header=BB4_3365 Depth=4
	s_and_not1_saveexec_b32 s75, s75
; %bb.5140:                             ;   in Loop: Header=BB4_3365 Depth=4
	v_and_b32_e32 v4, 0x80, v100
	s_delay_alu instid0(VALU_DEP_1) | instskip(SKIP_2) | instid1(VALU_DEP_2)
	v_cmp_eq_u32_e32 vcc_lo, 0, v4
	v_cndmask_b32_e32 v4, 0xff800000, v48, vcc_lo
	v_cmp_eq_u32_e32 vcc_lo, 0, v12
	v_cndmask_b32_e32 v4, 0x7f800001, v4, vcc_lo
; %bb.5141:                             ;   in Loop: Header=BB4_3365 Depth=4
	s_or_b32 exec_lo, exec_lo, s75
.LBB4_5142:                             ;   in Loop: Header=BB4_3365 Depth=4
	s_delay_alu instid0(SALU_CYCLE_1)
	s_or_b32 exec_lo, exec_lo, s74
.LBB4_5143:                             ;   in Loop: Header=BB4_3365 Depth=4
	s_delay_alu instid0(SALU_CYCLE_1) | instskip(SKIP_2) | instid1(VALU_DEP_1)
	s_or_b32 exec_lo, exec_lo, s13
	v_and_b32_e32 v12, 0xff, v9
	s_mov_b32 s13, exec_lo
	v_cmpx_ne_u16_e32 0, v12
	s_cbranch_execz .LBB4_5153
; %bb.5144:                             ;   in Loop: Header=BB4_3365 Depth=4
	v_bfrev_b32_e32 v5, 1
	s_mov_b32 s74, exec_lo
	v_cmpx_ne_u16_e32 0x80, v12
	s_cbranch_execz .LBB4_5152
; %bb.5145:                             ;   in Loop: Header=BB4_3365 Depth=4
	v_and_b32_e32 v5, 0x7c, v9
	v_and_b32_e32 v12, 3, v9
	s_delay_alu instid0(VALU_DEP_2) | instskip(SKIP_1) | instid1(SALU_CYCLE_1)
	v_cmp_ne_u32_e32 vcc_lo, 0x7c, v5
                                        ; implicit-def: $vgpr5
	s_and_saveexec_b32 s75, vcc_lo
	s_xor_b32 s75, exec_lo, s75
	s_cbranch_execz .LBB4_5149
; %bb.5146:                             ;   in Loop: Header=BB4_3365 Depth=4
	v_bfe_u32 v5, v9, 2, 5
	s_mov_b32 s76, exec_lo
	s_delay_alu instid0(VALU_DEP_1)
	v_cmpx_eq_u32_e32 0, v5
; %bb.5147:                             ;   in Loop: Header=BB4_3365 Depth=4
	v_clz_i32_u32_e32 v5, v12
	v_dual_mov_b32 v12, v9 :: v_dual_mov_b32 v13, v3
	s_delay_alu instid0(VALU_DEP_2) | instskip(NEXT) | instid1(VALU_DEP_1)
	v_min_u32_e32 v5, 32, v5
	v_subrev_nc_u32_e32 v86, 29, v5
	s_delay_alu instid0(VALU_DEP_1) | instskip(NEXT) | instid1(VALU_DEP_1)
	v_lshlrev_b64_e32 v[12:13], v86, v[12:13]
	v_dual_sub_nc_u32 v5, 30, v5 :: v_dual_bitop2_b32 v12, 3, v12 bitop3:0x40
; %bb.5148:                             ;   in Loop: Header=BB4_3365 Depth=4
	s_or_b32 exec_lo, exec_lo, s76
	v_lshlrev_b32_e32 v13, 24, v9
	s_delay_alu instid0(VALU_DEP_1) | instskip(NEXT) | instid1(VALU_DEP_1)
	v_and_b32_e32 v13, 0x80000000, v13
	v_lshl_add_u32 v5, v5, 23, v13
	s_delay_alu instid0(VALU_DEP_1) | instskip(NEXT) | instid1(VALU_DEP_1)
	v_lshl_or_b32 v5, v12, 21, v5
                                        ; implicit-def: $vgpr12
	v_add_nc_u32_e32 v5, 0x38000000, v5
.LBB4_5149:                             ;   in Loop: Header=BB4_3365 Depth=4
	s_and_not1_saveexec_b32 s75, s75
; %bb.5150:                             ;   in Loop: Header=BB4_3365 Depth=4
	v_bfe_i32 v5, v9, 0, 8
	s_delay_alu instid0(VALU_DEP_1) | instskip(SKIP_2) | instid1(VALU_DEP_2)
	v_cmp_lt_i16_e32 vcc_lo, -1, v5
	v_cndmask_b32_e32 v5, 0xff800000, v48, vcc_lo
	v_cmp_eq_u32_e32 vcc_lo, 0, v12
	v_cndmask_b32_e32 v5, 0x7f800001, v5, vcc_lo
; %bb.5151:                             ;   in Loop: Header=BB4_3365 Depth=4
	s_or_b32 exec_lo, exec_lo, s75
.LBB4_5152:                             ;   in Loop: Header=BB4_3365 Depth=4
	s_delay_alu instid0(SALU_CYCLE_1)
	s_or_b32 exec_lo, exec_lo, s74
.LBB4_5153:                             ;   in Loop: Header=BB4_3365 Depth=4
	s_delay_alu instid0(SALU_CYCLE_1) | instskip(NEXT) | instid1(VALU_DEP_1)
	s_or_b32 exec_lo, exec_lo, s13
	v_dual_add_f32 v12, v4, v5 :: v_dual_mov_b32 v87, v3
	v_mov_b32_e32 v5, v3
                                        ; implicit-def: $vgpr100
	s_mov_b32 s13, exec_lo
	s_delay_alu instid0(VALU_DEP_2) | instskip(SKIP_2) | instid1(VALU_DEP_3)
	v_and_b32_e32 v86, 0x7f800000, v12
	v_and_b32_e32 v4, 0x7fffff, v12
	v_lshrrev_b32_e32 v13, 24, v12
	v_cmpx_ne_u64_e32 0x7f800000, v[86:87]
	s_xor_b32 s74, exec_lo, s13
	s_cbranch_execz .LBB4_5167
; %bb.5154:                             ;   in Loop: Header=BB4_3365 Depth=4
	v_and_b32_e32 v86, 0x7fffffff, v12
	v_mov_b32_e32 v87, v3
	v_and_b32_e32 v57, 0x80, v13
                                        ; implicit-def: $vgpr100
	s_mov_b32 s13, exec_lo
	s_delay_alu instid0(VALU_DEP_2)
	v_cmpx_gt_u64_e32 0x47600001, v[86:87]
	s_xor_b32 s75, exec_lo, s13
	s_cbranch_execz .LBB4_5164
; %bb.5155:                             ;   in Loop: Header=BB4_3365 Depth=4
	v_mov_b32_e32 v100, 0
	s_mov_b32 s76, exec_lo
	v_cmpx_ne_u32_e32 0, v12
	s_cbranch_execz .LBB4_5163
; %bb.5156:                             ;   in Loop: Header=BB4_3365 Depth=4
	v_bfe_u32 v100, v12, 23, 8
	v_or_b32_e32 v13, 0x800000, v4
	s_delay_alu instid0(VALU_DEP_2) | instskip(SKIP_2) | instid1(VALU_DEP_2)
	v_cmp_gt_u32_e64 s13, 0x72, v100
	v_sub_nc_u32_e32 v12, 0x71, v100
	v_cmp_eq_u32_e32 vcc_lo, 0, v100
	v_cndmask_b32_e64 v12, 0, v12, s13
	s_delay_alu instid0(VALU_DEP_1) | instskip(NEXT) | instid1(VALU_DEP_1)
	v_cndmask_b32_e64 v86, v12, 0x70, vcc_lo
	v_dual_cndmask_b32 v4, v13, v4, vcc_lo :: v_dual_add_nc_u32 v12, 21, v86
	v_add_nc_u32_e32 v87, 20, v86
	s_delay_alu instid0(VALU_DEP_2) | instskip(NEXT) | instid1(VALU_DEP_2)
	v_lshlrev_b64_e64 v[12:13], v12, -1
	v_lshlrev_b64_e64 v[96:97], v87, 1
	s_delay_alu instid0(VALU_DEP_2) | instskip(SKIP_1) | instid1(VALU_DEP_4)
	v_bfi_b32 v12, v12, 0, v4
	v_lshrrev_b64 v[4:5], v86, v[4:5]
	v_bfi_b32 v13, v13, 0, 0
	s_delay_alu instid0(VALU_DEP_1) | instskip(NEXT) | instid1(VALU_DEP_3)
	v_cmp_eq_u64_e64 s13, v[12:13], v[96:97]
	v_mov_b64_e32 v[12:13], v[4:5]
	s_and_saveexec_b32 s77, s13
; %bb.5157:                             ;   in Loop: Header=BB4_3365 Depth=4
	v_bfe_u32 v12, v4, 21, 1
	v_mov_b32_e32 v13, v3
	s_delay_alu instid0(VALU_DEP_1) | instskip(NEXT) | instid1(VALU_DEP_1)
	v_add_nc_u64_e32 v[12:13], v[4:5], v[12:13]
	v_add_nc_u64_e32 v[12:13], -1, v[12:13]
; %bb.5158:                             ;   in Loop: Header=BB4_3365 Depth=4
	s_or_b32 exec_lo, exec_lo, s77
	v_add_nc_u32_e32 v5, 0xffffff81, v100
	v_lshrrev_b32_e32 v13, 23, v4
	s_mov_b32 s13, exec_lo
	s_delay_alu instid0(VALU_DEP_2) | instskip(NEXT) | instid1(VALU_DEP_1)
	v_cndmask_b32_e64 v5, v5, 0xffffff82, vcc_lo
	v_add3_u32 v86, v86, v5, v13
	v_and_b32_e32 v5, 0x1fffff, v12
                                        ; implicit-def: $vgpr12
	s_delay_alu instid0(VALU_DEP_1) | instskip(SKIP_1) | instid1(VALU_DEP_2)
	v_dual_add_nc_u32 v13, 14, v86 :: v_dual_add_nc_u32 v4, v5, v4
	v_mov_b32_e32 v5, v3
	v_cmpx_ne_u32_e32 0, v13
	s_xor_b32 s13, exec_lo, s13
; %bb.5159:                             ;   in Loop: Header=BB4_3365 Depth=4
	s_delay_alu instid0(VALU_DEP_2) | instskip(SKIP_1) | instid1(VALU_DEP_1)
	v_cmp_lt_u64_e32 vcc_lo, 0xffffff, v[4:5]
	v_add_nc_u32_e32 v12, 15, v86
	v_cndmask_b32_e32 v12, v13, v12, vcc_lo
	v_cndmask_b32_e64 v13, 0, 1, vcc_lo
	s_delay_alu instid0(VALU_DEP_1)
	v_lshrrev_b64 v[4:5], v13, v[4:5]
; %bb.5160:                             ;   in Loop: Header=BB4_3365 Depth=4
	s_and_not1_saveexec_b32 s13, s13
; %bb.5161:                             ;   in Loop: Header=BB4_3365 Depth=4
	s_delay_alu instid0(VALU_DEP_1)
	v_bfe_u32 v12, v4, 23, 1
; %bb.5162:                             ;   in Loop: Header=BB4_3365 Depth=4
	s_or_b32 exec_lo, exec_lo, s13
	s_delay_alu instid0(VALU_DEP_2) | instskip(NEXT) | instid1(VALU_DEP_2)
	v_lshrrev_b64 v[4:5], 21, v[4:5]
	v_cmp_gt_i32_e32 vcc_lo, 32, v12
	v_min_i32_e32 v13, 31, v12
	v_cmp_eq_u32_e64 s13, 0, v12
	s_delay_alu instid0(VALU_DEP_4) | instskip(NEXT) | instid1(VALU_DEP_3)
	v_cndmask_b32_e32 v5, 0, v5, vcc_lo
	v_dual_cndmask_b32 v4, 3, v4 :: v_dual_lshlrev_b32 v13, 2, v13
	s_delay_alu instid0(VALU_DEP_1) | instskip(NEXT) | instid1(VALU_DEP_2)
	v_and_b32_e32 v13, 0xfc, v13
	v_cmp_eq_u64_e32 vcc_lo, 0, v[4:5]
	s_delay_alu instid0(VALU_DEP_2)
	v_and_or_b32 v4, v4, 3, v13
	s_and_b32 s13, s13, vcc_lo
	s_delay_alu instid0(VALU_DEP_1) | instid1(SALU_CYCLE_1)
	v_cndmask_b32_e64 v4, v4, 0, s13
	s_delay_alu instid0(VALU_DEP_1)
	v_or_b32_e32 v100, v4, v57
.LBB4_5163:                             ;   in Loop: Header=BB4_3365 Depth=4
	s_or_b32 exec_lo, exec_lo, s76
                                        ; implicit-def: $vgpr57
.LBB4_5164:                             ;   in Loop: Header=BB4_3365 Depth=4
	s_and_not1_saveexec_b32 s13, s75
; %bb.5165:                             ;   in Loop: Header=BB4_3365 Depth=4
	v_or_b32_e32 v100, 0x7b, v57
; %bb.5166:                             ;   in Loop: Header=BB4_3365 Depth=4
	s_or_b32 exec_lo, exec_lo, s13
                                        ; implicit-def: $vgpr12
                                        ; implicit-def: $vgpr4_vgpr5
                                        ; implicit-def: $vgpr13
.LBB4_5167:                             ;   in Loop: Header=BB4_3365 Depth=4
	s_and_not1_saveexec_b32 s13, s74
	s_cbranch_execz .LBB4_5173
; %bb.5168:                             ;   in Loop: Header=BB4_3365 Depth=4
	s_mov_b32 s74, exec_lo
                                        ; implicit-def: $vgpr100
	v_cmpx_ne_u64_e32 0, v[4:5]
	s_xor_b32 s74, exec_lo, s74
; %bb.5169:                             ;   in Loop: Header=BB4_3365 Depth=4
	v_or_b32_e32 v100, 0x7f, v13
                                        ; implicit-def: $vgpr12
; %bb.5170:                             ;   in Loop: Header=BB4_3365 Depth=4
	s_and_not1_saveexec_b32 s74, s74
; %bb.5171:                             ;   in Loop: Header=BB4_3365 Depth=4
	v_cmp_lt_i32_e32 vcc_lo, -1, v12
	v_cndmask_b32_e32 v100, 0xfc, v49, vcc_lo
; %bb.5172:                             ;   in Loop: Header=BB4_3365 Depth=4
	s_or_b32 exec_lo, exec_lo, s74
.LBB4_5173:                             ;   in Loop: Header=BB4_3365 Depth=4
	s_delay_alu instid0(SALU_CYCLE_1) | instskip(SKIP_3) | instid1(VALU_DEP_2)
	s_or_b32 exec_lo, exec_lo, s13
	v_lshrrev_b16 v4, 8, v56
	v_dual_mov_b32 v12, 0 :: v_dual_mov_b32 v13, 0
	s_mov_b32 s13, exec_lo
	v_cmpx_ne_u16_e32 0, v4
	s_cbranch_execz .LBB4_5183
; %bb.5174:                             ;   in Loop: Header=BB4_3365 Depth=4
	v_bfrev_b32_e32 v13, 1
	s_mov_b32 s74, exec_lo
	v_cmpx_ne_u16_e32 0x80, v4
	s_cbranch_execz .LBB4_5182
; %bb.5175:                             ;   in Loop: Header=BB4_3365 Depth=4
	v_and_b32_e32 v86, 0xffff, v4
	s_delay_alu instid0(VALU_DEP_1) | instskip(SKIP_1) | instid1(VALU_DEP_2)
	v_and_b32_e32 v13, 0x7c, v86
	v_and_b32_e32 v5, 3, v86
	v_cmp_ne_u32_e32 vcc_lo, 0x7c, v13
                                        ; implicit-def: $vgpr13
	s_and_saveexec_b32 s75, vcc_lo
	s_delay_alu instid0(SALU_CYCLE_1)
	s_xor_b32 s75, exec_lo, s75
	s_cbranch_execz .LBB4_5179
; %bb.5176:                             ;   in Loop: Header=BB4_3365 Depth=4
	v_bfe_u32 v13, v86, 2, 5
	s_mov_b32 s76, exec_lo
	s_delay_alu instid0(VALU_DEP_1)
	v_cmpx_eq_u32_e32 0, v13
	s_cbranch_execz .LBB4_5178
; %bb.5177:                             ;   in Loop: Header=BB4_3365 Depth=4
	v_clz_i32_u32_e32 v5, v5
	s_delay_alu instid0(VALU_DEP_1) | instskip(SKIP_1) | instid1(VALU_DEP_2)
	v_min_u32_e32 v13, 32, v5
	v_mov_b32_e32 v5, v3
	v_subrev_nc_u32_e32 v86, 29, v13
	v_sub_nc_u32_e32 v13, 30, v13
	s_delay_alu instid0(VALU_DEP_2) | instskip(NEXT) | instid1(VALU_DEP_1)
	v_lshlrev_b64_e32 v[4:5], v86, v[4:5]
	v_and_b32_e32 v5, 3, v4
.LBB4_5178:                             ;   in Loop: Header=BB4_3365 Depth=4
	s_or_b32 exec_lo, exec_lo, s76
	v_lshlrev_b32_e32 v4, 16, v56
                                        ; implicit-def: $vgpr56
	s_delay_alu instid0(VALU_DEP_1) | instskip(NEXT) | instid1(VALU_DEP_1)
	v_and_b32_e32 v4, 0x80000000, v4
	v_lshl_add_u32 v4, v13, 23, v4
	s_delay_alu instid0(VALU_DEP_1) | instskip(NEXT) | instid1(VALU_DEP_1)
	v_lshl_or_b32 v4, v5, 21, v4
                                        ; implicit-def: $vgpr5
	v_add_nc_u32_e32 v13, 0x38000000, v4
.LBB4_5179:                             ;   in Loop: Header=BB4_3365 Depth=4
	s_and_not1_saveexec_b32 s75, s75
; %bb.5180:                             ;   in Loop: Header=BB4_3365 Depth=4
	v_cmp_lt_i16_e32 vcc_lo, -1, v56
	v_cndmask_b32_e32 v4, 0xff800000, v48, vcc_lo
	v_cmp_eq_u32_e32 vcc_lo, 0, v5
	s_delay_alu instid0(VALU_DEP_2)
	v_cndmask_b32_e32 v13, 0x7f800001, v4, vcc_lo
; %bb.5181:                             ;   in Loop: Header=BB4_3365 Depth=4
	s_or_b32 exec_lo, exec_lo, s75
.LBB4_5182:                             ;   in Loop: Header=BB4_3365 Depth=4
	s_delay_alu instid0(SALU_CYCLE_1)
	s_or_b32 exec_lo, exec_lo, s74
.LBB4_5183:                             ;   in Loop: Header=BB4_3365 Depth=4
	s_delay_alu instid0(SALU_CYCLE_1) | instskip(SKIP_2) | instid1(VALU_DEP_1)
	s_or_b32 exec_lo, exec_lo, s13
	v_lshrrev_b16 v4, 8, v9
	s_mov_b32 s13, exec_lo
	v_cmpx_ne_u16_e32 0, v4
	s_cbranch_execz .LBB4_5193
; %bb.5184:                             ;   in Loop: Header=BB4_3365 Depth=4
	v_bfrev_b32_e32 v12, 1
	s_mov_b32 s74, exec_lo
	v_cmpx_ne_u16_e32 0x80, v4
	s_cbranch_execz .LBB4_5192
; %bb.5185:                             ;   in Loop: Header=BB4_3365 Depth=4
	v_and_b32_e32 v86, 0xffff, v4
	s_delay_alu instid0(VALU_DEP_1) | instskip(SKIP_1) | instid1(VALU_DEP_2)
	v_and_b32_e32 v12, 0x7c, v86
	v_and_b32_e32 v5, 3, v86
	v_cmp_ne_u32_e32 vcc_lo, 0x7c, v12
                                        ; implicit-def: $vgpr12
	s_and_saveexec_b32 s75, vcc_lo
	s_delay_alu instid0(SALU_CYCLE_1)
	s_xor_b32 s75, exec_lo, s75
	s_cbranch_execz .LBB4_5189
; %bb.5186:                             ;   in Loop: Header=BB4_3365 Depth=4
	v_bfe_u32 v12, v86, 2, 5
	s_mov_b32 s76, exec_lo
	s_delay_alu instid0(VALU_DEP_1)
	v_cmpx_eq_u32_e32 0, v12
	s_cbranch_execz .LBB4_5188
; %bb.5187:                             ;   in Loop: Header=BB4_3365 Depth=4
	v_clz_i32_u32_e32 v5, v5
	s_delay_alu instid0(VALU_DEP_1) | instskip(SKIP_1) | instid1(VALU_DEP_2)
	v_min_u32_e32 v12, 32, v5
	v_mov_b32_e32 v5, v3
	v_subrev_nc_u32_e32 v86, 29, v12
	v_sub_nc_u32_e32 v12, 30, v12
	s_delay_alu instid0(VALU_DEP_2) | instskip(NEXT) | instid1(VALU_DEP_1)
	v_lshlrev_b64_e32 v[4:5], v86, v[4:5]
	v_and_b32_e32 v5, 3, v4
.LBB4_5188:                             ;   in Loop: Header=BB4_3365 Depth=4
	s_or_b32 exec_lo, exec_lo, s76
	v_lshlrev_b32_e32 v4, 16, v9
	s_delay_alu instid0(VALU_DEP_1) | instskip(NEXT) | instid1(VALU_DEP_1)
	v_and_b32_e32 v4, 0x80000000, v4
	v_lshl_add_u32 v4, v12, 23, v4
	s_delay_alu instid0(VALU_DEP_1) | instskip(NEXT) | instid1(VALU_DEP_1)
	v_lshl_or_b32 v4, v5, 21, v4
                                        ; implicit-def: $vgpr5
	v_add_nc_u32_e32 v12, 0x38000000, v4
.LBB4_5189:                             ;   in Loop: Header=BB4_3365 Depth=4
	s_and_not1_saveexec_b32 s75, s75
; %bb.5190:                             ;   in Loop: Header=BB4_3365 Depth=4
	v_cmp_lt_i16_e32 vcc_lo, -1, v9
	v_cndmask_b32_e32 v4, 0xff800000, v48, vcc_lo
	v_cmp_eq_u32_e32 vcc_lo, 0, v5
	s_delay_alu instid0(VALU_DEP_2)
	v_cndmask_b32_e32 v12, 0x7f800001, v4, vcc_lo
; %bb.5191:                             ;   in Loop: Header=BB4_3365 Depth=4
	s_or_b32 exec_lo, exec_lo, s75
.LBB4_5192:                             ;   in Loop: Header=BB4_3365 Depth=4
	s_delay_alu instid0(SALU_CYCLE_1)
	s_or_b32 exec_lo, exec_lo, s74
.LBB4_5193:                             ;   in Loop: Header=BB4_3365 Depth=4
	s_delay_alu instid0(SALU_CYCLE_1) | instskip(NEXT) | instid1(VALU_DEP_1)
	s_or_b32 exec_lo, exec_lo, s13
	v_dual_add_f32 v12, v13, v12 :: v_dual_mov_b32 v87, v3
	v_mov_b32_e32 v5, v3
                                        ; implicit-def: $vgpr56
	s_mov_b32 s13, exec_lo
	s_delay_alu instid0(VALU_DEP_2) | instskip(SKIP_2) | instid1(VALU_DEP_3)
	v_and_b32_e32 v86, 0x7f800000, v12
	v_and_b32_e32 v4, 0x7fffff, v12
	v_lshrrev_b32_e32 v13, 24, v12
	v_cmpx_ne_u64_e32 0x7f800000, v[86:87]
	s_xor_b32 s74, exec_lo, s13
	s_cbranch_execz .LBB4_5207
; %bb.5194:                             ;   in Loop: Header=BB4_3365 Depth=4
	v_and_b32_e32 v86, 0x7fffffff, v12
	v_mov_b32_e32 v87, v3
	v_and_b32_e32 v57, 0x80, v13
                                        ; implicit-def: $vgpr56
	s_mov_b32 s13, exec_lo
	s_delay_alu instid0(VALU_DEP_2)
	v_cmpx_gt_u64_e32 0x47600001, v[86:87]
	s_xor_b32 s75, exec_lo, s13
	s_cbranch_execz .LBB4_5204
; %bb.5195:                             ;   in Loop: Header=BB4_3365 Depth=4
	v_mov_b32_e32 v56, 0
	s_mov_b32 s76, exec_lo
	v_cmpx_ne_u32_e32 0, v12
	s_cbranch_execz .LBB4_5203
; %bb.5196:                             ;   in Loop: Header=BB4_3365 Depth=4
	v_bfe_u32 v56, v12, 23, 8
	v_or_b32_e32 v13, 0x800000, v4
	s_delay_alu instid0(VALU_DEP_2) | instskip(SKIP_2) | instid1(VALU_DEP_2)
	v_cmp_gt_u32_e64 s13, 0x72, v56
	v_sub_nc_u32_e32 v12, 0x71, v56
	v_cmp_eq_u32_e32 vcc_lo, 0, v56
	v_cndmask_b32_e64 v12, 0, v12, s13
	s_delay_alu instid0(VALU_DEP_1) | instskip(NEXT) | instid1(VALU_DEP_1)
	v_cndmask_b32_e64 v86, v12, 0x70, vcc_lo
	v_dual_cndmask_b32 v4, v13, v4, vcc_lo :: v_dual_add_nc_u32 v12, 21, v86
	v_add_nc_u32_e32 v87, 20, v86
	s_delay_alu instid0(VALU_DEP_2) | instskip(NEXT) | instid1(VALU_DEP_2)
	v_lshlrev_b64_e64 v[12:13], v12, -1
	v_lshlrev_b64_e64 v[96:97], v87, 1
	s_delay_alu instid0(VALU_DEP_2) | instskip(SKIP_1) | instid1(VALU_DEP_4)
	v_bfi_b32 v12, v12, 0, v4
	v_lshrrev_b64 v[4:5], v86, v[4:5]
	v_bfi_b32 v13, v13, 0, 0
	s_delay_alu instid0(VALU_DEP_1) | instskip(NEXT) | instid1(VALU_DEP_3)
	v_cmp_eq_u64_e64 s13, v[12:13], v[96:97]
	v_mov_b64_e32 v[12:13], v[4:5]
	s_and_saveexec_b32 s77, s13
; %bb.5197:                             ;   in Loop: Header=BB4_3365 Depth=4
	v_bfe_u32 v12, v4, 21, 1
	v_mov_b32_e32 v13, v3
	s_delay_alu instid0(VALU_DEP_1) | instskip(NEXT) | instid1(VALU_DEP_1)
	v_add_nc_u64_e32 v[12:13], v[4:5], v[12:13]
	v_add_nc_u64_e32 v[12:13], -1, v[12:13]
; %bb.5198:                             ;   in Loop: Header=BB4_3365 Depth=4
	s_or_b32 exec_lo, exec_lo, s77
	v_add_nc_u32_e32 v5, 0xffffff81, v56
	v_lshrrev_b32_e32 v13, 23, v4
	s_mov_b32 s13, exec_lo
	s_delay_alu instid0(VALU_DEP_2) | instskip(NEXT) | instid1(VALU_DEP_1)
	v_cndmask_b32_e64 v5, v5, 0xffffff82, vcc_lo
	v_add3_u32 v86, v86, v5, v13
	v_and_b32_e32 v5, 0x1fffff, v12
                                        ; implicit-def: $vgpr12
	s_delay_alu instid0(VALU_DEP_1) | instskip(SKIP_1) | instid1(VALU_DEP_2)
	v_dual_add_nc_u32 v13, 14, v86 :: v_dual_add_nc_u32 v4, v5, v4
	v_mov_b32_e32 v5, v3
	v_cmpx_ne_u32_e32 0, v13
	s_xor_b32 s13, exec_lo, s13
; %bb.5199:                             ;   in Loop: Header=BB4_3365 Depth=4
	s_delay_alu instid0(VALU_DEP_2) | instskip(SKIP_1) | instid1(VALU_DEP_1)
	v_cmp_lt_u64_e32 vcc_lo, 0xffffff, v[4:5]
	v_add_nc_u32_e32 v12, 15, v86
	v_cndmask_b32_e32 v12, v13, v12, vcc_lo
	v_cndmask_b32_e64 v13, 0, 1, vcc_lo
	s_delay_alu instid0(VALU_DEP_1)
	v_lshrrev_b64 v[4:5], v13, v[4:5]
; %bb.5200:                             ;   in Loop: Header=BB4_3365 Depth=4
	s_and_not1_saveexec_b32 s13, s13
; %bb.5201:                             ;   in Loop: Header=BB4_3365 Depth=4
	s_delay_alu instid0(VALU_DEP_1)
	v_bfe_u32 v12, v4, 23, 1
; %bb.5202:                             ;   in Loop: Header=BB4_3365 Depth=4
	s_or_b32 exec_lo, exec_lo, s13
	s_delay_alu instid0(VALU_DEP_2) | instskip(NEXT) | instid1(VALU_DEP_2)
	v_lshrrev_b64 v[4:5], 21, v[4:5]
	v_cmp_gt_i32_e32 vcc_lo, 32, v12
	v_min_i32_e32 v13, 31, v12
	v_cmp_eq_u32_e64 s13, 0, v12
	s_delay_alu instid0(VALU_DEP_4) | instskip(NEXT) | instid1(VALU_DEP_3)
	v_cndmask_b32_e32 v5, 0, v5, vcc_lo
	v_dual_cndmask_b32 v4, 3, v4 :: v_dual_lshlrev_b32 v13, 2, v13
	s_delay_alu instid0(VALU_DEP_1) | instskip(NEXT) | instid1(VALU_DEP_2)
	v_and_b32_e32 v13, 0xfc, v13
	v_cmp_eq_u64_e32 vcc_lo, 0, v[4:5]
	s_delay_alu instid0(VALU_DEP_2)
	v_and_or_b32 v4, v4, 3, v13
	s_and_b32 s13, s13, vcc_lo
	s_delay_alu instid0(VALU_DEP_1) | instid1(SALU_CYCLE_1)
	v_cndmask_b32_e64 v4, v4, 0, s13
	s_delay_alu instid0(VALU_DEP_1)
	v_or_b32_e32 v56, v4, v57
.LBB4_5203:                             ;   in Loop: Header=BB4_3365 Depth=4
	s_or_b32 exec_lo, exec_lo, s76
                                        ; implicit-def: $vgpr57
.LBB4_5204:                             ;   in Loop: Header=BB4_3365 Depth=4
	s_and_not1_saveexec_b32 s13, s75
; %bb.5205:                             ;   in Loop: Header=BB4_3365 Depth=4
	v_or_b32_e32 v56, 0x7b, v57
; %bb.5206:                             ;   in Loop: Header=BB4_3365 Depth=4
	s_or_b32 exec_lo, exec_lo, s13
                                        ; implicit-def: $vgpr12
                                        ; implicit-def: $vgpr4_vgpr5
                                        ; implicit-def: $vgpr13
.LBB4_5207:                             ;   in Loop: Header=BB4_3365 Depth=4
	s_and_not1_saveexec_b32 s13, s74
	s_cbranch_execz .LBB4_5213
; %bb.5208:                             ;   in Loop: Header=BB4_3365 Depth=4
	s_mov_b32 s74, exec_lo
                                        ; implicit-def: $vgpr56
	v_cmpx_ne_u64_e32 0, v[4:5]
	s_xor_b32 s74, exec_lo, s74
; %bb.5209:                             ;   in Loop: Header=BB4_3365 Depth=4
	v_or_b32_e32 v56, 0x7f, v13
                                        ; implicit-def: $vgpr12
; %bb.5210:                             ;   in Loop: Header=BB4_3365 Depth=4
	s_and_not1_saveexec_b32 s74, s74
; %bb.5211:                             ;   in Loop: Header=BB4_3365 Depth=4
	v_cmp_lt_i32_e32 vcc_lo, -1, v12
	v_cndmask_b32_e32 v56, 0xfc, v49, vcc_lo
; %bb.5212:                             ;   in Loop: Header=BB4_3365 Depth=4
	s_or_b32 exec_lo, exec_lo, s74
.LBB4_5213:                             ;   in Loop: Header=BB4_3365 Depth=4
	s_delay_alu instid0(SALU_CYCLE_1) | instskip(SKIP_3) | instid1(VALU_DEP_2)
	s_or_b32 exec_lo, exec_lo, s13
	v_dual_mov_b32 v5, 0 :: v_dual_lshrrev_b32 v4, 16, v2
	v_mov_b32_e32 v12, 0
	s_mov_b32 s74, exec_lo
	v_and_b32_e32 v13, 0xff, v4
	s_delay_alu instid0(VALU_DEP_1)
	v_cmpx_ne_u16_e32 0, v13
	s_cbranch_execz .LBB4_5223
; %bb.5214:                             ;   in Loop: Header=BB4_3365 Depth=4
	v_bfrev_b32_e32 v12, 1
	s_mov_b32 s75, exec_lo
	v_cmpx_ne_u16_e32 0x80, v13
	s_cbranch_execz .LBB4_5222
; %bb.5215:                             ;   in Loop: Header=BB4_3365 Depth=4
	v_and_b32_e32 v12, 0x7c0000, v2
	v_bfe_u32 v13, v2, 16, 2
	s_delay_alu instid0(VALU_DEP_2) | instskip(SKIP_1) | instid1(SALU_CYCLE_1)
	v_cmp_ne_u32_e32 vcc_lo, 0x7c0000, v12
                                        ; implicit-def: $vgpr12
	s_and_saveexec_b32 s13, vcc_lo
	s_xor_b32 s13, exec_lo, s13
	s_cbranch_execz .LBB4_5219
; %bb.5216:                             ;   in Loop: Header=BB4_3365 Depth=4
	v_bfe_u32 v12, v2, 18, 5
	s_mov_b32 s76, exec_lo
	s_delay_alu instid0(VALU_DEP_1)
	v_cmpx_eq_u32_e32 0, v12
; %bb.5217:                             ;   in Loop: Header=BB4_3365 Depth=4
	v_clz_i32_u32_e32 v12, v13
	s_delay_alu instid0(VALU_DEP_1) | instskip(NEXT) | instid1(VALU_DEP_1)
	v_min_u32_e32 v12, 32, v12
	v_subrev_nc_u32_e32 v13, 29, v12
	s_delay_alu instid0(VALU_DEP_1) | instskip(NEXT) | instid1(VALU_DEP_1)
	v_lshlrev_b64_e32 v[86:87], v13, v[4:5]
	v_dual_sub_nc_u32 v12, 30, v12 :: v_dual_bitop2_b32 v13, 3, v86 bitop3:0x40
; %bb.5218:                             ;   in Loop: Header=BB4_3365 Depth=4
	s_or_b32 exec_lo, exec_lo, s76
	v_lshlrev_b32_e32 v4, 24, v4
	s_delay_alu instid0(VALU_DEP_1) | instskip(NEXT) | instid1(VALU_DEP_1)
	v_and_b32_e32 v4, 0x80000000, v4
	v_lshl_add_u32 v4, v12, 23, v4
	s_delay_alu instid0(VALU_DEP_1) | instskip(NEXT) | instid1(VALU_DEP_1)
	v_lshl_or_b32 v4, v13, 21, v4
                                        ; implicit-def: $vgpr13
	v_add_nc_u32_e32 v12, 0x38000000, v4
                                        ; implicit-def: $vgpr4
.LBB4_5219:                             ;   in Loop: Header=BB4_3365 Depth=4
	s_and_not1_saveexec_b32 s76, s13
; %bb.5220:                             ;   in Loop: Header=BB4_3365 Depth=4
	v_bfe_i32 v4, v4, 0, 8
	v_cmp_eq_u32_e32 vcc_lo, 0, v13
	s_delay_alu instid0(VALU_DEP_2) | instskip(NEXT) | instid1(VALU_DEP_1)
	v_cmp_lt_i16_e64 s13, -1, v4
	v_cndmask_b32_e64 v4, 0xff800000, v48, s13
	s_delay_alu instid0(VALU_DEP_1)
	v_cndmask_b32_e32 v12, 0x7f800001, v4, vcc_lo
; %bb.5221:                             ;   in Loop: Header=BB4_3365 Depth=4
	s_or_b32 exec_lo, exec_lo, s76
.LBB4_5222:                             ;   in Loop: Header=BB4_3365 Depth=4
	s_delay_alu instid0(SALU_CYCLE_1)
	s_or_b32 exec_lo, exec_lo, s75
.LBB4_5223:                             ;   in Loop: Header=BB4_3365 Depth=4
	s_delay_alu instid0(SALU_CYCLE_1) | instskip(SKIP_2) | instid1(VALU_DEP_1)
	s_or_b32 exec_lo, exec_lo, s74
	v_lshrrev_b32_e32 v4, 16, v9
	s_mov_b32 s74, exec_lo
	v_and_b32_e32 v13, 0xff, v4
	s_delay_alu instid0(VALU_DEP_1)
	v_cmpx_ne_u16_e32 0, v13
	s_cbranch_execz .LBB4_5233
; %bb.5224:                             ;   in Loop: Header=BB4_3365 Depth=4
	v_bfrev_b32_e32 v5, 1
	s_mov_b32 s75, exec_lo
	v_cmpx_ne_u16_e32 0x80, v13
	s_cbranch_execz .LBB4_5232
; %bb.5225:                             ;   in Loop: Header=BB4_3365 Depth=4
	v_and_b32_e32 v5, 0x7c0000, v9
	v_bfe_u32 v13, v9, 16, 2
	s_delay_alu instid0(VALU_DEP_2) | instskip(SKIP_1) | instid1(SALU_CYCLE_1)
	v_cmp_ne_u32_e32 vcc_lo, 0x7c0000, v5
                                        ; implicit-def: $vgpr5
	s_and_saveexec_b32 s13, vcc_lo
	s_xor_b32 s13, exec_lo, s13
	s_cbranch_execz .LBB4_5229
; %bb.5226:                             ;   in Loop: Header=BB4_3365 Depth=4
	v_bfe_u32 v5, v9, 18, 5
	s_mov_b32 s76, exec_lo
	s_delay_alu instid0(VALU_DEP_1)
	v_cmpx_eq_u32_e32 0, v5
; %bb.5227:                             ;   in Loop: Header=BB4_3365 Depth=4
	v_clz_i32_u32_e32 v5, v13
	s_delay_alu instid0(VALU_DEP_1) | instskip(NEXT) | instid1(VALU_DEP_1)
	v_min_u32_e32 v5, 32, v5
	v_subrev_nc_u32_e32 v13, 29, v5
	s_delay_alu instid0(VALU_DEP_1) | instskip(NEXT) | instid1(VALU_DEP_1)
	v_lshlrev_b64_e32 v[86:87], v13, v[4:5]
	v_dual_sub_nc_u32 v5, 30, v5 :: v_dual_bitop2_b32 v13, 3, v86 bitop3:0x40
; %bb.5228:                             ;   in Loop: Header=BB4_3365 Depth=4
	s_or_b32 exec_lo, exec_lo, s76
	v_lshlrev_b32_e32 v4, 24, v4
	s_delay_alu instid0(VALU_DEP_1) | instskip(NEXT) | instid1(VALU_DEP_1)
	v_and_b32_e32 v4, 0x80000000, v4
	v_lshl_add_u32 v4, v5, 23, v4
	s_delay_alu instid0(VALU_DEP_1) | instskip(NEXT) | instid1(VALU_DEP_1)
	v_lshl_or_b32 v4, v13, 21, v4
                                        ; implicit-def: $vgpr13
	v_add_nc_u32_e32 v5, 0x38000000, v4
                                        ; implicit-def: $vgpr4
.LBB4_5229:                             ;   in Loop: Header=BB4_3365 Depth=4
	s_and_not1_saveexec_b32 s76, s13
; %bb.5230:                             ;   in Loop: Header=BB4_3365 Depth=4
	v_bfe_i32 v4, v4, 0, 8
	v_cmp_eq_u32_e32 vcc_lo, 0, v13
	s_delay_alu instid0(VALU_DEP_2) | instskip(NEXT) | instid1(VALU_DEP_1)
	v_cmp_lt_i16_e64 s13, -1, v4
	v_cndmask_b32_e64 v4, 0xff800000, v48, s13
	s_delay_alu instid0(VALU_DEP_1)
	v_cndmask_b32_e32 v5, 0x7f800001, v4, vcc_lo
; %bb.5231:                             ;   in Loop: Header=BB4_3365 Depth=4
	s_or_b32 exec_lo, exec_lo, s76
.LBB4_5232:                             ;   in Loop: Header=BB4_3365 Depth=4
	s_delay_alu instid0(SALU_CYCLE_1)
	s_or_b32 exec_lo, exec_lo, s75
.LBB4_5233:                             ;   in Loop: Header=BB4_3365 Depth=4
	s_delay_alu instid0(SALU_CYCLE_1) | instskip(NEXT) | instid1(VALU_DEP_1)
	s_or_b32 exec_lo, exec_lo, s74
	v_dual_add_f32 v13, v12, v5 :: v_dual_mov_b32 v87, v3
	v_mov_b32_e32 v5, v3
                                        ; implicit-def: $vgpr12
	s_delay_alu instid0(VALU_DEP_2) | instskip(SKIP_1) | instid1(VALU_DEP_2)
	v_and_b32_e32 v86, 0x7f800000, v13
	v_and_b32_e32 v4, 0x7fffff, v13
	v_cmp_ne_u64_e32 vcc_lo, 0x7f800000, v[86:87]
	v_lshrrev_b32_e32 v86, 24, v13
	s_and_saveexec_b32 s13, vcc_lo
	s_delay_alu instid0(SALU_CYCLE_1)
	s_xor_b32 s74, exec_lo, s13
	s_cbranch_execz .LBB4_5247
; %bb.5234:                             ;   in Loop: Header=BB4_3365 Depth=4
	v_and_b32_e32 v96, 0x7fffffff, v13
	v_mov_b32_e32 v97, v3
	v_and_b32_e32 v57, 0x80, v86
                                        ; implicit-def: $vgpr12
	s_mov_b32 s13, exec_lo
	s_delay_alu instid0(VALU_DEP_2)
	v_cmpx_gt_u64_e32 0x47600001, v[96:97]
	s_xor_b32 s75, exec_lo, s13
	s_cbranch_execz .LBB4_5244
; %bb.5235:                             ;   in Loop: Header=BB4_3365 Depth=4
	v_mov_b32_e32 v12, 0
	s_mov_b32 s76, exec_lo
	v_cmpx_ne_u32_e32 0, v13
	s_cbranch_execz .LBB4_5243
; %bb.5236:                             ;   in Loop: Header=BB4_3365 Depth=4
	v_bfe_u32 v60, v13, 23, 8
	v_or_b32_e32 v13, 0x800000, v4
	s_delay_alu instid0(VALU_DEP_2) | instskip(SKIP_2) | instid1(VALU_DEP_2)
	v_cmp_gt_u32_e64 s13, 0x72, v60
	v_sub_nc_u32_e32 v12, 0x71, v60
	v_cmp_eq_u32_e32 vcc_lo, 0, v60
	v_cndmask_b32_e64 v12, 0, v12, s13
	s_delay_alu instid0(VALU_DEP_1) | instskip(NEXT) | instid1(VALU_DEP_1)
	v_cndmask_b32_e64 v86, v12, 0x70, vcc_lo
	v_dual_cndmask_b32 v4, v13, v4, vcc_lo :: v_dual_add_nc_u32 v12, 21, v86
	v_add_nc_u32_e32 v87, 20, v86
	s_delay_alu instid0(VALU_DEP_2) | instskip(NEXT) | instid1(VALU_DEP_2)
	v_lshlrev_b64_e64 v[12:13], v12, -1
	v_lshlrev_b64_e64 v[96:97], v87, 1
	s_delay_alu instid0(VALU_DEP_2) | instskip(SKIP_1) | instid1(VALU_DEP_4)
	v_bfi_b32 v12, v12, 0, v4
	v_lshrrev_b64 v[4:5], v86, v[4:5]
	v_bfi_b32 v13, v13, 0, 0
	s_delay_alu instid0(VALU_DEP_1) | instskip(NEXT) | instid1(VALU_DEP_3)
	v_cmp_eq_u64_e64 s13, v[12:13], v[96:97]
	v_mov_b64_e32 v[12:13], v[4:5]
	s_and_saveexec_b32 s77, s13
; %bb.5237:                             ;   in Loop: Header=BB4_3365 Depth=4
	v_bfe_u32 v12, v4, 21, 1
	v_mov_b32_e32 v13, v3
	s_delay_alu instid0(VALU_DEP_1) | instskip(NEXT) | instid1(VALU_DEP_1)
	v_add_nc_u64_e32 v[12:13], v[4:5], v[12:13]
	v_add_nc_u64_e32 v[12:13], -1, v[12:13]
; %bb.5238:                             ;   in Loop: Header=BB4_3365 Depth=4
	s_or_b32 exec_lo, exec_lo, s77
	v_add_nc_u32_e32 v5, 0xffffff81, v60
	v_lshrrev_b32_e32 v13, 23, v4
	s_mov_b32 s13, exec_lo
	s_delay_alu instid0(VALU_DEP_2) | instskip(NEXT) | instid1(VALU_DEP_1)
	v_cndmask_b32_e64 v5, v5, 0xffffff82, vcc_lo
	v_add3_u32 v86, v86, v5, v13
	v_and_b32_e32 v5, 0x1fffff, v12
                                        ; implicit-def: $vgpr12
	s_delay_alu instid0(VALU_DEP_1) | instskip(SKIP_1) | instid1(VALU_DEP_2)
	v_dual_add_nc_u32 v13, 14, v86 :: v_dual_add_nc_u32 v4, v5, v4
	v_mov_b32_e32 v5, v3
	v_cmpx_ne_u32_e32 0, v13
	s_xor_b32 s13, exec_lo, s13
; %bb.5239:                             ;   in Loop: Header=BB4_3365 Depth=4
	s_delay_alu instid0(VALU_DEP_2) | instskip(SKIP_1) | instid1(VALU_DEP_1)
	v_cmp_lt_u64_e32 vcc_lo, 0xffffff, v[4:5]
	v_add_nc_u32_e32 v12, 15, v86
	v_cndmask_b32_e32 v12, v13, v12, vcc_lo
	v_cndmask_b32_e64 v13, 0, 1, vcc_lo
	s_delay_alu instid0(VALU_DEP_1)
	v_lshrrev_b64 v[4:5], v13, v[4:5]
; %bb.5240:                             ;   in Loop: Header=BB4_3365 Depth=4
	s_and_not1_saveexec_b32 s13, s13
; %bb.5241:                             ;   in Loop: Header=BB4_3365 Depth=4
	s_delay_alu instid0(VALU_DEP_1)
	v_bfe_u32 v12, v4, 23, 1
; %bb.5242:                             ;   in Loop: Header=BB4_3365 Depth=4
	s_or_b32 exec_lo, exec_lo, s13
	s_delay_alu instid0(VALU_DEP_2) | instskip(NEXT) | instid1(VALU_DEP_2)
	v_lshrrev_b64 v[4:5], 21, v[4:5]
	v_cmp_gt_i32_e32 vcc_lo, 32, v12
	v_min_i32_e32 v13, 31, v12
	v_cmp_eq_u32_e64 s13, 0, v12
	s_delay_alu instid0(VALU_DEP_4) | instskip(NEXT) | instid1(VALU_DEP_3)
	v_cndmask_b32_e32 v5, 0, v5, vcc_lo
	v_dual_cndmask_b32 v4, 3, v4 :: v_dual_lshlrev_b32 v13, 2, v13
	s_delay_alu instid0(VALU_DEP_1) | instskip(NEXT) | instid1(VALU_DEP_2)
	v_and_b32_e32 v13, 0xfc, v13
	v_cmp_eq_u64_e32 vcc_lo, 0, v[4:5]
	s_delay_alu instid0(VALU_DEP_2)
	v_and_or_b32 v4, v4, 3, v13
	s_and_b32 s13, s13, vcc_lo
	s_delay_alu instid0(VALU_DEP_1) | instid1(SALU_CYCLE_1)
	v_cndmask_b32_e64 v4, v4, 0, s13
	s_delay_alu instid0(VALU_DEP_1)
	v_or_b32_e32 v12, v4, v57
.LBB4_5243:                             ;   in Loop: Header=BB4_3365 Depth=4
	s_or_b32 exec_lo, exec_lo, s76
                                        ; implicit-def: $vgpr57
.LBB4_5244:                             ;   in Loop: Header=BB4_3365 Depth=4
	s_and_not1_saveexec_b32 s13, s75
; %bb.5245:                             ;   in Loop: Header=BB4_3365 Depth=4
	v_or_b32_e32 v12, 0x7b, v57
; %bb.5246:                             ;   in Loop: Header=BB4_3365 Depth=4
	s_or_b32 exec_lo, exec_lo, s13
                                        ; implicit-def: $vgpr13
                                        ; implicit-def: $vgpr4_vgpr5
                                        ; implicit-def: $vgpr86
.LBB4_5247:                             ;   in Loop: Header=BB4_3365 Depth=4
	s_and_not1_saveexec_b32 s13, s74
	s_cbranch_execz .LBB4_5253
; %bb.5248:                             ;   in Loop: Header=BB4_3365 Depth=4
	s_mov_b32 s74, exec_lo
                                        ; implicit-def: $vgpr12
	v_cmpx_ne_u64_e32 0, v[4:5]
	s_xor_b32 s74, exec_lo, s74
; %bb.5249:                             ;   in Loop: Header=BB4_3365 Depth=4
	v_or_b32_e32 v12, 0x7f, v86
                                        ; implicit-def: $vgpr13
; %bb.5250:                             ;   in Loop: Header=BB4_3365 Depth=4
	s_and_not1_saveexec_b32 s74, s74
; %bb.5251:                             ;   in Loop: Header=BB4_3365 Depth=4
	v_cmp_lt_i32_e32 vcc_lo, -1, v13
	v_cndmask_b32_e32 v12, 0xfc, v49, vcc_lo
; %bb.5252:                             ;   in Loop: Header=BB4_3365 Depth=4
	s_or_b32 exec_lo, exec_lo, s74
.LBB4_5253:                             ;   in Loop: Header=BB4_3365 Depth=4
	s_delay_alu instid0(SALU_CYCLE_1)
	s_or_b32 exec_lo, exec_lo, s13
	v_dual_mov_b32 v5, 0 :: v_dual_mov_b32 v13, 0
	s_mov_b32 s13, exec_lo
	v_cmpx_lt_u32_e32 0xffffff, v2
	s_cbranch_execz .LBB4_5263
; %bb.5254:                             ;   in Loop: Header=BB4_3365 Depth=4
	v_lshrrev_b32_e32 v4, 24, v2
	v_bfrev_b32_e32 v13, 1
	s_mov_b32 s74, exec_lo
	s_delay_alu instid0(VALU_DEP_2)
	v_cmpx_ne_u32_e32 0x80, v4
	s_cbranch_execz .LBB4_5262
; %bb.5255:                             ;   in Loop: Header=BB4_3365 Depth=4
	v_and_b32_e32 v13, 0x7c000000, v2
	v_bfe_u32 v86, v2, 24, 2
	s_delay_alu instid0(VALU_DEP_2) | instskip(SKIP_1) | instid1(SALU_CYCLE_1)
	v_cmp_ne_u32_e32 vcc_lo, 0x7c000000, v13
                                        ; implicit-def: $vgpr13
	s_and_saveexec_b32 s75, vcc_lo
	s_xor_b32 s75, exec_lo, s75
	s_cbranch_execz .LBB4_5259
; %bb.5256:                             ;   in Loop: Header=BB4_3365 Depth=4
	v_bfe_u32 v13, v2, 26, 5
	s_mov_b32 s76, exec_lo
	s_delay_alu instid0(VALU_DEP_1)
	v_cmpx_eq_u32_e32 0, v13
; %bb.5257:                             ;   in Loop: Header=BB4_3365 Depth=4
	v_clz_i32_u32_e32 v13, v86
	s_delay_alu instid0(VALU_DEP_1) | instskip(NEXT) | instid1(VALU_DEP_1)
	v_min_u32_e32 v13, 32, v13
	v_subrev_nc_u32_e32 v86, 29, v13
	s_delay_alu instid0(VALU_DEP_1) | instskip(NEXT) | instid1(VALU_DEP_1)
	v_lshlrev_b64_e32 v[86:87], v86, v[4:5]
	v_dual_sub_nc_u32 v13, 30, v13 :: v_dual_bitop2_b32 v86, 3, v86 bitop3:0x40
; %bb.5258:                             ;   in Loop: Header=BB4_3365 Depth=4
	s_or_b32 exec_lo, exec_lo, s76
	v_and_b32_e32 v2, 0x80000000, v2
	s_delay_alu instid0(VALU_DEP_1) | instskip(NEXT) | instid1(VALU_DEP_1)
	v_lshl_add_u32 v2, v13, 23, v2
	v_lshl_or_b32 v2, v86, 21, v2
                                        ; implicit-def: $vgpr86
	s_delay_alu instid0(VALU_DEP_1)
	v_add_nc_u32_e32 v13, 0x38000000, v2
.LBB4_5259:                             ;   in Loop: Header=BB4_3365 Depth=4
	s_and_not1_saveexec_b32 s75, s75
; %bb.5260:                             ;   in Loop: Header=BB4_3365 Depth=4
	v_cmp_lt_i32_e32 vcc_lo, -1, v2
	v_cndmask_b32_e32 v2, 0xff800000, v48, vcc_lo
	v_cmp_eq_u32_e32 vcc_lo, 0, v86
	s_delay_alu instid0(VALU_DEP_2)
	v_cndmask_b32_e32 v13, 0x7f800001, v2, vcc_lo
; %bb.5261:                             ;   in Loop: Header=BB4_3365 Depth=4
	s_or_b32 exec_lo, exec_lo, s75
.LBB4_5262:                             ;   in Loop: Header=BB4_3365 Depth=4
	s_delay_alu instid0(SALU_CYCLE_1)
	s_or_b32 exec_lo, exec_lo, s74
.LBB4_5263:                             ;   in Loop: Header=BB4_3365 Depth=4
	s_delay_alu instid0(SALU_CYCLE_1) | instskip(NEXT) | instid1(SALU_CYCLE_1)
	s_or_b32 exec_lo, exec_lo, s13
	s_mov_b32 s13, exec_lo
	v_cmpx_lt_u64_e64 s[22:23], v[8:9]
	s_cbranch_execz .LBB4_5273
; %bb.5264:                             ;   in Loop: Header=BB4_3365 Depth=4
	v_lshrrev_b32_e32 v2, 24, v9
	v_bfrev_b32_e32 v5, 1
	s_mov_b32 s74, exec_lo
	s_delay_alu instid0(VALU_DEP_2)
	v_cmpx_ne_u32_e32 0x80, v2
	s_cbranch_execz .LBB4_5272
; %bb.5265:                             ;   in Loop: Header=BB4_3365 Depth=4
	v_and_b32_e32 v5, 0x7c000000, v9
	v_bfe_u32 v4, v9, 24, 2
	s_delay_alu instid0(VALU_DEP_2) | instskip(SKIP_1) | instid1(SALU_CYCLE_1)
	v_cmp_ne_u32_e32 vcc_lo, 0x7c000000, v5
                                        ; implicit-def: $vgpr5
	s_and_saveexec_b32 s75, vcc_lo
	s_xor_b32 s75, exec_lo, s75
	s_cbranch_execz .LBB4_5269
; %bb.5266:                             ;   in Loop: Header=BB4_3365 Depth=4
	v_bfe_u32 v5, v9, 26, 5
	s_mov_b32 s76, exec_lo
	s_delay_alu instid0(VALU_DEP_1)
	v_cmpx_eq_u32_e32 0, v5
; %bb.5267:                             ;   in Loop: Header=BB4_3365 Depth=4
	v_clz_i32_u32_e32 v4, v4
	s_delay_alu instid0(VALU_DEP_1) | instskip(NEXT) | instid1(VALU_DEP_1)
	v_min_u32_e32 v86, 32, v4
	v_subrev_nc_u32_e32 v4, 29, v86
	s_delay_alu instid0(VALU_DEP_1) | instskip(NEXT) | instid1(VALU_DEP_1)
	v_lshlrev_b64_e32 v[4:5], v4, v[2:3]
	v_dual_sub_nc_u32 v5, 30, v86 :: v_dual_bitop2_b32 v4, 3, v4 bitop3:0x40
; %bb.5268:                             ;   in Loop: Header=BB4_3365 Depth=4
	s_or_b32 exec_lo, exec_lo, s76
	v_and_b32_e32 v2, 0x80000000, v9
	s_delay_alu instid0(VALU_DEP_1) | instskip(NEXT) | instid1(VALU_DEP_1)
	v_lshl_add_u32 v2, v5, 23, v2
	v_lshl_or_b32 v2, v4, 21, v2
                                        ; implicit-def: $vgpr4
	s_delay_alu instid0(VALU_DEP_1)
	v_add_nc_u32_e32 v5, 0x38000000, v2
.LBB4_5269:                             ;   in Loop: Header=BB4_3365 Depth=4
	s_and_not1_saveexec_b32 s75, s75
; %bb.5270:                             ;   in Loop: Header=BB4_3365 Depth=4
	v_cmp_lt_i64_e32 vcc_lo, -1, v[8:9]
	v_cndmask_b32_e32 v2, 0xff800000, v48, vcc_lo
	v_cmp_eq_u32_e32 vcc_lo, 0, v4
	s_delay_alu instid0(VALU_DEP_2)
	v_cndmask_b32_e32 v5, 0x7f800001, v2, vcc_lo
; %bb.5271:                             ;   in Loop: Header=BB4_3365 Depth=4
	s_or_b32 exec_lo, exec_lo, s75
.LBB4_5272:                             ;   in Loop: Header=BB4_3365 Depth=4
	s_delay_alu instid0(SALU_CYCLE_1)
	s_or_b32 exec_lo, exec_lo, s74
.LBB4_5273:                             ;   in Loop: Header=BB4_3365 Depth=4
	s_delay_alu instid0(SALU_CYCLE_1) | instskip(NEXT) | instid1(VALU_DEP_1)
	s_or_b32 exec_lo, exec_lo, s13
	v_dual_add_f32 v4, v13, v5 :: v_dual_mov_b32 v9, v3
                                        ; implicit-def: $vgpr13
	s_mov_b32 s13, exec_lo
	s_delay_alu instid0(VALU_DEP_1) | instskip(SKIP_2) | instid1(VALU_DEP_3)
	v_and_b32_e32 v8, 0x7f800000, v4
	v_and_b32_e32 v2, 0x7fffff, v4
	v_lshrrev_b32_e32 v5, 24, v4
	v_cmpx_ne_u64_e32 0x7f800000, v[8:9]
	s_xor_b32 s74, exec_lo, s13
	s_cbranch_execz .LBB4_5287
; %bb.5274:                             ;   in Loop: Header=BB4_3365 Depth=4
	v_and_b32_e32 v8, 0x7fffffff, v4
	v_mov_b32_e32 v9, v3
	v_and_b32_e32 v57, 0x80, v5
                                        ; implicit-def: $vgpr13
	s_mov_b32 s13, exec_lo
	s_delay_alu instid0(VALU_DEP_2)
	v_cmpx_gt_u64_e32 0x47600001, v[8:9]
	s_xor_b32 s75, exec_lo, s13
	s_cbranch_execz .LBB4_5284
; %bb.5275:                             ;   in Loop: Header=BB4_3365 Depth=4
	v_mov_b32_e32 v13, 0
	s_mov_b32 s76, exec_lo
	v_cmpx_ne_u32_e32 0, v4
	s_cbranch_execz .LBB4_5283
; %bb.5276:                             ;   in Loop: Header=BB4_3365 Depth=4
	v_bfe_u32 v13, v4, 23, 8
	v_or_b32_e32 v5, 0x800000, v2
	s_delay_alu instid0(VALU_DEP_2) | instskip(SKIP_2) | instid1(VALU_DEP_2)
	v_cmp_gt_u32_e64 s13, 0x72, v13
	v_sub_nc_u32_e32 v4, 0x71, v13
	v_cmp_eq_u32_e32 vcc_lo, 0, v13
	v_cndmask_b32_e64 v4, 0, v4, s13
	s_delay_alu instid0(VALU_DEP_1) | instskip(SKIP_1) | instid1(VALU_DEP_2)
	v_cndmask_b32_e64 v60, v4, 0x70, vcc_lo
	v_dual_cndmask_b32 v4, v5, v2 :: v_dual_mov_b32 v5, v3
	v_add_nc_u32_e32 v2, 21, v60
	s_delay_alu instid0(VALU_DEP_1) | instskip(SKIP_1) | instid1(VALU_DEP_1)
	v_lshlrev_b64_e64 v[8:9], v2, -1
	v_add_nc_u32_e32 v2, 20, v60
	v_lshlrev_b64_e64 v[86:87], v2, 1
	s_delay_alu instid0(VALU_DEP_3) | instskip(SKIP_2) | instid1(VALU_DEP_1)
	v_bfi_b32 v8, v8, 0, v4
	v_lshrrev_b64 v[4:5], v60, v[4:5]
	v_bfi_b32 v9, v9, 0, 0
	v_cmp_eq_u64_e64 s13, v[8:9], v[86:87]
	s_delay_alu instid0(VALU_DEP_3)
	v_mov_b64_e32 v[8:9], v[4:5]
	s_and_saveexec_b32 s77, s13
; %bb.5277:                             ;   in Loop: Header=BB4_3365 Depth=4
	v_bfe_u32 v8, v4, 21, 1
	v_mov_b32_e32 v9, v3
	s_delay_alu instid0(VALU_DEP_1) | instskip(NEXT) | instid1(VALU_DEP_1)
	v_add_nc_u64_e32 v[8:9], v[4:5], v[8:9]
	v_add_nc_u64_e32 v[8:9], -1, v[8:9]
; %bb.5278:                             ;   in Loop: Header=BB4_3365 Depth=4
	s_or_b32 exec_lo, exec_lo, s77
	v_add_nc_u32_e32 v2, 0xffffff81, v13
	v_lshrrev_b32_e32 v5, 23, v4
	s_mov_b32 s13, exec_lo
	s_delay_alu instid0(VALU_DEP_2) | instskip(NEXT) | instid1(VALU_DEP_1)
	v_cndmask_b32_e64 v2, v2, 0xffffff82, vcc_lo
	v_add3_u32 v13, v60, v2, v5
	v_and_b32_e32 v2, 0x1fffff, v8
                                        ; implicit-def: $vgpr8
	s_delay_alu instid0(VALU_DEP_1) | instskip(NEXT) | instid1(VALU_DEP_1)
	v_dual_add_nc_u32 v9, 14, v13 :: v_dual_add_nc_u32 v2, v2, v4
                                        ; implicit-def: $vgpr4_vgpr5
	v_cmpx_ne_u32_e32 0, v9
	s_xor_b32 s13, exec_lo, s13
; %bb.5279:                             ;   in Loop: Header=BB4_3365 Depth=4
	s_delay_alu instid0(VALU_DEP_2) | instskip(SKIP_1) | instid1(VALU_DEP_1)
	v_cmp_lt_u64_e32 vcc_lo, 0xffffff, v[2:3]
	v_add_nc_u32_e32 v4, 15, v13
	v_cndmask_b32_e32 v8, v9, v4, vcc_lo
	v_cndmask_b32_e64 v4, 0, 1, vcc_lo
	s_delay_alu instid0(VALU_DEP_1)
	v_lshrrev_b64 v[4:5], v4, v[2:3]
; %bb.5280:                             ;   in Loop: Header=BB4_3365 Depth=4
	s_and_not1_saveexec_b32 s13, s13
; %bb.5281:                             ;   in Loop: Header=BB4_3365 Depth=4
	v_mov_b64_e32 v[4:5], v[2:3]
	v_bfe_u32 v8, v2, 23, 1
; %bb.5282:                             ;   in Loop: Header=BB4_3365 Depth=4
	s_or_b32 exec_lo, exec_lo, s13
	s_delay_alu instid0(VALU_DEP_2) | instskip(NEXT) | instid1(VALU_DEP_2)
	v_lshrrev_b64 v[4:5], 21, v[4:5]
	v_cmp_gt_i32_e32 vcc_lo, 32, v8
	v_min_i32_e32 v2, 31, v8
	v_cmp_eq_u32_e64 s13, 0, v8
	s_delay_alu instid0(VALU_DEP_2) | instskip(SKIP_1) | instid1(VALU_DEP_2)
	v_dual_cndmask_b32 v5, 0, v5 :: v_dual_lshlrev_b32 v2, 2, v2
	v_cndmask_b32_e32 v4, 3, v4, vcc_lo
	v_and_b32_e32 v2, 0xfc, v2
	s_delay_alu instid0(VALU_DEP_2) | instskip(NEXT) | instid1(VALU_DEP_2)
	v_cmp_eq_u64_e32 vcc_lo, 0, v[4:5]
	v_and_or_b32 v2, v4, 3, v2
	s_and_b32 s13, s13, vcc_lo
	s_delay_alu instid0(VALU_DEP_1) | instid1(SALU_CYCLE_1)
	v_cndmask_b32_e64 v2, v2, 0, s13
	s_delay_alu instid0(VALU_DEP_1)
	v_or_b32_e32 v13, v2, v57
.LBB4_5283:                             ;   in Loop: Header=BB4_3365 Depth=4
	s_or_b32 exec_lo, exec_lo, s76
                                        ; implicit-def: $vgpr57
.LBB4_5284:                             ;   in Loop: Header=BB4_3365 Depth=4
	s_and_not1_saveexec_b32 s13, s75
; %bb.5285:                             ;   in Loop: Header=BB4_3365 Depth=4
	v_or_b32_e32 v13, 0x7b, v57
; %bb.5286:                             ;   in Loop: Header=BB4_3365 Depth=4
	s_or_b32 exec_lo, exec_lo, s13
                                        ; implicit-def: $vgpr4
                                        ; implicit-def: $vgpr5
.LBB4_5287:                             ;   in Loop: Header=BB4_3365 Depth=4
	s_and_not1_saveexec_b32 s13, s74
	s_cbranch_execz .LBB4_5293
; %bb.5288:                             ;   in Loop: Header=BB4_3365 Depth=4
	s_mov_b32 s74, exec_lo
                                        ; implicit-def: $vgpr13
	v_cmpx_ne_u64_e32 0, v[2:3]
	s_xor_b32 s74, exec_lo, s74
; %bb.5289:                             ;   in Loop: Header=BB4_3365 Depth=4
	v_or_b32_e32 v13, 0x7f, v5
                                        ; implicit-def: $vgpr4
; %bb.5290:                             ;   in Loop: Header=BB4_3365 Depth=4
	s_and_not1_saveexec_b32 s74, s74
; %bb.5291:                             ;   in Loop: Header=BB4_3365 Depth=4
	v_cmp_lt_i32_e32 vcc_lo, -1, v4
	v_cndmask_b32_e32 v13, 0xfc, v49, vcc_lo
; %bb.5292:                             ;   in Loop: Header=BB4_3365 Depth=4
	s_or_b32 exec_lo, exec_lo, s74
.LBB4_5293:                             ;   in Loop: Header=BB4_3365 Depth=4
	s_delay_alu instid0(SALU_CYCLE_1) | instskip(SKIP_4) | instid1(VALU_DEP_2)
	s_or_b32 exec_lo, exec_lo, s13
	v_lshl_or_b32 v65, v65, 8, v31
	v_dual_lshlrev_b32 v2, 16, v113 :: v_dual_lshlrev_b32 v5, 24, v67
	v_mov_b32_e32 v4, 0
	s_mov_b32 s13, exec_lo
	v_or3_b32 v2, v2, v5, v65
	v_mov_b32_e32 v5, 0
	v_cmpx_ne_u32_e32 0, v31
	s_cbranch_execz .LBB4_5303
; %bb.5294:                             ;   in Loop: Header=BB4_3365 Depth=4
	v_bfrev_b32_e32 v5, 1
	s_mov_b32 s74, exec_lo
	v_cmpx_ne_u32_e32 0x80, v31
	s_cbranch_execz .LBB4_5302
; %bb.5295:                             ;   in Loop: Header=BB4_3365 Depth=4
	v_and_b32_e32 v5, 0x7c, v31
	v_and_b32_e32 v8, 3, v31
	s_delay_alu instid0(VALU_DEP_2) | instskip(SKIP_1) | instid1(SALU_CYCLE_1)
	v_cmp_ne_u32_e32 vcc_lo, 0x7c, v5
                                        ; implicit-def: $vgpr5
	s_and_saveexec_b32 s75, vcc_lo
	s_xor_b32 s75, exec_lo, s75
	s_cbranch_execz .LBB4_5299
; %bb.5296:                             ;   in Loop: Header=BB4_3365 Depth=4
	v_bfe_u32 v5, v31, 2, 5
	s_mov_b32 s76, exec_lo
	s_delay_alu instid0(VALU_DEP_1)
	v_cmpx_eq_u32_e32 0, v5
; %bb.5297:                             ;   in Loop: Header=BB4_3365 Depth=4
	v_clz_i32_u32_e32 v5, v8
	s_delay_alu instid0(VALU_DEP_1) | instskip(NEXT) | instid1(VALU_DEP_1)
	v_min_u32_e32 v5, 32, v5
	v_subrev_nc_u32_e32 v8, 29, v5
	s_delay_alu instid0(VALU_DEP_1) | instskip(NEXT) | instid1(VALU_DEP_1)
	v_lshlrev_b64_e32 v[8:9], v8, v[2:3]
	v_dual_sub_nc_u32 v5, 30, v5 :: v_dual_bitop2_b32 v8, 3, v8 bitop3:0x40
; %bb.5298:                             ;   in Loop: Header=BB4_3365 Depth=4
	s_or_b32 exec_lo, exec_lo, s76
	v_lshlrev_b32_e32 v9, 24, v31
                                        ; implicit-def: $vgpr31
	s_delay_alu instid0(VALU_DEP_1) | instskip(NEXT) | instid1(VALU_DEP_1)
	v_and_b32_e32 v9, 0x80000000, v9
	v_lshl_add_u32 v5, v5, 23, v9
	s_delay_alu instid0(VALU_DEP_1) | instskip(NEXT) | instid1(VALU_DEP_1)
	v_lshl_or_b32 v5, v8, 21, v5
                                        ; implicit-def: $vgpr8
	v_add_nc_u32_e32 v5, 0x38000000, v5
.LBB4_5299:                             ;   in Loop: Header=BB4_3365 Depth=4
	s_and_not1_saveexec_b32 s75, s75
; %bb.5300:                             ;   in Loop: Header=BB4_3365 Depth=4
	v_and_b32_e32 v5, 0x80, v31
	s_delay_alu instid0(VALU_DEP_1) | instskip(SKIP_2) | instid1(VALU_DEP_2)
	v_cmp_eq_u32_e32 vcc_lo, 0, v5
	v_cndmask_b32_e32 v5, 0xff800000, v48, vcc_lo
	v_cmp_eq_u32_e32 vcc_lo, 0, v8
	v_cndmask_b32_e32 v5, 0x7f800001, v5, vcc_lo
; %bb.5301:                             ;   in Loop: Header=BB4_3365 Depth=4
	s_or_b32 exec_lo, exec_lo, s75
.LBB4_5302:                             ;   in Loop: Header=BB4_3365 Depth=4
	s_delay_alu instid0(SALU_CYCLE_1)
	s_or_b32 exec_lo, exec_lo, s74
.LBB4_5303:                             ;   in Loop: Header=BB4_3365 Depth=4
	s_delay_alu instid0(SALU_CYCLE_1) | instskip(SKIP_2) | instid1(VALU_DEP_1)
	s_or_b32 exec_lo, exec_lo, s13
	v_and_b32_e32 v8, 0xff, v10
	s_mov_b32 s13, exec_lo
	v_cmpx_ne_u16_e32 0, v8
	s_cbranch_execz .LBB4_5313
; %bb.5304:                             ;   in Loop: Header=BB4_3365 Depth=4
	v_bfe_i32 v9, v10, 0, 8
	v_bfrev_b32_e32 v4, 1
	s_mov_b32 s74, exec_lo
	s_delay_alu instid0(VALU_DEP_2)
	v_cmpx_ne_u16_e32 0xff80, v9
	s_cbranch_execz .LBB4_5312
; %bb.5305:                             ;   in Loop: Header=BB4_3365 Depth=4
	v_and_b32_e32 v4, 0x7c, v10
	v_and_b32_e32 v8, 3, v10
	s_delay_alu instid0(VALU_DEP_2) | instskip(SKIP_1) | instid1(SALU_CYCLE_1)
	v_cmp_ne_u32_e32 vcc_lo, 0x7c, v4
                                        ; implicit-def: $vgpr4
	s_and_saveexec_b32 s75, vcc_lo
	s_xor_b32 s75, exec_lo, s75
	s_cbranch_execz .LBB4_5309
; %bb.5306:                             ;   in Loop: Header=BB4_3365 Depth=4
	v_bfe_u32 v4, v10, 2, 5
	s_mov_b32 s76, exec_lo
	s_delay_alu instid0(VALU_DEP_1)
	v_cmpx_eq_u32_e32 0, v4
; %bb.5307:                             ;   in Loop: Header=BB4_3365 Depth=4
	v_clz_i32_u32_e32 v4, v8
	s_delay_alu instid0(VALU_DEP_1) | instskip(NEXT) | instid1(VALU_DEP_1)
	v_min_u32_e32 v4, 32, v4
	v_subrev_nc_u32_e32 v8, 29, v4
	v_sub_nc_u32_e32 v4, 30, v4
	s_delay_alu instid0(VALU_DEP_2) | instskip(NEXT) | instid1(VALU_DEP_1)
	v_lshlrev_b64_e32 v[8:9], v8, v[10:11]
	v_and_b32_e32 v8, 3, v8
; %bb.5308:                             ;   in Loop: Header=BB4_3365 Depth=4
	s_or_b32 exec_lo, exec_lo, s76
	v_lshlrev_b32_e32 v9, 24, v10
	s_delay_alu instid0(VALU_DEP_1) | instskip(NEXT) | instid1(VALU_DEP_1)
	v_and_b32_e32 v9, 0x80000000, v9
	v_lshl_add_u32 v4, v4, 23, v9
                                        ; implicit-def: $vgpr9
	s_delay_alu instid0(VALU_DEP_1) | instskip(NEXT) | instid1(VALU_DEP_1)
	v_lshl_or_b32 v4, v8, 21, v4
                                        ; implicit-def: $vgpr8
	v_add_nc_u32_e32 v4, 0x38000000, v4
.LBB4_5309:                             ;   in Loop: Header=BB4_3365 Depth=4
	s_and_not1_saveexec_b32 s75, s75
; %bb.5310:                             ;   in Loop: Header=BB4_3365 Depth=4
	v_cmp_lt_i16_e32 vcc_lo, -1, v9
	v_cndmask_b32_e32 v4, 0xff800000, v48, vcc_lo
	v_cmp_eq_u32_e32 vcc_lo, 0, v8
	s_delay_alu instid0(VALU_DEP_2)
	v_cndmask_b32_e32 v4, 0x7f800001, v4, vcc_lo
; %bb.5311:                             ;   in Loop: Header=BB4_3365 Depth=4
	s_or_b32 exec_lo, exec_lo, s75
.LBB4_5312:                             ;   in Loop: Header=BB4_3365 Depth=4
	s_delay_alu instid0(SALU_CYCLE_1)
	s_or_b32 exec_lo, exec_lo, s74
.LBB4_5313:                             ;   in Loop: Header=BB4_3365 Depth=4
	s_delay_alu instid0(SALU_CYCLE_1) | instskip(NEXT) | instid1(VALU_DEP_1)
	s_or_b32 exec_lo, exec_lo, s13
	v_dual_add_f32 v8, v5, v4 :: v_dual_mov_b32 v87, v3
	v_mov_b32_e32 v5, v3
                                        ; implicit-def: $vgpr31
	s_mov_b32 s13, exec_lo
	s_delay_alu instid0(VALU_DEP_2) | instskip(SKIP_2) | instid1(VALU_DEP_3)
	v_and_b32_e32 v86, 0x7f800000, v8
	v_and_b32_e32 v4, 0x7fffff, v8
	v_lshrrev_b32_e32 v9, 24, v8
	v_cmpx_ne_u64_e32 0x7f800000, v[86:87]
	s_xor_b32 s74, exec_lo, s13
	s_cbranch_execz .LBB4_5327
; %bb.5314:                             ;   in Loop: Header=BB4_3365 Depth=4
	v_and_b32_e32 v86, 0x7fffffff, v8
	v_mov_b32_e32 v87, v3
	v_and_b32_e32 v67, 0x80, v9
                                        ; implicit-def: $vgpr31
	s_mov_b32 s13, exec_lo
	s_delay_alu instid0(VALU_DEP_2)
	v_cmpx_gt_u64_e32 0x47600001, v[86:87]
	s_xor_b32 s75, exec_lo, s13
	s_cbranch_execz .LBB4_5324
; %bb.5315:                             ;   in Loop: Header=BB4_3365 Depth=4
	v_mov_b32_e32 v31, 0
	s_mov_b32 s76, exec_lo
	v_cmpx_ne_u32_e32 0, v8
	s_cbranch_execz .LBB4_5323
; %bb.5316:                             ;   in Loop: Header=BB4_3365 Depth=4
	v_bfe_u32 v31, v8, 23, 8
	v_or_b32_e32 v9, 0x800000, v4
	s_delay_alu instid0(VALU_DEP_2) | instskip(SKIP_2) | instid1(VALU_DEP_2)
	v_cmp_gt_u32_e64 s13, 0x72, v31
	v_sub_nc_u32_e32 v8, 0x71, v31
	v_cmp_eq_u32_e32 vcc_lo, 0, v31
	v_cndmask_b32_e64 v8, 0, v8, s13
	s_delay_alu instid0(VALU_DEP_1) | instskip(NEXT) | instid1(VALU_DEP_1)
	v_cndmask_b32_e64 v86, v8, 0x70, vcc_lo
	v_dual_cndmask_b32 v4, v9, v4, vcc_lo :: v_dual_add_nc_u32 v8, 21, v86
	v_add_nc_u32_e32 v87, 20, v86
	s_delay_alu instid0(VALU_DEP_2) | instskip(NEXT) | instid1(VALU_DEP_2)
	v_lshlrev_b64_e64 v[8:9], v8, -1
	v_lshlrev_b64_e64 v[96:97], v87, 1
	s_delay_alu instid0(VALU_DEP_2) | instskip(SKIP_1) | instid1(VALU_DEP_4)
	v_bfi_b32 v8, v8, 0, v4
	v_lshrrev_b64 v[4:5], v86, v[4:5]
	v_bfi_b32 v9, v9, 0, 0
	s_delay_alu instid0(VALU_DEP_1) | instskip(NEXT) | instid1(VALU_DEP_3)
	v_cmp_eq_u64_e64 s13, v[8:9], v[96:97]
	v_mov_b64_e32 v[8:9], v[4:5]
	s_and_saveexec_b32 s77, s13
; %bb.5317:                             ;   in Loop: Header=BB4_3365 Depth=4
	v_bfe_u32 v8, v4, 21, 1
	v_mov_b32_e32 v9, v3
	s_delay_alu instid0(VALU_DEP_1) | instskip(NEXT) | instid1(VALU_DEP_1)
	v_add_nc_u64_e32 v[8:9], v[4:5], v[8:9]
	v_add_nc_u64_e32 v[8:9], -1, v[8:9]
; %bb.5318:                             ;   in Loop: Header=BB4_3365 Depth=4
	s_or_b32 exec_lo, exec_lo, s77
	v_add_nc_u32_e32 v5, 0xffffff81, v31
	v_lshrrev_b32_e32 v9, 23, v4
	s_mov_b32 s13, exec_lo
	s_delay_alu instid0(VALU_DEP_2) | instskip(NEXT) | instid1(VALU_DEP_1)
	v_cndmask_b32_e64 v5, v5, 0xffffff82, vcc_lo
	v_add3_u32 v9, v86, v5, v9
	v_and_b32_e32 v5, 0x1fffff, v8
                                        ; implicit-def: $vgpr8
	s_delay_alu instid0(VALU_DEP_1) | instskip(SKIP_1) | instid1(VALU_DEP_2)
	v_dual_add_nc_u32 v31, 14, v9 :: v_dual_add_nc_u32 v4, v5, v4
	v_mov_b32_e32 v5, v3
	v_cmpx_ne_u32_e32 0, v31
	s_xor_b32 s13, exec_lo, s13
; %bb.5319:                             ;   in Loop: Header=BB4_3365 Depth=4
	s_delay_alu instid0(VALU_DEP_2) | instskip(SKIP_2) | instid1(VALU_DEP_2)
	v_cmp_lt_u64_e32 vcc_lo, 0xffffff, v[4:5]
	v_add_nc_u32_e32 v8, 15, v9
	v_cndmask_b32_e64 v9, 0, 1, vcc_lo
	v_cndmask_b32_e32 v8, v31, v8, vcc_lo
	s_delay_alu instid0(VALU_DEP_2)
	v_lshrrev_b64 v[4:5], v9, v[4:5]
; %bb.5320:                             ;   in Loop: Header=BB4_3365 Depth=4
	s_and_not1_saveexec_b32 s13, s13
; %bb.5321:                             ;   in Loop: Header=BB4_3365 Depth=4
	s_delay_alu instid0(VALU_DEP_1)
	v_bfe_u32 v8, v4, 23, 1
; %bb.5322:                             ;   in Loop: Header=BB4_3365 Depth=4
	s_or_b32 exec_lo, exec_lo, s13
	s_delay_alu instid0(VALU_DEP_2) | instskip(NEXT) | instid1(VALU_DEP_2)
	v_lshrrev_b64 v[4:5], 21, v[4:5]
	v_cmp_gt_i32_e32 vcc_lo, 32, v8
	v_min_i32_e32 v9, 31, v8
	v_cmp_eq_u32_e64 s13, 0, v8
	s_delay_alu instid0(VALU_DEP_4) | instskip(NEXT) | instid1(VALU_DEP_3)
	v_cndmask_b32_e32 v5, 0, v5, vcc_lo
	v_dual_cndmask_b32 v4, 3, v4 :: v_dual_lshlrev_b32 v9, 2, v9
	s_delay_alu instid0(VALU_DEP_1) | instskip(NEXT) | instid1(VALU_DEP_2)
	v_and_b32_e32 v9, 0xfc, v9
	v_cmp_eq_u64_e32 vcc_lo, 0, v[4:5]
	s_delay_alu instid0(VALU_DEP_2)
	v_and_or_b32 v4, v4, 3, v9
	s_and_b32 s13, s13, vcc_lo
	s_delay_alu instid0(VALU_DEP_1) | instid1(SALU_CYCLE_1)
	v_cndmask_b32_e64 v4, v4, 0, s13
	s_delay_alu instid0(VALU_DEP_1)
	v_or_b32_e32 v31, v4, v67
.LBB4_5323:                             ;   in Loop: Header=BB4_3365 Depth=4
	s_or_b32 exec_lo, exec_lo, s76
                                        ; implicit-def: $vgpr67
.LBB4_5324:                             ;   in Loop: Header=BB4_3365 Depth=4
	s_and_not1_saveexec_b32 s13, s75
; %bb.5325:                             ;   in Loop: Header=BB4_3365 Depth=4
	v_or_b32_e32 v31, 0x7b, v67
; %bb.5326:                             ;   in Loop: Header=BB4_3365 Depth=4
	s_or_b32 exec_lo, exec_lo, s13
                                        ; implicit-def: $vgpr8
                                        ; implicit-def: $vgpr4_vgpr5
                                        ; implicit-def: $vgpr9
.LBB4_5327:                             ;   in Loop: Header=BB4_3365 Depth=4
	s_and_not1_saveexec_b32 s13, s74
	s_cbranch_execz .LBB4_5333
; %bb.5328:                             ;   in Loop: Header=BB4_3365 Depth=4
	s_mov_b32 s74, exec_lo
                                        ; implicit-def: $vgpr31
	v_cmpx_ne_u64_e32 0, v[4:5]
	s_xor_b32 s74, exec_lo, s74
; %bb.5329:                             ;   in Loop: Header=BB4_3365 Depth=4
	v_or_b32_e32 v31, 0x7f, v9
                                        ; implicit-def: $vgpr8
; %bb.5330:                             ;   in Loop: Header=BB4_3365 Depth=4
	s_and_not1_saveexec_b32 s74, s74
; %bb.5331:                             ;   in Loop: Header=BB4_3365 Depth=4
	v_cmp_lt_i32_e32 vcc_lo, -1, v8
	v_cndmask_b32_e32 v31, 0xfc, v49, vcc_lo
; %bb.5332:                             ;   in Loop: Header=BB4_3365 Depth=4
	s_or_b32 exec_lo, exec_lo, s74
.LBB4_5333:                             ;   in Loop: Header=BB4_3365 Depth=4
	s_delay_alu instid0(SALU_CYCLE_1) | instskip(SKIP_3) | instid1(VALU_DEP_2)
	s_or_b32 exec_lo, exec_lo, s13
	v_lshrrev_b16 v4, 8, v65
	v_dual_mov_b32 v8, 0 :: v_dual_mov_b32 v9, 0
	s_mov_b32 s13, exec_lo
	v_cmpx_ne_u16_e32 0, v4
	s_cbranch_execz .LBB4_5343
; %bb.5334:                             ;   in Loop: Header=BB4_3365 Depth=4
	v_bfrev_b32_e32 v9, 1
	s_mov_b32 s74, exec_lo
	v_cmpx_ne_u16_e32 0x80, v4
	s_cbranch_execz .LBB4_5342
; %bb.5335:                             ;   in Loop: Header=BB4_3365 Depth=4
	v_and_b32_e32 v67, 0xffff, v4
	s_delay_alu instid0(VALU_DEP_1) | instskip(SKIP_1) | instid1(VALU_DEP_2)
	v_and_b32_e32 v9, 0x7c, v67
	v_and_b32_e32 v5, 3, v67
	v_cmp_ne_u32_e32 vcc_lo, 0x7c, v9
                                        ; implicit-def: $vgpr9
	s_and_saveexec_b32 s75, vcc_lo
	s_delay_alu instid0(SALU_CYCLE_1)
	s_xor_b32 s75, exec_lo, s75
	s_cbranch_execz .LBB4_5339
; %bb.5336:                             ;   in Loop: Header=BB4_3365 Depth=4
	v_bfe_u32 v9, v67, 2, 5
	s_mov_b32 s76, exec_lo
	s_delay_alu instid0(VALU_DEP_1)
	v_cmpx_eq_u32_e32 0, v9
	s_cbranch_execz .LBB4_5338
; %bb.5337:                             ;   in Loop: Header=BB4_3365 Depth=4
	v_clz_i32_u32_e32 v5, v5
	s_delay_alu instid0(VALU_DEP_1) | instskip(SKIP_1) | instid1(VALU_DEP_2)
	v_min_u32_e32 v9, 32, v5
	v_mov_b32_e32 v5, v3
	v_subrev_nc_u32_e32 v67, 29, v9
	v_sub_nc_u32_e32 v9, 30, v9
	s_delay_alu instid0(VALU_DEP_2) | instskip(NEXT) | instid1(VALU_DEP_1)
	v_lshlrev_b64_e32 v[4:5], v67, v[4:5]
	v_and_b32_e32 v5, 3, v4
.LBB4_5338:                             ;   in Loop: Header=BB4_3365 Depth=4
	s_or_b32 exec_lo, exec_lo, s76
	v_lshlrev_b32_e32 v4, 16, v65
                                        ; implicit-def: $vgpr65
	s_delay_alu instid0(VALU_DEP_1) | instskip(NEXT) | instid1(VALU_DEP_1)
	v_and_b32_e32 v4, 0x80000000, v4
	v_lshl_add_u32 v4, v9, 23, v4
	s_delay_alu instid0(VALU_DEP_1) | instskip(NEXT) | instid1(VALU_DEP_1)
	v_lshl_or_b32 v4, v5, 21, v4
                                        ; implicit-def: $vgpr5
	v_add_nc_u32_e32 v9, 0x38000000, v4
.LBB4_5339:                             ;   in Loop: Header=BB4_3365 Depth=4
	s_and_not1_saveexec_b32 s75, s75
; %bb.5340:                             ;   in Loop: Header=BB4_3365 Depth=4
	v_cmp_lt_i16_e32 vcc_lo, -1, v65
	v_cndmask_b32_e32 v4, 0xff800000, v48, vcc_lo
	v_cmp_eq_u32_e32 vcc_lo, 0, v5
	s_delay_alu instid0(VALU_DEP_2)
	v_cndmask_b32_e32 v9, 0x7f800001, v4, vcc_lo
; %bb.5341:                             ;   in Loop: Header=BB4_3365 Depth=4
	s_or_b32 exec_lo, exec_lo, s75
.LBB4_5342:                             ;   in Loop: Header=BB4_3365 Depth=4
	s_delay_alu instid0(SALU_CYCLE_1)
	s_or_b32 exec_lo, exec_lo, s74
.LBB4_5343:                             ;   in Loop: Header=BB4_3365 Depth=4
	s_delay_alu instid0(SALU_CYCLE_1) | instskip(SKIP_2) | instid1(VALU_DEP_1)
	s_or_b32 exec_lo, exec_lo, s13
	v_lshrrev_b16 v4, 8, v10
	s_mov_b32 s13, exec_lo
	v_cmpx_ne_u16_e32 0, v4
	s_cbranch_execz .LBB4_5353
; %bb.5344:                             ;   in Loop: Header=BB4_3365 Depth=4
	v_bfrev_b32_e32 v8, 1
	s_mov_b32 s74, exec_lo
	v_cmpx_ne_u16_e32 0x80, v4
	s_cbranch_execz .LBB4_5352
; %bb.5345:                             ;   in Loop: Header=BB4_3365 Depth=4
	v_and_b32_e32 v65, 0xffff, v4
	s_delay_alu instid0(VALU_DEP_1) | instskip(SKIP_1) | instid1(VALU_DEP_2)
	v_and_b32_e32 v8, 0x7c, v65
	v_and_b32_e32 v5, 3, v65
	v_cmp_ne_u32_e32 vcc_lo, 0x7c, v8
                                        ; implicit-def: $vgpr8
	s_and_saveexec_b32 s75, vcc_lo
	s_delay_alu instid0(SALU_CYCLE_1)
	s_xor_b32 s75, exec_lo, s75
	s_cbranch_execz .LBB4_5349
; %bb.5346:                             ;   in Loop: Header=BB4_3365 Depth=4
	v_bfe_u32 v8, v65, 2, 5
	s_mov_b32 s76, exec_lo
	s_delay_alu instid0(VALU_DEP_1)
	v_cmpx_eq_u32_e32 0, v8
	s_cbranch_execz .LBB4_5348
; %bb.5347:                             ;   in Loop: Header=BB4_3365 Depth=4
	v_clz_i32_u32_e32 v5, v5
	s_delay_alu instid0(VALU_DEP_1) | instskip(SKIP_1) | instid1(VALU_DEP_2)
	v_min_u32_e32 v8, 32, v5
	v_mov_b32_e32 v5, v3
	v_subrev_nc_u32_e32 v65, 29, v8
	v_sub_nc_u32_e32 v8, 30, v8
	s_delay_alu instid0(VALU_DEP_2) | instskip(NEXT) | instid1(VALU_DEP_1)
	v_lshlrev_b64_e32 v[4:5], v65, v[4:5]
	v_and_b32_e32 v5, 3, v4
.LBB4_5348:                             ;   in Loop: Header=BB4_3365 Depth=4
	s_or_b32 exec_lo, exec_lo, s76
	v_lshlrev_b32_e32 v4, 16, v10
	s_delay_alu instid0(VALU_DEP_1) | instskip(NEXT) | instid1(VALU_DEP_1)
	v_and_b32_e32 v4, 0x80000000, v4
	v_lshl_add_u32 v4, v8, 23, v4
	s_delay_alu instid0(VALU_DEP_1) | instskip(NEXT) | instid1(VALU_DEP_1)
	v_lshl_or_b32 v4, v5, 21, v4
                                        ; implicit-def: $vgpr5
	v_add_nc_u32_e32 v8, 0x38000000, v4
.LBB4_5349:                             ;   in Loop: Header=BB4_3365 Depth=4
	s_and_not1_saveexec_b32 s75, s75
; %bb.5350:                             ;   in Loop: Header=BB4_3365 Depth=4
	v_cmp_lt_i16_e32 vcc_lo, -1, v10
	v_cndmask_b32_e32 v4, 0xff800000, v48, vcc_lo
	v_cmp_eq_u32_e32 vcc_lo, 0, v5
	s_delay_alu instid0(VALU_DEP_2)
	v_cndmask_b32_e32 v8, 0x7f800001, v4, vcc_lo
; %bb.5351:                             ;   in Loop: Header=BB4_3365 Depth=4
	s_or_b32 exec_lo, exec_lo, s75
.LBB4_5352:                             ;   in Loop: Header=BB4_3365 Depth=4
	s_delay_alu instid0(SALU_CYCLE_1)
	s_or_b32 exec_lo, exec_lo, s74
.LBB4_5353:                             ;   in Loop: Header=BB4_3365 Depth=4
	s_delay_alu instid0(SALU_CYCLE_1) | instskip(NEXT) | instid1(VALU_DEP_1)
	s_or_b32 exec_lo, exec_lo, s13
	v_dual_add_f32 v8, v9, v8 :: v_dual_mov_b32 v87, v3
	v_mov_b32_e32 v5, v3
                                        ; implicit-def: $vgpr65
	s_mov_b32 s13, exec_lo
	s_delay_alu instid0(VALU_DEP_2) | instskip(SKIP_2) | instid1(VALU_DEP_3)
	v_and_b32_e32 v86, 0x7f800000, v8
	v_and_b32_e32 v4, 0x7fffff, v8
	v_lshrrev_b32_e32 v9, 24, v8
	v_cmpx_ne_u64_e32 0x7f800000, v[86:87]
	s_xor_b32 s74, exec_lo, s13
	s_cbranch_execz .LBB4_5367
; %bb.5354:                             ;   in Loop: Header=BB4_3365 Depth=4
	v_and_b32_e32 v86, 0x7fffffff, v8
	v_mov_b32_e32 v87, v3
	v_and_b32_e32 v67, 0x80, v9
                                        ; implicit-def: $vgpr65
	s_mov_b32 s13, exec_lo
	s_delay_alu instid0(VALU_DEP_2)
	v_cmpx_gt_u64_e32 0x47600001, v[86:87]
	s_xor_b32 s75, exec_lo, s13
	s_cbranch_execz .LBB4_5364
; %bb.5355:                             ;   in Loop: Header=BB4_3365 Depth=4
	v_mov_b32_e32 v65, 0
	s_mov_b32 s76, exec_lo
	v_cmpx_ne_u32_e32 0, v8
	s_cbranch_execz .LBB4_5363
; %bb.5356:                             ;   in Loop: Header=BB4_3365 Depth=4
	v_bfe_u32 v65, v8, 23, 8
	v_or_b32_e32 v9, 0x800000, v4
	s_delay_alu instid0(VALU_DEP_2) | instskip(SKIP_2) | instid1(VALU_DEP_2)
	v_cmp_gt_u32_e64 s13, 0x72, v65
	v_sub_nc_u32_e32 v8, 0x71, v65
	v_cmp_eq_u32_e32 vcc_lo, 0, v65
	v_cndmask_b32_e64 v8, 0, v8, s13
	s_delay_alu instid0(VALU_DEP_1) | instskip(NEXT) | instid1(VALU_DEP_1)
	v_cndmask_b32_e64 v86, v8, 0x70, vcc_lo
	v_dual_cndmask_b32 v4, v9, v4, vcc_lo :: v_dual_add_nc_u32 v8, 21, v86
	v_add_nc_u32_e32 v87, 20, v86
	s_delay_alu instid0(VALU_DEP_2) | instskip(NEXT) | instid1(VALU_DEP_2)
	v_lshlrev_b64_e64 v[8:9], v8, -1
	v_lshlrev_b64_e64 v[96:97], v87, 1
	s_delay_alu instid0(VALU_DEP_2) | instskip(SKIP_1) | instid1(VALU_DEP_4)
	v_bfi_b32 v8, v8, 0, v4
	v_lshrrev_b64 v[4:5], v86, v[4:5]
	v_bfi_b32 v9, v9, 0, 0
	s_delay_alu instid0(VALU_DEP_1) | instskip(NEXT) | instid1(VALU_DEP_3)
	v_cmp_eq_u64_e64 s13, v[8:9], v[96:97]
	v_mov_b64_e32 v[8:9], v[4:5]
	s_and_saveexec_b32 s77, s13
; %bb.5357:                             ;   in Loop: Header=BB4_3365 Depth=4
	v_bfe_u32 v8, v4, 21, 1
	v_mov_b32_e32 v9, v3
	s_delay_alu instid0(VALU_DEP_1) | instskip(NEXT) | instid1(VALU_DEP_1)
	v_add_nc_u64_e32 v[8:9], v[4:5], v[8:9]
	v_add_nc_u64_e32 v[8:9], -1, v[8:9]
; %bb.5358:                             ;   in Loop: Header=BB4_3365 Depth=4
	s_or_b32 exec_lo, exec_lo, s77
	v_add_nc_u32_e32 v5, 0xffffff81, v65
	v_lshrrev_b32_e32 v9, 23, v4
	s_mov_b32 s13, exec_lo
	s_delay_alu instid0(VALU_DEP_2) | instskip(NEXT) | instid1(VALU_DEP_1)
	v_cndmask_b32_e64 v5, v5, 0xffffff82, vcc_lo
	v_add3_u32 v9, v86, v5, v9
	v_and_b32_e32 v5, 0x1fffff, v8
                                        ; implicit-def: $vgpr8
	s_delay_alu instid0(VALU_DEP_1) | instskip(SKIP_1) | instid1(VALU_DEP_2)
	v_dual_add_nc_u32 v65, 14, v9 :: v_dual_add_nc_u32 v4, v5, v4
	v_mov_b32_e32 v5, v3
	v_cmpx_ne_u32_e32 0, v65
	s_xor_b32 s13, exec_lo, s13
; %bb.5359:                             ;   in Loop: Header=BB4_3365 Depth=4
	s_delay_alu instid0(VALU_DEP_2) | instskip(SKIP_2) | instid1(VALU_DEP_2)
	v_cmp_lt_u64_e32 vcc_lo, 0xffffff, v[4:5]
	v_add_nc_u32_e32 v8, 15, v9
	v_cndmask_b32_e64 v9, 0, 1, vcc_lo
	v_cndmask_b32_e32 v8, v65, v8, vcc_lo
	s_delay_alu instid0(VALU_DEP_2)
	v_lshrrev_b64 v[4:5], v9, v[4:5]
; %bb.5360:                             ;   in Loop: Header=BB4_3365 Depth=4
	s_and_not1_saveexec_b32 s13, s13
; %bb.5361:                             ;   in Loop: Header=BB4_3365 Depth=4
	s_delay_alu instid0(VALU_DEP_1)
	v_bfe_u32 v8, v4, 23, 1
; %bb.5362:                             ;   in Loop: Header=BB4_3365 Depth=4
	s_or_b32 exec_lo, exec_lo, s13
	s_delay_alu instid0(VALU_DEP_2) | instskip(NEXT) | instid1(VALU_DEP_2)
	v_lshrrev_b64 v[4:5], 21, v[4:5]
	v_cmp_gt_i32_e32 vcc_lo, 32, v8
	v_min_i32_e32 v9, 31, v8
	v_cmp_eq_u32_e64 s13, 0, v8
	s_delay_alu instid0(VALU_DEP_4) | instskip(NEXT) | instid1(VALU_DEP_3)
	v_cndmask_b32_e32 v5, 0, v5, vcc_lo
	v_dual_cndmask_b32 v4, 3, v4 :: v_dual_lshlrev_b32 v9, 2, v9
	s_delay_alu instid0(VALU_DEP_1) | instskip(NEXT) | instid1(VALU_DEP_2)
	v_and_b32_e32 v9, 0xfc, v9
	v_cmp_eq_u64_e32 vcc_lo, 0, v[4:5]
	s_delay_alu instid0(VALU_DEP_2)
	v_and_or_b32 v4, v4, 3, v9
	s_and_b32 s13, s13, vcc_lo
	s_delay_alu instid0(VALU_DEP_1) | instid1(SALU_CYCLE_1)
	v_cndmask_b32_e64 v4, v4, 0, s13
	s_delay_alu instid0(VALU_DEP_1)
	v_or_b32_e32 v65, v4, v67
.LBB4_5363:                             ;   in Loop: Header=BB4_3365 Depth=4
	s_or_b32 exec_lo, exec_lo, s76
                                        ; implicit-def: $vgpr67
.LBB4_5364:                             ;   in Loop: Header=BB4_3365 Depth=4
	s_and_not1_saveexec_b32 s13, s75
; %bb.5365:                             ;   in Loop: Header=BB4_3365 Depth=4
	v_or_b32_e32 v65, 0x7b, v67
; %bb.5366:                             ;   in Loop: Header=BB4_3365 Depth=4
	s_or_b32 exec_lo, exec_lo, s13
                                        ; implicit-def: $vgpr8
                                        ; implicit-def: $vgpr4_vgpr5
                                        ; implicit-def: $vgpr9
.LBB4_5367:                             ;   in Loop: Header=BB4_3365 Depth=4
	s_and_not1_saveexec_b32 s13, s74
	s_cbranch_execz .LBB4_5373
; %bb.5368:                             ;   in Loop: Header=BB4_3365 Depth=4
	s_mov_b32 s74, exec_lo
                                        ; implicit-def: $vgpr65
	v_cmpx_ne_u64_e32 0, v[4:5]
	s_xor_b32 s74, exec_lo, s74
; %bb.5369:                             ;   in Loop: Header=BB4_3365 Depth=4
	v_or_b32_e32 v65, 0x7f, v9
                                        ; implicit-def: $vgpr8
; %bb.5370:                             ;   in Loop: Header=BB4_3365 Depth=4
	s_and_not1_saveexec_b32 s74, s74
; %bb.5371:                             ;   in Loop: Header=BB4_3365 Depth=4
	v_cmp_lt_i32_e32 vcc_lo, -1, v8
	v_cndmask_b32_e32 v65, 0xfc, v49, vcc_lo
; %bb.5372:                             ;   in Loop: Header=BB4_3365 Depth=4
	s_or_b32 exec_lo, exec_lo, s74
.LBB4_5373:                             ;   in Loop: Header=BB4_3365 Depth=4
	s_delay_alu instid0(SALU_CYCLE_1) | instskip(SKIP_3) | instid1(VALU_DEP_2)
	s_or_b32 exec_lo, exec_lo, s13
	v_dual_mov_b32 v5, 0 :: v_dual_lshrrev_b32 v4, 16, v2
	v_mov_b32_e32 v8, 0
	s_mov_b32 s13, exec_lo
	v_and_b32_e32 v9, 0xff, v4
	s_delay_alu instid0(VALU_DEP_1)
	v_cmpx_ne_u16_e32 0, v9
	s_cbranch_execz .LBB4_5383
; %bb.5374:                             ;   in Loop: Header=BB4_3365 Depth=4
	v_bfrev_b32_e32 v8, 1
	s_mov_b32 s74, exec_lo
	v_cmpx_ne_u16_e32 0x80, v9
	s_cbranch_execz .LBB4_5382
; %bb.5375:                             ;   in Loop: Header=BB4_3365 Depth=4
	v_and_b32_e32 v8, 0x7c0000, v2
	v_bfe_u32 v9, v2, 16, 2
	s_delay_alu instid0(VALU_DEP_2) | instskip(SKIP_1) | instid1(SALU_CYCLE_1)
	v_cmp_ne_u32_e32 vcc_lo, 0x7c0000, v8
                                        ; implicit-def: $vgpr8
	s_and_saveexec_b32 s75, vcc_lo
	s_xor_b32 s75, exec_lo, s75
	s_cbranch_execz .LBB4_5379
; %bb.5376:                             ;   in Loop: Header=BB4_3365 Depth=4
	v_bfe_u32 v8, v2, 18, 5
	s_mov_b32 s76, exec_lo
	s_delay_alu instid0(VALU_DEP_1)
	v_cmpx_eq_u32_e32 0, v8
; %bb.5377:                             ;   in Loop: Header=BB4_3365 Depth=4
	v_clz_i32_u32_e32 v8, v9
	s_delay_alu instid0(VALU_DEP_1) | instskip(NEXT) | instid1(VALU_DEP_1)
	v_min_u32_e32 v8, 32, v8
	v_subrev_nc_u32_e32 v9, 29, v8
	s_delay_alu instid0(VALU_DEP_1) | instskip(NEXT) | instid1(VALU_DEP_1)
	v_lshlrev_b64_e32 v[86:87], v9, v[4:5]
	v_dual_sub_nc_u32 v8, 30, v8 :: v_dual_bitop2_b32 v9, 3, v86 bitop3:0x40
; %bb.5378:                             ;   in Loop: Header=BB4_3365 Depth=4
	s_or_b32 exec_lo, exec_lo, s76
	v_lshlrev_b32_e32 v4, 24, v4
	s_delay_alu instid0(VALU_DEP_1) | instskip(NEXT) | instid1(VALU_DEP_1)
	v_and_b32_e32 v4, 0x80000000, v4
	v_lshl_add_u32 v4, v8, 23, v4
	s_delay_alu instid0(VALU_DEP_1) | instskip(NEXT) | instid1(VALU_DEP_1)
	v_lshl_or_b32 v4, v9, 21, v4
                                        ; implicit-def: $vgpr9
	v_add_nc_u32_e32 v8, 0x38000000, v4
                                        ; implicit-def: $vgpr4
.LBB4_5379:                             ;   in Loop: Header=BB4_3365 Depth=4
	s_and_not1_saveexec_b32 s75, s75
; %bb.5380:                             ;   in Loop: Header=BB4_3365 Depth=4
	v_bfe_i32 v4, v4, 0, 8
	s_delay_alu instid0(VALU_DEP_1) | instskip(SKIP_2) | instid1(VALU_DEP_2)
	v_cmp_lt_i16_e32 vcc_lo, -1, v4
	v_cndmask_b32_e32 v4, 0xff800000, v48, vcc_lo
	v_cmp_eq_u32_e32 vcc_lo, 0, v9
	v_cndmask_b32_e32 v8, 0x7f800001, v4, vcc_lo
; %bb.5381:                             ;   in Loop: Header=BB4_3365 Depth=4
	s_or_b32 exec_lo, exec_lo, s75
.LBB4_5382:                             ;   in Loop: Header=BB4_3365 Depth=4
	s_delay_alu instid0(SALU_CYCLE_1)
	s_or_b32 exec_lo, exec_lo, s74
.LBB4_5383:                             ;   in Loop: Header=BB4_3365 Depth=4
	s_delay_alu instid0(SALU_CYCLE_1) | instskip(SKIP_2) | instid1(VALU_DEP_1)
	s_or_b32 exec_lo, exec_lo, s13
	v_lshrrev_b32_e32 v4, 16, v10
	s_mov_b32 s13, exec_lo
	v_and_b32_e32 v9, 0xff, v4
	s_delay_alu instid0(VALU_DEP_1)
	v_cmpx_ne_u16_e32 0, v9
	s_cbranch_execz .LBB4_5393
; %bb.5384:                             ;   in Loop: Header=BB4_3365 Depth=4
	v_bfrev_b32_e32 v5, 1
	s_mov_b32 s74, exec_lo
	v_cmpx_ne_u16_e32 0x80, v9
	s_cbranch_execz .LBB4_5392
; %bb.5385:                             ;   in Loop: Header=BB4_3365 Depth=4
	v_and_b32_e32 v5, 0x7c0000, v10
	v_bfe_u32 v9, v10, 16, 2
	s_delay_alu instid0(VALU_DEP_2) | instskip(SKIP_1) | instid1(SALU_CYCLE_1)
	v_cmp_ne_u32_e32 vcc_lo, 0x7c0000, v5
                                        ; implicit-def: $vgpr5
	s_and_saveexec_b32 s75, vcc_lo
	s_xor_b32 s75, exec_lo, s75
	s_cbranch_execz .LBB4_5389
; %bb.5386:                             ;   in Loop: Header=BB4_3365 Depth=4
	v_bfe_u32 v5, v10, 18, 5
	s_mov_b32 s76, exec_lo
	s_delay_alu instid0(VALU_DEP_1)
	v_cmpx_eq_u32_e32 0, v5
; %bb.5387:                             ;   in Loop: Header=BB4_3365 Depth=4
	v_clz_i32_u32_e32 v5, v9
	s_delay_alu instid0(VALU_DEP_1) | instskip(NEXT) | instid1(VALU_DEP_1)
	v_min_u32_e32 v5, 32, v5
	v_subrev_nc_u32_e32 v9, 29, v5
	s_delay_alu instid0(VALU_DEP_1) | instskip(NEXT) | instid1(VALU_DEP_1)
	v_lshlrev_b64_e32 v[86:87], v9, v[4:5]
	v_dual_sub_nc_u32 v5, 30, v5 :: v_dual_bitop2_b32 v9, 3, v86 bitop3:0x40
; %bb.5388:                             ;   in Loop: Header=BB4_3365 Depth=4
	s_or_b32 exec_lo, exec_lo, s76
	v_lshlrev_b32_e32 v4, 24, v4
	s_delay_alu instid0(VALU_DEP_1) | instskip(NEXT) | instid1(VALU_DEP_1)
	v_and_b32_e32 v4, 0x80000000, v4
	v_lshl_add_u32 v4, v5, 23, v4
	s_delay_alu instid0(VALU_DEP_1) | instskip(NEXT) | instid1(VALU_DEP_1)
	v_lshl_or_b32 v4, v9, 21, v4
                                        ; implicit-def: $vgpr9
	v_add_nc_u32_e32 v5, 0x38000000, v4
                                        ; implicit-def: $vgpr4
.LBB4_5389:                             ;   in Loop: Header=BB4_3365 Depth=4
	s_and_not1_saveexec_b32 s75, s75
; %bb.5390:                             ;   in Loop: Header=BB4_3365 Depth=4
	v_bfe_i32 v4, v4, 0, 8
	s_delay_alu instid0(VALU_DEP_1) | instskip(SKIP_2) | instid1(VALU_DEP_2)
	v_cmp_lt_i16_e32 vcc_lo, -1, v4
	v_cndmask_b32_e32 v4, 0xff800000, v48, vcc_lo
	v_cmp_eq_u32_e32 vcc_lo, 0, v9
	v_cndmask_b32_e32 v5, 0x7f800001, v4, vcc_lo
; %bb.5391:                             ;   in Loop: Header=BB4_3365 Depth=4
	s_or_b32 exec_lo, exec_lo, s75
.LBB4_5392:                             ;   in Loop: Header=BB4_3365 Depth=4
	s_delay_alu instid0(SALU_CYCLE_1)
	s_or_b32 exec_lo, exec_lo, s74
.LBB4_5393:                             ;   in Loop: Header=BB4_3365 Depth=4
	s_delay_alu instid0(SALU_CYCLE_1) | instskip(NEXT) | instid1(VALU_DEP_1)
	s_or_b32 exec_lo, exec_lo, s13
	v_dual_add_f32 v8, v8, v5 :: v_dual_mov_b32 v87, v3
	v_mov_b32_e32 v5, v3
                                        ; implicit-def: $vgpr67
	s_mov_b32 s13, exec_lo
	s_delay_alu instid0(VALU_DEP_2) | instskip(SKIP_2) | instid1(VALU_DEP_3)
	v_and_b32_e32 v86, 0x7f800000, v8
	v_and_b32_e32 v4, 0x7fffff, v8
	v_lshrrev_b32_e32 v9, 24, v8
	v_cmpx_ne_u64_e32 0x7f800000, v[86:87]
	s_xor_b32 s74, exec_lo, s13
	s_cbranch_execz .LBB4_5407
; %bb.5394:                             ;   in Loop: Header=BB4_3365 Depth=4
	v_and_b32_e32 v86, 0x7fffffff, v8
	v_mov_b32_e32 v87, v3
	v_and_b32_e32 v113, 0x80, v9
                                        ; implicit-def: $vgpr67
	s_mov_b32 s13, exec_lo
	s_delay_alu instid0(VALU_DEP_2)
	v_cmpx_gt_u64_e32 0x47600001, v[86:87]
	s_xor_b32 s75, exec_lo, s13
	s_cbranch_execz .LBB4_5404
; %bb.5395:                             ;   in Loop: Header=BB4_3365 Depth=4
	v_mov_b32_e32 v67, 0
	s_mov_b32 s76, exec_lo
	v_cmpx_ne_u32_e32 0, v8
	s_cbranch_execz .LBB4_5403
; %bb.5396:                             ;   in Loop: Header=BB4_3365 Depth=4
	v_bfe_u32 v67, v8, 23, 8
	v_or_b32_e32 v9, 0x800000, v4
	s_delay_alu instid0(VALU_DEP_2) | instskip(SKIP_2) | instid1(VALU_DEP_2)
	v_cmp_gt_u32_e64 s13, 0x72, v67
	v_sub_nc_u32_e32 v8, 0x71, v67
	v_cmp_eq_u32_e32 vcc_lo, 0, v67
	v_cndmask_b32_e64 v8, 0, v8, s13
	s_delay_alu instid0(VALU_DEP_1) | instskip(NEXT) | instid1(VALU_DEP_1)
	v_cndmask_b32_e64 v86, v8, 0x70, vcc_lo
	v_dual_cndmask_b32 v4, v9, v4, vcc_lo :: v_dual_add_nc_u32 v8, 21, v86
	v_add_nc_u32_e32 v87, 20, v86
	s_delay_alu instid0(VALU_DEP_2) | instskip(NEXT) | instid1(VALU_DEP_2)
	v_lshlrev_b64_e64 v[8:9], v8, -1
	v_lshlrev_b64_e64 v[96:97], v87, 1
	s_delay_alu instid0(VALU_DEP_2) | instskip(SKIP_1) | instid1(VALU_DEP_4)
	v_bfi_b32 v8, v8, 0, v4
	v_lshrrev_b64 v[4:5], v86, v[4:5]
	v_bfi_b32 v9, v9, 0, 0
	s_delay_alu instid0(VALU_DEP_1) | instskip(NEXT) | instid1(VALU_DEP_3)
	v_cmp_eq_u64_e64 s13, v[8:9], v[96:97]
	v_mov_b64_e32 v[8:9], v[4:5]
	s_and_saveexec_b32 s77, s13
; %bb.5397:                             ;   in Loop: Header=BB4_3365 Depth=4
	v_bfe_u32 v8, v4, 21, 1
	v_mov_b32_e32 v9, v3
	s_delay_alu instid0(VALU_DEP_1) | instskip(NEXT) | instid1(VALU_DEP_1)
	v_add_nc_u64_e32 v[8:9], v[4:5], v[8:9]
	v_add_nc_u64_e32 v[8:9], -1, v[8:9]
; %bb.5398:                             ;   in Loop: Header=BB4_3365 Depth=4
	s_or_b32 exec_lo, exec_lo, s77
	v_add_nc_u32_e32 v5, 0xffffff81, v67
	v_lshrrev_b32_e32 v9, 23, v4
	s_mov_b32 s13, exec_lo
	s_delay_alu instid0(VALU_DEP_2) | instskip(NEXT) | instid1(VALU_DEP_1)
	v_cndmask_b32_e64 v5, v5, 0xffffff82, vcc_lo
	v_add3_u32 v67, v86, v5, v9
	v_and_b32_e32 v5, 0x1fffff, v8
                                        ; implicit-def: $vgpr8
	s_delay_alu instid0(VALU_DEP_1) | instskip(SKIP_1) | instid1(VALU_DEP_2)
	v_dual_add_nc_u32 v9, 14, v67 :: v_dual_add_nc_u32 v4, v5, v4
	v_mov_b32_e32 v5, v3
	v_cmpx_ne_u32_e32 0, v9
	s_xor_b32 s13, exec_lo, s13
; %bb.5399:                             ;   in Loop: Header=BB4_3365 Depth=4
	s_delay_alu instid0(VALU_DEP_2) | instskip(SKIP_1) | instid1(VALU_DEP_1)
	v_cmp_lt_u64_e32 vcc_lo, 0xffffff, v[4:5]
	v_add_nc_u32_e32 v8, 15, v67
	v_cndmask_b32_e32 v8, v9, v8, vcc_lo
	v_cndmask_b32_e64 v9, 0, 1, vcc_lo
	s_delay_alu instid0(VALU_DEP_1)
	v_lshrrev_b64 v[4:5], v9, v[4:5]
; %bb.5400:                             ;   in Loop: Header=BB4_3365 Depth=4
	s_and_not1_saveexec_b32 s13, s13
; %bb.5401:                             ;   in Loop: Header=BB4_3365 Depth=4
	s_delay_alu instid0(VALU_DEP_1)
	v_bfe_u32 v8, v4, 23, 1
; %bb.5402:                             ;   in Loop: Header=BB4_3365 Depth=4
	s_or_b32 exec_lo, exec_lo, s13
	s_delay_alu instid0(VALU_DEP_2) | instskip(NEXT) | instid1(VALU_DEP_2)
	v_lshrrev_b64 v[4:5], 21, v[4:5]
	v_cmp_gt_i32_e32 vcc_lo, 32, v8
	v_min_i32_e32 v9, 31, v8
	v_cmp_eq_u32_e64 s13, 0, v8
	s_delay_alu instid0(VALU_DEP_4) | instskip(NEXT) | instid1(VALU_DEP_3)
	v_cndmask_b32_e32 v5, 0, v5, vcc_lo
	v_dual_cndmask_b32 v4, 3, v4 :: v_dual_lshlrev_b32 v9, 2, v9
	s_delay_alu instid0(VALU_DEP_1) | instskip(NEXT) | instid1(VALU_DEP_2)
	v_and_b32_e32 v9, 0xfc, v9
	v_cmp_eq_u64_e32 vcc_lo, 0, v[4:5]
	s_delay_alu instid0(VALU_DEP_2)
	v_and_or_b32 v4, v4, 3, v9
	s_and_b32 s13, s13, vcc_lo
	s_delay_alu instid0(VALU_DEP_1) | instid1(SALU_CYCLE_1)
	v_cndmask_b32_e64 v4, v4, 0, s13
	s_delay_alu instid0(VALU_DEP_1)
	v_or_b32_e32 v67, v4, v113
.LBB4_5403:                             ;   in Loop: Header=BB4_3365 Depth=4
	s_or_b32 exec_lo, exec_lo, s76
                                        ; implicit-def: $vgpr113
.LBB4_5404:                             ;   in Loop: Header=BB4_3365 Depth=4
	s_and_not1_saveexec_b32 s13, s75
; %bb.5405:                             ;   in Loop: Header=BB4_3365 Depth=4
	v_or_b32_e32 v67, 0x7b, v113
; %bb.5406:                             ;   in Loop: Header=BB4_3365 Depth=4
	s_or_b32 exec_lo, exec_lo, s13
                                        ; implicit-def: $vgpr8
                                        ; implicit-def: $vgpr4_vgpr5
                                        ; implicit-def: $vgpr9
.LBB4_5407:                             ;   in Loop: Header=BB4_3365 Depth=4
	s_and_not1_saveexec_b32 s13, s74
	s_cbranch_execz .LBB4_5413
; %bb.5408:                             ;   in Loop: Header=BB4_3365 Depth=4
	s_mov_b32 s74, exec_lo
                                        ; implicit-def: $vgpr67
	v_cmpx_ne_u64_e32 0, v[4:5]
	s_xor_b32 s74, exec_lo, s74
; %bb.5409:                             ;   in Loop: Header=BB4_3365 Depth=4
	v_or_b32_e32 v67, 0x7f, v9
                                        ; implicit-def: $vgpr8
; %bb.5410:                             ;   in Loop: Header=BB4_3365 Depth=4
	s_and_not1_saveexec_b32 s74, s74
; %bb.5411:                             ;   in Loop: Header=BB4_3365 Depth=4
	v_cmp_lt_i32_e32 vcc_lo, -1, v8
	v_cndmask_b32_e32 v67, 0xfc, v49, vcc_lo
; %bb.5412:                             ;   in Loop: Header=BB4_3365 Depth=4
	s_or_b32 exec_lo, exec_lo, s74
.LBB4_5413:                             ;   in Loop: Header=BB4_3365 Depth=4
	s_delay_alu instid0(SALU_CYCLE_1)
	s_or_b32 exec_lo, exec_lo, s13
	v_dual_mov_b32 v5, 0 :: v_dual_mov_b32 v8, 0
	s_mov_b32 s13, exec_lo
	v_cmpx_lt_u32_e32 0xffffff, v2
	s_cbranch_execz .LBB4_5423
; %bb.5414:                             ;   in Loop: Header=BB4_3365 Depth=4
	v_lshrrev_b32_e32 v4, 24, v2
	v_bfrev_b32_e32 v8, 1
	s_mov_b32 s74, exec_lo
	s_delay_alu instid0(VALU_DEP_2)
	v_cmpx_ne_u32_e32 0x80, v4
	s_cbranch_execz .LBB4_5422
; %bb.5415:                             ;   in Loop: Header=BB4_3365 Depth=4
	v_and_b32_e32 v8, 0x7c000000, v2
	v_bfe_u32 v9, v2, 24, 2
	s_delay_alu instid0(VALU_DEP_2) | instskip(SKIP_1) | instid1(SALU_CYCLE_1)
	v_cmp_ne_u32_e32 vcc_lo, 0x7c000000, v8
                                        ; implicit-def: $vgpr8
	s_and_saveexec_b32 s75, vcc_lo
	s_xor_b32 s75, exec_lo, s75
	s_cbranch_execz .LBB4_5419
; %bb.5416:                             ;   in Loop: Header=BB4_3365 Depth=4
	v_bfe_u32 v8, v2, 26, 5
	s_mov_b32 s76, exec_lo
	s_delay_alu instid0(VALU_DEP_1)
	v_cmpx_eq_u32_e32 0, v8
; %bb.5417:                             ;   in Loop: Header=BB4_3365 Depth=4
	v_clz_i32_u32_e32 v8, v9
	s_delay_alu instid0(VALU_DEP_1) | instskip(NEXT) | instid1(VALU_DEP_1)
	v_min_u32_e32 v8, 32, v8
	v_subrev_nc_u32_e32 v9, 29, v8
	s_delay_alu instid0(VALU_DEP_1) | instskip(NEXT) | instid1(VALU_DEP_1)
	v_lshlrev_b64_e32 v[86:87], v9, v[4:5]
	v_dual_sub_nc_u32 v8, 30, v8 :: v_dual_bitop2_b32 v9, 3, v86 bitop3:0x40
; %bb.5418:                             ;   in Loop: Header=BB4_3365 Depth=4
	s_or_b32 exec_lo, exec_lo, s76
	v_and_b32_e32 v2, 0x80000000, v2
	s_delay_alu instid0(VALU_DEP_1) | instskip(NEXT) | instid1(VALU_DEP_1)
	v_lshl_add_u32 v2, v8, 23, v2
	v_lshl_or_b32 v2, v9, 21, v2
                                        ; implicit-def: $vgpr9
	s_delay_alu instid0(VALU_DEP_1)
	v_add_nc_u32_e32 v8, 0x38000000, v2
.LBB4_5419:                             ;   in Loop: Header=BB4_3365 Depth=4
	s_and_not1_saveexec_b32 s75, s75
; %bb.5420:                             ;   in Loop: Header=BB4_3365 Depth=4
	v_cmp_lt_i32_e32 vcc_lo, -1, v2
	v_cndmask_b32_e32 v2, 0xff800000, v48, vcc_lo
	v_cmp_eq_u32_e32 vcc_lo, 0, v9
	s_delay_alu instid0(VALU_DEP_2)
	v_cndmask_b32_e32 v8, 0x7f800001, v2, vcc_lo
; %bb.5421:                             ;   in Loop: Header=BB4_3365 Depth=4
	s_or_b32 exec_lo, exec_lo, s75
.LBB4_5422:                             ;   in Loop: Header=BB4_3365 Depth=4
	s_delay_alu instid0(SALU_CYCLE_1)
	s_or_b32 exec_lo, exec_lo, s74
.LBB4_5423:                             ;   in Loop: Header=BB4_3365 Depth=4
	s_delay_alu instid0(SALU_CYCLE_1) | instskip(NEXT) | instid1(SALU_CYCLE_1)
	s_or_b32 exec_lo, exec_lo, s13
	s_mov_b32 s13, exec_lo
	v_cmpx_lt_u32_e32 0xffffff, v10
	s_cbranch_execz .LBB4_5433
; %bb.5424:                             ;   in Loop: Header=BB4_3365 Depth=4
	v_lshrrev_b32_e32 v2, 24, v10
	v_bfrev_b32_e32 v5, 1
	s_mov_b32 s74, exec_lo
	s_delay_alu instid0(VALU_DEP_2)
	v_cmpx_ne_u32_e32 0x80, v2
	s_cbranch_execz .LBB4_5432
; %bb.5425:                             ;   in Loop: Header=BB4_3365 Depth=4
	v_and_b32_e32 v5, 0x7c000000, v10
	v_bfe_u32 v4, v10, 24, 2
	s_delay_alu instid0(VALU_DEP_2) | instskip(SKIP_1) | instid1(SALU_CYCLE_1)
	v_cmp_ne_u32_e32 vcc_lo, 0x7c000000, v5
                                        ; implicit-def: $vgpr5
	s_and_saveexec_b32 s75, vcc_lo
	s_xor_b32 s75, exec_lo, s75
	s_cbranch_execz .LBB4_5429
; %bb.5426:                             ;   in Loop: Header=BB4_3365 Depth=4
	v_bfe_u32 v5, v10, 26, 5
	s_mov_b32 s76, exec_lo
	s_delay_alu instid0(VALU_DEP_1)
	v_cmpx_eq_u32_e32 0, v5
; %bb.5427:                             ;   in Loop: Header=BB4_3365 Depth=4
	v_clz_i32_u32_e32 v4, v4
	s_delay_alu instid0(VALU_DEP_1) | instskip(NEXT) | instid1(VALU_DEP_1)
	v_min_u32_e32 v9, 32, v4
	v_subrev_nc_u32_e32 v4, 29, v9
	s_delay_alu instid0(VALU_DEP_1) | instskip(NEXT) | instid1(VALU_DEP_1)
	v_lshlrev_b64_e32 v[4:5], v4, v[2:3]
	v_dual_sub_nc_u32 v5, 30, v9 :: v_dual_bitop2_b32 v4, 3, v4 bitop3:0x40
; %bb.5428:                             ;   in Loop: Header=BB4_3365 Depth=4
	s_or_b32 exec_lo, exec_lo, s76
	v_and_b32_e32 v2, 0x80000000, v10
	s_delay_alu instid0(VALU_DEP_1) | instskip(NEXT) | instid1(VALU_DEP_1)
	v_lshl_add_u32 v2, v5, 23, v2
	v_lshl_or_b32 v2, v4, 21, v2
                                        ; implicit-def: $vgpr4
	s_delay_alu instid0(VALU_DEP_1)
	v_add_nc_u32_e32 v5, 0x38000000, v2
.LBB4_5429:                             ;   in Loop: Header=BB4_3365 Depth=4
	s_and_not1_saveexec_b32 s75, s75
; %bb.5430:                             ;   in Loop: Header=BB4_3365 Depth=4
	v_cmp_lt_i32_e32 vcc_lo, -1, v10
	v_cndmask_b32_e32 v2, 0xff800000, v48, vcc_lo
	v_cmp_eq_u32_e32 vcc_lo, 0, v4
	s_delay_alu instid0(VALU_DEP_2)
	v_cndmask_b32_e32 v5, 0x7f800001, v2, vcc_lo
; %bb.5431:                             ;   in Loop: Header=BB4_3365 Depth=4
	s_or_b32 exec_lo, exec_lo, s75
.LBB4_5432:                             ;   in Loop: Header=BB4_3365 Depth=4
	s_delay_alu instid0(SALU_CYCLE_1)
	s_or_b32 exec_lo, exec_lo, s74
.LBB4_5433:                             ;   in Loop: Header=BB4_3365 Depth=4
	s_delay_alu instid0(SALU_CYCLE_1) | instskip(NEXT) | instid1(VALU_DEP_1)
	s_or_b32 exec_lo, exec_lo, s13
	v_dual_add_f32 v4, v8, v5 :: v_dual_mov_b32 v9, v3
                                        ; implicit-def: $vgpr113
	s_mov_b32 s13, exec_lo
	s_delay_alu instid0(VALU_DEP_1) | instskip(SKIP_2) | instid1(VALU_DEP_3)
	v_and_b32_e32 v8, 0x7f800000, v4
	v_and_b32_e32 v2, 0x7fffff, v4
	v_lshrrev_b32_e32 v5, 24, v4
	v_cmpx_ne_u64_e32 0x7f800000, v[8:9]
	s_xor_b32 s74, exec_lo, s13
	s_cbranch_execz .LBB4_5447
; %bb.5434:                             ;   in Loop: Header=BB4_3365 Depth=4
	v_and_b32_e32 v8, 0x7fffffff, v4
	v_mov_b32_e32 v9, v3
	v_and_b32_e32 v57, 0x80, v5
                                        ; implicit-def: $vgpr113
	s_mov_b32 s13, exec_lo
	s_delay_alu instid0(VALU_DEP_2)
	v_cmpx_gt_u64_e32 0x47600001, v[8:9]
	s_xor_b32 s75, exec_lo, s13
	s_cbranch_execz .LBB4_5444
; %bb.5435:                             ;   in Loop: Header=BB4_3365 Depth=4
	v_mov_b32_e32 v113, 0
	s_mov_b32 s76, exec_lo
	v_cmpx_ne_u32_e32 0, v4
	s_cbranch_execz .LBB4_5443
; %bb.5436:                             ;   in Loop: Header=BB4_3365 Depth=4
	v_bfe_u32 v113, v4, 23, 8
	v_or_b32_e32 v5, 0x800000, v2
	s_delay_alu instid0(VALU_DEP_2) | instskip(SKIP_2) | instid1(VALU_DEP_2)
	v_cmp_gt_u32_e64 s13, 0x72, v113
	v_sub_nc_u32_e32 v4, 0x71, v113
	v_cmp_eq_u32_e32 vcc_lo, 0, v113
	v_cndmask_b32_e64 v4, 0, v4, s13
	s_delay_alu instid0(VALU_DEP_1) | instskip(SKIP_1) | instid1(VALU_DEP_2)
	v_cndmask_b32_e64 v60, v4, 0x70, vcc_lo
	v_dual_cndmask_b32 v4, v5, v2 :: v_dual_mov_b32 v5, v3
	v_add_nc_u32_e32 v2, 21, v60
	s_delay_alu instid0(VALU_DEP_1) | instskip(SKIP_1) | instid1(VALU_DEP_1)
	v_lshlrev_b64_e64 v[8:9], v2, -1
	v_add_nc_u32_e32 v2, 20, v60
	v_lshlrev_b64_e64 v[86:87], v2, 1
	s_delay_alu instid0(VALU_DEP_3) | instskip(SKIP_2) | instid1(VALU_DEP_1)
	v_bfi_b32 v8, v8, 0, v4
	v_lshrrev_b64 v[4:5], v60, v[4:5]
	v_bfi_b32 v9, v9, 0, 0
	v_cmp_eq_u64_e64 s13, v[8:9], v[86:87]
	s_delay_alu instid0(VALU_DEP_3)
	v_mov_b64_e32 v[8:9], v[4:5]
	s_and_saveexec_b32 s77, s13
; %bb.5437:                             ;   in Loop: Header=BB4_3365 Depth=4
	v_bfe_u32 v8, v4, 21, 1
	v_mov_b32_e32 v9, v3
	s_delay_alu instid0(VALU_DEP_1) | instskip(NEXT) | instid1(VALU_DEP_1)
	v_add_nc_u64_e32 v[8:9], v[4:5], v[8:9]
	v_add_nc_u64_e32 v[8:9], -1, v[8:9]
; %bb.5438:                             ;   in Loop: Header=BB4_3365 Depth=4
	s_or_b32 exec_lo, exec_lo, s77
	v_add_nc_u32_e32 v2, 0xffffff81, v113
	v_lshrrev_b32_e32 v5, 23, v4
	s_mov_b32 s13, exec_lo
	s_delay_alu instid0(VALU_DEP_2) | instskip(NEXT) | instid1(VALU_DEP_1)
	v_cndmask_b32_e64 v2, v2, 0xffffff82, vcc_lo
	v_add3_u32 v86, v60, v2, v5
	v_and_b32_e32 v2, 0x1fffff, v8
                                        ; implicit-def: $vgpr8
	s_delay_alu instid0(VALU_DEP_1) | instskip(NEXT) | instid1(VALU_DEP_1)
	v_dual_add_nc_u32 v9, 14, v86 :: v_dual_add_nc_u32 v2, v2, v4
                                        ; implicit-def: $vgpr4_vgpr5
	v_cmpx_ne_u32_e32 0, v9
	s_xor_b32 s13, exec_lo, s13
; %bb.5439:                             ;   in Loop: Header=BB4_3365 Depth=4
	s_delay_alu instid0(VALU_DEP_2) | instskip(SKIP_1) | instid1(VALU_DEP_1)
	v_cmp_lt_u64_e32 vcc_lo, 0xffffff, v[2:3]
	v_add_nc_u32_e32 v4, 15, v86
	v_cndmask_b32_e32 v8, v9, v4, vcc_lo
	v_cndmask_b32_e64 v4, 0, 1, vcc_lo
	s_delay_alu instid0(VALU_DEP_1)
	v_lshrrev_b64 v[4:5], v4, v[2:3]
; %bb.5440:                             ;   in Loop: Header=BB4_3365 Depth=4
	s_and_not1_saveexec_b32 s13, s13
; %bb.5441:                             ;   in Loop: Header=BB4_3365 Depth=4
	v_mov_b64_e32 v[4:5], v[2:3]
	v_bfe_u32 v8, v2, 23, 1
; %bb.5442:                             ;   in Loop: Header=BB4_3365 Depth=4
	s_or_b32 exec_lo, exec_lo, s13
	s_delay_alu instid0(VALU_DEP_2) | instskip(NEXT) | instid1(VALU_DEP_2)
	v_lshrrev_b64 v[4:5], 21, v[4:5]
	v_cmp_gt_i32_e32 vcc_lo, 32, v8
	v_min_i32_e32 v2, 31, v8
	v_cmp_eq_u32_e64 s13, 0, v8
	s_delay_alu instid0(VALU_DEP_2) | instskip(SKIP_1) | instid1(VALU_DEP_2)
	v_dual_cndmask_b32 v5, 0, v5 :: v_dual_lshlrev_b32 v2, 2, v2
	v_cndmask_b32_e32 v4, 3, v4, vcc_lo
	v_and_b32_e32 v2, 0xfc, v2
	s_delay_alu instid0(VALU_DEP_2) | instskip(NEXT) | instid1(VALU_DEP_2)
	v_cmp_eq_u64_e32 vcc_lo, 0, v[4:5]
	v_and_or_b32 v2, v4, 3, v2
	s_and_b32 s13, s13, vcc_lo
	s_delay_alu instid0(VALU_DEP_1) | instid1(SALU_CYCLE_1)
	v_cndmask_b32_e64 v2, v2, 0, s13
	s_delay_alu instid0(VALU_DEP_1)
	v_or_b32_e32 v113, v2, v57
.LBB4_5443:                             ;   in Loop: Header=BB4_3365 Depth=4
	s_or_b32 exec_lo, exec_lo, s76
                                        ; implicit-def: $vgpr57
.LBB4_5444:                             ;   in Loop: Header=BB4_3365 Depth=4
	s_and_not1_saveexec_b32 s13, s75
; %bb.5445:                             ;   in Loop: Header=BB4_3365 Depth=4
	v_or_b32_e32 v113, 0x7b, v57
; %bb.5446:                             ;   in Loop: Header=BB4_3365 Depth=4
	s_or_b32 exec_lo, exec_lo, s13
                                        ; implicit-def: $vgpr4
                                        ; implicit-def: $vgpr5
.LBB4_5447:                             ;   in Loop: Header=BB4_3365 Depth=4
	s_and_not1_saveexec_b32 s13, s74
	s_cbranch_execz .LBB4_5453
; %bb.5448:                             ;   in Loop: Header=BB4_3365 Depth=4
	s_mov_b32 s74, exec_lo
                                        ; implicit-def: $vgpr113
	v_cmpx_ne_u64_e32 0, v[2:3]
	s_xor_b32 s74, exec_lo, s74
; %bb.5449:                             ;   in Loop: Header=BB4_3365 Depth=4
	v_or_b32_e32 v113, 0x7f, v5
                                        ; implicit-def: $vgpr4
; %bb.5450:                             ;   in Loop: Header=BB4_3365 Depth=4
	s_and_not1_saveexec_b32 s74, s74
; %bb.5451:                             ;   in Loop: Header=BB4_3365 Depth=4
	v_cmp_lt_i32_e32 vcc_lo, -1, v4
	v_cndmask_b32_e32 v113, 0xfc, v49, vcc_lo
; %bb.5452:                             ;   in Loop: Header=BB4_3365 Depth=4
	s_or_b32 exec_lo, exec_lo, s74
.LBB4_5453:                             ;   in Loop: Header=BB4_3365 Depth=4
	s_delay_alu instid0(SALU_CYCLE_1) | instskip(SKIP_4) | instid1(VALU_DEP_2)
	s_or_b32 exec_lo, exec_lo, s13
	v_dual_lshlrev_b32 v2, 24, v101 :: v_dual_lshlrev_b32 v4, 16, v64
	v_lshl_or_b32 v50, v50, 8, v21
	v_mov_b32_e32 v5, 0
	s_mov_b32 s13, exec_lo
	v_or3_b32 v2, v4, v2, v50
	v_mov_b32_e32 v4, 0
	v_cmpx_ne_u32_e32 0, v21
	s_cbranch_execz .LBB4_5463
; %bb.5454:                             ;   in Loop: Header=BB4_3365 Depth=4
	v_bfrev_b32_e32 v4, 1
	s_mov_b32 s74, exec_lo
	v_cmpx_ne_u32_e32 0x80, v21
	s_cbranch_execz .LBB4_5462
; %bb.5455:                             ;   in Loop: Header=BB4_3365 Depth=4
	v_and_b32_e32 v4, 0x7c, v21
	v_and_b32_e32 v8, 3, v21
	s_delay_alu instid0(VALU_DEP_2) | instskip(SKIP_1) | instid1(SALU_CYCLE_1)
	v_cmp_ne_u32_e32 vcc_lo, 0x7c, v4
                                        ; implicit-def: $vgpr4
	s_and_saveexec_b32 s75, vcc_lo
	s_xor_b32 s75, exec_lo, s75
	s_cbranch_execz .LBB4_5459
; %bb.5456:                             ;   in Loop: Header=BB4_3365 Depth=4
	v_bfe_u32 v4, v21, 2, 5
	s_mov_b32 s76, exec_lo
	s_delay_alu instid0(VALU_DEP_1)
	v_cmpx_eq_u32_e32 0, v4
; %bb.5457:                             ;   in Loop: Header=BB4_3365 Depth=4
	v_clz_i32_u32_e32 v4, v8
	s_delay_alu instid0(VALU_DEP_1) | instskip(NEXT) | instid1(VALU_DEP_1)
	v_min_u32_e32 v4, 32, v4
	v_subrev_nc_u32_e32 v8, 29, v4
	v_sub_nc_u32_e32 v4, 30, v4
	s_delay_alu instid0(VALU_DEP_2) | instskip(NEXT) | instid1(VALU_DEP_1)
	v_lshlrev_b64_e32 v[8:9], v8, v[2:3]
	v_and_b32_e32 v8, 3, v8
; %bb.5458:                             ;   in Loop: Header=BB4_3365 Depth=4
	s_or_b32 exec_lo, exec_lo, s76
	v_lshlrev_b32_e32 v9, 24, v21
                                        ; implicit-def: $vgpr21
	s_delay_alu instid0(VALU_DEP_1) | instskip(NEXT) | instid1(VALU_DEP_1)
	v_and_b32_e32 v9, 0x80000000, v9
	v_lshl_add_u32 v4, v4, 23, v9
	s_delay_alu instid0(VALU_DEP_1) | instskip(NEXT) | instid1(VALU_DEP_1)
	v_lshl_or_b32 v4, v8, 21, v4
                                        ; implicit-def: $vgpr8
	v_add_nc_u32_e32 v4, 0x38000000, v4
.LBB4_5459:                             ;   in Loop: Header=BB4_3365 Depth=4
	s_and_not1_saveexec_b32 s75, s75
; %bb.5460:                             ;   in Loop: Header=BB4_3365 Depth=4
	v_and_b32_e32 v4, 0x80, v21
	s_delay_alu instid0(VALU_DEP_1) | instskip(SKIP_2) | instid1(VALU_DEP_2)
	v_cmp_eq_u32_e32 vcc_lo, 0, v4
	v_cndmask_b32_e32 v4, 0xff800000, v48, vcc_lo
	v_cmp_eq_u32_e32 vcc_lo, 0, v8
	v_cndmask_b32_e32 v4, 0x7f800001, v4, vcc_lo
; %bb.5461:                             ;   in Loop: Header=BB4_3365 Depth=4
	s_or_b32 exec_lo, exec_lo, s75
.LBB4_5462:                             ;   in Loop: Header=BB4_3365 Depth=4
	s_delay_alu instid0(SALU_CYCLE_1)
	s_or_b32 exec_lo, exec_lo, s74
.LBB4_5463:                             ;   in Loop: Header=BB4_3365 Depth=4
	s_delay_alu instid0(SALU_CYCLE_1) | instskip(SKIP_2) | instid1(VALU_DEP_1)
	s_or_b32 exec_lo, exec_lo, s13
	v_and_b32_e32 v8, 0xff, v11
	s_mov_b32 s13, exec_lo
	v_cmpx_ne_u16_e32 0, v8
	s_cbranch_execz .LBB4_5473
; %bb.5464:                             ;   in Loop: Header=BB4_3365 Depth=4
	v_bfrev_b32_e32 v5, 1
	s_mov_b32 s74, exec_lo
	v_cmpx_ne_u16_e32 0x80, v8
	s_cbranch_execz .LBB4_5472
; %bb.5465:                             ;   in Loop: Header=BB4_3365 Depth=4
	v_and_b32_e32 v5, 0x7c, v11
	v_and_b32_e32 v8, 3, v11
	s_delay_alu instid0(VALU_DEP_2) | instskip(SKIP_1) | instid1(SALU_CYCLE_1)
	v_cmp_ne_u32_e32 vcc_lo, 0x7c, v5
                                        ; implicit-def: $vgpr5
	s_and_saveexec_b32 s75, vcc_lo
	s_xor_b32 s75, exec_lo, s75
	s_cbranch_execz .LBB4_5469
; %bb.5466:                             ;   in Loop: Header=BB4_3365 Depth=4
	v_bfe_u32 v5, v11, 2, 5
	s_mov_b32 s76, exec_lo
	s_delay_alu instid0(VALU_DEP_1)
	v_cmpx_eq_u32_e32 0, v5
; %bb.5467:                             ;   in Loop: Header=BB4_3365 Depth=4
	v_clz_i32_u32_e32 v5, v8
	v_dual_mov_b32 v8, v11 :: v_dual_mov_b32 v9, v3
	s_delay_alu instid0(VALU_DEP_2) | instskip(NEXT) | instid1(VALU_DEP_1)
	v_min_u32_e32 v5, 32, v5
	v_subrev_nc_u32_e32 v21, 29, v5
	s_delay_alu instid0(VALU_DEP_1) | instskip(NEXT) | instid1(VALU_DEP_1)
	v_lshlrev_b64_e32 v[8:9], v21, v[8:9]
	v_dual_sub_nc_u32 v5, 30, v5 :: v_dual_bitop2_b32 v8, 3, v8 bitop3:0x40
; %bb.5468:                             ;   in Loop: Header=BB4_3365 Depth=4
	s_or_b32 exec_lo, exec_lo, s76
	v_lshlrev_b32_e32 v9, 24, v11
	s_delay_alu instid0(VALU_DEP_1) | instskip(NEXT) | instid1(VALU_DEP_1)
	v_and_b32_e32 v9, 0x80000000, v9
	v_lshl_add_u32 v5, v5, 23, v9
	s_delay_alu instid0(VALU_DEP_1) | instskip(NEXT) | instid1(VALU_DEP_1)
	v_lshl_or_b32 v5, v8, 21, v5
                                        ; implicit-def: $vgpr8
	v_add_nc_u32_e32 v5, 0x38000000, v5
.LBB4_5469:                             ;   in Loop: Header=BB4_3365 Depth=4
	s_and_not1_saveexec_b32 s75, s75
; %bb.5470:                             ;   in Loop: Header=BB4_3365 Depth=4
	v_bfe_i32 v5, v11, 0, 8
	s_delay_alu instid0(VALU_DEP_1) | instskip(SKIP_2) | instid1(VALU_DEP_2)
	v_cmp_lt_i16_e32 vcc_lo, -1, v5
	v_cndmask_b32_e32 v5, 0xff800000, v48, vcc_lo
	v_cmp_eq_u32_e32 vcc_lo, 0, v8
	v_cndmask_b32_e32 v5, 0x7f800001, v5, vcc_lo
; %bb.5471:                             ;   in Loop: Header=BB4_3365 Depth=4
	s_or_b32 exec_lo, exec_lo, s75
.LBB4_5472:                             ;   in Loop: Header=BB4_3365 Depth=4
	s_delay_alu instid0(SALU_CYCLE_1)
	s_or_b32 exec_lo, exec_lo, s74
.LBB4_5473:                             ;   in Loop: Header=BB4_3365 Depth=4
	s_delay_alu instid0(SALU_CYCLE_1) | instskip(NEXT) | instid1(VALU_DEP_1)
	s_or_b32 exec_lo, exec_lo, s13
	v_dual_add_f32 v8, v4, v5 :: v_dual_mov_b32 v87, v3
	v_mov_b32_e32 v5, v3
                                        ; implicit-def: $vgpr21
	s_mov_b32 s13, exec_lo
	s_delay_alu instid0(VALU_DEP_2) | instskip(SKIP_2) | instid1(VALU_DEP_3)
	v_and_b32_e32 v86, 0x7f800000, v8
	v_and_b32_e32 v4, 0x7fffff, v8
	v_lshrrev_b32_e32 v9, 24, v8
	v_cmpx_ne_u64_e32 0x7f800000, v[86:87]
	s_xor_b32 s74, exec_lo, s13
	s_cbranch_execz .LBB4_5487
; %bb.5474:                             ;   in Loop: Header=BB4_3365 Depth=4
	v_and_b32_e32 v86, 0x7fffffff, v8
	v_mov_b32_e32 v87, v3
	v_and_b32_e32 v64, 0x80, v9
                                        ; implicit-def: $vgpr21
	s_mov_b32 s13, exec_lo
	s_delay_alu instid0(VALU_DEP_2)
	v_cmpx_gt_u64_e32 0x47600001, v[86:87]
	s_xor_b32 s75, exec_lo, s13
	s_cbranch_execz .LBB4_5484
; %bb.5475:                             ;   in Loop: Header=BB4_3365 Depth=4
	v_mov_b32_e32 v21, 0
	s_mov_b32 s76, exec_lo
	v_cmpx_ne_u32_e32 0, v8
	s_cbranch_execz .LBB4_5483
; %bb.5476:                             ;   in Loop: Header=BB4_3365 Depth=4
	v_bfe_u32 v21, v8, 23, 8
	v_or_b32_e32 v9, 0x800000, v4
	s_delay_alu instid0(VALU_DEP_2) | instskip(SKIP_2) | instid1(VALU_DEP_2)
	v_cmp_gt_u32_e64 s13, 0x72, v21
	v_sub_nc_u32_e32 v8, 0x71, v21
	v_cmp_eq_u32_e32 vcc_lo, 0, v21
	v_cndmask_b32_e64 v8, 0, v8, s13
	s_delay_alu instid0(VALU_DEP_1) | instskip(NEXT) | instid1(VALU_DEP_1)
	v_cndmask_b32_e64 v86, v8, 0x70, vcc_lo
	v_dual_cndmask_b32 v4, v9, v4, vcc_lo :: v_dual_add_nc_u32 v8, 21, v86
	v_add_nc_u32_e32 v87, 20, v86
	s_delay_alu instid0(VALU_DEP_2) | instskip(NEXT) | instid1(VALU_DEP_2)
	v_lshlrev_b64_e64 v[8:9], v8, -1
	v_lshlrev_b64_e64 v[96:97], v87, 1
	s_delay_alu instid0(VALU_DEP_2) | instskip(SKIP_1) | instid1(VALU_DEP_4)
	v_bfi_b32 v8, v8, 0, v4
	v_lshrrev_b64 v[4:5], v86, v[4:5]
	v_bfi_b32 v9, v9, 0, 0
	s_delay_alu instid0(VALU_DEP_1) | instskip(NEXT) | instid1(VALU_DEP_3)
	v_cmp_eq_u64_e64 s13, v[8:9], v[96:97]
	v_mov_b64_e32 v[8:9], v[4:5]
	s_and_saveexec_b32 s77, s13
; %bb.5477:                             ;   in Loop: Header=BB4_3365 Depth=4
	v_bfe_u32 v8, v4, 21, 1
	v_mov_b32_e32 v9, v3
	s_delay_alu instid0(VALU_DEP_1) | instskip(NEXT) | instid1(VALU_DEP_1)
	v_add_nc_u64_e32 v[8:9], v[4:5], v[8:9]
	v_add_nc_u64_e32 v[8:9], -1, v[8:9]
; %bb.5478:                             ;   in Loop: Header=BB4_3365 Depth=4
	s_or_b32 exec_lo, exec_lo, s77
	v_add_nc_u32_e32 v5, 0xffffff81, v21
	v_lshrrev_b32_e32 v9, 23, v4
	s_mov_b32 s13, exec_lo
	s_delay_alu instid0(VALU_DEP_2) | instskip(NEXT) | instid1(VALU_DEP_1)
	v_cndmask_b32_e64 v5, v5, 0xffffff82, vcc_lo
	v_add3_u32 v9, v86, v5, v9
	v_and_b32_e32 v5, 0x1fffff, v8
                                        ; implicit-def: $vgpr8
	s_delay_alu instid0(VALU_DEP_1) | instskip(SKIP_1) | instid1(VALU_DEP_2)
	v_dual_add_nc_u32 v21, 14, v9 :: v_dual_add_nc_u32 v4, v5, v4
	v_mov_b32_e32 v5, v3
	v_cmpx_ne_u32_e32 0, v21
	s_xor_b32 s13, exec_lo, s13
; %bb.5479:                             ;   in Loop: Header=BB4_3365 Depth=4
	s_delay_alu instid0(VALU_DEP_2) | instskip(SKIP_2) | instid1(VALU_DEP_2)
	v_cmp_lt_u64_e32 vcc_lo, 0xffffff, v[4:5]
	v_add_nc_u32_e32 v8, 15, v9
	v_cndmask_b32_e64 v9, 0, 1, vcc_lo
	v_cndmask_b32_e32 v8, v21, v8, vcc_lo
	s_delay_alu instid0(VALU_DEP_2)
	v_lshrrev_b64 v[4:5], v9, v[4:5]
; %bb.5480:                             ;   in Loop: Header=BB4_3365 Depth=4
	s_and_not1_saveexec_b32 s13, s13
; %bb.5481:                             ;   in Loop: Header=BB4_3365 Depth=4
	s_delay_alu instid0(VALU_DEP_1)
	v_bfe_u32 v8, v4, 23, 1
; %bb.5482:                             ;   in Loop: Header=BB4_3365 Depth=4
	s_or_b32 exec_lo, exec_lo, s13
	s_delay_alu instid0(VALU_DEP_2) | instskip(NEXT) | instid1(VALU_DEP_2)
	v_lshrrev_b64 v[4:5], 21, v[4:5]
	v_cmp_gt_i32_e32 vcc_lo, 32, v8
	v_min_i32_e32 v9, 31, v8
	v_cmp_eq_u32_e64 s13, 0, v8
	s_delay_alu instid0(VALU_DEP_4) | instskip(NEXT) | instid1(VALU_DEP_3)
	v_cndmask_b32_e32 v5, 0, v5, vcc_lo
	v_dual_cndmask_b32 v4, 3, v4 :: v_dual_lshlrev_b32 v9, 2, v9
	s_delay_alu instid0(VALU_DEP_1) | instskip(NEXT) | instid1(VALU_DEP_2)
	v_and_b32_e32 v9, 0xfc, v9
	v_cmp_eq_u64_e32 vcc_lo, 0, v[4:5]
	s_delay_alu instid0(VALU_DEP_2)
	v_and_or_b32 v4, v4, 3, v9
	s_and_b32 s13, s13, vcc_lo
	s_delay_alu instid0(VALU_DEP_1) | instid1(SALU_CYCLE_1)
	v_cndmask_b32_e64 v4, v4, 0, s13
	s_delay_alu instid0(VALU_DEP_1)
	v_or_b32_e32 v21, v4, v64
.LBB4_5483:                             ;   in Loop: Header=BB4_3365 Depth=4
	s_or_b32 exec_lo, exec_lo, s76
                                        ; implicit-def: $vgpr64
.LBB4_5484:                             ;   in Loop: Header=BB4_3365 Depth=4
	s_and_not1_saveexec_b32 s13, s75
; %bb.5485:                             ;   in Loop: Header=BB4_3365 Depth=4
	v_or_b32_e32 v21, 0x7b, v64
; %bb.5486:                             ;   in Loop: Header=BB4_3365 Depth=4
	s_or_b32 exec_lo, exec_lo, s13
                                        ; implicit-def: $vgpr8
                                        ; implicit-def: $vgpr4_vgpr5
                                        ; implicit-def: $vgpr9
.LBB4_5487:                             ;   in Loop: Header=BB4_3365 Depth=4
	s_and_not1_saveexec_b32 s13, s74
	s_cbranch_execz .LBB4_5493
; %bb.5488:                             ;   in Loop: Header=BB4_3365 Depth=4
	s_mov_b32 s74, exec_lo
                                        ; implicit-def: $vgpr21
	v_cmpx_ne_u64_e32 0, v[4:5]
	s_xor_b32 s74, exec_lo, s74
; %bb.5489:                             ;   in Loop: Header=BB4_3365 Depth=4
	v_or_b32_e32 v21, 0x7f, v9
                                        ; implicit-def: $vgpr8
; %bb.5490:                             ;   in Loop: Header=BB4_3365 Depth=4
	s_and_not1_saveexec_b32 s74, s74
; %bb.5491:                             ;   in Loop: Header=BB4_3365 Depth=4
	v_cmp_lt_i32_e32 vcc_lo, -1, v8
	v_cndmask_b32_e32 v21, 0xfc, v49, vcc_lo
; %bb.5492:                             ;   in Loop: Header=BB4_3365 Depth=4
	s_or_b32 exec_lo, exec_lo, s74
.LBB4_5493:                             ;   in Loop: Header=BB4_3365 Depth=4
	s_delay_alu instid0(SALU_CYCLE_1) | instskip(SKIP_3) | instid1(VALU_DEP_2)
	s_or_b32 exec_lo, exec_lo, s13
	v_lshrrev_b16 v4, 8, v50
	v_dual_mov_b32 v8, 0 :: v_dual_mov_b32 v9, 0
	s_mov_b32 s13, exec_lo
	v_cmpx_ne_u16_e32 0, v4
	s_cbranch_execz .LBB4_5503
; %bb.5494:                             ;   in Loop: Header=BB4_3365 Depth=4
	v_bfrev_b32_e32 v9, 1
	s_mov_b32 s74, exec_lo
	v_cmpx_ne_u16_e32 0x80, v4
	s_cbranch_execz .LBB4_5502
; %bb.5495:                             ;   in Loop: Header=BB4_3365 Depth=4
	v_and_b32_e32 v64, 0xffff, v4
	s_delay_alu instid0(VALU_DEP_1) | instskip(SKIP_1) | instid1(VALU_DEP_2)
	v_and_b32_e32 v9, 0x7c, v64
	v_and_b32_e32 v5, 3, v64
	v_cmp_ne_u32_e32 vcc_lo, 0x7c, v9
                                        ; implicit-def: $vgpr9
	s_and_saveexec_b32 s75, vcc_lo
	s_delay_alu instid0(SALU_CYCLE_1)
	s_xor_b32 s75, exec_lo, s75
	s_cbranch_execz .LBB4_5499
; %bb.5496:                             ;   in Loop: Header=BB4_3365 Depth=4
	v_bfe_u32 v9, v64, 2, 5
	s_mov_b32 s76, exec_lo
	s_delay_alu instid0(VALU_DEP_1)
	v_cmpx_eq_u32_e32 0, v9
	s_cbranch_execz .LBB4_5498
; %bb.5497:                             ;   in Loop: Header=BB4_3365 Depth=4
	v_clz_i32_u32_e32 v5, v5
	s_delay_alu instid0(VALU_DEP_1) | instskip(SKIP_1) | instid1(VALU_DEP_2)
	v_min_u32_e32 v9, 32, v5
	v_mov_b32_e32 v5, v3
	v_subrev_nc_u32_e32 v64, 29, v9
	v_sub_nc_u32_e32 v9, 30, v9
	s_delay_alu instid0(VALU_DEP_2) | instskip(NEXT) | instid1(VALU_DEP_1)
	v_lshlrev_b64_e32 v[4:5], v64, v[4:5]
	v_and_b32_e32 v5, 3, v4
.LBB4_5498:                             ;   in Loop: Header=BB4_3365 Depth=4
	s_or_b32 exec_lo, exec_lo, s76
	v_lshlrev_b32_e32 v4, 16, v50
                                        ; implicit-def: $vgpr50
	s_delay_alu instid0(VALU_DEP_1) | instskip(NEXT) | instid1(VALU_DEP_1)
	v_and_b32_e32 v4, 0x80000000, v4
	v_lshl_add_u32 v4, v9, 23, v4
	s_delay_alu instid0(VALU_DEP_1) | instskip(NEXT) | instid1(VALU_DEP_1)
	v_lshl_or_b32 v4, v5, 21, v4
                                        ; implicit-def: $vgpr5
	v_add_nc_u32_e32 v9, 0x38000000, v4
.LBB4_5499:                             ;   in Loop: Header=BB4_3365 Depth=4
	s_and_not1_saveexec_b32 s75, s75
; %bb.5500:                             ;   in Loop: Header=BB4_3365 Depth=4
	v_cmp_lt_i16_e32 vcc_lo, -1, v50
	v_cndmask_b32_e32 v4, 0xff800000, v48, vcc_lo
	v_cmp_eq_u32_e32 vcc_lo, 0, v5
	s_delay_alu instid0(VALU_DEP_2)
	v_cndmask_b32_e32 v9, 0x7f800001, v4, vcc_lo
; %bb.5501:                             ;   in Loop: Header=BB4_3365 Depth=4
	s_or_b32 exec_lo, exec_lo, s75
.LBB4_5502:                             ;   in Loop: Header=BB4_3365 Depth=4
	s_delay_alu instid0(SALU_CYCLE_1)
	s_or_b32 exec_lo, exec_lo, s74
.LBB4_5503:                             ;   in Loop: Header=BB4_3365 Depth=4
	s_delay_alu instid0(SALU_CYCLE_1) | instskip(SKIP_2) | instid1(VALU_DEP_1)
	s_or_b32 exec_lo, exec_lo, s13
	v_lshrrev_b16 v4, 8, v11
	s_mov_b32 s13, exec_lo
	v_cmpx_ne_u16_e32 0, v4
	s_cbranch_execz .LBB4_5513
; %bb.5504:                             ;   in Loop: Header=BB4_3365 Depth=4
	v_bfrev_b32_e32 v8, 1
	s_mov_b32 s74, exec_lo
	v_cmpx_ne_u16_e32 0x80, v4
	s_cbranch_execz .LBB4_5512
; %bb.5505:                             ;   in Loop: Header=BB4_3365 Depth=4
	v_and_b32_e32 v50, 0xffff, v4
	s_delay_alu instid0(VALU_DEP_1) | instskip(SKIP_1) | instid1(VALU_DEP_2)
	v_and_b32_e32 v8, 0x7c, v50
	v_and_b32_e32 v5, 3, v50
	v_cmp_ne_u32_e32 vcc_lo, 0x7c, v8
                                        ; implicit-def: $vgpr8
	s_and_saveexec_b32 s75, vcc_lo
	s_delay_alu instid0(SALU_CYCLE_1)
	s_xor_b32 s75, exec_lo, s75
	s_cbranch_execz .LBB4_5509
; %bb.5506:                             ;   in Loop: Header=BB4_3365 Depth=4
	v_bfe_u32 v8, v50, 2, 5
	s_mov_b32 s76, exec_lo
	s_delay_alu instid0(VALU_DEP_1)
	v_cmpx_eq_u32_e32 0, v8
	s_cbranch_execz .LBB4_5508
; %bb.5507:                             ;   in Loop: Header=BB4_3365 Depth=4
	v_clz_i32_u32_e32 v5, v5
	s_delay_alu instid0(VALU_DEP_1) | instskip(SKIP_1) | instid1(VALU_DEP_2)
	v_min_u32_e32 v8, 32, v5
	v_mov_b32_e32 v5, v3
	v_subrev_nc_u32_e32 v50, 29, v8
	v_sub_nc_u32_e32 v8, 30, v8
	s_delay_alu instid0(VALU_DEP_2) | instskip(NEXT) | instid1(VALU_DEP_1)
	v_lshlrev_b64_e32 v[4:5], v50, v[4:5]
	v_and_b32_e32 v5, 3, v4
.LBB4_5508:                             ;   in Loop: Header=BB4_3365 Depth=4
	s_or_b32 exec_lo, exec_lo, s76
	v_lshlrev_b32_e32 v4, 16, v11
	s_delay_alu instid0(VALU_DEP_1) | instskip(NEXT) | instid1(VALU_DEP_1)
	v_and_b32_e32 v4, 0x80000000, v4
	v_lshl_add_u32 v4, v8, 23, v4
	s_delay_alu instid0(VALU_DEP_1) | instskip(NEXT) | instid1(VALU_DEP_1)
	v_lshl_or_b32 v4, v5, 21, v4
                                        ; implicit-def: $vgpr5
	v_add_nc_u32_e32 v8, 0x38000000, v4
.LBB4_5509:                             ;   in Loop: Header=BB4_3365 Depth=4
	s_and_not1_saveexec_b32 s75, s75
; %bb.5510:                             ;   in Loop: Header=BB4_3365 Depth=4
	v_cmp_lt_i16_e32 vcc_lo, -1, v11
	v_cndmask_b32_e32 v4, 0xff800000, v48, vcc_lo
	v_cmp_eq_u32_e32 vcc_lo, 0, v5
	s_delay_alu instid0(VALU_DEP_2)
	v_cndmask_b32_e32 v8, 0x7f800001, v4, vcc_lo
; %bb.5511:                             ;   in Loop: Header=BB4_3365 Depth=4
	s_or_b32 exec_lo, exec_lo, s75
.LBB4_5512:                             ;   in Loop: Header=BB4_3365 Depth=4
	s_delay_alu instid0(SALU_CYCLE_1)
	s_or_b32 exec_lo, exec_lo, s74
.LBB4_5513:                             ;   in Loop: Header=BB4_3365 Depth=4
	s_delay_alu instid0(SALU_CYCLE_1) | instskip(NEXT) | instid1(VALU_DEP_1)
	s_or_b32 exec_lo, exec_lo, s13
	v_dual_add_f32 v8, v9, v8 :: v_dual_mov_b32 v87, v3
	v_mov_b32_e32 v5, v3
                                        ; implicit-def: $vgpr50
	s_mov_b32 s13, exec_lo
	s_delay_alu instid0(VALU_DEP_2) | instskip(SKIP_2) | instid1(VALU_DEP_3)
	v_and_b32_e32 v86, 0x7f800000, v8
	v_and_b32_e32 v4, 0x7fffff, v8
	v_lshrrev_b32_e32 v9, 24, v8
	v_cmpx_ne_u64_e32 0x7f800000, v[86:87]
	s_xor_b32 s74, exec_lo, s13
	s_cbranch_execz .LBB4_5527
; %bb.5514:                             ;   in Loop: Header=BB4_3365 Depth=4
	v_and_b32_e32 v86, 0x7fffffff, v8
	v_mov_b32_e32 v87, v3
	v_and_b32_e32 v64, 0x80, v9
                                        ; implicit-def: $vgpr50
	s_mov_b32 s13, exec_lo
	s_delay_alu instid0(VALU_DEP_2)
	v_cmpx_gt_u64_e32 0x47600001, v[86:87]
	s_xor_b32 s75, exec_lo, s13
	s_cbranch_execz .LBB4_5524
; %bb.5515:                             ;   in Loop: Header=BB4_3365 Depth=4
	v_mov_b32_e32 v50, 0
	s_mov_b32 s76, exec_lo
	v_cmpx_ne_u32_e32 0, v8
	s_cbranch_execz .LBB4_5523
; %bb.5516:                             ;   in Loop: Header=BB4_3365 Depth=4
	v_bfe_u32 v50, v8, 23, 8
	v_or_b32_e32 v9, 0x800000, v4
	s_delay_alu instid0(VALU_DEP_2) | instskip(SKIP_2) | instid1(VALU_DEP_2)
	v_cmp_gt_u32_e64 s13, 0x72, v50
	v_sub_nc_u32_e32 v8, 0x71, v50
	v_cmp_eq_u32_e32 vcc_lo, 0, v50
	v_cndmask_b32_e64 v8, 0, v8, s13
	s_delay_alu instid0(VALU_DEP_1) | instskip(NEXT) | instid1(VALU_DEP_1)
	v_cndmask_b32_e64 v86, v8, 0x70, vcc_lo
	v_dual_cndmask_b32 v4, v9, v4, vcc_lo :: v_dual_add_nc_u32 v8, 21, v86
	v_add_nc_u32_e32 v87, 20, v86
	s_delay_alu instid0(VALU_DEP_2) | instskip(NEXT) | instid1(VALU_DEP_2)
	v_lshlrev_b64_e64 v[8:9], v8, -1
	v_lshlrev_b64_e64 v[96:97], v87, 1
	s_delay_alu instid0(VALU_DEP_2) | instskip(SKIP_1) | instid1(VALU_DEP_4)
	v_bfi_b32 v8, v8, 0, v4
	v_lshrrev_b64 v[4:5], v86, v[4:5]
	v_bfi_b32 v9, v9, 0, 0
	s_delay_alu instid0(VALU_DEP_1) | instskip(NEXT) | instid1(VALU_DEP_3)
	v_cmp_eq_u64_e64 s13, v[8:9], v[96:97]
	v_mov_b64_e32 v[8:9], v[4:5]
	s_and_saveexec_b32 s77, s13
; %bb.5517:                             ;   in Loop: Header=BB4_3365 Depth=4
	v_bfe_u32 v8, v4, 21, 1
	v_mov_b32_e32 v9, v3
	s_delay_alu instid0(VALU_DEP_1) | instskip(NEXT) | instid1(VALU_DEP_1)
	v_add_nc_u64_e32 v[8:9], v[4:5], v[8:9]
	v_add_nc_u64_e32 v[8:9], -1, v[8:9]
; %bb.5518:                             ;   in Loop: Header=BB4_3365 Depth=4
	s_or_b32 exec_lo, exec_lo, s77
	v_add_nc_u32_e32 v5, 0xffffff81, v50
	v_lshrrev_b32_e32 v9, 23, v4
	s_mov_b32 s13, exec_lo
	s_delay_alu instid0(VALU_DEP_2) | instskip(NEXT) | instid1(VALU_DEP_1)
	v_cndmask_b32_e64 v5, v5, 0xffffff82, vcc_lo
	v_add3_u32 v9, v86, v5, v9
	v_and_b32_e32 v5, 0x1fffff, v8
                                        ; implicit-def: $vgpr8
	s_delay_alu instid0(VALU_DEP_1) | instskip(SKIP_1) | instid1(VALU_DEP_2)
	v_dual_add_nc_u32 v50, 14, v9 :: v_dual_add_nc_u32 v4, v5, v4
	v_mov_b32_e32 v5, v3
	v_cmpx_ne_u32_e32 0, v50
	s_xor_b32 s13, exec_lo, s13
; %bb.5519:                             ;   in Loop: Header=BB4_3365 Depth=4
	s_delay_alu instid0(VALU_DEP_2) | instskip(SKIP_2) | instid1(VALU_DEP_2)
	v_cmp_lt_u64_e32 vcc_lo, 0xffffff, v[4:5]
	v_add_nc_u32_e32 v8, 15, v9
	v_cndmask_b32_e64 v9, 0, 1, vcc_lo
	v_cndmask_b32_e32 v8, v50, v8, vcc_lo
	s_delay_alu instid0(VALU_DEP_2)
	v_lshrrev_b64 v[4:5], v9, v[4:5]
; %bb.5520:                             ;   in Loop: Header=BB4_3365 Depth=4
	s_and_not1_saveexec_b32 s13, s13
; %bb.5521:                             ;   in Loop: Header=BB4_3365 Depth=4
	s_delay_alu instid0(VALU_DEP_1)
	v_bfe_u32 v8, v4, 23, 1
; %bb.5522:                             ;   in Loop: Header=BB4_3365 Depth=4
	s_or_b32 exec_lo, exec_lo, s13
	s_delay_alu instid0(VALU_DEP_2) | instskip(NEXT) | instid1(VALU_DEP_2)
	v_lshrrev_b64 v[4:5], 21, v[4:5]
	v_cmp_gt_i32_e32 vcc_lo, 32, v8
	v_min_i32_e32 v9, 31, v8
	v_cmp_eq_u32_e64 s13, 0, v8
	s_delay_alu instid0(VALU_DEP_4) | instskip(NEXT) | instid1(VALU_DEP_3)
	v_cndmask_b32_e32 v5, 0, v5, vcc_lo
	v_dual_cndmask_b32 v4, 3, v4 :: v_dual_lshlrev_b32 v9, 2, v9
	s_delay_alu instid0(VALU_DEP_1) | instskip(NEXT) | instid1(VALU_DEP_2)
	v_and_b32_e32 v9, 0xfc, v9
	v_cmp_eq_u64_e32 vcc_lo, 0, v[4:5]
	s_delay_alu instid0(VALU_DEP_2)
	v_and_or_b32 v4, v4, 3, v9
	s_and_b32 s13, s13, vcc_lo
	s_delay_alu instid0(VALU_DEP_1) | instid1(SALU_CYCLE_1)
	v_cndmask_b32_e64 v4, v4, 0, s13
	s_delay_alu instid0(VALU_DEP_1)
	v_or_b32_e32 v50, v4, v64
.LBB4_5523:                             ;   in Loop: Header=BB4_3365 Depth=4
	s_or_b32 exec_lo, exec_lo, s76
                                        ; implicit-def: $vgpr64
.LBB4_5524:                             ;   in Loop: Header=BB4_3365 Depth=4
	s_and_not1_saveexec_b32 s13, s75
; %bb.5525:                             ;   in Loop: Header=BB4_3365 Depth=4
	v_or_b32_e32 v50, 0x7b, v64
; %bb.5526:                             ;   in Loop: Header=BB4_3365 Depth=4
	s_or_b32 exec_lo, exec_lo, s13
                                        ; implicit-def: $vgpr8
                                        ; implicit-def: $vgpr4_vgpr5
                                        ; implicit-def: $vgpr9
.LBB4_5527:                             ;   in Loop: Header=BB4_3365 Depth=4
	s_and_not1_saveexec_b32 s13, s74
	s_cbranch_execz .LBB4_5533
; %bb.5528:                             ;   in Loop: Header=BB4_3365 Depth=4
	s_mov_b32 s74, exec_lo
                                        ; implicit-def: $vgpr50
	v_cmpx_ne_u64_e32 0, v[4:5]
	s_xor_b32 s74, exec_lo, s74
; %bb.5529:                             ;   in Loop: Header=BB4_3365 Depth=4
	v_or_b32_e32 v50, 0x7f, v9
                                        ; implicit-def: $vgpr8
; %bb.5530:                             ;   in Loop: Header=BB4_3365 Depth=4
	s_and_not1_saveexec_b32 s74, s74
; %bb.5531:                             ;   in Loop: Header=BB4_3365 Depth=4
	v_cmp_lt_i32_e32 vcc_lo, -1, v8
	v_cndmask_b32_e32 v50, 0xfc, v49, vcc_lo
; %bb.5532:                             ;   in Loop: Header=BB4_3365 Depth=4
	s_or_b32 exec_lo, exec_lo, s74
.LBB4_5533:                             ;   in Loop: Header=BB4_3365 Depth=4
	s_delay_alu instid0(SALU_CYCLE_1) | instskip(SKIP_3) | instid1(VALU_DEP_2)
	s_or_b32 exec_lo, exec_lo, s13
	v_dual_mov_b32 v5, 0 :: v_dual_lshrrev_b32 v4, 16, v2
	v_mov_b32_e32 v8, 0
	s_mov_b32 s13, exec_lo
	v_and_b32_e32 v9, 0xff, v4
	s_delay_alu instid0(VALU_DEP_1)
	v_cmpx_ne_u16_e32 0, v9
	s_cbranch_execz .LBB4_5543
; %bb.5534:                             ;   in Loop: Header=BB4_3365 Depth=4
	v_bfrev_b32_e32 v8, 1
	s_mov_b32 s74, exec_lo
	v_cmpx_ne_u16_e32 0x80, v9
	s_cbranch_execz .LBB4_5542
; %bb.5535:                             ;   in Loop: Header=BB4_3365 Depth=4
	v_and_b32_e32 v8, 0x7c0000, v2
	v_bfe_u32 v9, v2, 16, 2
	s_delay_alu instid0(VALU_DEP_2) | instskip(SKIP_1) | instid1(SALU_CYCLE_1)
	v_cmp_ne_u32_e32 vcc_lo, 0x7c0000, v8
                                        ; implicit-def: $vgpr8
	s_and_saveexec_b32 s75, vcc_lo
	s_xor_b32 s75, exec_lo, s75
	s_cbranch_execz .LBB4_5539
; %bb.5536:                             ;   in Loop: Header=BB4_3365 Depth=4
	v_bfe_u32 v8, v2, 18, 5
	s_mov_b32 s76, exec_lo
	s_delay_alu instid0(VALU_DEP_1)
	v_cmpx_eq_u32_e32 0, v8
; %bb.5537:                             ;   in Loop: Header=BB4_3365 Depth=4
	v_clz_i32_u32_e32 v8, v9
	s_delay_alu instid0(VALU_DEP_1) | instskip(NEXT) | instid1(VALU_DEP_1)
	v_min_u32_e32 v8, 32, v8
	v_subrev_nc_u32_e32 v9, 29, v8
	s_delay_alu instid0(VALU_DEP_1) | instskip(NEXT) | instid1(VALU_DEP_1)
	v_lshlrev_b64_e32 v[86:87], v9, v[4:5]
	v_dual_sub_nc_u32 v8, 30, v8 :: v_dual_bitop2_b32 v9, 3, v86 bitop3:0x40
; %bb.5538:                             ;   in Loop: Header=BB4_3365 Depth=4
	s_or_b32 exec_lo, exec_lo, s76
	v_lshlrev_b32_e32 v4, 24, v4
	s_delay_alu instid0(VALU_DEP_1) | instskip(NEXT) | instid1(VALU_DEP_1)
	v_and_b32_e32 v4, 0x80000000, v4
	v_lshl_add_u32 v4, v8, 23, v4
	s_delay_alu instid0(VALU_DEP_1) | instskip(NEXT) | instid1(VALU_DEP_1)
	v_lshl_or_b32 v4, v9, 21, v4
                                        ; implicit-def: $vgpr9
	v_add_nc_u32_e32 v8, 0x38000000, v4
                                        ; implicit-def: $vgpr4
.LBB4_5539:                             ;   in Loop: Header=BB4_3365 Depth=4
	s_and_not1_saveexec_b32 s75, s75
; %bb.5540:                             ;   in Loop: Header=BB4_3365 Depth=4
	v_bfe_i32 v4, v4, 0, 8
	s_delay_alu instid0(VALU_DEP_1) | instskip(SKIP_2) | instid1(VALU_DEP_2)
	v_cmp_lt_i16_e32 vcc_lo, -1, v4
	v_cndmask_b32_e32 v4, 0xff800000, v48, vcc_lo
	v_cmp_eq_u32_e32 vcc_lo, 0, v9
	v_cndmask_b32_e32 v8, 0x7f800001, v4, vcc_lo
; %bb.5541:                             ;   in Loop: Header=BB4_3365 Depth=4
	s_or_b32 exec_lo, exec_lo, s75
.LBB4_5542:                             ;   in Loop: Header=BB4_3365 Depth=4
	s_delay_alu instid0(SALU_CYCLE_1)
	s_or_b32 exec_lo, exec_lo, s74
.LBB4_5543:                             ;   in Loop: Header=BB4_3365 Depth=4
	s_delay_alu instid0(SALU_CYCLE_1) | instskip(SKIP_2) | instid1(VALU_DEP_1)
	s_or_b32 exec_lo, exec_lo, s13
	v_lshrrev_b32_e32 v4, 16, v11
	s_mov_b32 s13, exec_lo
	v_and_b32_e32 v9, 0xff, v4
	s_delay_alu instid0(VALU_DEP_1)
	v_cmpx_ne_u16_e32 0, v9
	s_cbranch_execz .LBB4_5553
; %bb.5544:                             ;   in Loop: Header=BB4_3365 Depth=4
	v_bfrev_b32_e32 v5, 1
	s_mov_b32 s74, exec_lo
	v_cmpx_ne_u16_e32 0x80, v9
	s_cbranch_execz .LBB4_5552
; %bb.5545:                             ;   in Loop: Header=BB4_3365 Depth=4
	v_and_b32_e32 v5, 0x7c0000, v11
	v_bfe_u32 v9, v11, 16, 2
	s_delay_alu instid0(VALU_DEP_2) | instskip(SKIP_1) | instid1(SALU_CYCLE_1)
	v_cmp_ne_u32_e32 vcc_lo, 0x7c0000, v5
                                        ; implicit-def: $vgpr5
	s_and_saveexec_b32 s75, vcc_lo
	s_xor_b32 s75, exec_lo, s75
	s_cbranch_execz .LBB4_5549
; %bb.5546:                             ;   in Loop: Header=BB4_3365 Depth=4
	v_bfe_u32 v5, v11, 18, 5
	s_mov_b32 s76, exec_lo
	s_delay_alu instid0(VALU_DEP_1)
	v_cmpx_eq_u32_e32 0, v5
; %bb.5547:                             ;   in Loop: Header=BB4_3365 Depth=4
	v_clz_i32_u32_e32 v5, v9
	s_delay_alu instid0(VALU_DEP_1) | instskip(NEXT) | instid1(VALU_DEP_1)
	v_min_u32_e32 v5, 32, v5
	v_subrev_nc_u32_e32 v9, 29, v5
	s_delay_alu instid0(VALU_DEP_1) | instskip(NEXT) | instid1(VALU_DEP_1)
	v_lshlrev_b64_e32 v[86:87], v9, v[4:5]
	v_dual_sub_nc_u32 v5, 30, v5 :: v_dual_bitop2_b32 v9, 3, v86 bitop3:0x40
; %bb.5548:                             ;   in Loop: Header=BB4_3365 Depth=4
	s_or_b32 exec_lo, exec_lo, s76
	v_lshlrev_b32_e32 v4, 24, v4
	s_delay_alu instid0(VALU_DEP_1) | instskip(NEXT) | instid1(VALU_DEP_1)
	v_and_b32_e32 v4, 0x80000000, v4
	v_lshl_add_u32 v4, v5, 23, v4
	s_delay_alu instid0(VALU_DEP_1) | instskip(NEXT) | instid1(VALU_DEP_1)
	v_lshl_or_b32 v4, v9, 21, v4
                                        ; implicit-def: $vgpr9
	v_add_nc_u32_e32 v5, 0x38000000, v4
                                        ; implicit-def: $vgpr4
.LBB4_5549:                             ;   in Loop: Header=BB4_3365 Depth=4
	s_and_not1_saveexec_b32 s75, s75
; %bb.5550:                             ;   in Loop: Header=BB4_3365 Depth=4
	v_bfe_i32 v4, v4, 0, 8
	s_delay_alu instid0(VALU_DEP_1) | instskip(SKIP_2) | instid1(VALU_DEP_2)
	v_cmp_lt_i16_e32 vcc_lo, -1, v4
	v_cndmask_b32_e32 v4, 0xff800000, v48, vcc_lo
	v_cmp_eq_u32_e32 vcc_lo, 0, v9
	v_cndmask_b32_e32 v5, 0x7f800001, v4, vcc_lo
; %bb.5551:                             ;   in Loop: Header=BB4_3365 Depth=4
	s_or_b32 exec_lo, exec_lo, s75
.LBB4_5552:                             ;   in Loop: Header=BB4_3365 Depth=4
	s_delay_alu instid0(SALU_CYCLE_1)
	s_or_b32 exec_lo, exec_lo, s74
.LBB4_5553:                             ;   in Loop: Header=BB4_3365 Depth=4
	s_delay_alu instid0(SALU_CYCLE_1) | instskip(NEXT) | instid1(VALU_DEP_1)
	s_or_b32 exec_lo, exec_lo, s13
	v_dual_add_f32 v8, v8, v5 :: v_dual_mov_b32 v87, v3
	v_mov_b32_e32 v5, v3
                                        ; implicit-def: $vgpr64
	s_mov_b32 s13, exec_lo
	s_delay_alu instid0(VALU_DEP_2) | instskip(SKIP_2) | instid1(VALU_DEP_3)
	v_and_b32_e32 v86, 0x7f800000, v8
	v_and_b32_e32 v4, 0x7fffff, v8
	v_lshrrev_b32_e32 v9, 24, v8
	v_cmpx_ne_u64_e32 0x7f800000, v[86:87]
	s_xor_b32 s74, exec_lo, s13
	s_cbranch_execz .LBB4_5567
; %bb.5554:                             ;   in Loop: Header=BB4_3365 Depth=4
	v_and_b32_e32 v86, 0x7fffffff, v8
	v_mov_b32_e32 v87, v3
	v_and_b32_e32 v101, 0x80, v9
                                        ; implicit-def: $vgpr64
	s_mov_b32 s13, exec_lo
	s_delay_alu instid0(VALU_DEP_2)
	v_cmpx_gt_u64_e32 0x47600001, v[86:87]
	s_xor_b32 s75, exec_lo, s13
	s_cbranch_execz .LBB4_5564
; %bb.5555:                             ;   in Loop: Header=BB4_3365 Depth=4
	v_mov_b32_e32 v64, 0
	s_mov_b32 s76, exec_lo
	v_cmpx_ne_u32_e32 0, v8
	s_cbranch_execz .LBB4_5563
; %bb.5556:                             ;   in Loop: Header=BB4_3365 Depth=4
	v_bfe_u32 v64, v8, 23, 8
	v_or_b32_e32 v9, 0x800000, v4
	s_delay_alu instid0(VALU_DEP_2) | instskip(SKIP_2) | instid1(VALU_DEP_2)
	v_cmp_gt_u32_e64 s13, 0x72, v64
	v_sub_nc_u32_e32 v8, 0x71, v64
	v_cmp_eq_u32_e32 vcc_lo, 0, v64
	v_cndmask_b32_e64 v8, 0, v8, s13
	s_delay_alu instid0(VALU_DEP_1) | instskip(NEXT) | instid1(VALU_DEP_1)
	v_cndmask_b32_e64 v86, v8, 0x70, vcc_lo
	v_dual_cndmask_b32 v4, v9, v4, vcc_lo :: v_dual_add_nc_u32 v8, 21, v86
	v_add_nc_u32_e32 v87, 20, v86
	s_delay_alu instid0(VALU_DEP_2) | instskip(NEXT) | instid1(VALU_DEP_2)
	v_lshlrev_b64_e64 v[8:9], v8, -1
	v_lshlrev_b64_e64 v[96:97], v87, 1
	s_delay_alu instid0(VALU_DEP_2) | instskip(SKIP_1) | instid1(VALU_DEP_4)
	v_bfi_b32 v8, v8, 0, v4
	v_lshrrev_b64 v[4:5], v86, v[4:5]
	v_bfi_b32 v9, v9, 0, 0
	s_delay_alu instid0(VALU_DEP_1) | instskip(NEXT) | instid1(VALU_DEP_3)
	v_cmp_eq_u64_e64 s13, v[8:9], v[96:97]
	v_mov_b64_e32 v[8:9], v[4:5]
	s_and_saveexec_b32 s77, s13
; %bb.5557:                             ;   in Loop: Header=BB4_3365 Depth=4
	v_bfe_u32 v8, v4, 21, 1
	v_mov_b32_e32 v9, v3
	s_delay_alu instid0(VALU_DEP_1) | instskip(NEXT) | instid1(VALU_DEP_1)
	v_add_nc_u64_e32 v[8:9], v[4:5], v[8:9]
	v_add_nc_u64_e32 v[8:9], -1, v[8:9]
; %bb.5558:                             ;   in Loop: Header=BB4_3365 Depth=4
	s_or_b32 exec_lo, exec_lo, s77
	v_add_nc_u32_e32 v5, 0xffffff81, v64
	v_lshrrev_b32_e32 v9, 23, v4
	s_mov_b32 s13, exec_lo
	s_delay_alu instid0(VALU_DEP_2) | instskip(NEXT) | instid1(VALU_DEP_1)
	v_cndmask_b32_e64 v5, v5, 0xffffff82, vcc_lo
	v_add3_u32 v64, v86, v5, v9
	v_and_b32_e32 v5, 0x1fffff, v8
                                        ; implicit-def: $vgpr8
	s_delay_alu instid0(VALU_DEP_2) | instskip(NEXT) | instid1(VALU_DEP_2)
	v_add_nc_u32_e32 v9, 14, v64
	v_dual_mov_b32 v5, v3 :: v_dual_add_nc_u32 v4, v5, v4
	s_delay_alu instid0(VALU_DEP_2)
	v_cmpx_ne_u32_e32 0, v9
	s_xor_b32 s13, exec_lo, s13
; %bb.5559:                             ;   in Loop: Header=BB4_3365 Depth=4
	s_delay_alu instid0(VALU_DEP_2) | instskip(SKIP_1) | instid1(VALU_DEP_1)
	v_cmp_lt_u64_e32 vcc_lo, 0xffffff, v[4:5]
	v_add_nc_u32_e32 v8, 15, v64
	v_cndmask_b32_e32 v8, v9, v8, vcc_lo
	v_cndmask_b32_e64 v9, 0, 1, vcc_lo
	s_delay_alu instid0(VALU_DEP_1)
	v_lshrrev_b64 v[4:5], v9, v[4:5]
; %bb.5560:                             ;   in Loop: Header=BB4_3365 Depth=4
	s_and_not1_saveexec_b32 s13, s13
; %bb.5561:                             ;   in Loop: Header=BB4_3365 Depth=4
	s_delay_alu instid0(VALU_DEP_1)
	v_bfe_u32 v8, v4, 23, 1
; %bb.5562:                             ;   in Loop: Header=BB4_3365 Depth=4
	s_or_b32 exec_lo, exec_lo, s13
	s_delay_alu instid0(VALU_DEP_2) | instskip(NEXT) | instid1(VALU_DEP_2)
	v_lshrrev_b64 v[4:5], 21, v[4:5]
	v_cmp_gt_i32_e32 vcc_lo, 32, v8
	v_min_i32_e32 v9, 31, v8
	v_cmp_eq_u32_e64 s13, 0, v8
	s_delay_alu instid0(VALU_DEP_4) | instskip(NEXT) | instid1(VALU_DEP_3)
	v_cndmask_b32_e32 v5, 0, v5, vcc_lo
	v_dual_cndmask_b32 v4, 3, v4 :: v_dual_lshlrev_b32 v9, 2, v9
	s_delay_alu instid0(VALU_DEP_1) | instskip(NEXT) | instid1(VALU_DEP_2)
	v_and_b32_e32 v9, 0xfc, v9
	v_cmp_eq_u64_e32 vcc_lo, 0, v[4:5]
	s_delay_alu instid0(VALU_DEP_2)
	v_and_or_b32 v4, v4, 3, v9
	s_and_b32 s13, s13, vcc_lo
	s_delay_alu instid0(VALU_DEP_1) | instid1(SALU_CYCLE_1)
	v_cndmask_b32_e64 v4, v4, 0, s13
	s_delay_alu instid0(VALU_DEP_1)
	v_or_b32_e32 v64, v4, v101
.LBB4_5563:                             ;   in Loop: Header=BB4_3365 Depth=4
	s_or_b32 exec_lo, exec_lo, s76
                                        ; implicit-def: $vgpr101
.LBB4_5564:                             ;   in Loop: Header=BB4_3365 Depth=4
	s_and_not1_saveexec_b32 s13, s75
; %bb.5565:                             ;   in Loop: Header=BB4_3365 Depth=4
	v_or_b32_e32 v64, 0x7b, v101
; %bb.5566:                             ;   in Loop: Header=BB4_3365 Depth=4
	s_or_b32 exec_lo, exec_lo, s13
                                        ; implicit-def: $vgpr8
                                        ; implicit-def: $vgpr4_vgpr5
                                        ; implicit-def: $vgpr9
.LBB4_5567:                             ;   in Loop: Header=BB4_3365 Depth=4
	s_and_not1_saveexec_b32 s13, s74
	s_cbranch_execz .LBB4_5573
; %bb.5568:                             ;   in Loop: Header=BB4_3365 Depth=4
	s_mov_b32 s74, exec_lo
                                        ; implicit-def: $vgpr64
	v_cmpx_ne_u64_e32 0, v[4:5]
	s_xor_b32 s74, exec_lo, s74
; %bb.5569:                             ;   in Loop: Header=BB4_3365 Depth=4
	v_or_b32_e32 v64, 0x7f, v9
                                        ; implicit-def: $vgpr8
; %bb.5570:                             ;   in Loop: Header=BB4_3365 Depth=4
	s_and_not1_saveexec_b32 s74, s74
; %bb.5571:                             ;   in Loop: Header=BB4_3365 Depth=4
	v_cmp_lt_i32_e32 vcc_lo, -1, v8
	v_cndmask_b32_e32 v64, 0xfc, v49, vcc_lo
; %bb.5572:                             ;   in Loop: Header=BB4_3365 Depth=4
	s_or_b32 exec_lo, exec_lo, s74
.LBB4_5573:                             ;   in Loop: Header=BB4_3365 Depth=4
	s_delay_alu instid0(SALU_CYCLE_1)
	s_or_b32 exec_lo, exec_lo, s13
	v_dual_mov_b32 v5, 0 :: v_dual_mov_b32 v8, 0
	s_mov_b32 s13, exec_lo
	v_cmpx_lt_u32_e32 0xffffff, v2
	s_cbranch_execz .LBB4_5583
; %bb.5574:                             ;   in Loop: Header=BB4_3365 Depth=4
	v_lshrrev_b32_e32 v4, 24, v2
	v_bfrev_b32_e32 v8, 1
	s_mov_b32 s74, exec_lo
	s_delay_alu instid0(VALU_DEP_2)
	v_cmpx_ne_u32_e32 0x80, v4
	s_cbranch_execz .LBB4_5582
; %bb.5575:                             ;   in Loop: Header=BB4_3365 Depth=4
	v_and_b32_e32 v8, 0x7c000000, v2
	v_bfe_u32 v9, v2, 24, 2
	s_delay_alu instid0(VALU_DEP_2) | instskip(SKIP_1) | instid1(SALU_CYCLE_1)
	v_cmp_ne_u32_e32 vcc_lo, 0x7c000000, v8
                                        ; implicit-def: $vgpr8
	s_and_saveexec_b32 s75, vcc_lo
	s_xor_b32 s75, exec_lo, s75
	s_cbranch_execz .LBB4_5579
; %bb.5576:                             ;   in Loop: Header=BB4_3365 Depth=4
	v_bfe_u32 v8, v2, 26, 5
	s_mov_b32 s76, exec_lo
	s_delay_alu instid0(VALU_DEP_1)
	v_cmpx_eq_u32_e32 0, v8
; %bb.5577:                             ;   in Loop: Header=BB4_3365 Depth=4
	v_clz_i32_u32_e32 v8, v9
	s_delay_alu instid0(VALU_DEP_1) | instskip(NEXT) | instid1(VALU_DEP_1)
	v_min_u32_e32 v8, 32, v8
	v_subrev_nc_u32_e32 v9, 29, v8
	s_delay_alu instid0(VALU_DEP_1) | instskip(NEXT) | instid1(VALU_DEP_1)
	v_lshlrev_b64_e32 v[86:87], v9, v[4:5]
	v_dual_sub_nc_u32 v8, 30, v8 :: v_dual_bitop2_b32 v9, 3, v86 bitop3:0x40
; %bb.5578:                             ;   in Loop: Header=BB4_3365 Depth=4
	s_or_b32 exec_lo, exec_lo, s76
	v_and_b32_e32 v2, 0x80000000, v2
	s_delay_alu instid0(VALU_DEP_1) | instskip(NEXT) | instid1(VALU_DEP_1)
	v_lshl_add_u32 v2, v8, 23, v2
	v_lshl_or_b32 v2, v9, 21, v2
                                        ; implicit-def: $vgpr9
	s_delay_alu instid0(VALU_DEP_1)
	v_add_nc_u32_e32 v8, 0x38000000, v2
.LBB4_5579:                             ;   in Loop: Header=BB4_3365 Depth=4
	s_and_not1_saveexec_b32 s75, s75
; %bb.5580:                             ;   in Loop: Header=BB4_3365 Depth=4
	v_cmp_lt_i32_e32 vcc_lo, -1, v2
	v_cndmask_b32_e32 v2, 0xff800000, v48, vcc_lo
	v_cmp_eq_u32_e32 vcc_lo, 0, v9
	s_delay_alu instid0(VALU_DEP_2)
	v_cndmask_b32_e32 v8, 0x7f800001, v2, vcc_lo
; %bb.5581:                             ;   in Loop: Header=BB4_3365 Depth=4
	s_or_b32 exec_lo, exec_lo, s75
.LBB4_5582:                             ;   in Loop: Header=BB4_3365 Depth=4
	s_delay_alu instid0(SALU_CYCLE_1)
	s_or_b32 exec_lo, exec_lo, s74
.LBB4_5583:                             ;   in Loop: Header=BB4_3365 Depth=4
	s_delay_alu instid0(SALU_CYCLE_1) | instskip(NEXT) | instid1(SALU_CYCLE_1)
	s_or_b32 exec_lo, exec_lo, s13
	s_mov_b32 s13, exec_lo
	v_cmpx_lt_u64_e64 s[22:23], v[10:11]
	s_cbranch_execz .LBB4_5593
; %bb.5584:                             ;   in Loop: Header=BB4_3365 Depth=4
	v_lshrrev_b32_e32 v2, 24, v11
	v_bfrev_b32_e32 v5, 1
	s_mov_b32 s74, exec_lo
	s_delay_alu instid0(VALU_DEP_2)
	v_cmpx_ne_u32_e32 0x80, v2
	s_cbranch_execz .LBB4_5592
; %bb.5585:                             ;   in Loop: Header=BB4_3365 Depth=4
	v_and_b32_e32 v5, 0x7c000000, v11
	v_bfe_u32 v4, v11, 24, 2
	s_delay_alu instid0(VALU_DEP_2) | instskip(SKIP_1) | instid1(SALU_CYCLE_1)
	v_cmp_ne_u32_e32 vcc_lo, 0x7c000000, v5
                                        ; implicit-def: $vgpr5
	s_and_saveexec_b32 s75, vcc_lo
	s_xor_b32 s75, exec_lo, s75
	s_cbranch_execz .LBB4_5589
; %bb.5586:                             ;   in Loop: Header=BB4_3365 Depth=4
	v_bfe_u32 v5, v11, 26, 5
	s_mov_b32 s76, exec_lo
	s_delay_alu instid0(VALU_DEP_1)
	v_cmpx_eq_u32_e32 0, v5
; %bb.5587:                             ;   in Loop: Header=BB4_3365 Depth=4
	v_clz_i32_u32_e32 v4, v4
	s_delay_alu instid0(VALU_DEP_1) | instskip(NEXT) | instid1(VALU_DEP_1)
	v_min_u32_e32 v9, 32, v4
	v_subrev_nc_u32_e32 v4, 29, v9
	s_delay_alu instid0(VALU_DEP_1) | instskip(NEXT) | instid1(VALU_DEP_1)
	v_lshlrev_b64_e32 v[4:5], v4, v[2:3]
	v_dual_sub_nc_u32 v5, 30, v9 :: v_dual_bitop2_b32 v4, 3, v4 bitop3:0x40
; %bb.5588:                             ;   in Loop: Header=BB4_3365 Depth=4
	s_or_b32 exec_lo, exec_lo, s76
	v_and_b32_e32 v2, 0x80000000, v11
                                        ; implicit-def: $vgpr10_vgpr11
	s_delay_alu instid0(VALU_DEP_1) | instskip(NEXT) | instid1(VALU_DEP_1)
	v_lshl_add_u32 v2, v5, 23, v2
	v_lshl_or_b32 v2, v4, 21, v2
                                        ; implicit-def: $vgpr4
	s_delay_alu instid0(VALU_DEP_1)
	v_add_nc_u32_e32 v5, 0x38000000, v2
.LBB4_5589:                             ;   in Loop: Header=BB4_3365 Depth=4
	s_and_not1_saveexec_b32 s75, s75
; %bb.5590:                             ;   in Loop: Header=BB4_3365 Depth=4
	v_cmp_lt_i64_e32 vcc_lo, -1, v[10:11]
	v_cndmask_b32_e32 v2, 0xff800000, v48, vcc_lo
	v_cmp_eq_u32_e32 vcc_lo, 0, v4
	s_delay_alu instid0(VALU_DEP_2)
	v_cndmask_b32_e32 v5, 0x7f800001, v2, vcc_lo
; %bb.5591:                             ;   in Loop: Header=BB4_3365 Depth=4
	s_or_b32 exec_lo, exec_lo, s75
.LBB4_5592:                             ;   in Loop: Header=BB4_3365 Depth=4
	s_delay_alu instid0(SALU_CYCLE_1)
	s_or_b32 exec_lo, exec_lo, s74
.LBB4_5593:                             ;   in Loop: Header=BB4_3365 Depth=4
	s_delay_alu instid0(SALU_CYCLE_1) | instskip(NEXT) | instid1(VALU_DEP_1)
	s_or_b32 exec_lo, exec_lo, s13
	v_dual_add_f32 v5, v8, v5 :: v_dual_mov_b32 v9, v3
                                        ; implicit-def: $vgpr4
	s_delay_alu instid0(VALU_DEP_1) | instskip(SKIP_1) | instid1(VALU_DEP_2)
	v_and_b32_e32 v8, 0x7f800000, v5
	v_and_b32_e32 v2, 0x7fffff, v5
	v_cmp_ne_u64_e32 vcc_lo, 0x7f800000, v[8:9]
	v_lshrrev_b32_e32 v8, 24, v5
	s_and_saveexec_b32 s13, vcc_lo
	s_delay_alu instid0(SALU_CYCLE_1)
	s_xor_b32 s74, exec_lo, s13
	s_cbranch_execz .LBB4_5607
; %bb.5594:                             ;   in Loop: Header=BB4_3365 Depth=4
	v_and_b32_e32 v10, 0x7fffffff, v5
	v_mov_b32_e32 v11, v3
                                        ; implicit-def: $vgpr4
	s_delay_alu instid0(VALU_DEP_1) | instskip(SKIP_2) | instid1(SALU_CYCLE_1)
	v_cmp_gt_u64_e32 vcc_lo, 0x47600001, v[10:11]
	v_and_b32_e32 v10, 0x80, v8
	s_and_saveexec_b32 s13, vcc_lo
	s_xor_b32 s75, exec_lo, s13
	s_cbranch_execz .LBB4_5604
; %bb.5595:                             ;   in Loop: Header=BB4_3365 Depth=4
	v_mov_b32_e32 v4, 0
	s_mov_b32 s76, exec_lo
	v_cmpx_ne_u32_e32 0, v5
	s_cbranch_execz .LBB4_5603
; %bb.5596:                             ;   in Loop: Header=BB4_3365 Depth=4
	v_bfe_u32 v11, v5, 23, 8
	v_or_b32_e32 v5, 0x800000, v2
	s_delay_alu instid0(VALU_DEP_2) | instskip(SKIP_2) | instid1(VALU_DEP_2)
	v_cmp_gt_u32_e64 s13, 0x72, v11
	v_sub_nc_u32_e32 v4, 0x71, v11
	v_cmp_eq_u32_e32 vcc_lo, 0, v11
	v_cndmask_b32_e64 v4, 0, v4, s13
	s_delay_alu instid0(VALU_DEP_1) | instskip(SKIP_1) | instid1(VALU_DEP_2)
	v_cndmask_b32_e64 v101, v4, 0x70, vcc_lo
	v_dual_cndmask_b32 v4, v5, v2 :: v_dual_mov_b32 v5, v3
	v_add_nc_u32_e32 v2, 21, v101
	s_delay_alu instid0(VALU_DEP_1) | instskip(SKIP_1) | instid1(VALU_DEP_1)
	v_lshlrev_b64_e64 v[8:9], v2, -1
	v_add_nc_u32_e32 v2, 20, v101
	v_lshlrev_b64_e64 v[86:87], v2, 1
	s_delay_alu instid0(VALU_DEP_3) | instskip(SKIP_2) | instid1(VALU_DEP_1)
	v_bfi_b32 v8, v8, 0, v4
	v_lshrrev_b64 v[4:5], v101, v[4:5]
	v_bfi_b32 v9, v9, 0, 0
	v_cmp_eq_u64_e64 s13, v[8:9], v[86:87]
	s_delay_alu instid0(VALU_DEP_3)
	v_mov_b64_e32 v[8:9], v[4:5]
	s_and_saveexec_b32 s77, s13
; %bb.5597:                             ;   in Loop: Header=BB4_3365 Depth=4
	v_bfe_u32 v8, v4, 21, 1
	v_mov_b32_e32 v9, v3
	s_delay_alu instid0(VALU_DEP_1) | instskip(NEXT) | instid1(VALU_DEP_1)
	v_add_nc_u64_e32 v[8:9], v[4:5], v[8:9]
	v_add_nc_u64_e32 v[8:9], -1, v[8:9]
; %bb.5598:                             ;   in Loop: Header=BB4_3365 Depth=4
	s_or_b32 exec_lo, exec_lo, s77
	v_add_nc_u32_e32 v2, 0xffffff81, v11
	v_lshrrev_b32_e32 v5, 23, v4
	s_mov_b32 s13, exec_lo
	s_delay_alu instid0(VALU_DEP_2) | instskip(NEXT) | instid1(VALU_DEP_1)
	v_cndmask_b32_e64 v2, v2, 0xffffff82, vcc_lo
	v_add3_u32 v9, v101, v2, v5
	v_and_b32_e32 v2, 0x1fffff, v8
                                        ; implicit-def: $vgpr8
	s_delay_alu instid0(VALU_DEP_1) | instskip(NEXT) | instid1(VALU_DEP_1)
	v_dual_add_nc_u32 v11, 14, v9 :: v_dual_add_nc_u32 v2, v2, v4
                                        ; implicit-def: $vgpr4_vgpr5
	v_cmpx_ne_u32_e32 0, v11
	s_xor_b32 s13, exec_lo, s13
; %bb.5599:                             ;   in Loop: Header=BB4_3365 Depth=4
	s_delay_alu instid0(VALU_DEP_2) | instskip(SKIP_1) | instid1(VALU_DEP_1)
	v_cmp_lt_u64_e32 vcc_lo, 0xffffff, v[2:3]
	v_add_nc_u32_e32 v4, 15, v9
	v_cndmask_b32_e32 v8, v11, v4, vcc_lo
	v_cndmask_b32_e64 v4, 0, 1, vcc_lo
	s_delay_alu instid0(VALU_DEP_1)
	v_lshrrev_b64 v[4:5], v4, v[2:3]
; %bb.5600:                             ;   in Loop: Header=BB4_3365 Depth=4
	s_and_not1_saveexec_b32 s13, s13
; %bb.5601:                             ;   in Loop: Header=BB4_3365 Depth=4
	v_mov_b64_e32 v[4:5], v[2:3]
	v_bfe_u32 v8, v2, 23, 1
; %bb.5602:                             ;   in Loop: Header=BB4_3365 Depth=4
	s_or_b32 exec_lo, exec_lo, s13
	s_delay_alu instid0(VALU_DEP_2) | instskip(NEXT) | instid1(VALU_DEP_2)
	v_lshrrev_b64 v[4:5], 21, v[4:5]
	v_cmp_gt_i32_e32 vcc_lo, 32, v8
	v_min_i32_e32 v2, 31, v8
	v_cmp_eq_u32_e64 s13, 0, v8
	s_delay_alu instid0(VALU_DEP_2) | instskip(SKIP_1) | instid1(VALU_DEP_2)
	v_dual_cndmask_b32 v5, 0, v5 :: v_dual_lshlrev_b32 v2, 2, v2
	v_cndmask_b32_e32 v4, 3, v4, vcc_lo
	v_and_b32_e32 v2, 0xfc, v2
	s_delay_alu instid0(VALU_DEP_2) | instskip(NEXT) | instid1(VALU_DEP_2)
	v_cmp_eq_u64_e32 vcc_lo, 0, v[4:5]
	v_and_or_b32 v2, v4, 3, v2
	s_and_b32 s13, s13, vcc_lo
	s_delay_alu instid0(VALU_DEP_1) | instid1(SALU_CYCLE_1)
	v_cndmask_b32_e64 v2, v2, 0, s13
	s_delay_alu instid0(VALU_DEP_1)
	v_or_b32_e32 v4, v2, v10
.LBB4_5603:                             ;   in Loop: Header=BB4_3365 Depth=4
	s_or_b32 exec_lo, exec_lo, s76
                                        ; implicit-def: $vgpr10
.LBB4_5604:                             ;   in Loop: Header=BB4_3365 Depth=4
	s_and_not1_saveexec_b32 s13, s75
; %bb.5605:                             ;   in Loop: Header=BB4_3365 Depth=4
	v_or_b32_e32 v4, 0x7b, v10
; %bb.5606:                             ;   in Loop: Header=BB4_3365 Depth=4
	s_or_b32 exec_lo, exec_lo, s13
                                        ; implicit-def: $vgpr5
                                        ; implicit-def: $vgpr8
.LBB4_5607:                             ;   in Loop: Header=BB4_3365 Depth=4
	s_and_not1_saveexec_b32 s13, s74
	s_cbranch_execz .LBB4_3364
; %bb.5608:                             ;   in Loop: Header=BB4_3365 Depth=4
	s_mov_b32 s74, exec_lo
                                        ; implicit-def: $vgpr4
	v_cmpx_ne_u64_e32 0, v[2:3]
	s_xor_b32 s74, exec_lo, s74
; %bb.5609:                             ;   in Loop: Header=BB4_3365 Depth=4
	v_or_b32_e32 v4, 0x7f, v8
                                        ; implicit-def: $vgpr5
; %bb.5610:                             ;   in Loop: Header=BB4_3365 Depth=4
	s_and_not1_saveexec_b32 s74, s74
	s_cbranch_execz .LBB4_3363
; %bb.5611:                             ;   in Loop: Header=BB4_3365 Depth=4
	v_cmp_lt_i32_e32 vcc_lo, -1, v5
	v_cndmask_b32_e32 v4, 0xfc, v49, vcc_lo
	s_branch .LBB4_3363
.LBB4_5612:                             ;   in Loop: Header=BB4_3282 Depth=3
	s_or_b32 exec_lo, exec_lo, s15
.LBB4_5613:                             ;   in Loop: Header=BB4_3282 Depth=3
	s_delay_alu instid0(SALU_CYCLE_1) | instskip(SKIP_3) | instid1(VALU_DEP_1)
	s_or_b32 exec_lo, exec_lo, s14
	v_dual_mov_b32 v113, 0 :: v_dual_lshlrev_b32 v20, 10, v19
	s_mov_b32 s13, 0
	s_mov_b32 s15, exec_lo
                                        ; implicit-def: $vgpr115
                                        ; implicit-def: $vgpr124
	v_cmpx_ne_u32_e64 v103, v20
	s_cbranch_execz .LBB4_6683
; %bb.5614:                             ;   in Loop: Header=BB4_3282 Depth=3
	v_dual_lshlrev_b32 v2, 5, v18 :: v_dual_bitop2_b32 v4, 31, v0 bitop3:0x40
	s_mov_b32 s72, exec_lo
	s_delay_alu instid0(VALU_DEP_1) | instskip(NEXT) | instid1(VALU_DEP_1)
	v_dual_sub_nc_u32 v5, v103, v20 :: v_dual_sub_nc_u32 v2, v4, v2
	v_dual_ashrrev_i32 v8, 31, v5 :: v_dual_ashrrev_i32 v4, 31, v2
	s_delay_alu instid0(VALU_DEP_1) | instskip(NEXT) | instid1(VALU_DEP_2)
	v_lshrrev_b32_e32 v8, 23, v8
	v_lshrrev_b32_e32 v4, 27, v4
	s_delay_alu instid0(VALU_DEP_1) | instskip(NEXT) | instid1(VALU_DEP_1)
	v_add_nc_u32_e32 v4, v2, v4
	v_and_b32_e32 v9, 0xffffffe0, v4
	s_delay_alu instid0(VALU_DEP_1) | instskip(NEXT) | instid1(VALU_DEP_1)
	v_sub_nc_u32_e32 v21, v2, v9
	v_dual_lshlrev_b32 v2, 4, v21 :: v_dual_ashrrev_i32 v4, 5, v4
	s_delay_alu instid0(VALU_DEP_1) | instskip(NEXT) | instid1(VALU_DEP_1)
	v_lshl_add_u32 v2, v4, 9, v2
	v_dual_add_nc_u32 v8, v5, v8 :: v_dual_sub_nc_u32 v51, v5, v2
	s_delay_alu instid0(VALU_DEP_1) | instskip(NEXT) | instid1(VALU_DEP_1)
	v_and_b32_e32 v30, 0xfffffe00, v8
	v_dual_ashrrev_i32 v8, 9, v8 :: v_dual_sub_nc_u32 v31, v5, v30
	s_delay_alu instid0(VALU_DEP_1) | instskip(NEXT) | instid1(VALU_DEP_1)
	v_cmp_lt_i32_e64 s13, 15, v31
	v_add_co_ci_u32_e64 v8, null, 0, v8, s13
	s_delay_alu instid0(VALU_DEP_1)
	v_sub_nc_u32_e32 v50, v8, v4
	v_cmpx_lt_i32_e32 15, v51
	s_cbranch_execz .LBB4_6682
; %bb.5615:                             ;   in Loop: Header=BB4_3282 Depth=3
	s_trap 2
	ds_load_b64 v[4:5], v0
	v_add_nc_u32_e32 v8, v2, v20
	s_delay_alu instid0(VALU_DEP_1) | instskip(NEXT) | instid1(VALU_DEP_1)
	v_ashrrev_i32_e32 v9, 31, v8
	v_add_nc_u64_e32 v[12:13], v[8:9], v[118:119]
	v_add_nc_u64_e32 v[14:15], v[8:9], v[40:41]
	s_wait_dscnt 0x0
	v_readfirstlane_b32 s74, v4
	v_readfirstlane_b32 s75, v5
	v_add_nc_u64_e32 v[42:43], v[4:5], v[8:9]
	s_and_b32 s73, s74, 3
	s_bfe_i32 s14, s74, 0x80000
	s_clz_i32_u32 s78, s73
	s_bfe_u32 s76, s74, 0x50002
	s_min_u32 s78, s78, 32
	s_and_b32 s77, s74, 0x7c
	s_sub_co_i32 s89, s78, 29
	s_lshl_b32 s79, s74, 24
	s_sext_i32_i8 s88, s74
	s_lshl_b64 s[74:75], s[74:75], s89
	s_and_b32 s79, s79, 0x80000000
	s_sub_co_i32 s75, 30, s78
	s_and_b32 s74, s74, 3
	s_cmp_gt_i32 s88, -1
	s_cselect_b32 s78, s47, 0xff800000
	s_cmp_eq_u32 s73, 0
	s_cselect_b32 s78, s78, 0x7f800001
	s_cmp_eq_u32 s76, 0
	s_cselect_b32 s75, s75, s76
	s_cselect_b32 s73, s74, s73
	s_lshl_b32 s74, s75, 23
	s_lshl_b32 s73, s73, 21
	s_add_co_i32 s74, s74, s79
	s_delay_alu instid0(SALU_CYCLE_1) | instskip(NEXT) | instid1(SALU_CYCLE_1)
	s_or_b32 s73, s74, s73
	s_add_co_i32 s74, s73, 0x38000000
	s_cmp_eq_u32 s77, 0x7c
	s_mov_b32 s73, 0
	s_cselect_b32 s74, s78, s74
	s_and_b32 s75, s14, 0xff
	s_branch .LBB4_5618
.LBB4_5616:                             ;   in Loop: Header=BB4_5618 Depth=4
	s_or_b32 exec_lo, exec_lo, s76
.LBB4_5617:                             ;   in Loop: Header=BB4_5618 Depth=4
	s_delay_alu instid0(SALU_CYCLE_1)
	s_or_b32 exec_lo, exec_lo, s14
	v_lshl_or_b32 v2, v19, 8, v18
	v_dual_lshlrev_b32 v5, 16, v47 :: v_dual_lshlrev_b32 v8, 24, v57
	v_lshl_or_b32 v10, v66, 8, v64
	v_dual_lshlrev_b32 v11, 16, v101 :: v_dual_lshlrev_b32 v18, 24, v44
	;; [unrolled: 2-line block ×3, first 2 shown]
	v_dual_lshlrev_b32 v4, 24, v4 :: v_dual_lshlrev_b32 v65, 16, v65
	v_lshl_or_b32 v16, v17, 8, v16
	v_or3_b32 v9, v2, v5, v8
	v_or3_b32 v8, v10, v11, v18
	;; [unrolled: 1-line block ×3, first 2 shown]
	v_dual_sub_nc_u32 v51, v51, v54 :: v_dual_sub_nc_u32 v50, v50, v36
	v_or3_b32 v11, v16, v65, v4
	v_add_nc_u64_e32 v[12:13], v[12:13], v[54:55]
	v_add_nc_u64_e32 v[42:43], v[42:43], v[54:55]
	s_delay_alu instid0(VALU_DEP_4) | instskip(SKIP_4) | instid1(SALU_CYCLE_1)
	v_cmp_gt_i32_e32 vcc_lo, 16, v51
	global_store_b128 v[14:15], v[8:11], off th:TH_STORE_NT
	s_wait_xcnt 0x0
	v_add_nc_u64_e32 v[14:15], v[14:15], v[54:55]
	s_or_b32 s73, vcc_lo, s73
	s_and_not1_b32 exec_lo, exec_lo, s73
	s_cbranch_execz .LBB4_6681
.LBB4_5618:                             ;   Parent Loop BB4_47 Depth=1
                                        ;     Parent Loop BB4_3279 Depth=2
                                        ;       Parent Loop BB4_3282 Depth=3
                                        ; =>      This Inner Loop Header: Depth=4
	s_cmp_lt_i32 s75, 0x80
	s_cbranch_scc1 .LBB4_5622
; %bb.5619:                             ;   in Loop: Header=BB4_5618 Depth=4
	s_and_b32 s14, 0xffff, s75
	s_delay_alu instid0(SALU_CYCLE_1)
	s_cmp_eq_u32 s14, 0x80
	s_mov_b32 s14, -1
	s_cbranch_scc0 .LBB4_5621
; %bb.5620:                             ;   in Loop: Header=BB4_5618 Depth=4
	s_mov_b32 s14, 0
.LBB4_5621:                             ;   in Loop: Header=BB4_5618 Depth=4
	s_brev_b32 s76, 1
	s_branch .LBB4_5624
.LBB4_5622:                             ;   in Loop: Header=BB4_5618 Depth=4
	s_mov_b32 s14, 0
	s_brev_b32 s76, 1
	s_cbranch_execz .LBB4_5624
; %bb.5623:                             ;   in Loop: Header=BB4_5618 Depth=4
	s_and_b32 s14, 0xffff, s75
	s_mov_b32 s76, 0
	s_cmp_lg_u32 s14, 0
	s_cselect_b32 s14, -1, 0
.LBB4_5624:                             ;   in Loop: Header=BB4_5618 Depth=4
	s_delay_alu instid0(SALU_CYCLE_1)
	s_and_not1_b32 vcc_lo, exec_lo, s14
	s_cbranch_vccnz .LBB4_5626
; %bb.5625:                             ;   in Loop: Header=BB4_5618 Depth=4
	s_mov_b32 s76, s74
.LBB4_5626:                             ;   in Loop: Header=BB4_5618 Depth=4
	global_load_b128 v[8:11], v[12:13], off th:TH_LOAD_NT
	s_wait_loadcnt 0x0
	v_and_b32_e32 v2, 0xff, v8
	s_delay_alu instid0(VALU_DEP_1)
	v_cmp_ne_u16_e32 vcc_lo, 0, v2
	v_mov_b32_e32 v2, 0
	s_wait_xcnt 0x0
	s_and_saveexec_b32 s14, vcc_lo
	s_cbranch_execz .LBB4_5636
; %bb.5627:                             ;   in Loop: Header=BB4_5618 Depth=4
	v_bfe_i32 v5, v8, 0, 8
	v_bfrev_b32_e32 v2, 1
	s_mov_b32 s77, exec_lo
	s_delay_alu instid0(VALU_DEP_2)
	v_cmpx_ne_u16_e32 0xff80, v5
	s_cbranch_execz .LBB4_5635
; %bb.5628:                             ;   in Loop: Header=BB4_5618 Depth=4
	v_and_b32_e32 v2, 0x7c, v8
	v_and_b32_e32 v4, 3, v8
	s_delay_alu instid0(VALU_DEP_2) | instskip(SKIP_1) | instid1(SALU_CYCLE_1)
	v_cmp_ne_u32_e32 vcc_lo, 0x7c, v2
                                        ; implicit-def: $vgpr2
	s_and_saveexec_b32 s78, vcc_lo
	s_xor_b32 s78, exec_lo, s78
	s_cbranch_execz .LBB4_5632
; %bb.5629:                             ;   in Loop: Header=BB4_5618 Depth=4
	v_bfe_u32 v2, v8, 2, 5
	s_mov_b32 s79, exec_lo
	s_delay_alu instid0(VALU_DEP_1)
	v_cmpx_eq_u32_e32 0, v2
; %bb.5630:                             ;   in Loop: Header=BB4_5618 Depth=4
	v_clz_i32_u32_e32 v2, v4
	s_delay_alu instid0(VALU_DEP_1) | instskip(NEXT) | instid1(VALU_DEP_1)
	v_min_u32_e32 v2, 32, v2
	v_subrev_nc_u32_e32 v4, 29, v2
	s_delay_alu instid0(VALU_DEP_1) | instskip(NEXT) | instid1(VALU_DEP_1)
	v_lshlrev_b64_e32 v[4:5], v4, v[8:9]
	v_dual_sub_nc_u32 v2, 30, v2 :: v_dual_bitop2_b32 v4, 3, v4 bitop3:0x40
; %bb.5631:                             ;   in Loop: Header=BB4_5618 Depth=4
	s_or_b32 exec_lo, exec_lo, s79
	v_lshlrev_b32_e32 v5, 24, v8
	s_delay_alu instid0(VALU_DEP_1) | instskip(NEXT) | instid1(VALU_DEP_1)
	v_and_b32_e32 v5, 0x80000000, v5
	v_lshl_add_u32 v2, v2, 23, v5
                                        ; implicit-def: $vgpr5
	s_delay_alu instid0(VALU_DEP_1) | instskip(NEXT) | instid1(VALU_DEP_1)
	v_lshl_or_b32 v2, v4, 21, v2
                                        ; implicit-def: $vgpr4
	v_add_nc_u32_e32 v2, 0x38000000, v2
.LBB4_5632:                             ;   in Loop: Header=BB4_5618 Depth=4
	s_and_not1_saveexec_b32 s78, s78
; %bb.5633:                             ;   in Loop: Header=BB4_5618 Depth=4
	v_cmp_lt_i16_e32 vcc_lo, -1, v5
	v_cndmask_b32_e32 v2, 0xff800000, v48, vcc_lo
	v_cmp_eq_u32_e32 vcc_lo, 0, v4
	s_delay_alu instid0(VALU_DEP_2)
	v_cndmask_b32_e32 v2, 0x7f800001, v2, vcc_lo
; %bb.5634:                             ;   in Loop: Header=BB4_5618 Depth=4
	s_or_b32 exec_lo, exec_lo, s78
.LBB4_5635:                             ;   in Loop: Header=BB4_5618 Depth=4
	s_delay_alu instid0(SALU_CYCLE_1)
	s_or_b32 exec_lo, exec_lo, s77
.LBB4_5636:                             ;   in Loop: Header=BB4_5618 Depth=4
	s_delay_alu instid0(SALU_CYCLE_1) | instskip(NEXT) | instid1(VALU_DEP_1)
	s_or_b32 exec_lo, exec_lo, s14
	v_dual_mul_f32 v4, s76, v2 :: v_dual_mov_b32 v17, v3
                                        ; implicit-def: $vgpr19
	s_mov_b32 s14, exec_lo
	s_delay_alu instid0(VALU_DEP_1) | instskip(SKIP_2) | instid1(VALU_DEP_3)
	v_and_b32_e32 v16, 0x7f800000, v4
	v_and_b32_e32 v2, 0x7fffff, v4
	v_lshrrev_b32_e32 v5, 24, v4
	v_cmpx_ne_u64_e32 0x7f800000, v[16:17]
	s_xor_b32 s77, exec_lo, s14
	s_cbranch_execz .LBB4_5650
; %bb.5637:                             ;   in Loop: Header=BB4_5618 Depth=4
	v_and_b32_e32 v16, 0x7fffffff, v4
	v_mov_b32_e32 v17, v3
	v_and_b32_e32 v18, 0x80, v5
                                        ; implicit-def: $vgpr19
	s_mov_b32 s14, exec_lo
	s_delay_alu instid0(VALU_DEP_2)
	v_cmpx_gt_u64_e32 0x47600001, v[16:17]
	s_xor_b32 s78, exec_lo, s14
	s_cbranch_execz .LBB4_5647
; %bb.5638:                             ;   in Loop: Header=BB4_5618 Depth=4
	v_mov_b32_e32 v19, 0
	s_mov_b32 s79, exec_lo
	v_cmpx_ne_u32_e32 0, v4
	s_cbranch_execz .LBB4_5646
; %bb.5639:                             ;   in Loop: Header=BB4_5618 Depth=4
	v_bfe_u32 v19, v4, 23, 8
	v_or_b32_e32 v16, 0x800000, v2
	s_mov_b32 s88, exec_lo
	s_delay_alu instid0(VALU_DEP_2) | instskip(SKIP_1) | instid1(VALU_DEP_2)
	v_dual_mov_b32 v17, v3 :: v_dual_sub_nc_u32 v4, 0x71, v19
	v_cmp_gt_u32_e32 vcc_lo, 0x72, v19
	v_cndmask_b32_e32 v4, 0, v4, vcc_lo
	v_cmp_eq_u32_e32 vcc_lo, 0, v19
	v_cndmask_b32_e32 v16, v16, v2, vcc_lo
	s_delay_alu instid0(VALU_DEP_3) | instskip(NEXT) | instid1(VALU_DEP_1)
	v_cndmask_b32_e64 v64, v4, 0x70, vcc_lo
	v_dual_add_nc_u32 v4, 21, v64 :: v_dual_add_nc_u32 v65, 20, v64
	s_delay_alu instid0(VALU_DEP_1) | instskip(NEXT) | instid1(VALU_DEP_2)
	v_lshlrev_b64_e64 v[4:5], v4, -1
	v_lshlrev_b64_e64 v[66:67], v65, 1
	s_delay_alu instid0(VALU_DEP_2) | instskip(NEXT) | instid1(VALU_DEP_3)
	v_bfi_b32 v87, v5, 0, 0
	v_bfi_b32 v86, v4, 0, v16
	v_lshrrev_b64 v[4:5], v64, v[16:17]
	s_delay_alu instid0(VALU_DEP_1) | instskip(NEXT) | instid1(VALU_DEP_3)
	v_mov_b64_e32 v[16:17], v[4:5]
	v_cmpx_eq_u64_e64 v[86:87], v[66:67]
; %bb.5640:                             ;   in Loop: Header=BB4_5618 Depth=4
	v_bfe_u32 v16, v4, 21, 1
	v_mov_b32_e32 v17, v3
	s_delay_alu instid0(VALU_DEP_1) | instskip(NEXT) | instid1(VALU_DEP_1)
	v_add_nc_u64_e32 v[16:17], v[4:5], v[16:17]
	v_add_nc_u64_e32 v[16:17], -1, v[16:17]
; %bb.5641:                             ;   in Loop: Header=BB4_5618 Depth=4
	s_or_b32 exec_lo, exec_lo, s88
	v_add_nc_u32_e32 v2, 0xffffff81, v19
	v_lshrrev_b32_e32 v5, 23, v4
	s_mov_b32 s14, exec_lo
	s_delay_alu instid0(VALU_DEP_2) | instskip(NEXT) | instid1(VALU_DEP_1)
	v_cndmask_b32_e64 v2, v2, 0xffffff82, vcc_lo
	v_add3_u32 v17, v64, v2, v5
	v_and_b32_e32 v2, 0x1fffff, v16
                                        ; implicit-def: $vgpr16
	s_delay_alu instid0(VALU_DEP_1) | instskip(NEXT) | instid1(VALU_DEP_1)
	v_dual_add_nc_u32 v19, 14, v17 :: v_dual_add_nc_u32 v2, v2, v4
                                        ; implicit-def: $vgpr4_vgpr5
	v_cmpx_ne_u32_e32 0, v19
	s_xor_b32 s14, exec_lo, s14
; %bb.5642:                             ;   in Loop: Header=BB4_5618 Depth=4
	s_delay_alu instid0(VALU_DEP_2) | instskip(SKIP_1) | instid1(VALU_DEP_1)
	v_cmp_lt_u64_e32 vcc_lo, 0xffffff, v[2:3]
	v_add_nc_u32_e32 v4, 15, v17
	v_cndmask_b32_e32 v16, v19, v4, vcc_lo
	v_cndmask_b32_e64 v4, 0, 1, vcc_lo
	s_delay_alu instid0(VALU_DEP_1)
	v_lshrrev_b64 v[4:5], v4, v[2:3]
; %bb.5643:                             ;   in Loop: Header=BB4_5618 Depth=4
	s_and_not1_saveexec_b32 s14, s14
; %bb.5644:                             ;   in Loop: Header=BB4_5618 Depth=4
	v_mov_b64_e32 v[4:5], v[2:3]
	v_bfe_u32 v16, v2, 23, 1
; %bb.5645:                             ;   in Loop: Header=BB4_5618 Depth=4
	s_or_b32 exec_lo, exec_lo, s14
	s_delay_alu instid0(VALU_DEP_2) | instskip(NEXT) | instid1(VALU_DEP_2)
	v_lshrrev_b64 v[4:5], 21, v[4:5]
	v_cmp_gt_i32_e32 vcc_lo, 32, v16
	v_min_i32_e32 v2, 31, v16
	v_cmp_eq_u32_e64 s14, 0, v16
	s_delay_alu instid0(VALU_DEP_2) | instskip(SKIP_1) | instid1(VALU_DEP_2)
	v_dual_cndmask_b32 v5, 0, v5 :: v_dual_lshlrev_b32 v2, 2, v2
	v_cndmask_b32_e32 v4, 3, v4, vcc_lo
	v_and_b32_e32 v2, 0xfc, v2
	s_delay_alu instid0(VALU_DEP_2) | instskip(NEXT) | instid1(VALU_DEP_2)
	v_cmp_eq_u64_e32 vcc_lo, 0, v[4:5]
	v_and_or_b32 v2, v4, 3, v2
	s_and_b32 s14, s14, vcc_lo
	s_delay_alu instid0(VALU_DEP_1) | instid1(SALU_CYCLE_1)
	v_cndmask_b32_e64 v2, v2, 0, s14
	s_delay_alu instid0(VALU_DEP_1)
	v_or_b32_e32 v19, v2, v18
.LBB4_5646:                             ;   in Loop: Header=BB4_5618 Depth=4
	s_or_b32 exec_lo, exec_lo, s79
                                        ; implicit-def: $vgpr18
.LBB4_5647:                             ;   in Loop: Header=BB4_5618 Depth=4
	s_and_not1_saveexec_b32 s14, s78
; %bb.5648:                             ;   in Loop: Header=BB4_5618 Depth=4
	v_or_b32_e32 v19, 0x7b, v18
; %bb.5649:                             ;   in Loop: Header=BB4_5618 Depth=4
	s_or_b32 exec_lo, exec_lo, s14
                                        ; implicit-def: $vgpr4
                                        ; implicit-def: $vgpr5
.LBB4_5650:                             ;   in Loop: Header=BB4_5618 Depth=4
	s_and_not1_saveexec_b32 s14, s77
	s_cbranch_execz .LBB4_5656
; %bb.5651:                             ;   in Loop: Header=BB4_5618 Depth=4
	s_mov_b32 s77, exec_lo
                                        ; implicit-def: $vgpr19
	v_cmpx_ne_u64_e32 0, v[2:3]
	s_xor_b32 s77, exec_lo, s77
; %bb.5652:                             ;   in Loop: Header=BB4_5618 Depth=4
	v_or_b32_e32 v19, 0x7f, v5
                                        ; implicit-def: $vgpr4
; %bb.5653:                             ;   in Loop: Header=BB4_5618 Depth=4
	s_and_not1_saveexec_b32 s77, s77
; %bb.5654:                             ;   in Loop: Header=BB4_5618 Depth=4
	v_cmp_lt_i32_e32 vcc_lo, -1, v4
	v_cndmask_b32_e32 v19, 0xfc, v49, vcc_lo
; %bb.5655:                             ;   in Loop: Header=BB4_5618 Depth=4
	s_or_b32 exec_lo, exec_lo, s77
.LBB4_5656:                             ;   in Loop: Header=BB4_5618 Depth=4
	s_delay_alu instid0(SALU_CYCLE_1) | instskip(SKIP_3) | instid1(VALU_DEP_2)
	s_or_b32 exec_lo, exec_lo, s14
	v_lshrrev_b16 v4, 8, v8
	v_mov_b32_e32 v5, 0
	s_mov_b32 s14, exec_lo
	v_cmpx_ne_u16_e32 0, v4
	s_cbranch_execz .LBB4_5666
; %bb.5657:                             ;   in Loop: Header=BB4_5618 Depth=4
	v_bfrev_b32_e32 v5, 1
	s_mov_b32 s77, exec_lo
	v_cmpx_ne_u16_e32 0x80, v4
	s_cbranch_execz .LBB4_5665
; %bb.5658:                             ;   in Loop: Header=BB4_5618 Depth=4
	v_and_b32_e32 v16, 0xffff, v4
	s_delay_alu instid0(VALU_DEP_1) | instskip(SKIP_1) | instid1(VALU_DEP_2)
	v_and_b32_e32 v5, 0x7c, v16
	v_and_b32_e32 v2, 3, v16
	v_cmp_ne_u32_e32 vcc_lo, 0x7c, v5
                                        ; implicit-def: $vgpr5
	s_and_saveexec_b32 s78, vcc_lo
	s_delay_alu instid0(SALU_CYCLE_1)
	s_xor_b32 s78, exec_lo, s78
	s_cbranch_execz .LBB4_5662
; %bb.5659:                             ;   in Loop: Header=BB4_5618 Depth=4
	v_bfe_u32 v5, v16, 2, 5
	s_mov_b32 s79, exec_lo
	s_delay_alu instid0(VALU_DEP_1)
	v_cmpx_eq_u32_e32 0, v5
; %bb.5660:                             ;   in Loop: Header=BB4_5618 Depth=4
	v_clz_i32_u32_e32 v2, v2
	v_mov_b32_e32 v5, v3
	s_delay_alu instid0(VALU_DEP_2) | instskip(NEXT) | instid1(VALU_DEP_1)
	v_min_u32_e32 v2, 32, v2
	v_subrev_nc_u32_e32 v16, 29, v2
	s_delay_alu instid0(VALU_DEP_1) | instskip(NEXT) | instid1(VALU_DEP_1)
	v_lshlrev_b64_e32 v[4:5], v16, v[4:5]
	v_dual_sub_nc_u32 v5, 30, v2 :: v_dual_bitop2_b32 v2, 3, v4 bitop3:0x40
; %bb.5661:                             ;   in Loop: Header=BB4_5618 Depth=4
	s_or_b32 exec_lo, exec_lo, s79
	v_lshlrev_b32_e32 v4, 16, v8
	s_delay_alu instid0(VALU_DEP_1) | instskip(NEXT) | instid1(VALU_DEP_1)
	v_and_b32_e32 v4, 0x80000000, v4
	v_lshl_add_u32 v4, v5, 23, v4
	s_delay_alu instid0(VALU_DEP_1) | instskip(NEXT) | instid1(VALU_DEP_1)
	v_lshl_or_b32 v2, v2, 21, v4
	v_add_nc_u32_e32 v5, 0x38000000, v2
                                        ; implicit-def: $vgpr2
.LBB4_5662:                             ;   in Loop: Header=BB4_5618 Depth=4
	s_and_not1_saveexec_b32 s78, s78
; %bb.5663:                             ;   in Loop: Header=BB4_5618 Depth=4
	v_cmp_lt_i16_e32 vcc_lo, -1, v8
	v_cndmask_b32_e32 v4, 0xff800000, v48, vcc_lo
	v_cmp_eq_u32_e32 vcc_lo, 0, v2
	s_delay_alu instid0(VALU_DEP_2)
	v_cndmask_b32_e32 v5, 0x7f800001, v4, vcc_lo
; %bb.5664:                             ;   in Loop: Header=BB4_5618 Depth=4
	s_or_b32 exec_lo, exec_lo, s78
.LBB4_5665:                             ;   in Loop: Header=BB4_5618 Depth=4
	s_delay_alu instid0(SALU_CYCLE_1)
	s_or_b32 exec_lo, exec_lo, s77
.LBB4_5666:                             ;   in Loop: Header=BB4_5618 Depth=4
	s_delay_alu instid0(SALU_CYCLE_1) | instskip(NEXT) | instid1(VALU_DEP_1)
	s_or_b32 exec_lo, exec_lo, s14
	v_dual_mul_f32 v4, s76, v5 :: v_dual_mov_b32 v17, v3
                                        ; implicit-def: $vgpr64
	s_mov_b32 s14, exec_lo
	s_delay_alu instid0(VALU_DEP_1) | instskip(SKIP_2) | instid1(VALU_DEP_3)
	v_and_b32_e32 v16, 0x7f800000, v4
	v_and_b32_e32 v2, 0x7fffff, v4
	v_lshrrev_b32_e32 v5, 24, v4
	v_cmpx_ne_u64_e32 0x7f800000, v[16:17]
	s_xor_b32 s77, exec_lo, s14
	s_cbranch_execz .LBB4_5680
; %bb.5667:                             ;   in Loop: Header=BB4_5618 Depth=4
	v_and_b32_e32 v16, 0x7fffffff, v4
	v_mov_b32_e32 v17, v3
	v_and_b32_e32 v18, 0x80, v5
                                        ; implicit-def: $vgpr64
	s_mov_b32 s14, exec_lo
	s_delay_alu instid0(VALU_DEP_2)
	v_cmpx_gt_u64_e32 0x47600001, v[16:17]
	s_xor_b32 s78, exec_lo, s14
	s_cbranch_execz .LBB4_5677
; %bb.5668:                             ;   in Loop: Header=BB4_5618 Depth=4
	v_mov_b32_e32 v64, 0
	s_mov_b32 s79, exec_lo
	v_cmpx_ne_u32_e32 0, v4
	s_cbranch_execz .LBB4_5676
; %bb.5669:                             ;   in Loop: Header=BB4_5618 Depth=4
	v_bfe_u32 v64, v4, 23, 8
	v_or_b32_e32 v16, 0x800000, v2
	s_mov_b32 s88, exec_lo
	s_delay_alu instid0(VALU_DEP_2) | instskip(SKIP_1) | instid1(VALU_DEP_2)
	v_dual_mov_b32 v17, v3 :: v_dual_sub_nc_u32 v4, 0x71, v64
	v_cmp_gt_u32_e32 vcc_lo, 0x72, v64
	v_cndmask_b32_e32 v4, 0, v4, vcc_lo
	v_cmp_eq_u32_e32 vcc_lo, 0, v64
	s_delay_alu instid0(VALU_DEP_2) | instskip(NEXT) | instid1(VALU_DEP_1)
	v_cndmask_b32_e64 v65, v4, 0x70, vcc_lo
	v_dual_cndmask_b32 v16, v16, v2, vcc_lo :: v_dual_add_nc_u32 v4, 21, v65
	v_add_nc_u32_e32 v66, 20, v65
	s_delay_alu instid0(VALU_DEP_2) | instskip(NEXT) | instid1(VALU_DEP_2)
	v_lshlrev_b64_e64 v[4:5], v4, -1
	v_lshlrev_b64_e64 v[66:67], v66, 1
	s_delay_alu instid0(VALU_DEP_2) | instskip(NEXT) | instid1(VALU_DEP_3)
	v_bfi_b32 v87, v5, 0, 0
	v_bfi_b32 v86, v4, 0, v16
	v_lshrrev_b64 v[4:5], v65, v[16:17]
	s_delay_alu instid0(VALU_DEP_1) | instskip(NEXT) | instid1(VALU_DEP_3)
	v_mov_b64_e32 v[16:17], v[4:5]
	v_cmpx_eq_u64_e64 v[86:87], v[66:67]
; %bb.5670:                             ;   in Loop: Header=BB4_5618 Depth=4
	v_bfe_u32 v16, v4, 21, 1
	v_mov_b32_e32 v17, v3
	s_delay_alu instid0(VALU_DEP_1) | instskip(NEXT) | instid1(VALU_DEP_1)
	v_add_nc_u64_e32 v[16:17], v[4:5], v[16:17]
	v_add_nc_u64_e32 v[16:17], -1, v[16:17]
; %bb.5671:                             ;   in Loop: Header=BB4_5618 Depth=4
	s_or_b32 exec_lo, exec_lo, s88
	v_add_nc_u32_e32 v2, 0xffffff81, v64
	v_lshrrev_b32_e32 v5, 23, v4
	s_mov_b32 s14, exec_lo
	s_delay_alu instid0(VALU_DEP_2) | instskip(NEXT) | instid1(VALU_DEP_1)
	v_cndmask_b32_e64 v2, v2, 0xffffff82, vcc_lo
	v_add3_u32 v17, v65, v2, v5
	v_and_b32_e32 v2, 0x1fffff, v16
                                        ; implicit-def: $vgpr16
	s_delay_alu instid0(VALU_DEP_1) | instskip(NEXT) | instid1(VALU_DEP_1)
	v_dual_add_nc_u32 v64, 14, v17 :: v_dual_add_nc_u32 v2, v2, v4
                                        ; implicit-def: $vgpr4_vgpr5
	v_cmpx_ne_u32_e32 0, v64
	s_xor_b32 s14, exec_lo, s14
; %bb.5672:                             ;   in Loop: Header=BB4_5618 Depth=4
	s_delay_alu instid0(VALU_DEP_2) | instskip(SKIP_1) | instid1(VALU_DEP_1)
	v_cmp_lt_u64_e32 vcc_lo, 0xffffff, v[2:3]
	v_add_nc_u32_e32 v4, 15, v17
	v_cndmask_b32_e32 v16, v64, v4, vcc_lo
	v_cndmask_b32_e64 v4, 0, 1, vcc_lo
	s_delay_alu instid0(VALU_DEP_1)
	v_lshrrev_b64 v[4:5], v4, v[2:3]
; %bb.5673:                             ;   in Loop: Header=BB4_5618 Depth=4
	s_and_not1_saveexec_b32 s14, s14
; %bb.5674:                             ;   in Loop: Header=BB4_5618 Depth=4
	v_mov_b64_e32 v[4:5], v[2:3]
	v_bfe_u32 v16, v2, 23, 1
; %bb.5675:                             ;   in Loop: Header=BB4_5618 Depth=4
	s_or_b32 exec_lo, exec_lo, s14
	s_delay_alu instid0(VALU_DEP_2) | instskip(NEXT) | instid1(VALU_DEP_2)
	v_lshrrev_b64 v[4:5], 21, v[4:5]
	v_cmp_gt_i32_e32 vcc_lo, 32, v16
	v_min_i32_e32 v2, 31, v16
	v_cmp_eq_u32_e64 s14, 0, v16
	s_delay_alu instid0(VALU_DEP_2) | instskip(SKIP_1) | instid1(VALU_DEP_2)
	v_dual_cndmask_b32 v5, 0, v5 :: v_dual_lshlrev_b32 v2, 2, v2
	v_cndmask_b32_e32 v4, 3, v4, vcc_lo
	v_and_b32_e32 v2, 0xfc, v2
	s_delay_alu instid0(VALU_DEP_2) | instskip(NEXT) | instid1(VALU_DEP_2)
	v_cmp_eq_u64_e32 vcc_lo, 0, v[4:5]
	v_and_or_b32 v2, v4, 3, v2
	s_and_b32 s14, s14, vcc_lo
	s_delay_alu instid0(VALU_DEP_1) | instid1(SALU_CYCLE_1)
	v_cndmask_b32_e64 v2, v2, 0, s14
	s_delay_alu instid0(VALU_DEP_1)
	v_or_b32_e32 v64, v2, v18
.LBB4_5676:                             ;   in Loop: Header=BB4_5618 Depth=4
	s_or_b32 exec_lo, exec_lo, s79
                                        ; implicit-def: $vgpr18
.LBB4_5677:                             ;   in Loop: Header=BB4_5618 Depth=4
	s_and_not1_saveexec_b32 s14, s78
; %bb.5678:                             ;   in Loop: Header=BB4_5618 Depth=4
	v_or_b32_e32 v64, 0x7b, v18
; %bb.5679:                             ;   in Loop: Header=BB4_5618 Depth=4
	s_or_b32 exec_lo, exec_lo, s14
                                        ; implicit-def: $vgpr4
                                        ; implicit-def: $vgpr5
.LBB4_5680:                             ;   in Loop: Header=BB4_5618 Depth=4
	s_and_not1_saveexec_b32 s14, s77
	s_cbranch_execz .LBB4_5686
; %bb.5681:                             ;   in Loop: Header=BB4_5618 Depth=4
	s_mov_b32 s77, exec_lo
                                        ; implicit-def: $vgpr64
	v_cmpx_ne_u64_e32 0, v[2:3]
	s_xor_b32 s77, exec_lo, s77
; %bb.5682:                             ;   in Loop: Header=BB4_5618 Depth=4
	v_or_b32_e32 v64, 0x7f, v5
                                        ; implicit-def: $vgpr4
; %bb.5683:                             ;   in Loop: Header=BB4_5618 Depth=4
	s_and_not1_saveexec_b32 s77, s77
; %bb.5684:                             ;   in Loop: Header=BB4_5618 Depth=4
	v_cmp_lt_i32_e32 vcc_lo, -1, v4
	v_cndmask_b32_e32 v64, 0xfc, v49, vcc_lo
; %bb.5685:                             ;   in Loop: Header=BB4_5618 Depth=4
	s_or_b32 exec_lo, exec_lo, s77
.LBB4_5686:                             ;   in Loop: Header=BB4_5618 Depth=4
	s_delay_alu instid0(SALU_CYCLE_1) | instskip(SKIP_2) | instid1(VALU_DEP_1)
	s_or_b32 exec_lo, exec_lo, s14
	v_dual_lshrrev_b32 v2, 16, v8 :: v_dual_mov_b32 v4, 0
	s_mov_b32 s14, exec_lo
	v_and_b32_e32 v5, 0xff, v2
	s_delay_alu instid0(VALU_DEP_1)
	v_cmpx_ne_u16_e32 0, v5
	s_cbranch_execz .LBB4_5696
; %bb.5687:                             ;   in Loop: Header=BB4_5618 Depth=4
	v_bfrev_b32_e32 v4, 1
	s_mov_b32 s77, exec_lo
	v_cmpx_ne_u16_e32 0x80, v5
	s_cbranch_execz .LBB4_5695
; %bb.5688:                             ;   in Loop: Header=BB4_5618 Depth=4
	v_and_b32_e32 v4, 0x7c0000, v8
	v_bfe_u32 v5, v8, 16, 2
	s_delay_alu instid0(VALU_DEP_2) | instskip(SKIP_1) | instid1(SALU_CYCLE_1)
	v_cmp_ne_u32_e32 vcc_lo, 0x7c0000, v4
                                        ; implicit-def: $vgpr4
	s_and_saveexec_b32 s78, vcc_lo
	s_xor_b32 s78, exec_lo, s78
	s_cbranch_execz .LBB4_5692
; %bb.5689:                             ;   in Loop: Header=BB4_5618 Depth=4
	v_bfe_u32 v4, v8, 18, 5
	s_mov_b32 s79, exec_lo
	s_delay_alu instid0(VALU_DEP_1)
	v_cmpx_eq_u32_e32 0, v4
; %bb.5690:                             ;   in Loop: Header=BB4_5618 Depth=4
	v_clz_i32_u32_e32 v4, v5
	s_delay_alu instid0(VALU_DEP_1) | instskip(NEXT) | instid1(VALU_DEP_1)
	v_min_u32_e32 v4, 32, v4
	v_subrev_nc_u32_e32 v5, 29, v4
	v_sub_nc_u32_e32 v4, 30, v4
	s_delay_alu instid0(VALU_DEP_2) | instskip(NEXT) | instid1(VALU_DEP_1)
	v_lshlrev_b64_e32 v[16:17], v5, v[2:3]
	v_and_b32_e32 v5, 3, v16
; %bb.5691:                             ;   in Loop: Header=BB4_5618 Depth=4
	s_or_b32 exec_lo, exec_lo, s79
	v_lshlrev_b32_e32 v2, 24, v2
	s_delay_alu instid0(VALU_DEP_1) | instskip(NEXT) | instid1(VALU_DEP_1)
	v_and_b32_e32 v2, 0x80000000, v2
	v_lshl_add_u32 v2, v4, 23, v2
	s_delay_alu instid0(VALU_DEP_1) | instskip(NEXT) | instid1(VALU_DEP_1)
	v_lshl_or_b32 v2, v5, 21, v2
                                        ; implicit-def: $vgpr5
	v_add_nc_u32_e32 v4, 0x38000000, v2
                                        ; implicit-def: $vgpr2
.LBB4_5692:                             ;   in Loop: Header=BB4_5618 Depth=4
	s_and_not1_saveexec_b32 s78, s78
; %bb.5693:                             ;   in Loop: Header=BB4_5618 Depth=4
	v_bfe_i32 v2, v2, 0, 8
	s_delay_alu instid0(VALU_DEP_1) | instskip(SKIP_2) | instid1(VALU_DEP_2)
	v_cmp_lt_i16_e32 vcc_lo, -1, v2
	v_cndmask_b32_e32 v2, 0xff800000, v48, vcc_lo
	v_cmp_eq_u32_e32 vcc_lo, 0, v5
	v_cndmask_b32_e32 v4, 0x7f800001, v2, vcc_lo
; %bb.5694:                             ;   in Loop: Header=BB4_5618 Depth=4
	s_or_b32 exec_lo, exec_lo, s78
.LBB4_5695:                             ;   in Loop: Header=BB4_5618 Depth=4
	s_delay_alu instid0(SALU_CYCLE_1)
	s_or_b32 exec_lo, exec_lo, s77
.LBB4_5696:                             ;   in Loop: Header=BB4_5618 Depth=4
	s_delay_alu instid0(SALU_CYCLE_1) | instskip(NEXT) | instid1(VALU_DEP_1)
	s_or_b32 exec_lo, exec_lo, s14
	v_dual_mul_f32 v4, s76, v4 :: v_dual_mov_b32 v17, v3
                                        ; implicit-def: $vgpr66
	s_mov_b32 s14, exec_lo
	s_delay_alu instid0(VALU_DEP_1) | instskip(SKIP_2) | instid1(VALU_DEP_3)
	v_and_b32_e32 v16, 0x7f800000, v4
	v_and_b32_e32 v2, 0x7fffff, v4
	v_lshrrev_b32_e32 v5, 24, v4
	v_cmpx_ne_u64_e32 0x7f800000, v[16:17]
	s_xor_b32 s77, exec_lo, s14
	s_cbranch_execz .LBB4_5710
; %bb.5697:                             ;   in Loop: Header=BB4_5618 Depth=4
	v_and_b32_e32 v16, 0x7fffffff, v4
	v_mov_b32_e32 v17, v3
	v_and_b32_e32 v18, 0x80, v5
                                        ; implicit-def: $vgpr66
	s_mov_b32 s14, exec_lo
	s_delay_alu instid0(VALU_DEP_2)
	v_cmpx_gt_u64_e32 0x47600001, v[16:17]
	s_xor_b32 s78, exec_lo, s14
	s_cbranch_execz .LBB4_5707
; %bb.5698:                             ;   in Loop: Header=BB4_5618 Depth=4
	v_mov_b32_e32 v66, 0
	s_mov_b32 s79, exec_lo
	v_cmpx_ne_u32_e32 0, v4
	s_cbranch_execz .LBB4_5706
; %bb.5699:                             ;   in Loop: Header=BB4_5618 Depth=4
	v_bfe_u32 v65, v4, 23, 8
	v_or_b32_e32 v16, 0x800000, v2
	s_mov_b32 s88, exec_lo
	s_delay_alu instid0(VALU_DEP_2) | instskip(SKIP_1) | instid1(VALU_DEP_2)
	v_dual_mov_b32 v17, v3 :: v_dual_sub_nc_u32 v4, 0x71, v65
	v_cmp_gt_u32_e32 vcc_lo, 0x72, v65
	v_cndmask_b32_e32 v4, 0, v4, vcc_lo
	v_cmp_eq_u32_e32 vcc_lo, 0, v65
	s_delay_alu instid0(VALU_DEP_2) | instskip(SKIP_1) | instid1(VALU_DEP_2)
	v_cndmask_b32_e64 v66, v4, 0x70, vcc_lo
	v_cndmask_b32_e32 v16, v16, v2, vcc_lo
	v_dual_add_nc_u32 v4, 21, v66 :: v_dual_add_nc_u32 v67, 20, v66
	s_delay_alu instid0(VALU_DEP_1) | instskip(NEXT) | instid1(VALU_DEP_2)
	v_lshlrev_b64_e64 v[4:5], v4, -1
	v_lshlrev_b64_e64 v[86:87], v67, 1
	s_delay_alu instid0(VALU_DEP_2) | instskip(NEXT) | instid1(VALU_DEP_3)
	v_bfi_b32 v97, v5, 0, 0
	v_bfi_b32 v96, v4, 0, v16
	v_lshrrev_b64 v[4:5], v66, v[16:17]
	s_delay_alu instid0(VALU_DEP_1) | instskip(NEXT) | instid1(VALU_DEP_3)
	v_mov_b64_e32 v[16:17], v[4:5]
	v_cmpx_eq_u64_e64 v[96:97], v[86:87]
; %bb.5700:                             ;   in Loop: Header=BB4_5618 Depth=4
	v_bfe_u32 v16, v4, 21, 1
	v_mov_b32_e32 v17, v3
	s_delay_alu instid0(VALU_DEP_1) | instskip(NEXT) | instid1(VALU_DEP_1)
	v_add_nc_u64_e32 v[16:17], v[4:5], v[16:17]
	v_add_nc_u64_e32 v[16:17], -1, v[16:17]
; %bb.5701:                             ;   in Loop: Header=BB4_5618 Depth=4
	s_or_b32 exec_lo, exec_lo, s88
	v_add_nc_u32_e32 v2, 0xffffff81, v65
	v_lshrrev_b32_e32 v5, 23, v4
	s_mov_b32 s14, exec_lo
	s_delay_alu instid0(VALU_DEP_2) | instskip(NEXT) | instid1(VALU_DEP_1)
	v_cndmask_b32_e64 v2, v2, 0xffffff82, vcc_lo
	v_add3_u32 v17, v66, v2, v5
	v_and_b32_e32 v2, 0x1fffff, v16
                                        ; implicit-def: $vgpr16
	s_delay_alu instid0(VALU_DEP_1) | instskip(NEXT) | instid1(VALU_DEP_1)
	v_dual_add_nc_u32 v65, 14, v17 :: v_dual_add_nc_u32 v2, v2, v4
                                        ; implicit-def: $vgpr4_vgpr5
	v_cmpx_ne_u32_e32 0, v65
	s_xor_b32 s14, exec_lo, s14
; %bb.5702:                             ;   in Loop: Header=BB4_5618 Depth=4
	s_delay_alu instid0(VALU_DEP_2) | instskip(SKIP_1) | instid1(VALU_DEP_1)
	v_cmp_lt_u64_e32 vcc_lo, 0xffffff, v[2:3]
	v_add_nc_u32_e32 v4, 15, v17
	v_cndmask_b32_e32 v16, v65, v4, vcc_lo
	v_cndmask_b32_e64 v4, 0, 1, vcc_lo
	s_delay_alu instid0(VALU_DEP_1)
	v_lshrrev_b64 v[4:5], v4, v[2:3]
; %bb.5703:                             ;   in Loop: Header=BB4_5618 Depth=4
	s_and_not1_saveexec_b32 s14, s14
; %bb.5704:                             ;   in Loop: Header=BB4_5618 Depth=4
	v_mov_b64_e32 v[4:5], v[2:3]
	v_bfe_u32 v16, v2, 23, 1
; %bb.5705:                             ;   in Loop: Header=BB4_5618 Depth=4
	s_or_b32 exec_lo, exec_lo, s14
	s_delay_alu instid0(VALU_DEP_2) | instskip(NEXT) | instid1(VALU_DEP_2)
	v_lshrrev_b64 v[4:5], 21, v[4:5]
	v_cmp_gt_i32_e32 vcc_lo, 32, v16
	v_min_i32_e32 v2, 31, v16
	v_cmp_eq_u32_e64 s14, 0, v16
	s_delay_alu instid0(VALU_DEP_2) | instskip(SKIP_1) | instid1(VALU_DEP_2)
	v_dual_cndmask_b32 v5, 0, v5 :: v_dual_lshlrev_b32 v2, 2, v2
	v_cndmask_b32_e32 v4, 3, v4, vcc_lo
	v_and_b32_e32 v2, 0xfc, v2
	s_delay_alu instid0(VALU_DEP_2) | instskip(NEXT) | instid1(VALU_DEP_2)
	v_cmp_eq_u64_e32 vcc_lo, 0, v[4:5]
	v_and_or_b32 v2, v4, 3, v2
	s_and_b32 s14, s14, vcc_lo
	s_delay_alu instid0(VALU_DEP_1) | instid1(SALU_CYCLE_1)
	v_cndmask_b32_e64 v2, v2, 0, s14
	s_delay_alu instid0(VALU_DEP_1)
	v_or_b32_e32 v66, v2, v18
.LBB4_5706:                             ;   in Loop: Header=BB4_5618 Depth=4
	s_or_b32 exec_lo, exec_lo, s79
                                        ; implicit-def: $vgpr18
.LBB4_5707:                             ;   in Loop: Header=BB4_5618 Depth=4
	s_and_not1_saveexec_b32 s14, s78
; %bb.5708:                             ;   in Loop: Header=BB4_5618 Depth=4
	v_or_b32_e32 v66, 0x7b, v18
; %bb.5709:                             ;   in Loop: Header=BB4_5618 Depth=4
	s_or_b32 exec_lo, exec_lo, s14
                                        ; implicit-def: $vgpr4
                                        ; implicit-def: $vgpr5
.LBB4_5710:                             ;   in Loop: Header=BB4_5618 Depth=4
	s_and_not1_saveexec_b32 s14, s77
	s_cbranch_execz .LBB4_5716
; %bb.5711:                             ;   in Loop: Header=BB4_5618 Depth=4
	s_mov_b32 s77, exec_lo
                                        ; implicit-def: $vgpr66
	v_cmpx_ne_u64_e32 0, v[2:3]
	s_xor_b32 s77, exec_lo, s77
; %bb.5712:                             ;   in Loop: Header=BB4_5618 Depth=4
	v_or_b32_e32 v66, 0x7f, v5
                                        ; implicit-def: $vgpr4
; %bb.5713:                             ;   in Loop: Header=BB4_5618 Depth=4
	s_and_not1_saveexec_b32 s77, s77
; %bb.5714:                             ;   in Loop: Header=BB4_5618 Depth=4
	v_cmp_lt_i32_e32 vcc_lo, -1, v4
	v_cndmask_b32_e32 v66, 0xfc, v49, vcc_lo
; %bb.5715:                             ;   in Loop: Header=BB4_5618 Depth=4
	s_or_b32 exec_lo, exec_lo, s77
.LBB4_5716:                             ;   in Loop: Header=BB4_5618 Depth=4
	s_delay_alu instid0(SALU_CYCLE_1)
	s_or_b32 exec_lo, exec_lo, s14
	v_mov_b32_e32 v4, 0
	s_mov_b32 s14, exec_lo
	v_cmpx_lt_u32_e32 0xffffff, v8
	s_cbranch_execz .LBB4_5726
; %bb.5717:                             ;   in Loop: Header=BB4_5618 Depth=4
	v_lshrrev_b32_e32 v2, 24, v8
	v_bfrev_b32_e32 v4, 1
	s_mov_b32 s77, exec_lo
	s_delay_alu instid0(VALU_DEP_2)
	v_cmpx_ne_u32_e32 0x80, v2
	s_cbranch_execz .LBB4_5725
; %bb.5718:                             ;   in Loop: Header=BB4_5618 Depth=4
	v_and_b32_e32 v4, 0x7c000000, v8
	v_bfe_u32 v5, v8, 24, 2
	s_delay_alu instid0(VALU_DEP_2) | instskip(SKIP_1) | instid1(SALU_CYCLE_1)
	v_cmp_ne_u32_e32 vcc_lo, 0x7c000000, v4
                                        ; implicit-def: $vgpr4
	s_and_saveexec_b32 s78, vcc_lo
	s_xor_b32 s78, exec_lo, s78
	s_cbranch_execz .LBB4_5722
; %bb.5719:                             ;   in Loop: Header=BB4_5618 Depth=4
	v_bfe_u32 v4, v8, 26, 5
	s_mov_b32 s79, exec_lo
	s_delay_alu instid0(VALU_DEP_1)
	v_cmpx_eq_u32_e32 0, v4
; %bb.5720:                             ;   in Loop: Header=BB4_5618 Depth=4
	v_clz_i32_u32_e32 v4, v5
	s_delay_alu instid0(VALU_DEP_1) | instskip(NEXT) | instid1(VALU_DEP_1)
	v_min_u32_e32 v4, 32, v4
	v_subrev_nc_u32_e32 v5, 29, v4
	v_sub_nc_u32_e32 v4, 30, v4
	s_delay_alu instid0(VALU_DEP_2) | instskip(NEXT) | instid1(VALU_DEP_1)
	v_lshlrev_b64_e32 v[16:17], v5, v[2:3]
	v_and_b32_e32 v5, 3, v16
; %bb.5721:                             ;   in Loop: Header=BB4_5618 Depth=4
	s_or_b32 exec_lo, exec_lo, s79
	v_and_b32_e32 v2, 0x80000000, v8
	s_delay_alu instid0(VALU_DEP_1) | instskip(NEXT) | instid1(VALU_DEP_1)
	v_lshl_add_u32 v2, v4, 23, v2
	v_lshl_or_b32 v2, v5, 21, v2
                                        ; implicit-def: $vgpr5
	s_delay_alu instid0(VALU_DEP_1)
	v_add_nc_u32_e32 v4, 0x38000000, v2
.LBB4_5722:                             ;   in Loop: Header=BB4_5618 Depth=4
	s_and_not1_saveexec_b32 s78, s78
; %bb.5723:                             ;   in Loop: Header=BB4_5618 Depth=4
	v_cmp_lt_i32_e32 vcc_lo, -1, v8
	v_cndmask_b32_e32 v2, 0xff800000, v48, vcc_lo
	v_cmp_eq_u32_e32 vcc_lo, 0, v5
	s_delay_alu instid0(VALU_DEP_2)
	v_cndmask_b32_e32 v4, 0x7f800001, v2, vcc_lo
; %bb.5724:                             ;   in Loop: Header=BB4_5618 Depth=4
	s_or_b32 exec_lo, exec_lo, s78
.LBB4_5725:                             ;   in Loop: Header=BB4_5618 Depth=4
	s_delay_alu instid0(SALU_CYCLE_1)
	s_or_b32 exec_lo, exec_lo, s77
.LBB4_5726:                             ;   in Loop: Header=BB4_5618 Depth=4
	s_delay_alu instid0(SALU_CYCLE_1) | instskip(NEXT) | instid1(VALU_DEP_1)
	s_or_b32 exec_lo, exec_lo, s14
	v_dual_mul_f32 v4, s76, v4 :: v_dual_mov_b32 v17, v3
                                        ; implicit-def: $vgpr101
	s_mov_b32 s14, exec_lo
	s_delay_alu instid0(VALU_DEP_1) | instskip(SKIP_2) | instid1(VALU_DEP_3)
	v_and_b32_e32 v16, 0x7f800000, v4
	v_and_b32_e32 v2, 0x7fffff, v4
	v_lshrrev_b32_e32 v5, 24, v4
	v_cmpx_ne_u64_e32 0x7f800000, v[16:17]
	s_xor_b32 s77, exec_lo, s14
	s_cbranch_execz .LBB4_5740
; %bb.5727:                             ;   in Loop: Header=BB4_5618 Depth=4
	v_and_b32_e32 v16, 0x7fffffff, v4
	v_mov_b32_e32 v17, v3
	v_and_b32_e32 v18, 0x80, v5
                                        ; implicit-def: $vgpr101
	s_mov_b32 s14, exec_lo
	s_delay_alu instid0(VALU_DEP_2)
	v_cmpx_gt_u64_e32 0x47600001, v[16:17]
	s_xor_b32 s78, exec_lo, s14
	s_cbranch_execz .LBB4_5737
; %bb.5728:                             ;   in Loop: Header=BB4_5618 Depth=4
	v_mov_b32_e32 v101, 0
	s_mov_b32 s79, exec_lo
	v_cmpx_ne_u32_e32 0, v4
	s_cbranch_execz .LBB4_5736
; %bb.5729:                             ;   in Loop: Header=BB4_5618 Depth=4
	v_bfe_u32 v65, v4, 23, 8
	v_or_b32_e32 v16, 0x800000, v2
	s_mov_b32 s88, exec_lo
	s_delay_alu instid0(VALU_DEP_2) | instskip(SKIP_1) | instid1(VALU_DEP_2)
	v_dual_mov_b32 v17, v3 :: v_dual_sub_nc_u32 v4, 0x71, v65
	v_cmp_gt_u32_e32 vcc_lo, 0x72, v65
	v_cndmask_b32_e32 v4, 0, v4, vcc_lo
	v_cmp_eq_u32_e32 vcc_lo, 0, v65
	s_delay_alu instid0(VALU_DEP_2) | instskip(NEXT) | instid1(VALU_DEP_1)
	v_cndmask_b32_e64 v67, v4, 0x70, vcc_lo
	v_dual_cndmask_b32 v16, v16, v2, vcc_lo :: v_dual_add_nc_u32 v4, 21, v67
	v_add_nc_u32_e32 v86, 20, v67
	s_delay_alu instid0(VALU_DEP_2) | instskip(NEXT) | instid1(VALU_DEP_2)
	v_lshlrev_b64_e64 v[4:5], v4, -1
	v_lshlrev_b64_e64 v[86:87], v86, 1
	s_delay_alu instid0(VALU_DEP_2) | instskip(NEXT) | instid1(VALU_DEP_3)
	v_bfi_b32 v97, v5, 0, 0
	v_bfi_b32 v96, v4, 0, v16
	v_lshrrev_b64 v[4:5], v67, v[16:17]
	s_delay_alu instid0(VALU_DEP_1) | instskip(NEXT) | instid1(VALU_DEP_3)
	v_mov_b64_e32 v[16:17], v[4:5]
	v_cmpx_eq_u64_e64 v[96:97], v[86:87]
; %bb.5730:                             ;   in Loop: Header=BB4_5618 Depth=4
	v_bfe_u32 v16, v4, 21, 1
	v_mov_b32_e32 v17, v3
	s_delay_alu instid0(VALU_DEP_1) | instskip(NEXT) | instid1(VALU_DEP_1)
	v_add_nc_u64_e32 v[16:17], v[4:5], v[16:17]
	v_add_nc_u64_e32 v[16:17], -1, v[16:17]
; %bb.5731:                             ;   in Loop: Header=BB4_5618 Depth=4
	s_or_b32 exec_lo, exec_lo, s88
	v_add_nc_u32_e32 v2, 0xffffff81, v65
	v_lshrrev_b32_e32 v5, 23, v4
	s_mov_b32 s14, exec_lo
	s_delay_alu instid0(VALU_DEP_2) | instskip(NEXT) | instid1(VALU_DEP_1)
	v_cndmask_b32_e64 v2, v2, 0xffffff82, vcc_lo
	v_add3_u32 v17, v67, v2, v5
	v_and_b32_e32 v2, 0x1fffff, v16
                                        ; implicit-def: $vgpr16
	s_delay_alu instid0(VALU_DEP_1) | instskip(NEXT) | instid1(VALU_DEP_1)
	v_dual_add_nc_u32 v65, 14, v17 :: v_dual_add_nc_u32 v2, v2, v4
                                        ; implicit-def: $vgpr4_vgpr5
	v_cmpx_ne_u32_e32 0, v65
	s_xor_b32 s14, exec_lo, s14
; %bb.5732:                             ;   in Loop: Header=BB4_5618 Depth=4
	s_delay_alu instid0(VALU_DEP_2) | instskip(SKIP_1) | instid1(VALU_DEP_1)
	v_cmp_lt_u64_e32 vcc_lo, 0xffffff, v[2:3]
	v_add_nc_u32_e32 v4, 15, v17
	v_cndmask_b32_e32 v16, v65, v4, vcc_lo
	v_cndmask_b32_e64 v4, 0, 1, vcc_lo
	s_delay_alu instid0(VALU_DEP_1)
	v_lshrrev_b64 v[4:5], v4, v[2:3]
; %bb.5733:                             ;   in Loop: Header=BB4_5618 Depth=4
	s_and_not1_saveexec_b32 s14, s14
; %bb.5734:                             ;   in Loop: Header=BB4_5618 Depth=4
	v_mov_b64_e32 v[4:5], v[2:3]
	v_bfe_u32 v16, v2, 23, 1
; %bb.5735:                             ;   in Loop: Header=BB4_5618 Depth=4
	s_or_b32 exec_lo, exec_lo, s14
	s_delay_alu instid0(VALU_DEP_2) | instskip(NEXT) | instid1(VALU_DEP_2)
	v_lshrrev_b64 v[4:5], 21, v[4:5]
	v_cmp_gt_i32_e32 vcc_lo, 32, v16
	v_min_i32_e32 v2, 31, v16
	v_cmp_eq_u32_e64 s14, 0, v16
	s_delay_alu instid0(VALU_DEP_2) | instskip(SKIP_1) | instid1(VALU_DEP_2)
	v_dual_cndmask_b32 v5, 0, v5 :: v_dual_lshlrev_b32 v2, 2, v2
	v_cndmask_b32_e32 v4, 3, v4, vcc_lo
	v_and_b32_e32 v2, 0xfc, v2
	s_delay_alu instid0(VALU_DEP_2) | instskip(NEXT) | instid1(VALU_DEP_2)
	v_cmp_eq_u64_e32 vcc_lo, 0, v[4:5]
	v_and_or_b32 v2, v4, 3, v2
	s_and_b32 s14, s14, vcc_lo
	s_delay_alu instid0(VALU_DEP_1) | instid1(SALU_CYCLE_1)
	v_cndmask_b32_e64 v2, v2, 0, s14
	s_delay_alu instid0(VALU_DEP_1)
	v_or_b32_e32 v101, v2, v18
.LBB4_5736:                             ;   in Loop: Header=BB4_5618 Depth=4
	s_or_b32 exec_lo, exec_lo, s79
                                        ; implicit-def: $vgpr18
.LBB4_5737:                             ;   in Loop: Header=BB4_5618 Depth=4
	s_and_not1_saveexec_b32 s14, s78
; %bb.5738:                             ;   in Loop: Header=BB4_5618 Depth=4
	v_or_b32_e32 v101, 0x7b, v18
; %bb.5739:                             ;   in Loop: Header=BB4_5618 Depth=4
	s_or_b32 exec_lo, exec_lo, s14
                                        ; implicit-def: $vgpr4
                                        ; implicit-def: $vgpr5
.LBB4_5740:                             ;   in Loop: Header=BB4_5618 Depth=4
	s_and_not1_saveexec_b32 s14, s77
	s_cbranch_execz .LBB4_5746
; %bb.5741:                             ;   in Loop: Header=BB4_5618 Depth=4
	s_mov_b32 s77, exec_lo
                                        ; implicit-def: $vgpr101
	v_cmpx_ne_u64_e32 0, v[2:3]
	s_xor_b32 s77, exec_lo, s77
; %bb.5742:                             ;   in Loop: Header=BB4_5618 Depth=4
	v_or_b32_e32 v101, 0x7f, v5
                                        ; implicit-def: $vgpr4
; %bb.5743:                             ;   in Loop: Header=BB4_5618 Depth=4
	s_and_not1_saveexec_b32 s77, s77
; %bb.5744:                             ;   in Loop: Header=BB4_5618 Depth=4
	v_cmp_lt_i32_e32 vcc_lo, -1, v4
	v_cndmask_b32_e32 v101, 0xfc, v49, vcc_lo
; %bb.5745:                             ;   in Loop: Header=BB4_5618 Depth=4
	s_or_b32 exec_lo, exec_lo, s77
.LBB4_5746:                             ;   in Loop: Header=BB4_5618 Depth=4
	s_delay_alu instid0(SALU_CYCLE_1) | instskip(SKIP_3) | instid1(VALU_DEP_2)
	s_or_b32 exec_lo, exec_lo, s14
	v_and_b32_e32 v5, 0xff, v9
	v_dual_mov_b32 v2, v9 :: v_dual_mov_b32 v4, 0
	s_mov_b32 s14, exec_lo
	v_cmpx_ne_u16_e32 0, v5
	s_cbranch_execz .LBB4_5756
; %bb.5747:                             ;   in Loop: Header=BB4_5618 Depth=4
	v_bfrev_b32_e32 v4, 1
	s_mov_b32 s77, exec_lo
	v_cmpx_ne_u16_e32 0x80, v5
	s_cbranch_execz .LBB4_5755
; %bb.5748:                             ;   in Loop: Header=BB4_5618 Depth=4
	v_and_b32_e32 v4, 0x7c, v9
	v_and_b32_e32 v5, 3, v9
	s_delay_alu instid0(VALU_DEP_2) | instskip(SKIP_1) | instid1(SALU_CYCLE_1)
	v_cmp_ne_u32_e32 vcc_lo, 0x7c, v4
                                        ; implicit-def: $vgpr4
	s_and_saveexec_b32 s78, vcc_lo
	s_xor_b32 s78, exec_lo, s78
	s_cbranch_execz .LBB4_5752
; %bb.5749:                             ;   in Loop: Header=BB4_5618 Depth=4
	v_bfe_u32 v4, v9, 2, 5
	s_mov_b32 s79, exec_lo
	s_delay_alu instid0(VALU_DEP_1)
	v_cmpx_eq_u32_e32 0, v4
; %bb.5750:                             ;   in Loop: Header=BB4_5618 Depth=4
	v_clz_i32_u32_e32 v4, v5
	s_delay_alu instid0(VALU_DEP_1) | instskip(NEXT) | instid1(VALU_DEP_1)
	v_min_u32_e32 v4, 32, v4
	v_subrev_nc_u32_e32 v5, 29, v4
	v_sub_nc_u32_e32 v4, 30, v4
	s_delay_alu instid0(VALU_DEP_2) | instskip(NEXT) | instid1(VALU_DEP_1)
	v_lshlrev_b64_e32 v[16:17], v5, v[2:3]
	v_and_b32_e32 v5, 3, v16
; %bb.5751:                             ;   in Loop: Header=BB4_5618 Depth=4
	s_or_b32 exec_lo, exec_lo, s79
	v_lshlrev_b32_e32 v16, 24, v9
	s_delay_alu instid0(VALU_DEP_1) | instskip(NEXT) | instid1(VALU_DEP_1)
	v_and_b32_e32 v16, 0x80000000, v16
	v_lshl_add_u32 v4, v4, 23, v16
	s_delay_alu instid0(VALU_DEP_1) | instskip(NEXT) | instid1(VALU_DEP_1)
	v_lshl_or_b32 v4, v5, 21, v4
                                        ; implicit-def: $vgpr5
	v_add_nc_u32_e32 v4, 0x38000000, v4
.LBB4_5752:                             ;   in Loop: Header=BB4_5618 Depth=4
	s_and_not1_saveexec_b32 s78, s78
; %bb.5753:                             ;   in Loop: Header=BB4_5618 Depth=4
	v_bfe_i32 v4, v9, 0, 8
	s_delay_alu instid0(VALU_DEP_1) | instskip(SKIP_2) | instid1(VALU_DEP_2)
	v_cmp_lt_i16_e32 vcc_lo, -1, v4
	v_cndmask_b32_e32 v4, 0xff800000, v48, vcc_lo
	v_cmp_eq_u32_e32 vcc_lo, 0, v5
	v_cndmask_b32_e32 v4, 0x7f800001, v4, vcc_lo
; %bb.5754:                             ;   in Loop: Header=BB4_5618 Depth=4
	s_or_b32 exec_lo, exec_lo, s78
.LBB4_5755:                             ;   in Loop: Header=BB4_5618 Depth=4
	s_delay_alu instid0(SALU_CYCLE_1)
	s_or_b32 exec_lo, exec_lo, s77
.LBB4_5756:                             ;   in Loop: Header=BB4_5618 Depth=4
	s_delay_alu instid0(SALU_CYCLE_1) | instskip(NEXT) | instid1(VALU_DEP_1)
	s_or_b32 exec_lo, exec_lo, s14
	v_dual_mul_f32 v16, s76, v4 :: v_dual_mov_b32 v87, v3
	v_mov_b32_e32 v5, v3
                                        ; implicit-def: $vgpr18
	s_mov_b32 s14, exec_lo
	s_delay_alu instid0(VALU_DEP_2) | instskip(SKIP_2) | instid1(VALU_DEP_3)
	v_and_b32_e32 v86, 0x7f800000, v16
	v_and_b32_e32 v4, 0x7fffff, v16
	v_lshrrev_b32_e32 v17, 24, v16
	v_cmpx_ne_u64_e32 0x7f800000, v[86:87]
	s_xor_b32 s77, exec_lo, s14
	s_cbranch_execz .LBB4_5770
; %bb.5757:                             ;   in Loop: Header=BB4_5618 Depth=4
	v_and_b32_e32 v86, 0x7fffffff, v16
	v_mov_b32_e32 v87, v3
	v_and_b32_e32 v65, 0x80, v17
                                        ; implicit-def: $vgpr18
	s_mov_b32 s14, exec_lo
	s_delay_alu instid0(VALU_DEP_2)
	v_cmpx_gt_u64_e32 0x47600001, v[86:87]
	s_xor_b32 s78, exec_lo, s14
	s_cbranch_execz .LBB4_5767
; %bb.5758:                             ;   in Loop: Header=BB4_5618 Depth=4
	v_mov_b32_e32 v18, 0
	s_mov_b32 s79, exec_lo
	v_cmpx_ne_u32_e32 0, v16
	s_cbranch_execz .LBB4_5766
; %bb.5759:                             ;   in Loop: Header=BB4_5618 Depth=4
	v_bfe_u32 v18, v16, 23, 8
	v_or_b32_e32 v86, 0x800000, v4
	s_delay_alu instid0(VALU_DEP_2) | instskip(SKIP_1) | instid1(VALU_DEP_2)
	v_sub_nc_u32_e32 v16, 0x71, v18
	v_cmp_gt_u32_e32 vcc_lo, 0x72, v18
	v_cndmask_b32_e32 v16, 0, v16, vcc_lo
	v_cmp_eq_u32_e32 vcc_lo, 0, v18
	s_delay_alu instid0(VALU_DEP_2) | instskip(NEXT) | instid1(VALU_DEP_1)
	v_cndmask_b32_e64 v67, v16, 0x70, vcc_lo
	v_dual_cndmask_b32 v4, v86, v4, vcc_lo :: v_dual_add_nc_u32 v16, 21, v67
	v_add_nc_u32_e32 v87, 20, v67
	s_delay_alu instid0(VALU_DEP_2) | instskip(NEXT) | instid1(VALU_DEP_2)
	v_lshlrev_b64_e64 v[16:17], v16, -1
	v_lshlrev_b64_e64 v[86:87], v87, 1
	s_delay_alu instid0(VALU_DEP_2) | instskip(SKIP_1) | instid1(VALU_DEP_4)
	v_bfi_b32 v16, v16, 0, v4
	v_lshrrev_b64 v[4:5], v67, v[4:5]
	v_bfi_b32 v17, v17, 0, 0
	s_delay_alu instid0(VALU_DEP_1) | instskip(NEXT) | instid1(VALU_DEP_3)
	v_cmp_eq_u64_e64 s14, v[16:17], v[86:87]
	v_mov_b64_e32 v[16:17], v[4:5]
	s_and_saveexec_b32 s88, s14
; %bb.5760:                             ;   in Loop: Header=BB4_5618 Depth=4
	v_bfe_u32 v16, v4, 21, 1
	v_mov_b32_e32 v17, v3
	s_delay_alu instid0(VALU_DEP_1) | instskip(NEXT) | instid1(VALU_DEP_1)
	v_add_nc_u64_e32 v[16:17], v[4:5], v[16:17]
	v_add_nc_u64_e32 v[16:17], -1, v[16:17]
; %bb.5761:                             ;   in Loop: Header=BB4_5618 Depth=4
	s_or_b32 exec_lo, exec_lo, s88
	v_add_nc_u32_e32 v5, 0xffffff81, v18
	v_lshrrev_b32_e32 v17, 23, v4
	s_mov_b32 s14, exec_lo
	s_delay_alu instid0(VALU_DEP_2) | instskip(NEXT) | instid1(VALU_DEP_1)
	v_cndmask_b32_e64 v5, v5, 0xffffff82, vcc_lo
	v_add3_u32 v17, v67, v5, v17
	v_and_b32_e32 v5, 0x1fffff, v16
                                        ; implicit-def: $vgpr16
	s_delay_alu instid0(VALU_DEP_1) | instskip(SKIP_1) | instid1(VALU_DEP_2)
	v_dual_add_nc_u32 v18, 14, v17 :: v_dual_add_nc_u32 v4, v5, v4
	v_mov_b32_e32 v5, v3
	v_cmpx_ne_u32_e32 0, v18
	s_xor_b32 s14, exec_lo, s14
; %bb.5762:                             ;   in Loop: Header=BB4_5618 Depth=4
	s_delay_alu instid0(VALU_DEP_2) | instskip(SKIP_2) | instid1(VALU_DEP_2)
	v_cmp_lt_u64_e32 vcc_lo, 0xffffff, v[4:5]
	v_add_nc_u32_e32 v16, 15, v17
	v_cndmask_b32_e64 v17, 0, 1, vcc_lo
	v_cndmask_b32_e32 v16, v18, v16, vcc_lo
	s_delay_alu instid0(VALU_DEP_2)
	v_lshrrev_b64 v[4:5], v17, v[4:5]
; %bb.5763:                             ;   in Loop: Header=BB4_5618 Depth=4
	s_and_not1_saveexec_b32 s14, s14
; %bb.5764:                             ;   in Loop: Header=BB4_5618 Depth=4
	s_delay_alu instid0(VALU_DEP_1)
	v_bfe_u32 v16, v4, 23, 1
; %bb.5765:                             ;   in Loop: Header=BB4_5618 Depth=4
	s_or_b32 exec_lo, exec_lo, s14
	s_delay_alu instid0(VALU_DEP_2) | instskip(NEXT) | instid1(VALU_DEP_2)
	v_lshrrev_b64 v[4:5], 21, v[4:5]
	v_cmp_gt_i32_e32 vcc_lo, 32, v16
	v_min_i32_e32 v17, 31, v16
	v_cmp_eq_u32_e64 s14, 0, v16
	s_delay_alu instid0(VALU_DEP_4) | instskip(NEXT) | instid1(VALU_DEP_3)
	v_cndmask_b32_e32 v5, 0, v5, vcc_lo
	v_dual_cndmask_b32 v4, 3, v4 :: v_dual_lshlrev_b32 v17, 2, v17
	s_delay_alu instid0(VALU_DEP_1) | instskip(NEXT) | instid1(VALU_DEP_2)
	v_and_b32_e32 v17, 0xfc, v17
	v_cmp_eq_u64_e32 vcc_lo, 0, v[4:5]
	s_delay_alu instid0(VALU_DEP_2)
	v_and_or_b32 v4, v4, 3, v17
	s_and_b32 s14, s14, vcc_lo
	s_delay_alu instid0(VALU_DEP_1) | instid1(SALU_CYCLE_1)
	v_cndmask_b32_e64 v4, v4, 0, s14
	s_delay_alu instid0(VALU_DEP_1)
	v_or_b32_e32 v18, v4, v65
.LBB4_5766:                             ;   in Loop: Header=BB4_5618 Depth=4
	s_or_b32 exec_lo, exec_lo, s79
                                        ; implicit-def: $vgpr65
.LBB4_5767:                             ;   in Loop: Header=BB4_5618 Depth=4
	s_and_not1_saveexec_b32 s14, s78
; %bb.5768:                             ;   in Loop: Header=BB4_5618 Depth=4
	v_or_b32_e32 v18, 0x7b, v65
; %bb.5769:                             ;   in Loop: Header=BB4_5618 Depth=4
	s_or_b32 exec_lo, exec_lo, s14
                                        ; implicit-def: $vgpr16
                                        ; implicit-def: $vgpr4_vgpr5
                                        ; implicit-def: $vgpr17
.LBB4_5770:                             ;   in Loop: Header=BB4_5618 Depth=4
	s_and_not1_saveexec_b32 s14, s77
	s_cbranch_execz .LBB4_5776
; %bb.5771:                             ;   in Loop: Header=BB4_5618 Depth=4
	s_mov_b32 s77, exec_lo
                                        ; implicit-def: $vgpr18
	v_cmpx_ne_u64_e32 0, v[4:5]
	s_xor_b32 s77, exec_lo, s77
; %bb.5772:                             ;   in Loop: Header=BB4_5618 Depth=4
	v_or_b32_e32 v18, 0x7f, v17
                                        ; implicit-def: $vgpr16
; %bb.5773:                             ;   in Loop: Header=BB4_5618 Depth=4
	s_and_not1_saveexec_b32 s77, s77
; %bb.5774:                             ;   in Loop: Header=BB4_5618 Depth=4
	v_cmp_lt_i32_e32 vcc_lo, -1, v16
	v_cndmask_b32_e32 v18, 0xfc, v49, vcc_lo
; %bb.5775:                             ;   in Loop: Header=BB4_5618 Depth=4
	s_or_b32 exec_lo, exec_lo, s77
.LBB4_5776:                             ;   in Loop: Header=BB4_5618 Depth=4
	s_delay_alu instid0(SALU_CYCLE_1) | instskip(SKIP_3) | instid1(VALU_DEP_2)
	s_or_b32 exec_lo, exec_lo, s14
	v_lshrrev_b16 v4, 8, v2
	v_mov_b32_e32 v16, 0
	s_mov_b32 s14, exec_lo
	v_cmpx_ne_u16_e32 0, v4
	s_cbranch_execz .LBB4_5786
; %bb.5777:                             ;   in Loop: Header=BB4_5618 Depth=4
	v_bfrev_b32_e32 v16, 1
	s_mov_b32 s77, exec_lo
	v_cmpx_ne_u16_e32 0x80, v4
	s_cbranch_execz .LBB4_5785
; %bb.5778:                             ;   in Loop: Header=BB4_5618 Depth=4
	v_and_b32_e32 v17, 0xffff, v4
	s_delay_alu instid0(VALU_DEP_1) | instskip(SKIP_1) | instid1(VALU_DEP_2)
	v_and_b32_e32 v16, 0x7c, v17
	v_and_b32_e32 v5, 3, v17
	v_cmp_ne_u32_e32 vcc_lo, 0x7c, v16
                                        ; implicit-def: $vgpr16
	s_and_saveexec_b32 s78, vcc_lo
	s_delay_alu instid0(SALU_CYCLE_1)
	s_xor_b32 s78, exec_lo, s78
	s_cbranch_execz .LBB4_5782
; %bb.5779:                             ;   in Loop: Header=BB4_5618 Depth=4
	v_bfe_u32 v16, v17, 2, 5
	s_mov_b32 s79, exec_lo
	s_delay_alu instid0(VALU_DEP_1)
	v_cmpx_eq_u32_e32 0, v16
	s_cbranch_execz .LBB4_5781
; %bb.5780:                             ;   in Loop: Header=BB4_5618 Depth=4
	v_clz_i32_u32_e32 v5, v5
	s_delay_alu instid0(VALU_DEP_1) | instskip(SKIP_1) | instid1(VALU_DEP_2)
	v_min_u32_e32 v16, 32, v5
	v_mov_b32_e32 v5, v3
	v_subrev_nc_u32_e32 v17, 29, v16
	v_sub_nc_u32_e32 v16, 30, v16
	s_delay_alu instid0(VALU_DEP_2) | instskip(NEXT) | instid1(VALU_DEP_1)
	v_lshlrev_b64_e32 v[4:5], v17, v[4:5]
	v_and_b32_e32 v5, 3, v4
.LBB4_5781:                             ;   in Loop: Header=BB4_5618 Depth=4
	s_or_b32 exec_lo, exec_lo, s79
	v_lshlrev_b32_e32 v2, 16, v2
	s_delay_alu instid0(VALU_DEP_1) | instskip(NEXT) | instid1(VALU_DEP_1)
	v_and_b32_e32 v2, 0x80000000, v2
	v_lshl_add_u32 v2, v16, 23, v2
	s_delay_alu instid0(VALU_DEP_1) | instskip(NEXT) | instid1(VALU_DEP_1)
	v_lshl_or_b32 v2, v5, 21, v2
                                        ; implicit-def: $vgpr5
	v_add_nc_u32_e32 v16, 0x38000000, v2
.LBB4_5782:                             ;   in Loop: Header=BB4_5618 Depth=4
	s_and_not1_saveexec_b32 s78, s78
; %bb.5783:                             ;   in Loop: Header=BB4_5618 Depth=4
	v_cmp_lt_i16_e32 vcc_lo, -1, v2
	v_cndmask_b32_e32 v2, 0xff800000, v48, vcc_lo
	v_cmp_eq_u32_e32 vcc_lo, 0, v5
	s_delay_alu instid0(VALU_DEP_2)
	v_cndmask_b32_e32 v16, 0x7f800001, v2, vcc_lo
; %bb.5784:                             ;   in Loop: Header=BB4_5618 Depth=4
	s_or_b32 exec_lo, exec_lo, s78
.LBB4_5785:                             ;   in Loop: Header=BB4_5618 Depth=4
	s_delay_alu instid0(SALU_CYCLE_1)
	s_or_b32 exec_lo, exec_lo, s77
.LBB4_5786:                             ;   in Loop: Header=BB4_5618 Depth=4
	s_delay_alu instid0(SALU_CYCLE_1) | instskip(NEXT) | instid1(VALU_DEP_1)
	s_or_b32 exec_lo, exec_lo, s14
	v_dual_mul_f32 v4, s76, v16 :: v_dual_mov_b32 v17, v3
                                        ; implicit-def: $vgpr47
	s_mov_b32 s14, exec_lo
	s_delay_alu instid0(VALU_DEP_1) | instskip(SKIP_2) | instid1(VALU_DEP_3)
	v_and_b32_e32 v16, 0x7f800000, v4
	v_and_b32_e32 v2, 0x7fffff, v4
	v_lshrrev_b32_e32 v5, 24, v4
	v_cmpx_ne_u64_e32 0x7f800000, v[16:17]
	s_xor_b32 s77, exec_lo, s14
	s_cbranch_execz .LBB4_5800
; %bb.5787:                             ;   in Loop: Header=BB4_5618 Depth=4
	v_and_b32_e32 v16, 0x7fffffff, v4
	v_mov_b32_e32 v17, v3
	v_and_b32_e32 v65, 0x80, v5
                                        ; implicit-def: $vgpr47
	s_mov_b32 s14, exec_lo
	s_delay_alu instid0(VALU_DEP_2)
	v_cmpx_gt_u64_e32 0x47600001, v[16:17]
	s_xor_b32 s78, exec_lo, s14
	s_cbranch_execz .LBB4_5797
; %bb.5788:                             ;   in Loop: Header=BB4_5618 Depth=4
	v_mov_b32_e32 v47, 0
	s_mov_b32 s79, exec_lo
	v_cmpx_ne_u32_e32 0, v4
	s_cbranch_execz .LBB4_5796
; %bb.5789:                             ;   in Loop: Header=BB4_5618 Depth=4
	v_bfe_u32 v67, v4, 23, 8
	v_or_b32_e32 v16, 0x800000, v2
	s_mov_b32 s88, exec_lo
	s_delay_alu instid0(VALU_DEP_2) | instskip(SKIP_1) | instid1(VALU_DEP_2)
	v_dual_mov_b32 v17, v3 :: v_dual_sub_nc_u32 v4, 0x71, v67
	v_cmp_gt_u32_e32 vcc_lo, 0x72, v67
	v_cndmask_b32_e32 v4, 0, v4, vcc_lo
	v_cmp_eq_u32_e32 vcc_lo, 0, v67
	s_delay_alu instid0(VALU_DEP_2) | instskip(SKIP_1) | instid1(VALU_DEP_2)
	v_cndmask_b32_e64 v86, v4, 0x70, vcc_lo
	v_cndmask_b32_e32 v16, v16, v2, vcc_lo
	v_dual_add_nc_u32 v4, 21, v86 :: v_dual_add_nc_u32 v87, 20, v86
	s_delay_alu instid0(VALU_DEP_1) | instskip(NEXT) | instid1(VALU_DEP_2)
	v_lshlrev_b64_e64 v[4:5], v4, -1
	v_lshlrev_b64_e64 v[96:97], v87, 1
	s_delay_alu instid0(VALU_DEP_2) | instskip(NEXT) | instid1(VALU_DEP_3)
	v_bfi_b32 v45, v5, 0, 0
	v_bfi_b32 v44, v4, 0, v16
	v_lshrrev_b64 v[4:5], v86, v[16:17]
	s_delay_alu instid0(VALU_DEP_1) | instskip(NEXT) | instid1(VALU_DEP_3)
	v_mov_b64_e32 v[16:17], v[4:5]
	v_cmpx_eq_u64_e64 v[44:45], v[96:97]
; %bb.5790:                             ;   in Loop: Header=BB4_5618 Depth=4
	v_bfe_u32 v16, v4, 21, 1
	v_mov_b32_e32 v17, v3
	s_delay_alu instid0(VALU_DEP_1) | instskip(NEXT) | instid1(VALU_DEP_1)
	v_add_nc_u64_e32 v[16:17], v[4:5], v[16:17]
	v_add_nc_u64_e32 v[16:17], -1, v[16:17]
; %bb.5791:                             ;   in Loop: Header=BB4_5618 Depth=4
	s_or_b32 exec_lo, exec_lo, s88
	v_add_nc_u32_e32 v2, 0xffffff81, v67
	v_lshrrev_b32_e32 v5, 23, v4
	s_mov_b32 s14, exec_lo
	s_delay_alu instid0(VALU_DEP_2) | instskip(NEXT) | instid1(VALU_DEP_1)
	v_cndmask_b32_e64 v2, v2, 0xffffff82, vcc_lo
	v_add3_u32 v17, v86, v2, v5
	v_and_b32_e32 v2, 0x1fffff, v16
                                        ; implicit-def: $vgpr16
	s_delay_alu instid0(VALU_DEP_1) | instskip(NEXT) | instid1(VALU_DEP_1)
	v_dual_add_nc_u32 v67, 14, v17 :: v_dual_add_nc_u32 v2, v2, v4
                                        ; implicit-def: $vgpr4_vgpr5
	v_cmpx_ne_u32_e32 0, v67
	s_xor_b32 s14, exec_lo, s14
; %bb.5792:                             ;   in Loop: Header=BB4_5618 Depth=4
	s_delay_alu instid0(VALU_DEP_2) | instskip(SKIP_1) | instid1(VALU_DEP_1)
	v_cmp_lt_u64_e32 vcc_lo, 0xffffff, v[2:3]
	v_add_nc_u32_e32 v4, 15, v17
	v_cndmask_b32_e32 v16, v67, v4, vcc_lo
	v_cndmask_b32_e64 v4, 0, 1, vcc_lo
	s_delay_alu instid0(VALU_DEP_1)
	v_lshrrev_b64 v[4:5], v4, v[2:3]
; %bb.5793:                             ;   in Loop: Header=BB4_5618 Depth=4
	s_and_not1_saveexec_b32 s14, s14
; %bb.5794:                             ;   in Loop: Header=BB4_5618 Depth=4
	v_mov_b64_e32 v[4:5], v[2:3]
	v_bfe_u32 v16, v2, 23, 1
; %bb.5795:                             ;   in Loop: Header=BB4_5618 Depth=4
	s_or_b32 exec_lo, exec_lo, s14
	s_delay_alu instid0(VALU_DEP_2) | instskip(NEXT) | instid1(VALU_DEP_2)
	v_lshrrev_b64 v[4:5], 21, v[4:5]
	v_cmp_gt_i32_e32 vcc_lo, 32, v16
	v_min_i32_e32 v2, 31, v16
	v_cmp_eq_u32_e64 s14, 0, v16
	s_delay_alu instid0(VALU_DEP_2) | instskip(SKIP_1) | instid1(VALU_DEP_2)
	v_dual_cndmask_b32 v5, 0, v5 :: v_dual_lshlrev_b32 v2, 2, v2
	v_cndmask_b32_e32 v4, 3, v4, vcc_lo
	v_and_b32_e32 v2, 0xfc, v2
	s_delay_alu instid0(VALU_DEP_2) | instskip(NEXT) | instid1(VALU_DEP_2)
	v_cmp_eq_u64_e32 vcc_lo, 0, v[4:5]
	v_and_or_b32 v2, v4, 3, v2
	s_and_b32 s14, s14, vcc_lo
	s_delay_alu instid0(VALU_DEP_1) | instid1(SALU_CYCLE_1)
	v_cndmask_b32_e64 v2, v2, 0, s14
	s_delay_alu instid0(VALU_DEP_1)
	v_or_b32_e32 v47, v2, v65
.LBB4_5796:                             ;   in Loop: Header=BB4_5618 Depth=4
	s_or_b32 exec_lo, exec_lo, s79
                                        ; implicit-def: $vgpr65
.LBB4_5797:                             ;   in Loop: Header=BB4_5618 Depth=4
	s_and_not1_saveexec_b32 s14, s78
; %bb.5798:                             ;   in Loop: Header=BB4_5618 Depth=4
	v_or_b32_e32 v47, 0x7b, v65
; %bb.5799:                             ;   in Loop: Header=BB4_5618 Depth=4
	s_or_b32 exec_lo, exec_lo, s14
                                        ; implicit-def: $vgpr4
                                        ; implicit-def: $vgpr5
.LBB4_5800:                             ;   in Loop: Header=BB4_5618 Depth=4
	s_and_not1_saveexec_b32 s14, s77
	s_cbranch_execz .LBB4_5806
; %bb.5801:                             ;   in Loop: Header=BB4_5618 Depth=4
	s_mov_b32 s77, exec_lo
                                        ; implicit-def: $vgpr47
	v_cmpx_ne_u64_e32 0, v[2:3]
	s_xor_b32 s77, exec_lo, s77
; %bb.5802:                             ;   in Loop: Header=BB4_5618 Depth=4
	v_or_b32_e32 v47, 0x7f, v5
                                        ; implicit-def: $vgpr4
; %bb.5803:                             ;   in Loop: Header=BB4_5618 Depth=4
	s_and_not1_saveexec_b32 s77, s77
; %bb.5804:                             ;   in Loop: Header=BB4_5618 Depth=4
	v_cmp_lt_i32_e32 vcc_lo, -1, v4
	v_cndmask_b32_e32 v47, 0xfc, v49, vcc_lo
; %bb.5805:                             ;   in Loop: Header=BB4_5618 Depth=4
	s_or_b32 exec_lo, exec_lo, s77
.LBB4_5806:                             ;   in Loop: Header=BB4_5618 Depth=4
	s_delay_alu instid0(SALU_CYCLE_1) | instskip(SKIP_2) | instid1(VALU_DEP_1)
	s_or_b32 exec_lo, exec_lo, s14
	v_dual_lshrrev_b32 v2, 16, v9 :: v_dual_mov_b32 v4, 0
	s_mov_b32 s14, exec_lo
	v_and_b32_e32 v5, 0xff, v2
	s_delay_alu instid0(VALU_DEP_1)
	v_cmpx_ne_u16_e32 0, v5
	s_cbranch_execz .LBB4_5816
; %bb.5807:                             ;   in Loop: Header=BB4_5618 Depth=4
	v_bfrev_b32_e32 v4, 1
	s_mov_b32 s77, exec_lo
	v_cmpx_ne_u16_e32 0x80, v5
	s_cbranch_execz .LBB4_5815
; %bb.5808:                             ;   in Loop: Header=BB4_5618 Depth=4
	v_and_b32_e32 v4, 0x7c0000, v9
	v_bfe_u32 v5, v9, 16, 2
	s_delay_alu instid0(VALU_DEP_2) | instskip(SKIP_1) | instid1(SALU_CYCLE_1)
	v_cmp_ne_u32_e32 vcc_lo, 0x7c0000, v4
                                        ; implicit-def: $vgpr4
	s_and_saveexec_b32 s78, vcc_lo
	s_xor_b32 s78, exec_lo, s78
	s_cbranch_execz .LBB4_5812
; %bb.5809:                             ;   in Loop: Header=BB4_5618 Depth=4
	v_bfe_u32 v4, v9, 18, 5
	s_mov_b32 s79, exec_lo
	s_delay_alu instid0(VALU_DEP_1)
	v_cmpx_eq_u32_e32 0, v4
; %bb.5810:                             ;   in Loop: Header=BB4_5618 Depth=4
	v_clz_i32_u32_e32 v4, v5
	s_delay_alu instid0(VALU_DEP_1) | instskip(NEXT) | instid1(VALU_DEP_1)
	v_min_u32_e32 v4, 32, v4
	v_subrev_nc_u32_e32 v5, 29, v4
	v_sub_nc_u32_e32 v4, 30, v4
	s_delay_alu instid0(VALU_DEP_2) | instskip(NEXT) | instid1(VALU_DEP_1)
	v_lshlrev_b64_e32 v[16:17], v5, v[2:3]
	v_and_b32_e32 v5, 3, v16
; %bb.5811:                             ;   in Loop: Header=BB4_5618 Depth=4
	s_or_b32 exec_lo, exec_lo, s79
	v_lshlrev_b32_e32 v2, 24, v2
	s_delay_alu instid0(VALU_DEP_1) | instskip(NEXT) | instid1(VALU_DEP_1)
	v_and_b32_e32 v2, 0x80000000, v2
	v_lshl_add_u32 v2, v4, 23, v2
	s_delay_alu instid0(VALU_DEP_1) | instskip(NEXT) | instid1(VALU_DEP_1)
	v_lshl_or_b32 v2, v5, 21, v2
                                        ; implicit-def: $vgpr5
	v_add_nc_u32_e32 v4, 0x38000000, v2
                                        ; implicit-def: $vgpr2
.LBB4_5812:                             ;   in Loop: Header=BB4_5618 Depth=4
	s_and_not1_saveexec_b32 s78, s78
; %bb.5813:                             ;   in Loop: Header=BB4_5618 Depth=4
	v_bfe_i32 v2, v2, 0, 8
	s_delay_alu instid0(VALU_DEP_1) | instskip(SKIP_2) | instid1(VALU_DEP_2)
	v_cmp_lt_i16_e32 vcc_lo, -1, v2
	v_cndmask_b32_e32 v2, 0xff800000, v48, vcc_lo
	v_cmp_eq_u32_e32 vcc_lo, 0, v5
	v_cndmask_b32_e32 v4, 0x7f800001, v2, vcc_lo
; %bb.5814:                             ;   in Loop: Header=BB4_5618 Depth=4
	s_or_b32 exec_lo, exec_lo, s78
.LBB4_5815:                             ;   in Loop: Header=BB4_5618 Depth=4
	s_delay_alu instid0(SALU_CYCLE_1)
	s_or_b32 exec_lo, exec_lo, s77
.LBB4_5816:                             ;   in Loop: Header=BB4_5618 Depth=4
	s_delay_alu instid0(SALU_CYCLE_1) | instskip(NEXT) | instid1(VALU_DEP_1)
	s_or_b32 exec_lo, exec_lo, s14
	v_dual_mul_f32 v4, s76, v4 :: v_dual_mov_b32 v17, v3
                                        ; implicit-def: $vgpr57
	s_mov_b32 s14, exec_lo
	s_delay_alu instid0(VALU_DEP_1) | instskip(SKIP_2) | instid1(VALU_DEP_3)
	v_and_b32_e32 v16, 0x7f800000, v4
	v_and_b32_e32 v2, 0x7fffff, v4
	v_lshrrev_b32_e32 v5, 24, v4
	v_cmpx_ne_u64_e32 0x7f800000, v[16:17]
	s_xor_b32 s77, exec_lo, s14
	s_cbranch_execz .LBB4_5830
; %bb.5817:                             ;   in Loop: Header=BB4_5618 Depth=4
	v_and_b32_e32 v16, 0x7fffffff, v4
	v_mov_b32_e32 v17, v3
	v_and_b32_e32 v65, 0x80, v5
                                        ; implicit-def: $vgpr57
	s_mov_b32 s14, exec_lo
	s_delay_alu instid0(VALU_DEP_2)
	v_cmpx_gt_u64_e32 0x47600001, v[16:17]
	s_xor_b32 s78, exec_lo, s14
	s_cbranch_execz .LBB4_5827
; %bb.5818:                             ;   in Loop: Header=BB4_5618 Depth=4
	v_mov_b32_e32 v57, 0
	s_mov_b32 s79, exec_lo
	v_cmpx_ne_u32_e32 0, v4
	s_cbranch_execz .LBB4_5826
; %bb.5819:                             ;   in Loop: Header=BB4_5618 Depth=4
	v_bfe_u32 v67, v4, 23, 8
	v_or_b32_e32 v16, 0x800000, v2
	s_mov_b32 s88, exec_lo
	s_delay_alu instid0(VALU_DEP_2) | instskip(SKIP_1) | instid1(VALU_DEP_2)
	v_dual_mov_b32 v17, v3 :: v_dual_sub_nc_u32 v4, 0x71, v67
	v_cmp_gt_u32_e32 vcc_lo, 0x72, v67
	v_cndmask_b32_e32 v4, 0, v4, vcc_lo
	v_cmp_eq_u32_e32 vcc_lo, 0, v67
	s_delay_alu instid0(VALU_DEP_2) | instskip(SKIP_1) | instid1(VALU_DEP_2)
	v_cndmask_b32_e64 v86, v4, 0x70, vcc_lo
	v_cndmask_b32_e32 v16, v16, v2, vcc_lo
	v_dual_add_nc_u32 v4, 21, v86 :: v_dual_add_nc_u32 v87, 20, v86
	s_delay_alu instid0(VALU_DEP_1) | instskip(NEXT) | instid1(VALU_DEP_2)
	v_lshlrev_b64_e64 v[4:5], v4, -1
	v_lshlrev_b64_e64 v[96:97], v87, 1
	s_delay_alu instid0(VALU_DEP_2) | instskip(NEXT) | instid1(VALU_DEP_3)
	v_bfi_b32 v45, v5, 0, 0
	v_bfi_b32 v44, v4, 0, v16
	v_lshrrev_b64 v[4:5], v86, v[16:17]
	s_delay_alu instid0(VALU_DEP_1) | instskip(NEXT) | instid1(VALU_DEP_3)
	v_mov_b64_e32 v[16:17], v[4:5]
	v_cmpx_eq_u64_e64 v[44:45], v[96:97]
; %bb.5820:                             ;   in Loop: Header=BB4_5618 Depth=4
	v_bfe_u32 v16, v4, 21, 1
	v_mov_b32_e32 v17, v3
	s_delay_alu instid0(VALU_DEP_1) | instskip(NEXT) | instid1(VALU_DEP_1)
	v_add_nc_u64_e32 v[16:17], v[4:5], v[16:17]
	v_add_nc_u64_e32 v[16:17], -1, v[16:17]
; %bb.5821:                             ;   in Loop: Header=BB4_5618 Depth=4
	s_or_b32 exec_lo, exec_lo, s88
	v_add_nc_u32_e32 v2, 0xffffff81, v67
	v_lshrrev_b32_e32 v5, 23, v4
	s_mov_b32 s14, exec_lo
	s_delay_alu instid0(VALU_DEP_2) | instskip(NEXT) | instid1(VALU_DEP_1)
	v_cndmask_b32_e64 v2, v2, 0xffffff82, vcc_lo
	v_add3_u32 v17, v86, v2, v5
	v_and_b32_e32 v2, 0x1fffff, v16
                                        ; implicit-def: $vgpr16
	s_delay_alu instid0(VALU_DEP_1) | instskip(NEXT) | instid1(VALU_DEP_1)
	v_dual_add_nc_u32 v67, 14, v17 :: v_dual_add_nc_u32 v2, v2, v4
                                        ; implicit-def: $vgpr4_vgpr5
	v_cmpx_ne_u32_e32 0, v67
	s_xor_b32 s14, exec_lo, s14
; %bb.5822:                             ;   in Loop: Header=BB4_5618 Depth=4
	s_delay_alu instid0(VALU_DEP_2) | instskip(SKIP_1) | instid1(VALU_DEP_1)
	v_cmp_lt_u64_e32 vcc_lo, 0xffffff, v[2:3]
	v_add_nc_u32_e32 v4, 15, v17
	v_cndmask_b32_e32 v16, v67, v4, vcc_lo
	v_cndmask_b32_e64 v4, 0, 1, vcc_lo
	s_delay_alu instid0(VALU_DEP_1)
	v_lshrrev_b64 v[4:5], v4, v[2:3]
; %bb.5823:                             ;   in Loop: Header=BB4_5618 Depth=4
	s_and_not1_saveexec_b32 s14, s14
; %bb.5824:                             ;   in Loop: Header=BB4_5618 Depth=4
	v_mov_b64_e32 v[4:5], v[2:3]
	v_bfe_u32 v16, v2, 23, 1
; %bb.5825:                             ;   in Loop: Header=BB4_5618 Depth=4
	s_or_b32 exec_lo, exec_lo, s14
	s_delay_alu instid0(VALU_DEP_2) | instskip(NEXT) | instid1(VALU_DEP_2)
	v_lshrrev_b64 v[4:5], 21, v[4:5]
	v_cmp_gt_i32_e32 vcc_lo, 32, v16
	v_min_i32_e32 v2, 31, v16
	v_cmp_eq_u32_e64 s14, 0, v16
	s_delay_alu instid0(VALU_DEP_2) | instskip(SKIP_1) | instid1(VALU_DEP_2)
	v_dual_cndmask_b32 v5, 0, v5 :: v_dual_lshlrev_b32 v2, 2, v2
	v_cndmask_b32_e32 v4, 3, v4, vcc_lo
	v_and_b32_e32 v2, 0xfc, v2
	s_delay_alu instid0(VALU_DEP_2) | instskip(NEXT) | instid1(VALU_DEP_2)
	v_cmp_eq_u64_e32 vcc_lo, 0, v[4:5]
	v_and_or_b32 v2, v4, 3, v2
	s_and_b32 s14, s14, vcc_lo
	s_delay_alu instid0(VALU_DEP_1) | instid1(SALU_CYCLE_1)
	v_cndmask_b32_e64 v2, v2, 0, s14
	s_delay_alu instid0(VALU_DEP_1)
	v_or_b32_e32 v57, v2, v65
.LBB4_5826:                             ;   in Loop: Header=BB4_5618 Depth=4
	s_or_b32 exec_lo, exec_lo, s79
                                        ; implicit-def: $vgpr65
.LBB4_5827:                             ;   in Loop: Header=BB4_5618 Depth=4
	s_and_not1_saveexec_b32 s14, s78
; %bb.5828:                             ;   in Loop: Header=BB4_5618 Depth=4
	v_or_b32_e32 v57, 0x7b, v65
; %bb.5829:                             ;   in Loop: Header=BB4_5618 Depth=4
	s_or_b32 exec_lo, exec_lo, s14
                                        ; implicit-def: $vgpr4
                                        ; implicit-def: $vgpr5
.LBB4_5830:                             ;   in Loop: Header=BB4_5618 Depth=4
	s_and_not1_saveexec_b32 s14, s77
	s_cbranch_execz .LBB4_5836
; %bb.5831:                             ;   in Loop: Header=BB4_5618 Depth=4
	s_mov_b32 s77, exec_lo
                                        ; implicit-def: $vgpr57
	v_cmpx_ne_u64_e32 0, v[2:3]
	s_xor_b32 s77, exec_lo, s77
; %bb.5832:                             ;   in Loop: Header=BB4_5618 Depth=4
	v_or_b32_e32 v57, 0x7f, v5
                                        ; implicit-def: $vgpr4
; %bb.5833:                             ;   in Loop: Header=BB4_5618 Depth=4
	s_and_not1_saveexec_b32 s77, s77
; %bb.5834:                             ;   in Loop: Header=BB4_5618 Depth=4
	v_cmp_lt_i32_e32 vcc_lo, -1, v4
	v_cndmask_b32_e32 v57, 0xfc, v49, vcc_lo
; %bb.5835:                             ;   in Loop: Header=BB4_5618 Depth=4
	s_or_b32 exec_lo, exec_lo, s77
.LBB4_5836:                             ;   in Loop: Header=BB4_5618 Depth=4
	s_delay_alu instid0(SALU_CYCLE_1)
	s_or_b32 exec_lo, exec_lo, s14
	v_mov_b32_e32 v4, 0
	s_mov_b32 s14, exec_lo
	v_cmpx_lt_u64_e64 s[22:23], v[8:9]
	s_cbranch_execz .LBB4_5846
; %bb.5837:                             ;   in Loop: Header=BB4_5618 Depth=4
	v_lshrrev_b32_e32 v2, 24, v9
	v_bfrev_b32_e32 v4, 1
	s_mov_b32 s77, exec_lo
	s_delay_alu instid0(VALU_DEP_2)
	v_cmpx_ne_u32_e32 0x80, v2
	s_cbranch_execz .LBB4_5845
; %bb.5838:                             ;   in Loop: Header=BB4_5618 Depth=4
	v_and_b32_e32 v4, 0x7c000000, v9
	v_bfe_u32 v5, v9, 24, 2
	s_delay_alu instid0(VALU_DEP_2) | instskip(SKIP_1) | instid1(SALU_CYCLE_1)
	v_cmp_ne_u32_e32 vcc_lo, 0x7c000000, v4
                                        ; implicit-def: $vgpr4
	s_and_saveexec_b32 s78, vcc_lo
	s_xor_b32 s78, exec_lo, s78
	s_cbranch_execz .LBB4_5842
; %bb.5839:                             ;   in Loop: Header=BB4_5618 Depth=4
	v_bfe_u32 v4, v9, 26, 5
	s_mov_b32 s79, exec_lo
	s_delay_alu instid0(VALU_DEP_1)
	v_cmpx_eq_u32_e32 0, v4
; %bb.5840:                             ;   in Loop: Header=BB4_5618 Depth=4
	v_clz_i32_u32_e32 v4, v5
	s_delay_alu instid0(VALU_DEP_1) | instskip(NEXT) | instid1(VALU_DEP_1)
	v_min_u32_e32 v4, 32, v4
	v_subrev_nc_u32_e32 v5, 29, v4
	v_sub_nc_u32_e32 v4, 30, v4
	s_delay_alu instid0(VALU_DEP_2) | instskip(NEXT) | instid1(VALU_DEP_1)
	v_lshlrev_b64_e32 v[16:17], v5, v[2:3]
	v_and_b32_e32 v5, 3, v16
; %bb.5841:                             ;   in Loop: Header=BB4_5618 Depth=4
	s_or_b32 exec_lo, exec_lo, s79
	v_and_b32_e32 v2, 0x80000000, v9
	s_delay_alu instid0(VALU_DEP_1) | instskip(NEXT) | instid1(VALU_DEP_1)
	v_lshl_add_u32 v2, v4, 23, v2
	v_lshl_or_b32 v2, v5, 21, v2
                                        ; implicit-def: $vgpr5
	s_delay_alu instid0(VALU_DEP_1)
	v_add_nc_u32_e32 v4, 0x38000000, v2
.LBB4_5842:                             ;   in Loop: Header=BB4_5618 Depth=4
	s_and_not1_saveexec_b32 s78, s78
; %bb.5843:                             ;   in Loop: Header=BB4_5618 Depth=4
	v_cmp_lt_i64_e32 vcc_lo, -1, v[8:9]
	v_cndmask_b32_e32 v2, 0xff800000, v48, vcc_lo
	v_cmp_eq_u32_e32 vcc_lo, 0, v5
	s_delay_alu instid0(VALU_DEP_2)
	v_cndmask_b32_e32 v4, 0x7f800001, v2, vcc_lo
; %bb.5844:                             ;   in Loop: Header=BB4_5618 Depth=4
	s_or_b32 exec_lo, exec_lo, s78
.LBB4_5845:                             ;   in Loop: Header=BB4_5618 Depth=4
	s_delay_alu instid0(SALU_CYCLE_1)
	s_or_b32 exec_lo, exec_lo, s77
.LBB4_5846:                             ;   in Loop: Header=BB4_5618 Depth=4
	s_delay_alu instid0(SALU_CYCLE_1) | instskip(NEXT) | instid1(VALU_DEP_1)
	s_or_b32 exec_lo, exec_lo, s14
	v_dual_mul_f32 v4, s76, v4 :: v_dual_mov_b32 v9, v3
                                        ; implicit-def: $vgpr58
	s_mov_b32 s14, exec_lo
	s_delay_alu instid0(VALU_DEP_1) | instskip(SKIP_2) | instid1(VALU_DEP_3)
	v_and_b32_e32 v8, 0x7f800000, v4
	v_and_b32_e32 v2, 0x7fffff, v4
	v_lshrrev_b32_e32 v5, 24, v4
	v_cmpx_ne_u64_e32 0x7f800000, v[8:9]
	s_xor_b32 s77, exec_lo, s14
	s_cbranch_execz .LBB4_5860
; %bb.5847:                             ;   in Loop: Header=BB4_5618 Depth=4
	v_and_b32_e32 v8, 0x7fffffff, v4
	v_mov_b32_e32 v9, v3
	v_and_b32_e32 v16, 0x80, v5
                                        ; implicit-def: $vgpr58
	s_mov_b32 s14, exec_lo
	s_delay_alu instid0(VALU_DEP_2)
	v_cmpx_gt_u64_e32 0x47600001, v[8:9]
	s_xor_b32 s78, exec_lo, s14
	s_cbranch_execz .LBB4_5857
; %bb.5848:                             ;   in Loop: Header=BB4_5618 Depth=4
	v_mov_b32_e32 v58, 0
	s_mov_b32 s79, exec_lo
	v_cmpx_ne_u32_e32 0, v4
	s_cbranch_execz .LBB4_5856
; %bb.5849:                             ;   in Loop: Header=BB4_5618 Depth=4
	v_bfe_u32 v17, v4, 23, 8
	v_or_b32_e32 v8, 0x800000, v2
	s_mov_b32 s88, exec_lo
	s_delay_alu instid0(VALU_DEP_2) | instskip(SKIP_1) | instid1(VALU_DEP_2)
	v_dual_mov_b32 v9, v3 :: v_dual_sub_nc_u32 v4, 0x71, v17
	v_cmp_gt_u32_e32 vcc_lo, 0x72, v17
	v_cndmask_b32_e32 v4, 0, v4, vcc_lo
	v_cmp_eq_u32_e32 vcc_lo, 0, v17
	s_delay_alu instid0(VALU_DEP_2) | instskip(NEXT) | instid1(VALU_DEP_1)
	v_cndmask_b32_e64 v65, v4, 0x70, vcc_lo
	v_dual_cndmask_b32 v8, v8, v2, vcc_lo :: v_dual_add_nc_u32 v4, 21, v65
	v_add_nc_u32_e32 v67, 20, v65
	s_delay_alu instid0(VALU_DEP_2) | instskip(NEXT) | instid1(VALU_DEP_2)
	v_lshlrev_b64_e64 v[4:5], v4, -1
	v_lshlrev_b64_e64 v[86:87], v67, 1
	s_delay_alu instid0(VALU_DEP_2) | instskip(NEXT) | instid1(VALU_DEP_3)
	v_bfi_b32 v97, v5, 0, 0
	v_bfi_b32 v96, v4, 0, v8
	v_lshrrev_b64 v[4:5], v65, v[8:9]
	s_delay_alu instid0(VALU_DEP_1) | instskip(NEXT) | instid1(VALU_DEP_3)
	v_mov_b64_e32 v[8:9], v[4:5]
	v_cmpx_eq_u64_e64 v[96:97], v[86:87]
; %bb.5850:                             ;   in Loop: Header=BB4_5618 Depth=4
	v_bfe_u32 v8, v4, 21, 1
	v_mov_b32_e32 v9, v3
	s_delay_alu instid0(VALU_DEP_1) | instskip(NEXT) | instid1(VALU_DEP_1)
	v_add_nc_u64_e32 v[8:9], v[4:5], v[8:9]
	v_add_nc_u64_e32 v[8:9], -1, v[8:9]
; %bb.5851:                             ;   in Loop: Header=BB4_5618 Depth=4
	s_or_b32 exec_lo, exec_lo, s88
	v_add_nc_u32_e32 v2, 0xffffff81, v17
	v_lshrrev_b32_e32 v5, 23, v4
	s_mov_b32 s14, exec_lo
	s_delay_alu instid0(VALU_DEP_2) | instskip(NEXT) | instid1(VALU_DEP_1)
	v_cndmask_b32_e64 v2, v2, 0xffffff82, vcc_lo
	v_add3_u32 v9, v65, v2, v5
	v_and_b32_e32 v2, 0x1fffff, v8
                                        ; implicit-def: $vgpr8
	s_delay_alu instid0(VALU_DEP_1) | instskip(NEXT) | instid1(VALU_DEP_1)
	v_dual_add_nc_u32 v17, 14, v9 :: v_dual_add_nc_u32 v2, v2, v4
                                        ; implicit-def: $vgpr4_vgpr5
	v_cmpx_ne_u32_e32 0, v17
	s_xor_b32 s14, exec_lo, s14
; %bb.5852:                             ;   in Loop: Header=BB4_5618 Depth=4
	s_delay_alu instid0(VALU_DEP_2) | instskip(SKIP_1) | instid1(VALU_DEP_1)
	v_cmp_lt_u64_e32 vcc_lo, 0xffffff, v[2:3]
	v_add_nc_u32_e32 v4, 15, v9
	v_cndmask_b32_e32 v8, v17, v4, vcc_lo
	v_cndmask_b32_e64 v4, 0, 1, vcc_lo
	s_delay_alu instid0(VALU_DEP_1)
	v_lshrrev_b64 v[4:5], v4, v[2:3]
; %bb.5853:                             ;   in Loop: Header=BB4_5618 Depth=4
	s_and_not1_saveexec_b32 s14, s14
; %bb.5854:                             ;   in Loop: Header=BB4_5618 Depth=4
	v_mov_b64_e32 v[4:5], v[2:3]
	v_bfe_u32 v8, v2, 23, 1
; %bb.5855:                             ;   in Loop: Header=BB4_5618 Depth=4
	s_or_b32 exec_lo, exec_lo, s14
	s_delay_alu instid0(VALU_DEP_2) | instskip(NEXT) | instid1(VALU_DEP_2)
	v_lshrrev_b64 v[4:5], 21, v[4:5]
	v_cmp_gt_i32_e32 vcc_lo, 32, v8
	v_min_i32_e32 v2, 31, v8
	v_cmp_eq_u32_e64 s14, 0, v8
	s_delay_alu instid0(VALU_DEP_2) | instskip(SKIP_1) | instid1(VALU_DEP_2)
	v_dual_cndmask_b32 v5, 0, v5 :: v_dual_lshlrev_b32 v2, 2, v2
	v_cndmask_b32_e32 v4, 3, v4, vcc_lo
	v_and_b32_e32 v2, 0xfc, v2
	s_delay_alu instid0(VALU_DEP_2) | instskip(NEXT) | instid1(VALU_DEP_2)
	v_cmp_eq_u64_e32 vcc_lo, 0, v[4:5]
	v_and_or_b32 v2, v4, 3, v2
	s_and_b32 s14, s14, vcc_lo
	s_delay_alu instid0(VALU_DEP_1) | instid1(SALU_CYCLE_1)
	v_cndmask_b32_e64 v2, v2, 0, s14
	s_delay_alu instid0(VALU_DEP_1)
	v_or_b32_e32 v58, v2, v16
.LBB4_5856:                             ;   in Loop: Header=BB4_5618 Depth=4
	s_or_b32 exec_lo, exec_lo, s79
                                        ; implicit-def: $vgpr16
.LBB4_5857:                             ;   in Loop: Header=BB4_5618 Depth=4
	s_and_not1_saveexec_b32 s14, s78
; %bb.5858:                             ;   in Loop: Header=BB4_5618 Depth=4
	v_or_b32_e32 v58, 0x7b, v16
; %bb.5859:                             ;   in Loop: Header=BB4_5618 Depth=4
	s_or_b32 exec_lo, exec_lo, s14
                                        ; implicit-def: $vgpr4
                                        ; implicit-def: $vgpr5
.LBB4_5860:                             ;   in Loop: Header=BB4_5618 Depth=4
	s_and_not1_saveexec_b32 s14, s77
	s_cbranch_execz .LBB4_5866
; %bb.5861:                             ;   in Loop: Header=BB4_5618 Depth=4
	s_mov_b32 s77, exec_lo
                                        ; implicit-def: $vgpr58
	v_cmpx_ne_u64_e32 0, v[2:3]
	s_xor_b32 s77, exec_lo, s77
; %bb.5862:                             ;   in Loop: Header=BB4_5618 Depth=4
	v_or_b32_e32 v58, 0x7f, v5
                                        ; implicit-def: $vgpr4
; %bb.5863:                             ;   in Loop: Header=BB4_5618 Depth=4
	s_and_not1_saveexec_b32 s77, s77
; %bb.5864:                             ;   in Loop: Header=BB4_5618 Depth=4
	v_cmp_lt_i32_e32 vcc_lo, -1, v4
	v_cndmask_b32_e32 v58, 0xfc, v49, vcc_lo
; %bb.5865:                             ;   in Loop: Header=BB4_5618 Depth=4
	s_or_b32 exec_lo, exec_lo, s77
.LBB4_5866:                             ;   in Loop: Header=BB4_5618 Depth=4
	s_delay_alu instid0(SALU_CYCLE_1) | instskip(SKIP_1) | instid1(VALU_DEP_1)
	s_or_b32 exec_lo, exec_lo, s14
	v_and_b32_e32 v2, 0xff, v10
	v_cmp_ne_u16_e32 vcc_lo, 0, v2
	v_mov_b32_e32 v2, 0
	s_and_saveexec_b32 s14, vcc_lo
	s_cbranch_execz .LBB4_5876
; %bb.5867:                             ;   in Loop: Header=BB4_5618 Depth=4
	v_bfe_i32 v5, v10, 0, 8
	v_bfrev_b32_e32 v2, 1
	s_mov_b32 s77, exec_lo
	s_delay_alu instid0(VALU_DEP_2)
	v_cmpx_ne_u16_e32 0xff80, v5
	s_cbranch_execz .LBB4_5875
; %bb.5868:                             ;   in Loop: Header=BB4_5618 Depth=4
	v_and_b32_e32 v2, 0x7c, v10
	v_and_b32_e32 v4, 3, v10
	s_delay_alu instid0(VALU_DEP_2) | instskip(SKIP_1) | instid1(SALU_CYCLE_1)
	v_cmp_ne_u32_e32 vcc_lo, 0x7c, v2
                                        ; implicit-def: $vgpr2
	s_and_saveexec_b32 s78, vcc_lo
	s_xor_b32 s78, exec_lo, s78
	s_cbranch_execz .LBB4_5872
; %bb.5869:                             ;   in Loop: Header=BB4_5618 Depth=4
	v_bfe_u32 v2, v10, 2, 5
	s_mov_b32 s79, exec_lo
	s_delay_alu instid0(VALU_DEP_1)
	v_cmpx_eq_u32_e32 0, v2
; %bb.5870:                             ;   in Loop: Header=BB4_5618 Depth=4
	v_clz_i32_u32_e32 v2, v4
	s_delay_alu instid0(VALU_DEP_1) | instskip(NEXT) | instid1(VALU_DEP_1)
	v_min_u32_e32 v2, 32, v2
	v_subrev_nc_u32_e32 v4, 29, v2
	s_delay_alu instid0(VALU_DEP_1) | instskip(NEXT) | instid1(VALU_DEP_1)
	v_lshlrev_b64_e32 v[4:5], v4, v[10:11]
	v_dual_sub_nc_u32 v2, 30, v2 :: v_dual_bitop2_b32 v4, 3, v4 bitop3:0x40
; %bb.5871:                             ;   in Loop: Header=BB4_5618 Depth=4
	s_or_b32 exec_lo, exec_lo, s79
	v_lshlrev_b32_e32 v5, 24, v10
	s_delay_alu instid0(VALU_DEP_1) | instskip(NEXT) | instid1(VALU_DEP_1)
	v_and_b32_e32 v5, 0x80000000, v5
	v_lshl_add_u32 v2, v2, 23, v5
                                        ; implicit-def: $vgpr5
	s_delay_alu instid0(VALU_DEP_1) | instskip(NEXT) | instid1(VALU_DEP_1)
	v_lshl_or_b32 v2, v4, 21, v2
                                        ; implicit-def: $vgpr4
	v_add_nc_u32_e32 v2, 0x38000000, v2
.LBB4_5872:                             ;   in Loop: Header=BB4_5618 Depth=4
	s_and_not1_saveexec_b32 s78, s78
; %bb.5873:                             ;   in Loop: Header=BB4_5618 Depth=4
	v_cmp_lt_i16_e32 vcc_lo, -1, v5
	v_cndmask_b32_e32 v2, 0xff800000, v48, vcc_lo
	v_cmp_eq_u32_e32 vcc_lo, 0, v4
	s_delay_alu instid0(VALU_DEP_2)
	v_cndmask_b32_e32 v2, 0x7f800001, v2, vcc_lo
; %bb.5874:                             ;   in Loop: Header=BB4_5618 Depth=4
	s_or_b32 exec_lo, exec_lo, s78
.LBB4_5875:                             ;   in Loop: Header=BB4_5618 Depth=4
	s_delay_alu instid0(SALU_CYCLE_1)
	s_or_b32 exec_lo, exec_lo, s77
.LBB4_5876:                             ;   in Loop: Header=BB4_5618 Depth=4
	s_delay_alu instid0(SALU_CYCLE_1) | instskip(NEXT) | instid1(VALU_DEP_1)
	s_or_b32 exec_lo, exec_lo, s14
	v_dual_mul_f32 v4, s76, v2 :: v_dual_mov_b32 v9, v3
                                        ; implicit-def: $vgpr67
	s_mov_b32 s14, exec_lo
	s_delay_alu instid0(VALU_DEP_1) | instskip(SKIP_2) | instid1(VALU_DEP_3)
	v_and_b32_e32 v8, 0x7f800000, v4
	v_and_b32_e32 v2, 0x7fffff, v4
	v_lshrrev_b32_e32 v5, 24, v4
	v_cmpx_ne_u64_e32 0x7f800000, v[8:9]
	s_xor_b32 s77, exec_lo, s14
	s_cbranch_execz .LBB4_5890
; %bb.5877:                             ;   in Loop: Header=BB4_5618 Depth=4
	v_and_b32_e32 v8, 0x7fffffff, v4
	v_mov_b32_e32 v9, v3
	v_and_b32_e32 v16, 0x80, v5
                                        ; implicit-def: $vgpr67
	s_mov_b32 s14, exec_lo
	s_delay_alu instid0(VALU_DEP_2)
	v_cmpx_gt_u64_e32 0x47600001, v[8:9]
	s_xor_b32 s78, exec_lo, s14
	s_cbranch_execz .LBB4_5887
; %bb.5878:                             ;   in Loop: Header=BB4_5618 Depth=4
	v_mov_b32_e32 v67, 0
	s_mov_b32 s79, exec_lo
	v_cmpx_ne_u32_e32 0, v4
	s_cbranch_execz .LBB4_5886
; %bb.5879:                             ;   in Loop: Header=BB4_5618 Depth=4
	v_bfe_u32 v17, v4, 23, 8
	v_or_b32_e32 v8, 0x800000, v2
	s_mov_b32 s88, exec_lo
	s_delay_alu instid0(VALU_DEP_2) | instskip(SKIP_1) | instid1(VALU_DEP_2)
	v_dual_mov_b32 v9, v3 :: v_dual_sub_nc_u32 v4, 0x71, v17
	v_cmp_gt_u32_e32 vcc_lo, 0x72, v17
	v_cndmask_b32_e32 v4, 0, v4, vcc_lo
	v_cmp_eq_u32_e32 vcc_lo, 0, v17
	s_delay_alu instid0(VALU_DEP_2) | instskip(NEXT) | instid1(VALU_DEP_1)
	v_cndmask_b32_e64 v65, v4, 0x70, vcc_lo
	v_dual_cndmask_b32 v8, v8, v2, vcc_lo :: v_dual_add_nc_u32 v4, 21, v65
	v_add_nc_u32_e32 v67, 20, v65
	s_delay_alu instid0(VALU_DEP_2) | instskip(NEXT) | instid1(VALU_DEP_2)
	v_lshlrev_b64_e64 v[4:5], v4, -1
	v_lshlrev_b64_e64 v[86:87], v67, 1
	s_delay_alu instid0(VALU_DEP_2) | instskip(NEXT) | instid1(VALU_DEP_3)
	v_bfi_b32 v97, v5, 0, 0
	v_bfi_b32 v96, v4, 0, v8
	v_lshrrev_b64 v[4:5], v65, v[8:9]
	s_delay_alu instid0(VALU_DEP_1) | instskip(NEXT) | instid1(VALU_DEP_3)
	v_mov_b64_e32 v[8:9], v[4:5]
	v_cmpx_eq_u64_e64 v[96:97], v[86:87]
; %bb.5880:                             ;   in Loop: Header=BB4_5618 Depth=4
	v_bfe_u32 v8, v4, 21, 1
	v_mov_b32_e32 v9, v3
	s_delay_alu instid0(VALU_DEP_1) | instskip(NEXT) | instid1(VALU_DEP_1)
	v_add_nc_u64_e32 v[8:9], v[4:5], v[8:9]
	v_add_nc_u64_e32 v[8:9], -1, v[8:9]
; %bb.5881:                             ;   in Loop: Header=BB4_5618 Depth=4
	s_or_b32 exec_lo, exec_lo, s88
	v_add_nc_u32_e32 v2, 0xffffff81, v17
	v_lshrrev_b32_e32 v5, 23, v4
	s_mov_b32 s14, exec_lo
	s_delay_alu instid0(VALU_DEP_2) | instskip(NEXT) | instid1(VALU_DEP_1)
	v_cndmask_b32_e64 v2, v2, 0xffffff82, vcc_lo
	v_add3_u32 v9, v65, v2, v5
	v_and_b32_e32 v2, 0x1fffff, v8
                                        ; implicit-def: $vgpr8
	s_delay_alu instid0(VALU_DEP_1) | instskip(NEXT) | instid1(VALU_DEP_1)
	v_dual_add_nc_u32 v17, 14, v9 :: v_dual_add_nc_u32 v2, v2, v4
                                        ; implicit-def: $vgpr4_vgpr5
	v_cmpx_ne_u32_e32 0, v17
	s_xor_b32 s14, exec_lo, s14
; %bb.5882:                             ;   in Loop: Header=BB4_5618 Depth=4
	s_delay_alu instid0(VALU_DEP_2) | instskip(SKIP_1) | instid1(VALU_DEP_1)
	v_cmp_lt_u64_e32 vcc_lo, 0xffffff, v[2:3]
	v_add_nc_u32_e32 v4, 15, v9
	v_cndmask_b32_e32 v8, v17, v4, vcc_lo
	v_cndmask_b32_e64 v4, 0, 1, vcc_lo
	s_delay_alu instid0(VALU_DEP_1)
	v_lshrrev_b64 v[4:5], v4, v[2:3]
; %bb.5883:                             ;   in Loop: Header=BB4_5618 Depth=4
	s_and_not1_saveexec_b32 s14, s14
; %bb.5884:                             ;   in Loop: Header=BB4_5618 Depth=4
	v_mov_b64_e32 v[4:5], v[2:3]
	v_bfe_u32 v8, v2, 23, 1
; %bb.5885:                             ;   in Loop: Header=BB4_5618 Depth=4
	s_or_b32 exec_lo, exec_lo, s14
	s_delay_alu instid0(VALU_DEP_2) | instskip(NEXT) | instid1(VALU_DEP_2)
	v_lshrrev_b64 v[4:5], 21, v[4:5]
	v_cmp_gt_i32_e32 vcc_lo, 32, v8
	v_min_i32_e32 v2, 31, v8
	v_cmp_eq_u32_e64 s14, 0, v8
	s_delay_alu instid0(VALU_DEP_2) | instskip(SKIP_1) | instid1(VALU_DEP_2)
	v_dual_cndmask_b32 v5, 0, v5 :: v_dual_lshlrev_b32 v2, 2, v2
	v_cndmask_b32_e32 v4, 3, v4, vcc_lo
	v_and_b32_e32 v2, 0xfc, v2
	s_delay_alu instid0(VALU_DEP_2) | instskip(NEXT) | instid1(VALU_DEP_2)
	v_cmp_eq_u64_e32 vcc_lo, 0, v[4:5]
	v_and_or_b32 v2, v4, 3, v2
	s_and_b32 s14, s14, vcc_lo
	s_delay_alu instid0(VALU_DEP_1) | instid1(SALU_CYCLE_1)
	v_cndmask_b32_e64 v2, v2, 0, s14
	s_delay_alu instid0(VALU_DEP_1)
	v_or_b32_e32 v67, v2, v16
.LBB4_5886:                             ;   in Loop: Header=BB4_5618 Depth=4
	s_or_b32 exec_lo, exec_lo, s79
                                        ; implicit-def: $vgpr16
.LBB4_5887:                             ;   in Loop: Header=BB4_5618 Depth=4
	s_and_not1_saveexec_b32 s14, s78
; %bb.5888:                             ;   in Loop: Header=BB4_5618 Depth=4
	v_or_b32_e32 v67, 0x7b, v16
; %bb.5889:                             ;   in Loop: Header=BB4_5618 Depth=4
	s_or_b32 exec_lo, exec_lo, s14
                                        ; implicit-def: $vgpr4
                                        ; implicit-def: $vgpr5
.LBB4_5890:                             ;   in Loop: Header=BB4_5618 Depth=4
	s_and_not1_saveexec_b32 s14, s77
	s_cbranch_execz .LBB4_5896
; %bb.5891:                             ;   in Loop: Header=BB4_5618 Depth=4
	s_mov_b32 s77, exec_lo
                                        ; implicit-def: $vgpr67
	v_cmpx_ne_u64_e32 0, v[2:3]
	s_xor_b32 s77, exec_lo, s77
; %bb.5892:                             ;   in Loop: Header=BB4_5618 Depth=4
	v_or_b32_e32 v67, 0x7f, v5
                                        ; implicit-def: $vgpr4
; %bb.5893:                             ;   in Loop: Header=BB4_5618 Depth=4
	s_and_not1_saveexec_b32 s77, s77
; %bb.5894:                             ;   in Loop: Header=BB4_5618 Depth=4
	v_cmp_lt_i32_e32 vcc_lo, -1, v4
	v_cndmask_b32_e32 v67, 0xfc, v49, vcc_lo
; %bb.5895:                             ;   in Loop: Header=BB4_5618 Depth=4
	s_or_b32 exec_lo, exec_lo, s77
.LBB4_5896:                             ;   in Loop: Header=BB4_5618 Depth=4
	s_delay_alu instid0(SALU_CYCLE_1) | instskip(SKIP_3) | instid1(VALU_DEP_2)
	s_or_b32 exec_lo, exec_lo, s14
	v_lshrrev_b16 v4, 8, v10
	v_mov_b32_e32 v5, 0
	s_mov_b32 s14, exec_lo
	v_cmpx_ne_u16_e32 0, v4
	s_cbranch_execz .LBB4_5906
; %bb.5897:                             ;   in Loop: Header=BB4_5618 Depth=4
	v_bfrev_b32_e32 v5, 1
	s_mov_b32 s77, exec_lo
	v_cmpx_ne_u16_e32 0x80, v4
	s_cbranch_execz .LBB4_5905
; %bb.5898:                             ;   in Loop: Header=BB4_5618 Depth=4
	v_and_b32_e32 v8, 0xffff, v4
	s_delay_alu instid0(VALU_DEP_1) | instskip(SKIP_1) | instid1(VALU_DEP_2)
	v_and_b32_e32 v5, 0x7c, v8
	v_and_b32_e32 v2, 3, v8
	v_cmp_ne_u32_e32 vcc_lo, 0x7c, v5
                                        ; implicit-def: $vgpr5
	s_and_saveexec_b32 s78, vcc_lo
	s_delay_alu instid0(SALU_CYCLE_1)
	s_xor_b32 s78, exec_lo, s78
	s_cbranch_execz .LBB4_5902
; %bb.5899:                             ;   in Loop: Header=BB4_5618 Depth=4
	v_bfe_u32 v5, v8, 2, 5
	s_mov_b32 s79, exec_lo
	s_delay_alu instid0(VALU_DEP_1)
	v_cmpx_eq_u32_e32 0, v5
; %bb.5900:                             ;   in Loop: Header=BB4_5618 Depth=4
	v_clz_i32_u32_e32 v2, v2
	v_mov_b32_e32 v5, v3
	s_delay_alu instid0(VALU_DEP_2) | instskip(NEXT) | instid1(VALU_DEP_1)
	v_min_u32_e32 v2, 32, v2
	v_subrev_nc_u32_e32 v8, 29, v2
	s_delay_alu instid0(VALU_DEP_1) | instskip(NEXT) | instid1(VALU_DEP_1)
	v_lshlrev_b64_e32 v[4:5], v8, v[4:5]
	v_dual_sub_nc_u32 v5, 30, v2 :: v_dual_bitop2_b32 v2, 3, v4 bitop3:0x40
; %bb.5901:                             ;   in Loop: Header=BB4_5618 Depth=4
	s_or_b32 exec_lo, exec_lo, s79
	v_lshlrev_b32_e32 v4, 16, v10
	s_delay_alu instid0(VALU_DEP_1) | instskip(NEXT) | instid1(VALU_DEP_1)
	v_and_b32_e32 v4, 0x80000000, v4
	v_lshl_add_u32 v4, v5, 23, v4
	s_delay_alu instid0(VALU_DEP_1) | instskip(NEXT) | instid1(VALU_DEP_1)
	v_lshl_or_b32 v2, v2, 21, v4
	v_add_nc_u32_e32 v5, 0x38000000, v2
                                        ; implicit-def: $vgpr2
.LBB4_5902:                             ;   in Loop: Header=BB4_5618 Depth=4
	s_and_not1_saveexec_b32 s78, s78
; %bb.5903:                             ;   in Loop: Header=BB4_5618 Depth=4
	v_cmp_lt_i16_e32 vcc_lo, -1, v10
	v_cndmask_b32_e32 v4, 0xff800000, v48, vcc_lo
	v_cmp_eq_u32_e32 vcc_lo, 0, v2
	s_delay_alu instid0(VALU_DEP_2)
	v_cndmask_b32_e32 v5, 0x7f800001, v4, vcc_lo
; %bb.5904:                             ;   in Loop: Header=BB4_5618 Depth=4
	s_or_b32 exec_lo, exec_lo, s78
.LBB4_5905:                             ;   in Loop: Header=BB4_5618 Depth=4
	s_delay_alu instid0(SALU_CYCLE_1)
	s_or_b32 exec_lo, exec_lo, s77
.LBB4_5906:                             ;   in Loop: Header=BB4_5618 Depth=4
	s_delay_alu instid0(SALU_CYCLE_1) | instskip(NEXT) | instid1(VALU_DEP_1)
	s_or_b32 exec_lo, exec_lo, s14
	v_dual_mul_f32 v4, s76, v5 :: v_dual_mov_b32 v9, v3
                                        ; implicit-def: $vgpr115
	s_mov_b32 s14, exec_lo
	s_delay_alu instid0(VALU_DEP_1) | instskip(SKIP_2) | instid1(VALU_DEP_3)
	v_and_b32_e32 v8, 0x7f800000, v4
	v_and_b32_e32 v2, 0x7fffff, v4
	v_lshrrev_b32_e32 v5, 24, v4
	v_cmpx_ne_u64_e32 0x7f800000, v[8:9]
	s_xor_b32 s77, exec_lo, s14
	s_cbranch_execz .LBB4_5920
; %bb.5907:                             ;   in Loop: Header=BB4_5618 Depth=4
	v_and_b32_e32 v8, 0x7fffffff, v4
	v_mov_b32_e32 v9, v3
	v_and_b32_e32 v16, 0x80, v5
                                        ; implicit-def: $vgpr115
	s_mov_b32 s14, exec_lo
	s_delay_alu instid0(VALU_DEP_2)
	v_cmpx_gt_u64_e32 0x47600001, v[8:9]
	s_xor_b32 s78, exec_lo, s14
	s_cbranch_execz .LBB4_5917
; %bb.5908:                             ;   in Loop: Header=BB4_5618 Depth=4
	v_mov_b32_e32 v115, 0
	s_mov_b32 s79, exec_lo
	v_cmpx_ne_u32_e32 0, v4
	s_cbranch_execz .LBB4_5916
; %bb.5909:                             ;   in Loop: Header=BB4_5618 Depth=4
	v_bfe_u32 v17, v4, 23, 8
	v_or_b32_e32 v8, 0x800000, v2
	s_mov_b32 s88, exec_lo
	s_delay_alu instid0(VALU_DEP_2) | instskip(SKIP_1) | instid1(VALU_DEP_2)
	v_dual_mov_b32 v9, v3 :: v_dual_sub_nc_u32 v4, 0x71, v17
	v_cmp_gt_u32_e32 vcc_lo, 0x72, v17
	v_cndmask_b32_e32 v4, 0, v4, vcc_lo
	v_cmp_eq_u32_e32 vcc_lo, 0, v17
	s_delay_alu instid0(VALU_DEP_2) | instskip(NEXT) | instid1(VALU_DEP_1)
	v_cndmask_b32_e64 v65, v4, 0x70, vcc_lo
	v_dual_cndmask_b32 v8, v8, v2, vcc_lo :: v_dual_add_nc_u32 v4, 21, v65
	v_add_nc_u32_e32 v86, 20, v65
	s_delay_alu instid0(VALU_DEP_2) | instskip(NEXT) | instid1(VALU_DEP_2)
	v_lshlrev_b64_e64 v[4:5], v4, -1
	v_lshlrev_b64_e64 v[86:87], v86, 1
	s_delay_alu instid0(VALU_DEP_2) | instskip(NEXT) | instid1(VALU_DEP_3)
	v_bfi_b32 v97, v5, 0, 0
	v_bfi_b32 v96, v4, 0, v8
	v_lshrrev_b64 v[4:5], v65, v[8:9]
	s_delay_alu instid0(VALU_DEP_1) | instskip(NEXT) | instid1(VALU_DEP_3)
	v_mov_b64_e32 v[8:9], v[4:5]
	v_cmpx_eq_u64_e64 v[96:97], v[86:87]
; %bb.5910:                             ;   in Loop: Header=BB4_5618 Depth=4
	v_bfe_u32 v8, v4, 21, 1
	v_mov_b32_e32 v9, v3
	s_delay_alu instid0(VALU_DEP_1) | instskip(NEXT) | instid1(VALU_DEP_1)
	v_add_nc_u64_e32 v[8:9], v[4:5], v[8:9]
	v_add_nc_u64_e32 v[8:9], -1, v[8:9]
; %bb.5911:                             ;   in Loop: Header=BB4_5618 Depth=4
	s_or_b32 exec_lo, exec_lo, s88
	v_add_nc_u32_e32 v2, 0xffffff81, v17
	v_lshrrev_b32_e32 v5, 23, v4
	s_mov_b32 s14, exec_lo
	s_delay_alu instid0(VALU_DEP_2) | instskip(NEXT) | instid1(VALU_DEP_1)
	v_cndmask_b32_e64 v2, v2, 0xffffff82, vcc_lo
	v_add3_u32 v9, v65, v2, v5
	v_and_b32_e32 v2, 0x1fffff, v8
                                        ; implicit-def: $vgpr8
	s_delay_alu instid0(VALU_DEP_1) | instskip(NEXT) | instid1(VALU_DEP_1)
	v_dual_add_nc_u32 v17, 14, v9 :: v_dual_add_nc_u32 v2, v2, v4
                                        ; implicit-def: $vgpr4_vgpr5
	v_cmpx_ne_u32_e32 0, v17
	s_xor_b32 s14, exec_lo, s14
; %bb.5912:                             ;   in Loop: Header=BB4_5618 Depth=4
	s_delay_alu instid0(VALU_DEP_2) | instskip(SKIP_1) | instid1(VALU_DEP_1)
	v_cmp_lt_u64_e32 vcc_lo, 0xffffff, v[2:3]
	v_add_nc_u32_e32 v4, 15, v9
	v_cndmask_b32_e32 v8, v17, v4, vcc_lo
	v_cndmask_b32_e64 v4, 0, 1, vcc_lo
	s_delay_alu instid0(VALU_DEP_1)
	v_lshrrev_b64 v[4:5], v4, v[2:3]
; %bb.5913:                             ;   in Loop: Header=BB4_5618 Depth=4
	s_and_not1_saveexec_b32 s14, s14
; %bb.5914:                             ;   in Loop: Header=BB4_5618 Depth=4
	v_mov_b64_e32 v[4:5], v[2:3]
	v_bfe_u32 v8, v2, 23, 1
; %bb.5915:                             ;   in Loop: Header=BB4_5618 Depth=4
	s_or_b32 exec_lo, exec_lo, s14
	s_delay_alu instid0(VALU_DEP_2) | instskip(NEXT) | instid1(VALU_DEP_2)
	v_lshrrev_b64 v[4:5], 21, v[4:5]
	v_cmp_gt_i32_e32 vcc_lo, 32, v8
	v_min_i32_e32 v2, 31, v8
	v_cmp_eq_u32_e64 s14, 0, v8
	s_delay_alu instid0(VALU_DEP_2) | instskip(SKIP_1) | instid1(VALU_DEP_2)
	v_dual_cndmask_b32 v5, 0, v5 :: v_dual_lshlrev_b32 v2, 2, v2
	v_cndmask_b32_e32 v4, 3, v4, vcc_lo
	v_and_b32_e32 v2, 0xfc, v2
	s_delay_alu instid0(VALU_DEP_2) | instskip(NEXT) | instid1(VALU_DEP_2)
	v_cmp_eq_u64_e32 vcc_lo, 0, v[4:5]
	v_and_or_b32 v2, v4, 3, v2
	s_and_b32 s14, s14, vcc_lo
	s_delay_alu instid0(VALU_DEP_1) | instid1(SALU_CYCLE_1)
	v_cndmask_b32_e64 v2, v2, 0, s14
	s_delay_alu instid0(VALU_DEP_1)
	v_or_b32_e32 v115, v2, v16
.LBB4_5916:                             ;   in Loop: Header=BB4_5618 Depth=4
	s_or_b32 exec_lo, exec_lo, s79
                                        ; implicit-def: $vgpr16
.LBB4_5917:                             ;   in Loop: Header=BB4_5618 Depth=4
	s_and_not1_saveexec_b32 s14, s78
; %bb.5918:                             ;   in Loop: Header=BB4_5618 Depth=4
	v_or_b32_e32 v115, 0x7b, v16
; %bb.5919:                             ;   in Loop: Header=BB4_5618 Depth=4
	s_or_b32 exec_lo, exec_lo, s14
                                        ; implicit-def: $vgpr4
                                        ; implicit-def: $vgpr5
.LBB4_5920:                             ;   in Loop: Header=BB4_5618 Depth=4
	s_and_not1_saveexec_b32 s14, s77
	s_cbranch_execz .LBB4_5926
; %bb.5921:                             ;   in Loop: Header=BB4_5618 Depth=4
	s_mov_b32 s77, exec_lo
                                        ; implicit-def: $vgpr115
	v_cmpx_ne_u64_e32 0, v[2:3]
	s_xor_b32 s77, exec_lo, s77
; %bb.5922:                             ;   in Loop: Header=BB4_5618 Depth=4
	v_or_b32_e32 v115, 0x7f, v5
                                        ; implicit-def: $vgpr4
; %bb.5923:                             ;   in Loop: Header=BB4_5618 Depth=4
	s_and_not1_saveexec_b32 s77, s77
; %bb.5924:                             ;   in Loop: Header=BB4_5618 Depth=4
	v_cmp_lt_i32_e32 vcc_lo, -1, v4
	v_cndmask_b32_e32 v115, 0xfc, v49, vcc_lo
; %bb.5925:                             ;   in Loop: Header=BB4_5618 Depth=4
	s_or_b32 exec_lo, exec_lo, s77
.LBB4_5926:                             ;   in Loop: Header=BB4_5618 Depth=4
	s_delay_alu instid0(SALU_CYCLE_1) | instskip(SKIP_2) | instid1(VALU_DEP_1)
	s_or_b32 exec_lo, exec_lo, s14
	v_dual_lshrrev_b32 v2, 16, v10 :: v_dual_mov_b32 v4, 0
	s_mov_b32 s14, exec_lo
	v_and_b32_e32 v5, 0xff, v2
	s_delay_alu instid0(VALU_DEP_1)
	v_cmpx_ne_u16_e32 0, v5
	s_cbranch_execz .LBB4_5936
; %bb.5927:                             ;   in Loop: Header=BB4_5618 Depth=4
	v_bfrev_b32_e32 v4, 1
	s_mov_b32 s77, exec_lo
	v_cmpx_ne_u16_e32 0x80, v5
	s_cbranch_execz .LBB4_5935
; %bb.5928:                             ;   in Loop: Header=BB4_5618 Depth=4
	v_and_b32_e32 v4, 0x7c0000, v10
	v_bfe_u32 v5, v10, 16, 2
	s_delay_alu instid0(VALU_DEP_2) | instskip(SKIP_1) | instid1(SALU_CYCLE_1)
	v_cmp_ne_u32_e32 vcc_lo, 0x7c0000, v4
                                        ; implicit-def: $vgpr4
	s_and_saveexec_b32 s78, vcc_lo
	s_xor_b32 s78, exec_lo, s78
	s_cbranch_execz .LBB4_5932
; %bb.5929:                             ;   in Loop: Header=BB4_5618 Depth=4
	v_bfe_u32 v4, v10, 18, 5
	s_mov_b32 s79, exec_lo
	s_delay_alu instid0(VALU_DEP_1)
	v_cmpx_eq_u32_e32 0, v4
; %bb.5930:                             ;   in Loop: Header=BB4_5618 Depth=4
	v_clz_i32_u32_e32 v4, v5
	s_delay_alu instid0(VALU_DEP_1) | instskip(NEXT) | instid1(VALU_DEP_1)
	v_min_u32_e32 v4, 32, v4
	v_subrev_nc_u32_e32 v5, 29, v4
	v_sub_nc_u32_e32 v4, 30, v4
	s_delay_alu instid0(VALU_DEP_2) | instskip(NEXT) | instid1(VALU_DEP_1)
	v_lshlrev_b64_e32 v[8:9], v5, v[2:3]
	v_and_b32_e32 v5, 3, v8
; %bb.5931:                             ;   in Loop: Header=BB4_5618 Depth=4
	s_or_b32 exec_lo, exec_lo, s79
	v_lshlrev_b32_e32 v2, 24, v2
	s_delay_alu instid0(VALU_DEP_1) | instskip(NEXT) | instid1(VALU_DEP_1)
	v_and_b32_e32 v2, 0x80000000, v2
	v_lshl_add_u32 v2, v4, 23, v2
	s_delay_alu instid0(VALU_DEP_1) | instskip(NEXT) | instid1(VALU_DEP_1)
	v_lshl_or_b32 v2, v5, 21, v2
                                        ; implicit-def: $vgpr5
	v_add_nc_u32_e32 v4, 0x38000000, v2
                                        ; implicit-def: $vgpr2
.LBB4_5932:                             ;   in Loop: Header=BB4_5618 Depth=4
	s_and_not1_saveexec_b32 s78, s78
; %bb.5933:                             ;   in Loop: Header=BB4_5618 Depth=4
	v_bfe_i32 v2, v2, 0, 8
	s_delay_alu instid0(VALU_DEP_1) | instskip(SKIP_2) | instid1(VALU_DEP_2)
	v_cmp_lt_i16_e32 vcc_lo, -1, v2
	v_cndmask_b32_e32 v2, 0xff800000, v48, vcc_lo
	v_cmp_eq_u32_e32 vcc_lo, 0, v5
	v_cndmask_b32_e32 v4, 0x7f800001, v2, vcc_lo
; %bb.5934:                             ;   in Loop: Header=BB4_5618 Depth=4
	s_or_b32 exec_lo, exec_lo, s78
.LBB4_5935:                             ;   in Loop: Header=BB4_5618 Depth=4
	s_delay_alu instid0(SALU_CYCLE_1)
	s_or_b32 exec_lo, exec_lo, s77
.LBB4_5936:                             ;   in Loop: Header=BB4_5618 Depth=4
	s_delay_alu instid0(SALU_CYCLE_1) | instskip(NEXT) | instid1(VALU_DEP_1)
	s_or_b32 exec_lo, exec_lo, s14
	v_dual_mul_f32 v4, s76, v4 :: v_dual_mov_b32 v9, v3
                                        ; implicit-def: $vgpr46
	s_mov_b32 s14, exec_lo
	s_delay_alu instid0(VALU_DEP_1) | instskip(SKIP_2) | instid1(VALU_DEP_3)
	v_and_b32_e32 v8, 0x7f800000, v4
	v_and_b32_e32 v2, 0x7fffff, v4
	v_lshrrev_b32_e32 v5, 24, v4
	v_cmpx_ne_u64_e32 0x7f800000, v[8:9]
	s_xor_b32 s77, exec_lo, s14
	s_cbranch_execz .LBB4_5950
; %bb.5937:                             ;   in Loop: Header=BB4_5618 Depth=4
	v_and_b32_e32 v8, 0x7fffffff, v4
	v_mov_b32_e32 v9, v3
	v_and_b32_e32 v16, 0x80, v5
                                        ; implicit-def: $vgpr46
	s_mov_b32 s14, exec_lo
	s_delay_alu instid0(VALU_DEP_2)
	v_cmpx_gt_u64_e32 0x47600001, v[8:9]
	s_xor_b32 s78, exec_lo, s14
	s_cbranch_execz .LBB4_5947
; %bb.5938:                             ;   in Loop: Header=BB4_5618 Depth=4
	v_mov_b32_e32 v46, 0
	s_mov_b32 s79, exec_lo
	v_cmpx_ne_u32_e32 0, v4
	s_cbranch_execz .LBB4_5946
; %bb.5939:                             ;   in Loop: Header=BB4_5618 Depth=4
	v_bfe_u32 v17, v4, 23, 8
	v_or_b32_e32 v8, 0x800000, v2
	s_mov_b32 s88, exec_lo
	s_delay_alu instid0(VALU_DEP_2) | instskip(SKIP_1) | instid1(VALU_DEP_2)
	v_dual_mov_b32 v9, v3 :: v_dual_sub_nc_u32 v4, 0x71, v17
	v_cmp_gt_u32_e32 vcc_lo, 0x72, v17
	v_cndmask_b32_e32 v4, 0, v4, vcc_lo
	v_cmp_eq_u32_e32 vcc_lo, 0, v17
	s_delay_alu instid0(VALU_DEP_2) | instskip(NEXT) | instid1(VALU_DEP_1)
	v_cndmask_b32_e64 v65, v4, 0x70, vcc_lo
	v_dual_cndmask_b32 v8, v8, v2, vcc_lo :: v_dual_add_nc_u32 v4, 21, v65
	v_add_nc_u32_e32 v86, 20, v65
	s_delay_alu instid0(VALU_DEP_2) | instskip(NEXT) | instid1(VALU_DEP_2)
	v_lshlrev_b64_e64 v[4:5], v4, -1
	v_lshlrev_b64_e64 v[86:87], v86, 1
	s_delay_alu instid0(VALU_DEP_2) | instskip(NEXT) | instid1(VALU_DEP_3)
	v_bfi_b32 v97, v5, 0, 0
	v_bfi_b32 v96, v4, 0, v8
	v_lshrrev_b64 v[4:5], v65, v[8:9]
	s_delay_alu instid0(VALU_DEP_1) | instskip(NEXT) | instid1(VALU_DEP_3)
	v_mov_b64_e32 v[8:9], v[4:5]
	v_cmpx_eq_u64_e64 v[96:97], v[86:87]
; %bb.5940:                             ;   in Loop: Header=BB4_5618 Depth=4
	v_bfe_u32 v8, v4, 21, 1
	v_mov_b32_e32 v9, v3
	s_delay_alu instid0(VALU_DEP_1) | instskip(NEXT) | instid1(VALU_DEP_1)
	v_add_nc_u64_e32 v[8:9], v[4:5], v[8:9]
	v_add_nc_u64_e32 v[8:9], -1, v[8:9]
; %bb.5941:                             ;   in Loop: Header=BB4_5618 Depth=4
	s_or_b32 exec_lo, exec_lo, s88
	v_add_nc_u32_e32 v2, 0xffffff81, v17
	v_lshrrev_b32_e32 v5, 23, v4
	s_mov_b32 s14, exec_lo
	s_delay_alu instid0(VALU_DEP_2) | instskip(NEXT) | instid1(VALU_DEP_1)
	v_cndmask_b32_e64 v2, v2, 0xffffff82, vcc_lo
	v_add3_u32 v9, v65, v2, v5
	v_and_b32_e32 v2, 0x1fffff, v8
                                        ; implicit-def: $vgpr8
	s_delay_alu instid0(VALU_DEP_1) | instskip(NEXT) | instid1(VALU_DEP_1)
	v_dual_add_nc_u32 v17, 14, v9 :: v_dual_add_nc_u32 v2, v2, v4
                                        ; implicit-def: $vgpr4_vgpr5
	v_cmpx_ne_u32_e32 0, v17
	s_xor_b32 s14, exec_lo, s14
; %bb.5942:                             ;   in Loop: Header=BB4_5618 Depth=4
	s_delay_alu instid0(VALU_DEP_2) | instskip(SKIP_1) | instid1(VALU_DEP_1)
	v_cmp_lt_u64_e32 vcc_lo, 0xffffff, v[2:3]
	v_add_nc_u32_e32 v4, 15, v9
	v_cndmask_b32_e32 v8, v17, v4, vcc_lo
	v_cndmask_b32_e64 v4, 0, 1, vcc_lo
	s_delay_alu instid0(VALU_DEP_1)
	v_lshrrev_b64 v[4:5], v4, v[2:3]
; %bb.5943:                             ;   in Loop: Header=BB4_5618 Depth=4
	s_and_not1_saveexec_b32 s14, s14
; %bb.5944:                             ;   in Loop: Header=BB4_5618 Depth=4
	v_mov_b64_e32 v[4:5], v[2:3]
	v_bfe_u32 v8, v2, 23, 1
; %bb.5945:                             ;   in Loop: Header=BB4_5618 Depth=4
	s_or_b32 exec_lo, exec_lo, s14
	s_delay_alu instid0(VALU_DEP_2) | instskip(NEXT) | instid1(VALU_DEP_2)
	v_lshrrev_b64 v[4:5], 21, v[4:5]
	v_cmp_gt_i32_e32 vcc_lo, 32, v8
	v_min_i32_e32 v2, 31, v8
	v_cmp_eq_u32_e64 s14, 0, v8
	s_delay_alu instid0(VALU_DEP_2) | instskip(SKIP_1) | instid1(VALU_DEP_2)
	v_dual_cndmask_b32 v5, 0, v5 :: v_dual_lshlrev_b32 v2, 2, v2
	v_cndmask_b32_e32 v4, 3, v4, vcc_lo
	v_and_b32_e32 v2, 0xfc, v2
	s_delay_alu instid0(VALU_DEP_2) | instskip(NEXT) | instid1(VALU_DEP_2)
	v_cmp_eq_u64_e32 vcc_lo, 0, v[4:5]
	v_and_or_b32 v2, v4, 3, v2
	s_and_b32 s14, s14, vcc_lo
	s_delay_alu instid0(VALU_DEP_1) | instid1(SALU_CYCLE_1)
	v_cndmask_b32_e64 v2, v2, 0, s14
	s_delay_alu instid0(VALU_DEP_1)
	v_or_b32_e32 v46, v2, v16
.LBB4_5946:                             ;   in Loop: Header=BB4_5618 Depth=4
	s_or_b32 exec_lo, exec_lo, s79
                                        ; implicit-def: $vgpr16
.LBB4_5947:                             ;   in Loop: Header=BB4_5618 Depth=4
	s_and_not1_saveexec_b32 s14, s78
; %bb.5948:                             ;   in Loop: Header=BB4_5618 Depth=4
	v_or_b32_e32 v46, 0x7b, v16
; %bb.5949:                             ;   in Loop: Header=BB4_5618 Depth=4
	s_or_b32 exec_lo, exec_lo, s14
                                        ; implicit-def: $vgpr4
                                        ; implicit-def: $vgpr5
.LBB4_5950:                             ;   in Loop: Header=BB4_5618 Depth=4
	s_and_not1_saveexec_b32 s14, s77
	s_cbranch_execz .LBB4_5956
; %bb.5951:                             ;   in Loop: Header=BB4_5618 Depth=4
	s_mov_b32 s77, exec_lo
                                        ; implicit-def: $vgpr46
	v_cmpx_ne_u64_e32 0, v[2:3]
	s_xor_b32 s77, exec_lo, s77
; %bb.5952:                             ;   in Loop: Header=BB4_5618 Depth=4
	v_or_b32_e32 v46, 0x7f, v5
                                        ; implicit-def: $vgpr4
; %bb.5953:                             ;   in Loop: Header=BB4_5618 Depth=4
	s_and_not1_saveexec_b32 s77, s77
; %bb.5954:                             ;   in Loop: Header=BB4_5618 Depth=4
	v_cmp_lt_i32_e32 vcc_lo, -1, v4
	v_cndmask_b32_e32 v46, 0xfc, v49, vcc_lo
; %bb.5955:                             ;   in Loop: Header=BB4_5618 Depth=4
	s_or_b32 exec_lo, exec_lo, s77
.LBB4_5956:                             ;   in Loop: Header=BB4_5618 Depth=4
	s_delay_alu instid0(SALU_CYCLE_1)
	s_or_b32 exec_lo, exec_lo, s14
	v_mov_b32_e32 v4, 0
	s_mov_b32 s14, exec_lo
	v_cmpx_lt_u32_e32 0xffffff, v10
	s_cbranch_execz .LBB4_5966
; %bb.5957:                             ;   in Loop: Header=BB4_5618 Depth=4
	v_lshrrev_b32_e32 v2, 24, v10
	v_bfrev_b32_e32 v4, 1
	s_mov_b32 s77, exec_lo
	s_delay_alu instid0(VALU_DEP_2)
	v_cmpx_ne_u32_e32 0x80, v2
	s_cbranch_execz .LBB4_5965
; %bb.5958:                             ;   in Loop: Header=BB4_5618 Depth=4
	v_and_b32_e32 v4, 0x7c000000, v10
	v_bfe_u32 v5, v10, 24, 2
	s_delay_alu instid0(VALU_DEP_2) | instskip(SKIP_1) | instid1(SALU_CYCLE_1)
	v_cmp_ne_u32_e32 vcc_lo, 0x7c000000, v4
                                        ; implicit-def: $vgpr4
	s_and_saveexec_b32 s78, vcc_lo
	s_xor_b32 s78, exec_lo, s78
	s_cbranch_execz .LBB4_5962
; %bb.5959:                             ;   in Loop: Header=BB4_5618 Depth=4
	v_bfe_u32 v4, v10, 26, 5
	s_mov_b32 s79, exec_lo
	s_delay_alu instid0(VALU_DEP_1)
	v_cmpx_eq_u32_e32 0, v4
; %bb.5960:                             ;   in Loop: Header=BB4_5618 Depth=4
	v_clz_i32_u32_e32 v4, v5
	s_delay_alu instid0(VALU_DEP_1) | instskip(NEXT) | instid1(VALU_DEP_1)
	v_min_u32_e32 v4, 32, v4
	v_subrev_nc_u32_e32 v5, 29, v4
	v_sub_nc_u32_e32 v4, 30, v4
	s_delay_alu instid0(VALU_DEP_2) | instskip(NEXT) | instid1(VALU_DEP_1)
	v_lshlrev_b64_e32 v[8:9], v5, v[2:3]
	v_and_b32_e32 v5, 3, v8
; %bb.5961:                             ;   in Loop: Header=BB4_5618 Depth=4
	s_or_b32 exec_lo, exec_lo, s79
	v_and_b32_e32 v2, 0x80000000, v10
	s_delay_alu instid0(VALU_DEP_1) | instskip(NEXT) | instid1(VALU_DEP_1)
	v_lshl_add_u32 v2, v4, 23, v2
	v_lshl_or_b32 v2, v5, 21, v2
                                        ; implicit-def: $vgpr5
	s_delay_alu instid0(VALU_DEP_1)
	v_add_nc_u32_e32 v4, 0x38000000, v2
.LBB4_5962:                             ;   in Loop: Header=BB4_5618 Depth=4
	s_and_not1_saveexec_b32 s78, s78
; %bb.5963:                             ;   in Loop: Header=BB4_5618 Depth=4
	v_cmp_lt_i32_e32 vcc_lo, -1, v10
	v_cndmask_b32_e32 v2, 0xff800000, v48, vcc_lo
	v_cmp_eq_u32_e32 vcc_lo, 0, v5
	s_delay_alu instid0(VALU_DEP_2)
	v_cndmask_b32_e32 v4, 0x7f800001, v2, vcc_lo
; %bb.5964:                             ;   in Loop: Header=BB4_5618 Depth=4
	s_or_b32 exec_lo, exec_lo, s78
.LBB4_5965:                             ;   in Loop: Header=BB4_5618 Depth=4
	s_delay_alu instid0(SALU_CYCLE_1)
	s_or_b32 exec_lo, exec_lo, s77
.LBB4_5966:                             ;   in Loop: Header=BB4_5618 Depth=4
	s_delay_alu instid0(SALU_CYCLE_1) | instskip(NEXT) | instid1(VALU_DEP_1)
	s_or_b32 exec_lo, exec_lo, s14
	v_dual_mul_f32 v4, s76, v4 :: v_dual_mov_b32 v9, v3
                                        ; implicit-def: $vgpr56
	s_mov_b32 s14, exec_lo
	s_delay_alu instid0(VALU_DEP_1) | instskip(SKIP_2) | instid1(VALU_DEP_3)
	v_and_b32_e32 v8, 0x7f800000, v4
	v_and_b32_e32 v2, 0x7fffff, v4
	v_lshrrev_b32_e32 v5, 24, v4
	v_cmpx_ne_u64_e32 0x7f800000, v[8:9]
	s_xor_b32 s77, exec_lo, s14
	s_cbranch_execz .LBB4_5980
; %bb.5967:                             ;   in Loop: Header=BB4_5618 Depth=4
	v_and_b32_e32 v8, 0x7fffffff, v4
	v_mov_b32_e32 v9, v3
	v_and_b32_e32 v16, 0x80, v5
                                        ; implicit-def: $vgpr56
	s_mov_b32 s14, exec_lo
	s_delay_alu instid0(VALU_DEP_2)
	v_cmpx_gt_u64_e32 0x47600001, v[8:9]
	s_xor_b32 s78, exec_lo, s14
	s_cbranch_execz .LBB4_5977
; %bb.5968:                             ;   in Loop: Header=BB4_5618 Depth=4
	v_mov_b32_e32 v56, 0
	s_mov_b32 s79, exec_lo
	v_cmpx_ne_u32_e32 0, v4
	s_cbranch_execz .LBB4_5976
; %bb.5969:                             ;   in Loop: Header=BB4_5618 Depth=4
	v_bfe_u32 v17, v4, 23, 8
	v_or_b32_e32 v8, 0x800000, v2
	s_mov_b32 s88, exec_lo
	s_delay_alu instid0(VALU_DEP_2) | instskip(SKIP_1) | instid1(VALU_DEP_2)
	v_dual_mov_b32 v9, v3 :: v_dual_sub_nc_u32 v4, 0x71, v17
	v_cmp_gt_u32_e32 vcc_lo, 0x72, v17
	v_cndmask_b32_e32 v4, 0, v4, vcc_lo
	v_cmp_eq_u32_e32 vcc_lo, 0, v17
	s_delay_alu instid0(VALU_DEP_2) | instskip(NEXT) | instid1(VALU_DEP_1)
	v_cndmask_b32_e64 v65, v4, 0x70, vcc_lo
	v_dual_cndmask_b32 v8, v8, v2, vcc_lo :: v_dual_add_nc_u32 v4, 21, v65
	v_add_nc_u32_e32 v86, 20, v65
	s_delay_alu instid0(VALU_DEP_2) | instskip(NEXT) | instid1(VALU_DEP_2)
	v_lshlrev_b64_e64 v[4:5], v4, -1
	v_lshlrev_b64_e64 v[86:87], v86, 1
	s_delay_alu instid0(VALU_DEP_2) | instskip(NEXT) | instid1(VALU_DEP_3)
	v_bfi_b32 v97, v5, 0, 0
	v_bfi_b32 v96, v4, 0, v8
	v_lshrrev_b64 v[4:5], v65, v[8:9]
	s_delay_alu instid0(VALU_DEP_1) | instskip(NEXT) | instid1(VALU_DEP_3)
	v_mov_b64_e32 v[8:9], v[4:5]
	v_cmpx_eq_u64_e64 v[96:97], v[86:87]
; %bb.5970:                             ;   in Loop: Header=BB4_5618 Depth=4
	v_bfe_u32 v8, v4, 21, 1
	v_mov_b32_e32 v9, v3
	s_delay_alu instid0(VALU_DEP_1) | instskip(NEXT) | instid1(VALU_DEP_1)
	v_add_nc_u64_e32 v[8:9], v[4:5], v[8:9]
	v_add_nc_u64_e32 v[8:9], -1, v[8:9]
; %bb.5971:                             ;   in Loop: Header=BB4_5618 Depth=4
	s_or_b32 exec_lo, exec_lo, s88
	v_add_nc_u32_e32 v2, 0xffffff81, v17
	v_lshrrev_b32_e32 v5, 23, v4
	s_mov_b32 s14, exec_lo
	s_delay_alu instid0(VALU_DEP_2) | instskip(NEXT) | instid1(VALU_DEP_1)
	v_cndmask_b32_e64 v2, v2, 0xffffff82, vcc_lo
	v_add3_u32 v9, v65, v2, v5
	v_and_b32_e32 v2, 0x1fffff, v8
                                        ; implicit-def: $vgpr8
	s_delay_alu instid0(VALU_DEP_1) | instskip(NEXT) | instid1(VALU_DEP_1)
	v_dual_add_nc_u32 v17, 14, v9 :: v_dual_add_nc_u32 v2, v2, v4
                                        ; implicit-def: $vgpr4_vgpr5
	v_cmpx_ne_u32_e32 0, v17
	s_xor_b32 s14, exec_lo, s14
; %bb.5972:                             ;   in Loop: Header=BB4_5618 Depth=4
	s_delay_alu instid0(VALU_DEP_2) | instskip(SKIP_1) | instid1(VALU_DEP_1)
	v_cmp_lt_u64_e32 vcc_lo, 0xffffff, v[2:3]
	v_add_nc_u32_e32 v4, 15, v9
	v_cndmask_b32_e32 v8, v17, v4, vcc_lo
	v_cndmask_b32_e64 v4, 0, 1, vcc_lo
	s_delay_alu instid0(VALU_DEP_1)
	v_lshrrev_b64 v[4:5], v4, v[2:3]
; %bb.5973:                             ;   in Loop: Header=BB4_5618 Depth=4
	s_and_not1_saveexec_b32 s14, s14
; %bb.5974:                             ;   in Loop: Header=BB4_5618 Depth=4
	v_mov_b64_e32 v[4:5], v[2:3]
	v_bfe_u32 v8, v2, 23, 1
; %bb.5975:                             ;   in Loop: Header=BB4_5618 Depth=4
	s_or_b32 exec_lo, exec_lo, s14
	s_delay_alu instid0(VALU_DEP_2) | instskip(NEXT) | instid1(VALU_DEP_2)
	v_lshrrev_b64 v[4:5], 21, v[4:5]
	v_cmp_gt_i32_e32 vcc_lo, 32, v8
	v_min_i32_e32 v2, 31, v8
	v_cmp_eq_u32_e64 s14, 0, v8
	s_delay_alu instid0(VALU_DEP_2) | instskip(SKIP_1) | instid1(VALU_DEP_2)
	v_dual_cndmask_b32 v5, 0, v5 :: v_dual_lshlrev_b32 v2, 2, v2
	v_cndmask_b32_e32 v4, 3, v4, vcc_lo
	v_and_b32_e32 v2, 0xfc, v2
	s_delay_alu instid0(VALU_DEP_2) | instskip(NEXT) | instid1(VALU_DEP_2)
	v_cmp_eq_u64_e32 vcc_lo, 0, v[4:5]
	v_and_or_b32 v2, v4, 3, v2
	s_and_b32 s14, s14, vcc_lo
	s_delay_alu instid0(VALU_DEP_1) | instid1(SALU_CYCLE_1)
	v_cndmask_b32_e64 v2, v2, 0, s14
	s_delay_alu instid0(VALU_DEP_1)
	v_or_b32_e32 v56, v2, v16
.LBB4_5976:                             ;   in Loop: Header=BB4_5618 Depth=4
	s_or_b32 exec_lo, exec_lo, s79
                                        ; implicit-def: $vgpr16
.LBB4_5977:                             ;   in Loop: Header=BB4_5618 Depth=4
	s_and_not1_saveexec_b32 s14, s78
; %bb.5978:                             ;   in Loop: Header=BB4_5618 Depth=4
	v_or_b32_e32 v56, 0x7b, v16
; %bb.5979:                             ;   in Loop: Header=BB4_5618 Depth=4
	s_or_b32 exec_lo, exec_lo, s14
                                        ; implicit-def: $vgpr4
                                        ; implicit-def: $vgpr5
.LBB4_5980:                             ;   in Loop: Header=BB4_5618 Depth=4
	s_and_not1_saveexec_b32 s14, s77
	s_cbranch_execz .LBB4_5986
; %bb.5981:                             ;   in Loop: Header=BB4_5618 Depth=4
	s_mov_b32 s77, exec_lo
                                        ; implicit-def: $vgpr56
	v_cmpx_ne_u64_e32 0, v[2:3]
	s_xor_b32 s77, exec_lo, s77
; %bb.5982:                             ;   in Loop: Header=BB4_5618 Depth=4
	v_or_b32_e32 v56, 0x7f, v5
                                        ; implicit-def: $vgpr4
; %bb.5983:                             ;   in Loop: Header=BB4_5618 Depth=4
	s_and_not1_saveexec_b32 s77, s77
; %bb.5984:                             ;   in Loop: Header=BB4_5618 Depth=4
	v_cmp_lt_i32_e32 vcc_lo, -1, v4
	v_cndmask_b32_e32 v56, 0xfc, v49, vcc_lo
; %bb.5985:                             ;   in Loop: Header=BB4_5618 Depth=4
	s_or_b32 exec_lo, exec_lo, s77
.LBB4_5986:                             ;   in Loop: Header=BB4_5618 Depth=4
	s_delay_alu instid0(SALU_CYCLE_1) | instskip(SKIP_3) | instid1(VALU_DEP_2)
	s_or_b32 exec_lo, exec_lo, s14
	v_and_b32_e32 v5, 0xff, v11
	v_dual_mov_b32 v2, v11 :: v_dual_mov_b32 v4, 0
	s_mov_b32 s14, exec_lo
	v_cmpx_ne_u16_e32 0, v5
	s_cbranch_execz .LBB4_5996
; %bb.5987:                             ;   in Loop: Header=BB4_5618 Depth=4
	v_bfrev_b32_e32 v4, 1
	s_mov_b32 s77, exec_lo
	v_cmpx_ne_u16_e32 0x80, v5
	s_cbranch_execz .LBB4_5995
; %bb.5988:                             ;   in Loop: Header=BB4_5618 Depth=4
	v_and_b32_e32 v4, 0x7c, v11
	v_and_b32_e32 v5, 3, v11
	s_delay_alu instid0(VALU_DEP_2) | instskip(SKIP_1) | instid1(SALU_CYCLE_1)
	v_cmp_ne_u32_e32 vcc_lo, 0x7c, v4
                                        ; implicit-def: $vgpr4
	s_and_saveexec_b32 s78, vcc_lo
	s_xor_b32 s78, exec_lo, s78
	s_cbranch_execz .LBB4_5992
; %bb.5989:                             ;   in Loop: Header=BB4_5618 Depth=4
	v_bfe_u32 v4, v11, 2, 5
	s_mov_b32 s79, exec_lo
	s_delay_alu instid0(VALU_DEP_1)
	v_cmpx_eq_u32_e32 0, v4
; %bb.5990:                             ;   in Loop: Header=BB4_5618 Depth=4
	v_clz_i32_u32_e32 v4, v5
	s_delay_alu instid0(VALU_DEP_1) | instskip(NEXT) | instid1(VALU_DEP_1)
	v_min_u32_e32 v4, 32, v4
	v_subrev_nc_u32_e32 v5, 29, v4
	v_sub_nc_u32_e32 v4, 30, v4
	s_delay_alu instid0(VALU_DEP_2) | instskip(NEXT) | instid1(VALU_DEP_1)
	v_lshlrev_b64_e32 v[8:9], v5, v[2:3]
	v_and_b32_e32 v5, 3, v8
; %bb.5991:                             ;   in Loop: Header=BB4_5618 Depth=4
	s_or_b32 exec_lo, exec_lo, s79
	v_lshlrev_b32_e32 v8, 24, v11
	s_delay_alu instid0(VALU_DEP_1) | instskip(NEXT) | instid1(VALU_DEP_1)
	v_and_b32_e32 v8, 0x80000000, v8
	v_lshl_add_u32 v4, v4, 23, v8
	s_delay_alu instid0(VALU_DEP_1) | instskip(NEXT) | instid1(VALU_DEP_1)
	v_lshl_or_b32 v4, v5, 21, v4
                                        ; implicit-def: $vgpr5
	v_add_nc_u32_e32 v4, 0x38000000, v4
.LBB4_5992:                             ;   in Loop: Header=BB4_5618 Depth=4
	s_and_not1_saveexec_b32 s78, s78
; %bb.5993:                             ;   in Loop: Header=BB4_5618 Depth=4
	v_bfe_i32 v4, v11, 0, 8
	s_delay_alu instid0(VALU_DEP_1) | instskip(SKIP_2) | instid1(VALU_DEP_2)
	v_cmp_lt_i16_e32 vcc_lo, -1, v4
	v_cndmask_b32_e32 v4, 0xff800000, v48, vcc_lo
	v_cmp_eq_u32_e32 vcc_lo, 0, v5
	v_cndmask_b32_e32 v4, 0x7f800001, v4, vcc_lo
; %bb.5994:                             ;   in Loop: Header=BB4_5618 Depth=4
	s_or_b32 exec_lo, exec_lo, s78
.LBB4_5995:                             ;   in Loop: Header=BB4_5618 Depth=4
	s_delay_alu instid0(SALU_CYCLE_1)
	s_or_b32 exec_lo, exec_lo, s77
.LBB4_5996:                             ;   in Loop: Header=BB4_5618 Depth=4
	s_delay_alu instid0(SALU_CYCLE_1) | instskip(NEXT) | instid1(VALU_DEP_1)
	s_or_b32 exec_lo, exec_lo, s14
	v_dual_mul_f32 v8, s76, v4 :: v_dual_mov_b32 v17, v3
	v_mov_b32_e32 v5, v3
                                        ; implicit-def: $vgpr65
	s_mov_b32 s14, exec_lo
	s_delay_alu instid0(VALU_DEP_2) | instskip(SKIP_2) | instid1(VALU_DEP_3)
	v_and_b32_e32 v16, 0x7f800000, v8
	v_and_b32_e32 v4, 0x7fffff, v8
	v_lshrrev_b32_e32 v9, 24, v8
	v_cmpx_ne_u64_e32 0x7f800000, v[16:17]
	s_xor_b32 s77, exec_lo, s14
	s_cbranch_execz .LBB4_6010
; %bb.5997:                             ;   in Loop: Header=BB4_5618 Depth=4
	v_and_b32_e32 v16, 0x7fffffff, v8
	v_mov_b32_e32 v17, v3
                                        ; implicit-def: $vgpr65
	s_delay_alu instid0(VALU_DEP_1) | instskip(SKIP_2) | instid1(SALU_CYCLE_1)
	v_cmp_gt_u64_e32 vcc_lo, 0x47600001, v[16:17]
	v_and_b32_e32 v16, 0x80, v9
	s_and_saveexec_b32 s14, vcc_lo
	s_xor_b32 s78, exec_lo, s14
	s_cbranch_execz .LBB4_6007
; %bb.5998:                             ;   in Loop: Header=BB4_5618 Depth=4
	v_mov_b32_e32 v65, 0
	s_mov_b32 s79, exec_lo
	v_cmpx_ne_u32_e32 0, v8
	s_cbranch_execz .LBB4_6006
; %bb.5999:                             ;   in Loop: Header=BB4_5618 Depth=4
	v_bfe_u32 v17, v8, 23, 8
	v_or_b32_e32 v86, 0x800000, v4
	s_delay_alu instid0(VALU_DEP_2) | instskip(SKIP_1) | instid1(VALU_DEP_2)
	v_sub_nc_u32_e32 v8, 0x71, v17
	v_cmp_gt_u32_e32 vcc_lo, 0x72, v17
	v_cndmask_b32_e32 v8, 0, v8, vcc_lo
	v_cmp_eq_u32_e32 vcc_lo, 0, v17
	s_delay_alu instid0(VALU_DEP_2) | instskip(NEXT) | instid1(VALU_DEP_1)
	v_cndmask_b32_e64 v65, v8, 0x70, vcc_lo
	v_dual_cndmask_b32 v4, v86, v4, vcc_lo :: v_dual_add_nc_u32 v8, 21, v65
	v_add_nc_u32_e32 v87, 20, v65
	s_delay_alu instid0(VALU_DEP_2) | instskip(NEXT) | instid1(VALU_DEP_2)
	v_lshlrev_b64_e64 v[8:9], v8, -1
	v_lshlrev_b64_e64 v[86:87], v87, 1
	s_delay_alu instid0(VALU_DEP_2) | instskip(SKIP_1) | instid1(VALU_DEP_4)
	v_bfi_b32 v8, v8, 0, v4
	v_lshrrev_b64 v[4:5], v65, v[4:5]
	v_bfi_b32 v9, v9, 0, 0
	s_delay_alu instid0(VALU_DEP_1) | instskip(NEXT) | instid1(VALU_DEP_3)
	v_cmp_eq_u64_e64 s14, v[8:9], v[86:87]
	v_mov_b64_e32 v[8:9], v[4:5]
	s_and_saveexec_b32 s88, s14
; %bb.6000:                             ;   in Loop: Header=BB4_5618 Depth=4
	v_bfe_u32 v8, v4, 21, 1
	v_mov_b32_e32 v9, v3
	s_delay_alu instid0(VALU_DEP_1) | instskip(NEXT) | instid1(VALU_DEP_1)
	v_add_nc_u64_e32 v[8:9], v[4:5], v[8:9]
	v_add_nc_u64_e32 v[8:9], -1, v[8:9]
; %bb.6001:                             ;   in Loop: Header=BB4_5618 Depth=4
	s_or_b32 exec_lo, exec_lo, s88
	v_add_nc_u32_e32 v5, 0xffffff81, v17
	v_lshrrev_b32_e32 v9, 23, v4
	s_mov_b32 s14, exec_lo
	s_delay_alu instid0(VALU_DEP_2) | instskip(NEXT) | instid1(VALU_DEP_1)
	v_cndmask_b32_e64 v5, v5, 0xffffff82, vcc_lo
	v_add3_u32 v9, v65, v5, v9
	v_and_b32_e32 v5, 0x1fffff, v8
                                        ; implicit-def: $vgpr8
	s_delay_alu instid0(VALU_DEP_1) | instskip(SKIP_1) | instid1(VALU_DEP_2)
	v_dual_add_nc_u32 v17, 14, v9 :: v_dual_add_nc_u32 v4, v5, v4
	v_mov_b32_e32 v5, v3
	v_cmpx_ne_u32_e32 0, v17
	s_xor_b32 s14, exec_lo, s14
; %bb.6002:                             ;   in Loop: Header=BB4_5618 Depth=4
	s_delay_alu instid0(VALU_DEP_2) | instskip(SKIP_2) | instid1(VALU_DEP_2)
	v_cmp_lt_u64_e32 vcc_lo, 0xffffff, v[4:5]
	v_add_nc_u32_e32 v8, 15, v9
	v_cndmask_b32_e64 v9, 0, 1, vcc_lo
	v_cndmask_b32_e32 v8, v17, v8, vcc_lo
	s_delay_alu instid0(VALU_DEP_2)
	v_lshrrev_b64 v[4:5], v9, v[4:5]
; %bb.6003:                             ;   in Loop: Header=BB4_5618 Depth=4
	s_and_not1_saveexec_b32 s14, s14
; %bb.6004:                             ;   in Loop: Header=BB4_5618 Depth=4
	s_delay_alu instid0(VALU_DEP_1)
	v_bfe_u32 v8, v4, 23, 1
; %bb.6005:                             ;   in Loop: Header=BB4_5618 Depth=4
	s_or_b32 exec_lo, exec_lo, s14
	s_delay_alu instid0(VALU_DEP_2) | instskip(NEXT) | instid1(VALU_DEP_2)
	v_lshrrev_b64 v[4:5], 21, v[4:5]
	v_cmp_gt_i32_e32 vcc_lo, 32, v8
	v_min_i32_e32 v9, 31, v8
	v_cmp_eq_u32_e64 s14, 0, v8
	s_delay_alu instid0(VALU_DEP_4) | instskip(NEXT) | instid1(VALU_DEP_3)
	v_cndmask_b32_e32 v5, 0, v5, vcc_lo
	v_dual_cndmask_b32 v4, 3, v4 :: v_dual_lshlrev_b32 v9, 2, v9
	s_delay_alu instid0(VALU_DEP_1) | instskip(NEXT) | instid1(VALU_DEP_2)
	v_and_b32_e32 v9, 0xfc, v9
	v_cmp_eq_u64_e32 vcc_lo, 0, v[4:5]
	s_delay_alu instid0(VALU_DEP_2)
	v_and_or_b32 v4, v4, 3, v9
	s_and_b32 s14, s14, vcc_lo
	s_delay_alu instid0(VALU_DEP_1) | instid1(SALU_CYCLE_1)
	v_cndmask_b32_e64 v4, v4, 0, s14
	s_delay_alu instid0(VALU_DEP_1)
	v_or_b32_e32 v65, v4, v16
.LBB4_6006:                             ;   in Loop: Header=BB4_5618 Depth=4
	s_or_b32 exec_lo, exec_lo, s79
                                        ; implicit-def: $vgpr16
.LBB4_6007:                             ;   in Loop: Header=BB4_5618 Depth=4
	s_and_not1_saveexec_b32 s14, s78
; %bb.6008:                             ;   in Loop: Header=BB4_5618 Depth=4
	v_or_b32_e32 v65, 0x7b, v16
; %bb.6009:                             ;   in Loop: Header=BB4_5618 Depth=4
	s_or_b32 exec_lo, exec_lo, s14
                                        ; implicit-def: $vgpr8
                                        ; implicit-def: $vgpr4_vgpr5
                                        ; implicit-def: $vgpr9
.LBB4_6010:                             ;   in Loop: Header=BB4_5618 Depth=4
	s_and_not1_saveexec_b32 s14, s77
	s_cbranch_execz .LBB4_6016
; %bb.6011:                             ;   in Loop: Header=BB4_5618 Depth=4
	s_mov_b32 s77, exec_lo
                                        ; implicit-def: $vgpr65
	v_cmpx_ne_u64_e32 0, v[4:5]
	s_xor_b32 s77, exec_lo, s77
; %bb.6012:                             ;   in Loop: Header=BB4_5618 Depth=4
	v_or_b32_e32 v65, 0x7f, v9
                                        ; implicit-def: $vgpr8
; %bb.6013:                             ;   in Loop: Header=BB4_5618 Depth=4
	s_and_not1_saveexec_b32 s77, s77
; %bb.6014:                             ;   in Loop: Header=BB4_5618 Depth=4
	v_cmp_lt_i32_e32 vcc_lo, -1, v8
	v_cndmask_b32_e32 v65, 0xfc, v49, vcc_lo
; %bb.6015:                             ;   in Loop: Header=BB4_5618 Depth=4
	s_or_b32 exec_lo, exec_lo, s77
.LBB4_6016:                             ;   in Loop: Header=BB4_5618 Depth=4
	s_delay_alu instid0(SALU_CYCLE_1) | instskip(SKIP_3) | instid1(VALU_DEP_2)
	s_or_b32 exec_lo, exec_lo, s14
	v_lshrrev_b16 v4, 8, v2
	v_mov_b32_e32 v8, 0
	s_mov_b32 s14, exec_lo
	v_cmpx_ne_u16_e32 0, v4
	s_cbranch_execz .LBB4_6026
; %bb.6017:                             ;   in Loop: Header=BB4_5618 Depth=4
	v_bfrev_b32_e32 v8, 1
	s_mov_b32 s77, exec_lo
	v_cmpx_ne_u16_e32 0x80, v4
	s_cbranch_execz .LBB4_6025
; %bb.6018:                             ;   in Loop: Header=BB4_5618 Depth=4
	v_and_b32_e32 v9, 0xffff, v4
	s_delay_alu instid0(VALU_DEP_1) | instskip(SKIP_1) | instid1(VALU_DEP_2)
	v_and_b32_e32 v8, 0x7c, v9
	v_and_b32_e32 v5, 3, v9
	v_cmp_ne_u32_e32 vcc_lo, 0x7c, v8
                                        ; implicit-def: $vgpr8
	s_and_saveexec_b32 s78, vcc_lo
	s_delay_alu instid0(SALU_CYCLE_1)
	s_xor_b32 s78, exec_lo, s78
	s_cbranch_execz .LBB4_6022
; %bb.6019:                             ;   in Loop: Header=BB4_5618 Depth=4
	v_bfe_u32 v8, v9, 2, 5
	s_mov_b32 s79, exec_lo
	s_delay_alu instid0(VALU_DEP_1)
	v_cmpx_eq_u32_e32 0, v8
	s_cbranch_execz .LBB4_6021
; %bb.6020:                             ;   in Loop: Header=BB4_5618 Depth=4
	v_clz_i32_u32_e32 v5, v5
	s_delay_alu instid0(VALU_DEP_1) | instskip(SKIP_1) | instid1(VALU_DEP_2)
	v_min_u32_e32 v8, 32, v5
	v_mov_b32_e32 v5, v3
	v_subrev_nc_u32_e32 v9, 29, v8
	v_sub_nc_u32_e32 v8, 30, v8
	s_delay_alu instid0(VALU_DEP_2) | instskip(NEXT) | instid1(VALU_DEP_1)
	v_lshlrev_b64_e32 v[4:5], v9, v[4:5]
	v_and_b32_e32 v5, 3, v4
.LBB4_6021:                             ;   in Loop: Header=BB4_5618 Depth=4
	s_or_b32 exec_lo, exec_lo, s79
	v_lshlrev_b32_e32 v2, 16, v2
	s_delay_alu instid0(VALU_DEP_1) | instskip(NEXT) | instid1(VALU_DEP_1)
	v_and_b32_e32 v2, 0x80000000, v2
	v_lshl_add_u32 v2, v8, 23, v2
	s_delay_alu instid0(VALU_DEP_1) | instskip(NEXT) | instid1(VALU_DEP_1)
	v_lshl_or_b32 v2, v5, 21, v2
                                        ; implicit-def: $vgpr5
	v_add_nc_u32_e32 v8, 0x38000000, v2
.LBB4_6022:                             ;   in Loop: Header=BB4_5618 Depth=4
	s_and_not1_saveexec_b32 s78, s78
; %bb.6023:                             ;   in Loop: Header=BB4_5618 Depth=4
	v_cmp_lt_i16_e32 vcc_lo, -1, v2
	v_cndmask_b32_e32 v2, 0xff800000, v48, vcc_lo
	v_cmp_eq_u32_e32 vcc_lo, 0, v5
	s_delay_alu instid0(VALU_DEP_2)
	v_cndmask_b32_e32 v8, 0x7f800001, v2, vcc_lo
; %bb.6024:                             ;   in Loop: Header=BB4_5618 Depth=4
	s_or_b32 exec_lo, exec_lo, s78
.LBB4_6025:                             ;   in Loop: Header=BB4_5618 Depth=4
	s_delay_alu instid0(SALU_CYCLE_1)
	s_or_b32 exec_lo, exec_lo, s77
.LBB4_6026:                             ;   in Loop: Header=BB4_5618 Depth=4
	s_delay_alu instid0(SALU_CYCLE_1) | instskip(NEXT) | instid1(VALU_DEP_1)
	s_or_b32 exec_lo, exec_lo, s14
	v_dual_mul_f32 v4, s76, v8 :: v_dual_mov_b32 v9, v3
                                        ; implicit-def: $vgpr100
	s_mov_b32 s14, exec_lo
	s_delay_alu instid0(VALU_DEP_1) | instskip(SKIP_2) | instid1(VALU_DEP_3)
	v_and_b32_e32 v8, 0x7f800000, v4
	v_and_b32_e32 v2, 0x7fffff, v4
	v_lshrrev_b32_e32 v5, 24, v4
	v_cmpx_ne_u64_e32 0x7f800000, v[8:9]
	s_xor_b32 s77, exec_lo, s14
	s_cbranch_execz .LBB4_6040
; %bb.6027:                             ;   in Loop: Header=BB4_5618 Depth=4
	v_and_b32_e32 v8, 0x7fffffff, v4
	v_mov_b32_e32 v9, v3
	v_and_b32_e32 v16, 0x80, v5
                                        ; implicit-def: $vgpr100
	s_mov_b32 s14, exec_lo
	s_delay_alu instid0(VALU_DEP_2)
	v_cmpx_gt_u64_e32 0x47600001, v[8:9]
	s_xor_b32 s78, exec_lo, s14
	s_cbranch_execz .LBB4_6037
; %bb.6028:                             ;   in Loop: Header=BB4_5618 Depth=4
	v_mov_b32_e32 v100, 0
	s_mov_b32 s79, exec_lo
	v_cmpx_ne_u32_e32 0, v4
	s_cbranch_execz .LBB4_6036
; %bb.6029:                             ;   in Loop: Header=BB4_5618 Depth=4
	v_bfe_u32 v17, v4, 23, 8
	v_or_b32_e32 v8, 0x800000, v2
	s_mov_b32 s88, exec_lo
	s_delay_alu instid0(VALU_DEP_2) | instskip(SKIP_1) | instid1(VALU_DEP_2)
	v_dual_mov_b32 v9, v3 :: v_dual_sub_nc_u32 v4, 0x71, v17
	v_cmp_gt_u32_e32 vcc_lo, 0x72, v17
	v_cndmask_b32_e32 v4, 0, v4, vcc_lo
	v_cmp_eq_u32_e32 vcc_lo, 0, v17
	s_delay_alu instid0(VALU_DEP_2) | instskip(SKIP_1) | instid1(VALU_DEP_2)
	v_cndmask_b32_e64 v86, v4, 0x70, vcc_lo
	v_cndmask_b32_e32 v8, v8, v2, vcc_lo
	v_dual_add_nc_u32 v4, 21, v86 :: v_dual_add_nc_u32 v87, 20, v86
	s_delay_alu instid0(VALU_DEP_1) | instskip(NEXT) | instid1(VALU_DEP_2)
	v_lshlrev_b64_e64 v[4:5], v4, -1
	v_lshlrev_b64_e64 v[96:97], v87, 1
	s_delay_alu instid0(VALU_DEP_2) | instskip(NEXT) | instid1(VALU_DEP_3)
	v_bfi_b32 v45, v5, 0, 0
	v_bfi_b32 v44, v4, 0, v8
	v_lshrrev_b64 v[4:5], v86, v[8:9]
	s_delay_alu instid0(VALU_DEP_1) | instskip(NEXT) | instid1(VALU_DEP_3)
	v_mov_b64_e32 v[8:9], v[4:5]
	v_cmpx_eq_u64_e64 v[44:45], v[96:97]
; %bb.6030:                             ;   in Loop: Header=BB4_5618 Depth=4
	v_bfe_u32 v8, v4, 21, 1
	v_mov_b32_e32 v9, v3
	s_delay_alu instid0(VALU_DEP_1) | instskip(NEXT) | instid1(VALU_DEP_1)
	v_add_nc_u64_e32 v[8:9], v[4:5], v[8:9]
	v_add_nc_u64_e32 v[8:9], -1, v[8:9]
; %bb.6031:                             ;   in Loop: Header=BB4_5618 Depth=4
	s_or_b32 exec_lo, exec_lo, s88
	v_add_nc_u32_e32 v2, 0xffffff81, v17
	v_lshrrev_b32_e32 v5, 23, v4
	s_mov_b32 s14, exec_lo
	s_delay_alu instid0(VALU_DEP_2) | instskip(NEXT) | instid1(VALU_DEP_1)
	v_cndmask_b32_e64 v2, v2, 0xffffff82, vcc_lo
	v_add3_u32 v9, v86, v2, v5
	v_and_b32_e32 v2, 0x1fffff, v8
                                        ; implicit-def: $vgpr8
	s_delay_alu instid0(VALU_DEP_1) | instskip(NEXT) | instid1(VALU_DEP_1)
	v_dual_add_nc_u32 v17, 14, v9 :: v_dual_add_nc_u32 v2, v2, v4
                                        ; implicit-def: $vgpr4_vgpr5
	v_cmpx_ne_u32_e32 0, v17
	s_xor_b32 s14, exec_lo, s14
; %bb.6032:                             ;   in Loop: Header=BB4_5618 Depth=4
	s_delay_alu instid0(VALU_DEP_2) | instskip(SKIP_1) | instid1(VALU_DEP_1)
	v_cmp_lt_u64_e32 vcc_lo, 0xffffff, v[2:3]
	v_add_nc_u32_e32 v4, 15, v9
	v_cndmask_b32_e32 v8, v17, v4, vcc_lo
	v_cndmask_b32_e64 v4, 0, 1, vcc_lo
	s_delay_alu instid0(VALU_DEP_1)
	v_lshrrev_b64 v[4:5], v4, v[2:3]
; %bb.6033:                             ;   in Loop: Header=BB4_5618 Depth=4
	s_and_not1_saveexec_b32 s14, s14
; %bb.6034:                             ;   in Loop: Header=BB4_5618 Depth=4
	v_mov_b64_e32 v[4:5], v[2:3]
	v_bfe_u32 v8, v2, 23, 1
; %bb.6035:                             ;   in Loop: Header=BB4_5618 Depth=4
	s_or_b32 exec_lo, exec_lo, s14
	s_delay_alu instid0(VALU_DEP_2) | instskip(NEXT) | instid1(VALU_DEP_2)
	v_lshrrev_b64 v[4:5], 21, v[4:5]
	v_cmp_gt_i32_e32 vcc_lo, 32, v8
	v_min_i32_e32 v2, 31, v8
	v_cmp_eq_u32_e64 s14, 0, v8
	s_delay_alu instid0(VALU_DEP_2) | instskip(SKIP_1) | instid1(VALU_DEP_2)
	v_dual_cndmask_b32 v5, 0, v5 :: v_dual_lshlrev_b32 v2, 2, v2
	v_cndmask_b32_e32 v4, 3, v4, vcc_lo
	v_and_b32_e32 v2, 0xfc, v2
	s_delay_alu instid0(VALU_DEP_2) | instskip(NEXT) | instid1(VALU_DEP_2)
	v_cmp_eq_u64_e32 vcc_lo, 0, v[4:5]
	v_and_or_b32 v2, v4, 3, v2
	s_and_b32 s14, s14, vcc_lo
	s_delay_alu instid0(VALU_DEP_1) | instid1(SALU_CYCLE_1)
	v_cndmask_b32_e64 v2, v2, 0, s14
	s_delay_alu instid0(VALU_DEP_1)
	v_or_b32_e32 v100, v2, v16
.LBB4_6036:                             ;   in Loop: Header=BB4_5618 Depth=4
	s_or_b32 exec_lo, exec_lo, s79
                                        ; implicit-def: $vgpr16
.LBB4_6037:                             ;   in Loop: Header=BB4_5618 Depth=4
	s_and_not1_saveexec_b32 s14, s78
; %bb.6038:                             ;   in Loop: Header=BB4_5618 Depth=4
	v_or_b32_e32 v100, 0x7b, v16
; %bb.6039:                             ;   in Loop: Header=BB4_5618 Depth=4
	s_or_b32 exec_lo, exec_lo, s14
                                        ; implicit-def: $vgpr4
                                        ; implicit-def: $vgpr5
.LBB4_6040:                             ;   in Loop: Header=BB4_5618 Depth=4
	s_and_not1_saveexec_b32 s14, s77
	s_cbranch_execz .LBB4_6046
; %bb.6041:                             ;   in Loop: Header=BB4_5618 Depth=4
	s_mov_b32 s77, exec_lo
                                        ; implicit-def: $vgpr100
	v_cmpx_ne_u64_e32 0, v[2:3]
	s_xor_b32 s77, exec_lo, s77
; %bb.6042:                             ;   in Loop: Header=BB4_5618 Depth=4
	v_or_b32_e32 v100, 0x7f, v5
                                        ; implicit-def: $vgpr4
; %bb.6043:                             ;   in Loop: Header=BB4_5618 Depth=4
	s_and_not1_saveexec_b32 s77, s77
; %bb.6044:                             ;   in Loop: Header=BB4_5618 Depth=4
	v_cmp_lt_i32_e32 vcc_lo, -1, v4
	v_cndmask_b32_e32 v100, 0xfc, v49, vcc_lo
; %bb.6045:                             ;   in Loop: Header=BB4_5618 Depth=4
	s_or_b32 exec_lo, exec_lo, s77
.LBB4_6046:                             ;   in Loop: Header=BB4_5618 Depth=4
	s_delay_alu instid0(SALU_CYCLE_1) | instskip(SKIP_2) | instid1(VALU_DEP_1)
	s_or_b32 exec_lo, exec_lo, s14
	v_dual_lshrrev_b32 v2, 16, v11 :: v_dual_mov_b32 v4, 0
	s_mov_b32 s14, exec_lo
	v_and_b32_e32 v5, 0xff, v2
	s_delay_alu instid0(VALU_DEP_1)
	v_cmpx_ne_u16_e32 0, v5
	s_cbranch_execz .LBB4_6056
; %bb.6047:                             ;   in Loop: Header=BB4_5618 Depth=4
	v_bfrev_b32_e32 v4, 1
	s_mov_b32 s77, exec_lo
	v_cmpx_ne_u16_e32 0x80, v5
	s_cbranch_execz .LBB4_6055
; %bb.6048:                             ;   in Loop: Header=BB4_5618 Depth=4
	v_and_b32_e32 v4, 0x7c0000, v11
	v_bfe_u32 v5, v11, 16, 2
	s_delay_alu instid0(VALU_DEP_2) | instskip(SKIP_1) | instid1(SALU_CYCLE_1)
	v_cmp_ne_u32_e32 vcc_lo, 0x7c0000, v4
                                        ; implicit-def: $vgpr4
	s_and_saveexec_b32 s78, vcc_lo
	s_xor_b32 s78, exec_lo, s78
	s_cbranch_execz .LBB4_6052
; %bb.6049:                             ;   in Loop: Header=BB4_5618 Depth=4
	v_bfe_u32 v4, v11, 18, 5
	s_mov_b32 s79, exec_lo
	s_delay_alu instid0(VALU_DEP_1)
	v_cmpx_eq_u32_e32 0, v4
; %bb.6050:                             ;   in Loop: Header=BB4_5618 Depth=4
	v_clz_i32_u32_e32 v4, v5
	s_delay_alu instid0(VALU_DEP_1) | instskip(NEXT) | instid1(VALU_DEP_1)
	v_min_u32_e32 v4, 32, v4
	v_subrev_nc_u32_e32 v5, 29, v4
	v_sub_nc_u32_e32 v4, 30, v4
	s_delay_alu instid0(VALU_DEP_2) | instskip(NEXT) | instid1(VALU_DEP_1)
	v_lshlrev_b64_e32 v[8:9], v5, v[2:3]
	v_and_b32_e32 v5, 3, v8
; %bb.6051:                             ;   in Loop: Header=BB4_5618 Depth=4
	s_or_b32 exec_lo, exec_lo, s79
	v_lshlrev_b32_e32 v2, 24, v2
	s_delay_alu instid0(VALU_DEP_1) | instskip(NEXT) | instid1(VALU_DEP_1)
	v_and_b32_e32 v2, 0x80000000, v2
	v_lshl_add_u32 v2, v4, 23, v2
	s_delay_alu instid0(VALU_DEP_1) | instskip(NEXT) | instid1(VALU_DEP_1)
	v_lshl_or_b32 v2, v5, 21, v2
                                        ; implicit-def: $vgpr5
	v_add_nc_u32_e32 v4, 0x38000000, v2
                                        ; implicit-def: $vgpr2
.LBB4_6052:                             ;   in Loop: Header=BB4_5618 Depth=4
	s_and_not1_saveexec_b32 s78, s78
; %bb.6053:                             ;   in Loop: Header=BB4_5618 Depth=4
	v_bfe_i32 v2, v2, 0, 8
	s_delay_alu instid0(VALU_DEP_1) | instskip(SKIP_2) | instid1(VALU_DEP_2)
	v_cmp_lt_i16_e32 vcc_lo, -1, v2
	v_cndmask_b32_e32 v2, 0xff800000, v48, vcc_lo
	v_cmp_eq_u32_e32 vcc_lo, 0, v5
	v_cndmask_b32_e32 v4, 0x7f800001, v2, vcc_lo
; %bb.6054:                             ;   in Loop: Header=BB4_5618 Depth=4
	s_or_b32 exec_lo, exec_lo, s78
.LBB4_6055:                             ;   in Loop: Header=BB4_5618 Depth=4
	s_delay_alu instid0(SALU_CYCLE_1)
	s_or_b32 exec_lo, exec_lo, s77
.LBB4_6056:                             ;   in Loop: Header=BB4_5618 Depth=4
	s_delay_alu instid0(SALU_CYCLE_1) | instskip(NEXT) | instid1(VALU_DEP_1)
	s_or_b32 exec_lo, exec_lo, s14
	v_dual_mul_f32 v4, s76, v4 :: v_dual_mov_b32 v9, v3
                                        ; implicit-def: $vgpr113
	s_mov_b32 s14, exec_lo
	s_delay_alu instid0(VALU_DEP_1) | instskip(SKIP_2) | instid1(VALU_DEP_3)
	v_and_b32_e32 v8, 0x7f800000, v4
	v_and_b32_e32 v2, 0x7fffff, v4
	v_lshrrev_b32_e32 v5, 24, v4
	v_cmpx_ne_u64_e32 0x7f800000, v[8:9]
	s_xor_b32 s77, exec_lo, s14
	s_cbranch_execz .LBB4_6070
; %bb.6057:                             ;   in Loop: Header=BB4_5618 Depth=4
	v_and_b32_e32 v8, 0x7fffffff, v4
	v_mov_b32_e32 v9, v3
	v_and_b32_e32 v16, 0x80, v5
                                        ; implicit-def: $vgpr113
	s_mov_b32 s14, exec_lo
	s_delay_alu instid0(VALU_DEP_2)
	v_cmpx_gt_u64_e32 0x47600001, v[8:9]
	s_xor_b32 s78, exec_lo, s14
	s_cbranch_execz .LBB4_6067
; %bb.6058:                             ;   in Loop: Header=BB4_5618 Depth=4
	v_mov_b32_e32 v113, 0
	s_mov_b32 s79, exec_lo
	v_cmpx_ne_u32_e32 0, v4
	s_cbranch_execz .LBB4_6066
; %bb.6059:                             ;   in Loop: Header=BB4_5618 Depth=4
	v_bfe_u32 v17, v4, 23, 8
	v_or_b32_e32 v8, 0x800000, v2
	s_mov_b32 s88, exec_lo
	s_delay_alu instid0(VALU_DEP_2) | instskip(SKIP_1) | instid1(VALU_DEP_2)
	v_dual_mov_b32 v9, v3 :: v_dual_sub_nc_u32 v4, 0x71, v17
	v_cmp_gt_u32_e32 vcc_lo, 0x72, v17
	v_cndmask_b32_e32 v4, 0, v4, vcc_lo
	v_cmp_eq_u32_e32 vcc_lo, 0, v17
	s_delay_alu instid0(VALU_DEP_2) | instskip(SKIP_1) | instid1(VALU_DEP_2)
	v_cndmask_b32_e64 v86, v4, 0x70, vcc_lo
	v_cndmask_b32_e32 v8, v8, v2, vcc_lo
	v_dual_add_nc_u32 v4, 21, v86 :: v_dual_add_nc_u32 v87, 20, v86
	s_delay_alu instid0(VALU_DEP_1) | instskip(NEXT) | instid1(VALU_DEP_2)
	v_lshlrev_b64_e64 v[4:5], v4, -1
	v_lshlrev_b64_e64 v[96:97], v87, 1
	s_delay_alu instid0(VALU_DEP_2) | instskip(NEXT) | instid1(VALU_DEP_3)
	v_bfi_b32 v45, v5, 0, 0
	v_bfi_b32 v44, v4, 0, v8
	v_lshrrev_b64 v[4:5], v86, v[8:9]
	s_delay_alu instid0(VALU_DEP_1) | instskip(NEXT) | instid1(VALU_DEP_3)
	v_mov_b64_e32 v[8:9], v[4:5]
	v_cmpx_eq_u64_e64 v[44:45], v[96:97]
; %bb.6060:                             ;   in Loop: Header=BB4_5618 Depth=4
	v_bfe_u32 v8, v4, 21, 1
	v_mov_b32_e32 v9, v3
	s_delay_alu instid0(VALU_DEP_1) | instskip(NEXT) | instid1(VALU_DEP_1)
	v_add_nc_u64_e32 v[8:9], v[4:5], v[8:9]
	v_add_nc_u64_e32 v[8:9], -1, v[8:9]
; %bb.6061:                             ;   in Loop: Header=BB4_5618 Depth=4
	s_or_b32 exec_lo, exec_lo, s88
	v_add_nc_u32_e32 v2, 0xffffff81, v17
	v_lshrrev_b32_e32 v5, 23, v4
	s_mov_b32 s14, exec_lo
	s_delay_alu instid0(VALU_DEP_2) | instskip(NEXT) | instid1(VALU_DEP_1)
	v_cndmask_b32_e64 v2, v2, 0xffffff82, vcc_lo
	v_add3_u32 v9, v86, v2, v5
	v_and_b32_e32 v2, 0x1fffff, v8
                                        ; implicit-def: $vgpr8
	s_delay_alu instid0(VALU_DEP_1) | instskip(NEXT) | instid1(VALU_DEP_1)
	v_dual_add_nc_u32 v17, 14, v9 :: v_dual_add_nc_u32 v2, v2, v4
                                        ; implicit-def: $vgpr4_vgpr5
	v_cmpx_ne_u32_e32 0, v17
	s_xor_b32 s14, exec_lo, s14
; %bb.6062:                             ;   in Loop: Header=BB4_5618 Depth=4
	s_delay_alu instid0(VALU_DEP_2) | instskip(SKIP_1) | instid1(VALU_DEP_1)
	v_cmp_lt_u64_e32 vcc_lo, 0xffffff, v[2:3]
	v_add_nc_u32_e32 v4, 15, v9
	v_cndmask_b32_e32 v8, v17, v4, vcc_lo
	v_cndmask_b32_e64 v4, 0, 1, vcc_lo
	s_delay_alu instid0(VALU_DEP_1)
	v_lshrrev_b64 v[4:5], v4, v[2:3]
; %bb.6063:                             ;   in Loop: Header=BB4_5618 Depth=4
	s_and_not1_saveexec_b32 s14, s14
; %bb.6064:                             ;   in Loop: Header=BB4_5618 Depth=4
	v_mov_b64_e32 v[4:5], v[2:3]
	v_bfe_u32 v8, v2, 23, 1
; %bb.6065:                             ;   in Loop: Header=BB4_5618 Depth=4
	s_or_b32 exec_lo, exec_lo, s14
	s_delay_alu instid0(VALU_DEP_2) | instskip(NEXT) | instid1(VALU_DEP_2)
	v_lshrrev_b64 v[4:5], 21, v[4:5]
	v_cmp_gt_i32_e32 vcc_lo, 32, v8
	v_min_i32_e32 v2, 31, v8
	v_cmp_eq_u32_e64 s14, 0, v8
	s_delay_alu instid0(VALU_DEP_2) | instskip(SKIP_1) | instid1(VALU_DEP_2)
	v_dual_cndmask_b32 v5, 0, v5 :: v_dual_lshlrev_b32 v2, 2, v2
	v_cndmask_b32_e32 v4, 3, v4, vcc_lo
	v_and_b32_e32 v2, 0xfc, v2
	s_delay_alu instid0(VALU_DEP_2) | instskip(NEXT) | instid1(VALU_DEP_2)
	v_cmp_eq_u64_e32 vcc_lo, 0, v[4:5]
	v_and_or_b32 v2, v4, 3, v2
	s_and_b32 s14, s14, vcc_lo
	s_delay_alu instid0(VALU_DEP_1) | instid1(SALU_CYCLE_1)
	v_cndmask_b32_e64 v2, v2, 0, s14
	s_delay_alu instid0(VALU_DEP_1)
	v_or_b32_e32 v113, v2, v16
.LBB4_6066:                             ;   in Loop: Header=BB4_5618 Depth=4
	s_or_b32 exec_lo, exec_lo, s79
                                        ; implicit-def: $vgpr16
.LBB4_6067:                             ;   in Loop: Header=BB4_5618 Depth=4
	s_and_not1_saveexec_b32 s14, s78
; %bb.6068:                             ;   in Loop: Header=BB4_5618 Depth=4
	v_or_b32_e32 v113, 0x7b, v16
; %bb.6069:                             ;   in Loop: Header=BB4_5618 Depth=4
	s_or_b32 exec_lo, exec_lo, s14
                                        ; implicit-def: $vgpr4
                                        ; implicit-def: $vgpr5
.LBB4_6070:                             ;   in Loop: Header=BB4_5618 Depth=4
	s_and_not1_saveexec_b32 s14, s77
	s_cbranch_execz .LBB4_6076
; %bb.6071:                             ;   in Loop: Header=BB4_5618 Depth=4
	s_mov_b32 s77, exec_lo
                                        ; implicit-def: $vgpr113
	v_cmpx_ne_u64_e32 0, v[2:3]
	s_xor_b32 s77, exec_lo, s77
; %bb.6072:                             ;   in Loop: Header=BB4_5618 Depth=4
	v_or_b32_e32 v113, 0x7f, v5
                                        ; implicit-def: $vgpr4
; %bb.6073:                             ;   in Loop: Header=BB4_5618 Depth=4
	s_and_not1_saveexec_b32 s77, s77
; %bb.6074:                             ;   in Loop: Header=BB4_5618 Depth=4
	v_cmp_lt_i32_e32 vcc_lo, -1, v4
	v_cndmask_b32_e32 v113, 0xfc, v49, vcc_lo
; %bb.6075:                             ;   in Loop: Header=BB4_5618 Depth=4
	s_or_b32 exec_lo, exec_lo, s77
.LBB4_6076:                             ;   in Loop: Header=BB4_5618 Depth=4
	s_delay_alu instid0(SALU_CYCLE_1)
	s_or_b32 exec_lo, exec_lo, s14
	v_mov_b32_e32 v4, 0
	s_mov_b32 s14, exec_lo
	v_cmpx_lt_u64_e64 s[22:23], v[10:11]
	s_cbranch_execz .LBB4_6086
; %bb.6077:                             ;   in Loop: Header=BB4_5618 Depth=4
	v_lshrrev_b32_e32 v2, 24, v11
	v_bfrev_b32_e32 v4, 1
	s_mov_b32 s77, exec_lo
	s_delay_alu instid0(VALU_DEP_2)
	v_cmpx_ne_u32_e32 0x80, v2
	s_cbranch_execz .LBB4_6085
; %bb.6078:                             ;   in Loop: Header=BB4_5618 Depth=4
	v_and_b32_e32 v4, 0x7c000000, v11
	v_bfe_u32 v5, v11, 24, 2
	s_delay_alu instid0(VALU_DEP_2) | instskip(SKIP_1) | instid1(SALU_CYCLE_1)
	v_cmp_ne_u32_e32 vcc_lo, 0x7c000000, v4
                                        ; implicit-def: $vgpr4
	s_and_saveexec_b32 s78, vcc_lo
	s_xor_b32 s78, exec_lo, s78
	s_cbranch_execz .LBB4_6082
; %bb.6079:                             ;   in Loop: Header=BB4_5618 Depth=4
	v_bfe_u32 v4, v11, 26, 5
	s_mov_b32 s79, exec_lo
	s_delay_alu instid0(VALU_DEP_1)
	v_cmpx_eq_u32_e32 0, v4
; %bb.6080:                             ;   in Loop: Header=BB4_5618 Depth=4
	v_clz_i32_u32_e32 v4, v5
	s_delay_alu instid0(VALU_DEP_1) | instskip(NEXT) | instid1(VALU_DEP_1)
	v_min_u32_e32 v4, 32, v4
	v_subrev_nc_u32_e32 v5, 29, v4
	v_sub_nc_u32_e32 v4, 30, v4
	s_delay_alu instid0(VALU_DEP_2) | instskip(NEXT) | instid1(VALU_DEP_1)
	v_lshlrev_b64_e32 v[8:9], v5, v[2:3]
	v_and_b32_e32 v5, 3, v8
; %bb.6081:                             ;   in Loop: Header=BB4_5618 Depth=4
	s_or_b32 exec_lo, exec_lo, s79
	v_and_b32_e32 v2, 0x80000000, v11
                                        ; implicit-def: $vgpr10_vgpr11
	s_delay_alu instid0(VALU_DEP_1) | instskip(NEXT) | instid1(VALU_DEP_1)
	v_lshl_add_u32 v2, v4, 23, v2
	v_lshl_or_b32 v2, v5, 21, v2
                                        ; implicit-def: $vgpr5
	s_delay_alu instid0(VALU_DEP_1)
	v_add_nc_u32_e32 v4, 0x38000000, v2
.LBB4_6082:                             ;   in Loop: Header=BB4_5618 Depth=4
	s_and_not1_saveexec_b32 s78, s78
; %bb.6083:                             ;   in Loop: Header=BB4_5618 Depth=4
	v_cmp_lt_i64_e32 vcc_lo, -1, v[10:11]
	v_cndmask_b32_e32 v2, 0xff800000, v48, vcc_lo
	v_cmp_eq_u32_e32 vcc_lo, 0, v5
	s_delay_alu instid0(VALU_DEP_2)
	v_cndmask_b32_e32 v4, 0x7f800001, v2, vcc_lo
; %bb.6084:                             ;   in Loop: Header=BB4_5618 Depth=4
	s_or_b32 exec_lo, exec_lo, s78
.LBB4_6085:                             ;   in Loop: Header=BB4_5618 Depth=4
	s_delay_alu instid0(SALU_CYCLE_1)
	s_or_b32 exec_lo, exec_lo, s77
.LBB4_6086:                             ;   in Loop: Header=BB4_5618 Depth=4
	s_delay_alu instid0(SALU_CYCLE_1) | instskip(NEXT) | instid1(VALU_DEP_1)
	s_or_b32 exec_lo, exec_lo, s14
	v_dual_mul_f32 v4, s76, v4 :: v_dual_mov_b32 v9, v3
                                        ; implicit-def: $vgpr45
	s_mov_b32 s14, exec_lo
	s_delay_alu instid0(VALU_DEP_1) | instskip(SKIP_2) | instid1(VALU_DEP_3)
	v_and_b32_e32 v8, 0x7f800000, v4
	v_and_b32_e32 v2, 0x7fffff, v4
	v_lshrrev_b32_e32 v5, 24, v4
	v_cmpx_ne_u64_e32 0x7f800000, v[8:9]
	s_xor_b32 s76, exec_lo, s14
	s_cbranch_execz .LBB4_6100
; %bb.6087:                             ;   in Loop: Header=BB4_5618 Depth=4
	v_and_b32_e32 v8, 0x7fffffff, v4
	v_mov_b32_e32 v9, v3
	v_and_b32_e32 v10, 0x80, v5
                                        ; implicit-def: $vgpr45
	s_mov_b32 s14, exec_lo
	s_delay_alu instid0(VALU_DEP_2)
	v_cmpx_gt_u64_e32 0x47600001, v[8:9]
	s_xor_b32 s77, exec_lo, s14
	s_cbranch_execz .LBB4_6097
; %bb.6088:                             ;   in Loop: Header=BB4_5618 Depth=4
	v_mov_b32_e32 v45, 0
	s_mov_b32 s78, exec_lo
	v_cmpx_ne_u32_e32 0, v4
	s_cbranch_execz .LBB4_6096
; %bb.6089:                             ;   in Loop: Header=BB4_5618 Depth=4
	v_bfe_u32 v11, v4, 23, 8
	v_or_b32_e32 v8, 0x800000, v2
	s_mov_b32 s79, exec_lo
	s_delay_alu instid0(VALU_DEP_2) | instskip(SKIP_1) | instid1(VALU_DEP_2)
	v_dual_mov_b32 v9, v3 :: v_dual_sub_nc_u32 v4, 0x71, v11
	v_cmp_gt_u32_e32 vcc_lo, 0x72, v11
	v_cndmask_b32_e32 v4, 0, v4, vcc_lo
	v_cmp_eq_u32_e32 vcc_lo, 0, v11
	v_cndmask_b32_e32 v8, v8, v2, vcc_lo
	s_delay_alu instid0(VALU_DEP_3) | instskip(NEXT) | instid1(VALU_DEP_1)
	v_cndmask_b32_e64 v16, v4, 0x70, vcc_lo
	v_dual_add_nc_u32 v4, 21, v16 :: v_dual_add_nc_u32 v17, 20, v16
	s_delay_alu instid0(VALU_DEP_1) | instskip(NEXT) | instid1(VALU_DEP_2)
	v_lshlrev_b64_e64 v[4:5], v4, -1
	v_lshlrev_b64_e64 v[86:87], v17, 1
	s_delay_alu instid0(VALU_DEP_2) | instskip(NEXT) | instid1(VALU_DEP_3)
	v_bfi_b32 v97, v5, 0, 0
	v_bfi_b32 v96, v4, 0, v8
	v_lshrrev_b64 v[4:5], v16, v[8:9]
	s_delay_alu instid0(VALU_DEP_1) | instskip(NEXT) | instid1(VALU_DEP_3)
	v_mov_b64_e32 v[8:9], v[4:5]
	v_cmpx_eq_u64_e64 v[96:97], v[86:87]
; %bb.6090:                             ;   in Loop: Header=BB4_5618 Depth=4
	v_bfe_u32 v8, v4, 21, 1
	v_mov_b32_e32 v9, v3
	s_delay_alu instid0(VALU_DEP_1) | instskip(NEXT) | instid1(VALU_DEP_1)
	v_add_nc_u64_e32 v[8:9], v[4:5], v[8:9]
	v_add_nc_u64_e32 v[8:9], -1, v[8:9]
; %bb.6091:                             ;   in Loop: Header=BB4_5618 Depth=4
	s_or_b32 exec_lo, exec_lo, s79
	v_add_nc_u32_e32 v2, 0xffffff81, v11
	v_lshrrev_b32_e32 v5, 23, v4
	s_mov_b32 s14, exec_lo
	s_delay_alu instid0(VALU_DEP_2) | instskip(NEXT) | instid1(VALU_DEP_1)
	v_cndmask_b32_e64 v2, v2, 0xffffff82, vcc_lo
	v_add3_u32 v9, v16, v2, v5
	v_and_b32_e32 v2, 0x1fffff, v8
                                        ; implicit-def: $vgpr8
	s_delay_alu instid0(VALU_DEP_1) | instskip(NEXT) | instid1(VALU_DEP_1)
	v_dual_add_nc_u32 v11, 14, v9 :: v_dual_add_nc_u32 v2, v2, v4
                                        ; implicit-def: $vgpr4_vgpr5
	v_cmpx_ne_u32_e32 0, v11
	s_xor_b32 s14, exec_lo, s14
; %bb.6092:                             ;   in Loop: Header=BB4_5618 Depth=4
	s_delay_alu instid0(VALU_DEP_2) | instskip(SKIP_1) | instid1(VALU_DEP_1)
	v_cmp_lt_u64_e32 vcc_lo, 0xffffff, v[2:3]
	v_add_nc_u32_e32 v4, 15, v9
	v_cndmask_b32_e32 v8, v11, v4, vcc_lo
	v_cndmask_b32_e64 v4, 0, 1, vcc_lo
	s_delay_alu instid0(VALU_DEP_1)
	v_lshrrev_b64 v[4:5], v4, v[2:3]
; %bb.6093:                             ;   in Loop: Header=BB4_5618 Depth=4
	s_and_not1_saveexec_b32 s14, s14
; %bb.6094:                             ;   in Loop: Header=BB4_5618 Depth=4
	v_mov_b64_e32 v[4:5], v[2:3]
	v_bfe_u32 v8, v2, 23, 1
; %bb.6095:                             ;   in Loop: Header=BB4_5618 Depth=4
	s_or_b32 exec_lo, exec_lo, s14
	s_delay_alu instid0(VALU_DEP_2) | instskip(NEXT) | instid1(VALU_DEP_2)
	v_lshrrev_b64 v[4:5], 21, v[4:5]
	v_cmp_gt_i32_e32 vcc_lo, 32, v8
	v_min_i32_e32 v2, 31, v8
	v_cmp_eq_u32_e64 s14, 0, v8
	s_delay_alu instid0(VALU_DEP_2) | instskip(SKIP_1) | instid1(VALU_DEP_2)
	v_dual_cndmask_b32 v5, 0, v5 :: v_dual_lshlrev_b32 v2, 2, v2
	v_cndmask_b32_e32 v4, 3, v4, vcc_lo
	v_and_b32_e32 v2, 0xfc, v2
	s_delay_alu instid0(VALU_DEP_2) | instskip(NEXT) | instid1(VALU_DEP_2)
	v_cmp_eq_u64_e32 vcc_lo, 0, v[4:5]
	v_and_or_b32 v2, v4, 3, v2
	s_and_b32 s14, s14, vcc_lo
	s_delay_alu instid0(VALU_DEP_1) | instid1(SALU_CYCLE_1)
	v_cndmask_b32_e64 v2, v2, 0, s14
	s_delay_alu instid0(VALU_DEP_1)
	v_or_b32_e32 v45, v2, v10
.LBB4_6096:                             ;   in Loop: Header=BB4_5618 Depth=4
	s_or_b32 exec_lo, exec_lo, s78
                                        ; implicit-def: $vgpr10
.LBB4_6097:                             ;   in Loop: Header=BB4_5618 Depth=4
	s_and_not1_saveexec_b32 s14, s77
; %bb.6098:                             ;   in Loop: Header=BB4_5618 Depth=4
	v_or_b32_e32 v45, 0x7b, v10
; %bb.6099:                             ;   in Loop: Header=BB4_5618 Depth=4
	s_or_b32 exec_lo, exec_lo, s14
                                        ; implicit-def: $vgpr4
                                        ; implicit-def: $vgpr5
.LBB4_6100:                             ;   in Loop: Header=BB4_5618 Depth=4
	s_and_not1_saveexec_b32 s14, s76
	s_cbranch_execz .LBB4_6106
; %bb.6101:                             ;   in Loop: Header=BB4_5618 Depth=4
	s_mov_b32 s76, exec_lo
                                        ; implicit-def: $vgpr45
	v_cmpx_ne_u64_e32 0, v[2:3]
	s_xor_b32 s76, exec_lo, s76
; %bb.6102:                             ;   in Loop: Header=BB4_5618 Depth=4
	v_or_b32_e32 v45, 0x7f, v5
                                        ; implicit-def: $vgpr4
; %bb.6103:                             ;   in Loop: Header=BB4_5618 Depth=4
	s_and_not1_saveexec_b32 s76, s76
; %bb.6104:                             ;   in Loop: Header=BB4_5618 Depth=4
	v_cmp_lt_i32_e32 vcc_lo, -1, v4
	v_cndmask_b32_e32 v45, 0xfc, v49, vcc_lo
; %bb.6105:                             ;   in Loop: Header=BB4_5618 Depth=4
	s_or_b32 exec_lo, exec_lo, s76
.LBB4_6106:                             ;   in Loop: Header=BB4_5618 Depth=4
	s_delay_alu instid0(SALU_CYCLE_1) | instskip(SKIP_4) | instid1(VALU_DEP_1)
	s_or_b32 exec_lo, exec_lo, s14
	global_load_b128 v[8:11], v[42:43], off th:TH_LOAD_NT
	v_lshl_or_b32 v44, v64, 8, v19
	v_dual_lshlrev_b32 v2, 16, v66 :: v_dual_lshlrev_b32 v4, 24, v101
	s_mov_b32 s14, exec_lo
	v_or3_b32 v2, v2, v4, v44
	v_mov_b32_e32 v4, 0
	s_wait_xcnt 0x0
	v_cmpx_ne_u32_e32 0, v19
	s_cbranch_execz .LBB4_6116
; %bb.6107:                             ;   in Loop: Header=BB4_5618 Depth=4
	v_bfrev_b32_e32 v4, 1
	s_mov_b32 s76, exec_lo
	v_cmpx_ne_u32_e32 0x80, v19
	s_cbranch_execz .LBB4_6115
; %bb.6108:                             ;   in Loop: Header=BB4_5618 Depth=4
	v_and_b32_e32 v4, 0x7c, v19
	v_and_b32_e32 v5, 3, v19
	s_delay_alu instid0(VALU_DEP_2) | instskip(SKIP_1) | instid1(SALU_CYCLE_1)
	v_cmp_ne_u32_e32 vcc_lo, 0x7c, v4
                                        ; implicit-def: $vgpr4
	s_and_saveexec_b32 s77, vcc_lo
	s_xor_b32 s77, exec_lo, s77
	s_cbranch_execz .LBB4_6112
; %bb.6109:                             ;   in Loop: Header=BB4_5618 Depth=4
	v_bfe_u32 v4, v19, 2, 5
	s_mov_b32 s78, exec_lo
	s_delay_alu instid0(VALU_DEP_1)
	v_cmpx_eq_u32_e32 0, v4
; %bb.6110:                             ;   in Loop: Header=BB4_5618 Depth=4
	v_clz_i32_u32_e32 v4, v5
	s_delay_alu instid0(VALU_DEP_1) | instskip(NEXT) | instid1(VALU_DEP_1)
	v_min_u32_e32 v4, 32, v4
	v_subrev_nc_u32_e32 v5, 29, v4
	v_sub_nc_u32_e32 v4, 30, v4
	s_delay_alu instid0(VALU_DEP_2) | instskip(NEXT) | instid1(VALU_DEP_1)
	v_lshlrev_b64_e32 v[16:17], v5, v[2:3]
	v_and_b32_e32 v5, 3, v16
; %bb.6111:                             ;   in Loop: Header=BB4_5618 Depth=4
	s_or_b32 exec_lo, exec_lo, s78
	v_lshlrev_b32_e32 v16, 24, v19
                                        ; implicit-def: $vgpr19
	s_delay_alu instid0(VALU_DEP_1) | instskip(NEXT) | instid1(VALU_DEP_1)
	v_and_b32_e32 v16, 0x80000000, v16
	v_lshl_add_u32 v4, v4, 23, v16
	s_delay_alu instid0(VALU_DEP_1) | instskip(NEXT) | instid1(VALU_DEP_1)
	v_lshl_or_b32 v4, v5, 21, v4
                                        ; implicit-def: $vgpr5
	v_add_nc_u32_e32 v4, 0x38000000, v4
.LBB4_6112:                             ;   in Loop: Header=BB4_5618 Depth=4
	s_and_not1_saveexec_b32 s77, s77
; %bb.6113:                             ;   in Loop: Header=BB4_5618 Depth=4
	v_and_b32_e32 v4, 0x80, v19
	s_delay_alu instid0(VALU_DEP_1) | instskip(SKIP_2) | instid1(VALU_DEP_2)
	v_cmp_eq_u32_e32 vcc_lo, 0, v4
	v_cndmask_b32_e32 v4, 0xff800000, v48, vcc_lo
	v_cmp_eq_u32_e32 vcc_lo, 0, v5
	v_cndmask_b32_e32 v4, 0x7f800001, v4, vcc_lo
; %bb.6114:                             ;   in Loop: Header=BB4_5618 Depth=4
	s_or_b32 exec_lo, exec_lo, s77
.LBB4_6115:                             ;   in Loop: Header=BB4_5618 Depth=4
	s_delay_alu instid0(SALU_CYCLE_1)
	s_or_b32 exec_lo, exec_lo, s76
.LBB4_6116:                             ;   in Loop: Header=BB4_5618 Depth=4
	s_delay_alu instid0(SALU_CYCLE_1) | instskip(SKIP_4) | instid1(VALU_DEP_1)
	s_or_b32 exec_lo, exec_lo, s14
	s_wait_loadcnt 0x0
	v_and_b32_e32 v16, 0xff, v8
	s_mov_b32 s76, 0
	s_mov_b32 s14, exec_lo
	v_cmpx_lt_i16_e32 0x7f, v16
	s_xor_b32 s14, exec_lo, s14
	s_cbranch_execz .LBB4_6657
; %bb.6117:                             ;   in Loop: Header=BB4_5618 Depth=4
	s_mov_b32 s76, -1
	s_mov_b32 s77, exec_lo
	v_cmpx_eq_u16_e32 0x80, v16
; %bb.6118:                             ;   in Loop: Header=BB4_5618 Depth=4
	s_xor_b32 s76, exec_lo, -1
; %bb.6119:                             ;   in Loop: Header=BB4_5618 Depth=4
	s_or_b32 exec_lo, exec_lo, s77
	s_delay_alu instid0(SALU_CYCLE_1)
	s_and_b32 s76, s76, exec_lo
                                        ; implicit-def: $vgpr16
	s_or_saveexec_b32 s14, s14
	v_bfrev_b32_e32 v5, 1
	s_xor_b32 exec_lo, exec_lo, s14
	s_cbranch_execnz .LBB4_6658
.LBB4_6120:                             ;   in Loop: Header=BB4_5618 Depth=4
	s_or_b32 exec_lo, exec_lo, s14
	s_and_saveexec_b32 s14, s76
	s_cbranch_execz .LBB4_6122
.LBB4_6121:                             ;   in Loop: Header=BB4_5618 Depth=4
	v_and_b32_e32 v5, 3, v8
	v_bfe_u32 v64, v8, 2, 5
	s_delay_alu instid0(VALU_DEP_2) | instskip(NEXT) | instid1(VALU_DEP_2)
	v_clz_i32_u32_e32 v16, v5
	v_cmp_eq_u32_e32 vcc_lo, 0, v64
	s_delay_alu instid0(VALU_DEP_2) | instskip(NEXT) | instid1(VALU_DEP_1)
	v_min_u32_e32 v19, 32, v16
	v_subrev_nc_u32_e32 v16, 29, v19
	s_delay_alu instid0(VALU_DEP_1) | instskip(SKIP_1) | instid1(VALU_DEP_1)
	v_lshlrev_b64_e32 v[16:17], v16, v[8:9]
	v_dual_lshlrev_b32 v17, 24, v8 :: v_dual_sub_nc_u32 v19, 30, v19
	v_and_b32_e32 v17, 0x80000000, v17
	s_delay_alu instid0(VALU_DEP_2) | instskip(SKIP_1) | instid1(VALU_DEP_2)
	v_dual_cndmask_b32 v19, v64, v19, vcc_lo :: v_dual_bitop2_b32 v16, 3, v16 bitop3:0x40
	v_bfe_i32 v64, v8, 0, 8
	v_cndmask_b32_e32 v16, v5, v16, vcc_lo
	s_delay_alu instid0(VALU_DEP_3) | instskip(NEXT) | instid1(VALU_DEP_3)
	v_lshl_add_u32 v17, v19, 23, v17
	v_cmp_lt_i16_e32 vcc_lo, -1, v64
	s_delay_alu instid0(VALU_DEP_2) | instskip(SKIP_3) | instid1(VALU_DEP_4)
	v_lshl_or_b32 v16, v16, 21, v17
	v_cndmask_b32_e32 v19, 0xff800000, v48, vcc_lo
	v_and_b32_e32 v17, 0x7c, v8
	v_cmp_eq_u32_e32 vcc_lo, 0, v5
	v_add_nc_u32_e32 v16, 0x38000000, v16
	s_delay_alu instid0(VALU_DEP_4) | instskip(NEXT) | instid1(VALU_DEP_4)
	v_cndmask_b32_e32 v5, 0x7f800001, v19, vcc_lo
	v_cmp_eq_u32_e32 vcc_lo, 0x7c, v17
	s_delay_alu instid0(VALU_DEP_2)
	v_cndmask_b32_e32 v5, v16, v5, vcc_lo
.LBB4_6122:                             ;   in Loop: Header=BB4_5618 Depth=4
	s_or_b32 exec_lo, exec_lo, s14
	s_delay_alu instid0(VALU_DEP_1) | instskip(SKIP_2) | instid1(VALU_DEP_2)
	v_dual_add_f32 v16, v4, v5 :: v_dual_mov_b32 v87, v3
	v_mov_b32_e32 v5, v3
                                        ; implicit-def: $vgpr64
	s_mov_b32 s14, exec_lo
	v_and_b32_e32 v86, 0x7f800000, v16
	v_and_b32_e32 v4, 0x7fffff, v16
	v_lshrrev_b32_e32 v17, 24, v16
	s_delay_alu instid0(VALU_DEP_3)
	v_cmpx_ne_u64_e32 0x7f800000, v[86:87]
	s_xor_b32 s76, exec_lo, s14
	s_cbranch_execz .LBB4_6136
; %bb.6123:                             ;   in Loop: Header=BB4_5618 Depth=4
	v_and_b32_e32 v86, 0x7fffffff, v16
	v_mov_b32_e32 v87, v3
	v_and_b32_e32 v19, 0x80, v17
                                        ; implicit-def: $vgpr64
	s_mov_b32 s14, exec_lo
	s_delay_alu instid0(VALU_DEP_2)
	v_cmpx_gt_u64_e32 0x47600001, v[86:87]
	s_xor_b32 s77, exec_lo, s14
	s_cbranch_execz .LBB4_6133
; %bb.6124:                             ;   in Loop: Header=BB4_5618 Depth=4
	v_mov_b32_e32 v64, 0
	s_mov_b32 s78, exec_lo
	v_cmpx_ne_u32_e32 0, v16
	s_cbranch_execz .LBB4_6132
; %bb.6125:                             ;   in Loop: Header=BB4_5618 Depth=4
	v_bfe_u32 v64, v16, 23, 8
	v_or_b32_e32 v86, 0x800000, v4
	s_delay_alu instid0(VALU_DEP_2) | instskip(SKIP_1) | instid1(VALU_DEP_2)
	v_sub_nc_u32_e32 v16, 0x71, v64
	v_cmp_gt_u32_e32 vcc_lo, 0x72, v64
	v_cndmask_b32_e32 v16, 0, v16, vcc_lo
	v_cmp_eq_u32_e32 vcc_lo, 0, v64
	s_delay_alu instid0(VALU_DEP_2) | instskip(NEXT) | instid1(VALU_DEP_1)
	v_cndmask_b32_e64 v66, v16, 0x70, vcc_lo
	v_dual_cndmask_b32 v4, v86, v4, vcc_lo :: v_dual_add_nc_u32 v16, 21, v66
	v_add_nc_u32_e32 v87, 20, v66
	s_delay_alu instid0(VALU_DEP_2) | instskip(NEXT) | instid1(VALU_DEP_2)
	v_lshlrev_b64_e64 v[16:17], v16, -1
	v_lshlrev_b64_e64 v[86:87], v87, 1
	s_delay_alu instid0(VALU_DEP_2) | instskip(SKIP_1) | instid1(VALU_DEP_4)
	v_bfi_b32 v16, v16, 0, v4
	v_lshrrev_b64 v[4:5], v66, v[4:5]
	v_bfi_b32 v17, v17, 0, 0
	s_delay_alu instid0(VALU_DEP_1) | instskip(NEXT) | instid1(VALU_DEP_3)
	v_cmp_eq_u64_e64 s14, v[16:17], v[86:87]
	v_mov_b64_e32 v[16:17], v[4:5]
	s_and_saveexec_b32 s79, s14
; %bb.6126:                             ;   in Loop: Header=BB4_5618 Depth=4
	v_bfe_u32 v16, v4, 21, 1
	v_mov_b32_e32 v17, v3
	s_delay_alu instid0(VALU_DEP_1) | instskip(NEXT) | instid1(VALU_DEP_1)
	v_add_nc_u64_e32 v[16:17], v[4:5], v[16:17]
	v_add_nc_u64_e32 v[16:17], -1, v[16:17]
; %bb.6127:                             ;   in Loop: Header=BB4_5618 Depth=4
	s_or_b32 exec_lo, exec_lo, s79
	v_add_nc_u32_e32 v5, 0xffffff81, v64
	v_lshrrev_b32_e32 v17, 23, v4
	s_mov_b32 s14, exec_lo
	s_delay_alu instid0(VALU_DEP_2) | instskip(NEXT) | instid1(VALU_DEP_1)
	v_cndmask_b32_e64 v5, v5, 0xffffff82, vcc_lo
	v_add3_u32 v17, v66, v5, v17
	v_and_b32_e32 v5, 0x1fffff, v16
                                        ; implicit-def: $vgpr16
	s_delay_alu instid0(VALU_DEP_1) | instskip(SKIP_1) | instid1(VALU_DEP_2)
	v_dual_add_nc_u32 v64, 14, v17 :: v_dual_add_nc_u32 v4, v5, v4
	v_mov_b32_e32 v5, v3
	v_cmpx_ne_u32_e32 0, v64
	s_xor_b32 s14, exec_lo, s14
; %bb.6128:                             ;   in Loop: Header=BB4_5618 Depth=4
	s_delay_alu instid0(VALU_DEP_2) | instskip(SKIP_2) | instid1(VALU_DEP_2)
	v_cmp_lt_u64_e32 vcc_lo, 0xffffff, v[4:5]
	v_add_nc_u32_e32 v16, 15, v17
	v_cndmask_b32_e64 v17, 0, 1, vcc_lo
	v_cndmask_b32_e32 v16, v64, v16, vcc_lo
	s_delay_alu instid0(VALU_DEP_2)
	v_lshrrev_b64 v[4:5], v17, v[4:5]
; %bb.6129:                             ;   in Loop: Header=BB4_5618 Depth=4
	s_and_not1_saveexec_b32 s14, s14
; %bb.6130:                             ;   in Loop: Header=BB4_5618 Depth=4
	s_delay_alu instid0(VALU_DEP_1)
	v_bfe_u32 v16, v4, 23, 1
; %bb.6131:                             ;   in Loop: Header=BB4_5618 Depth=4
	s_or_b32 exec_lo, exec_lo, s14
	s_delay_alu instid0(VALU_DEP_2) | instskip(NEXT) | instid1(VALU_DEP_2)
	v_lshrrev_b64 v[4:5], 21, v[4:5]
	v_cmp_gt_i32_e32 vcc_lo, 32, v16
	v_min_i32_e32 v17, 31, v16
	v_cmp_eq_u32_e64 s14, 0, v16
	s_delay_alu instid0(VALU_DEP_4) | instskip(NEXT) | instid1(VALU_DEP_3)
	v_cndmask_b32_e32 v5, 0, v5, vcc_lo
	v_dual_cndmask_b32 v4, 3, v4 :: v_dual_lshlrev_b32 v17, 2, v17
	s_delay_alu instid0(VALU_DEP_1) | instskip(NEXT) | instid1(VALU_DEP_2)
	v_and_b32_e32 v17, 0xfc, v17
	v_cmp_eq_u64_e32 vcc_lo, 0, v[4:5]
	s_delay_alu instid0(VALU_DEP_2)
	v_and_or_b32 v4, v4, 3, v17
	s_and_b32 s14, s14, vcc_lo
	s_delay_alu instid0(VALU_DEP_1) | instid1(SALU_CYCLE_1)
	v_cndmask_b32_e64 v4, v4, 0, s14
	s_delay_alu instid0(VALU_DEP_1)
	v_or_b32_e32 v64, v4, v19
.LBB4_6132:                             ;   in Loop: Header=BB4_5618 Depth=4
	s_or_b32 exec_lo, exec_lo, s78
                                        ; implicit-def: $vgpr19
.LBB4_6133:                             ;   in Loop: Header=BB4_5618 Depth=4
	s_and_not1_saveexec_b32 s14, s77
; %bb.6134:                             ;   in Loop: Header=BB4_5618 Depth=4
	v_or_b32_e32 v64, 0x7b, v19
; %bb.6135:                             ;   in Loop: Header=BB4_5618 Depth=4
	s_or_b32 exec_lo, exec_lo, s14
                                        ; implicit-def: $vgpr16
                                        ; implicit-def: $vgpr4_vgpr5
                                        ; implicit-def: $vgpr17
.LBB4_6136:                             ;   in Loop: Header=BB4_5618 Depth=4
	s_and_not1_saveexec_b32 s14, s76
	s_cbranch_execz .LBB4_6142
; %bb.6137:                             ;   in Loop: Header=BB4_5618 Depth=4
	s_mov_b32 s76, exec_lo
                                        ; implicit-def: $vgpr64
	v_cmpx_ne_u64_e32 0, v[4:5]
	s_xor_b32 s76, exec_lo, s76
; %bb.6138:                             ;   in Loop: Header=BB4_5618 Depth=4
	v_or_b32_e32 v64, 0x7f, v17
                                        ; implicit-def: $vgpr16
; %bb.6139:                             ;   in Loop: Header=BB4_5618 Depth=4
	s_and_not1_saveexec_b32 s76, s76
; %bb.6140:                             ;   in Loop: Header=BB4_5618 Depth=4
	v_cmp_lt_i32_e32 vcc_lo, -1, v16
	v_cndmask_b32_e32 v64, 0xfc, v49, vcc_lo
; %bb.6141:                             ;   in Loop: Header=BB4_5618 Depth=4
	s_or_b32 exec_lo, exec_lo, s76
.LBB4_6142:                             ;   in Loop: Header=BB4_5618 Depth=4
	s_delay_alu instid0(SALU_CYCLE_1) | instskip(SKIP_3) | instid1(VALU_DEP_2)
	s_or_b32 exec_lo, exec_lo, s14
	v_lshrrev_b16 v4, 8, v44
	v_mov_b32_e32 v16, 0
	s_mov_b32 s14, exec_lo
	v_cmpx_ne_u16_e32 0, v4
	s_cbranch_execz .LBB4_6152
; %bb.6143:                             ;   in Loop: Header=BB4_5618 Depth=4
	v_bfrev_b32_e32 v16, 1
	s_mov_b32 s76, exec_lo
	v_cmpx_ne_u16_e32 0x80, v4
	s_cbranch_execz .LBB4_6151
; %bb.6144:                             ;   in Loop: Header=BB4_5618 Depth=4
	v_and_b32_e32 v17, 0xffff, v4
	s_delay_alu instid0(VALU_DEP_1) | instskip(SKIP_1) | instid1(VALU_DEP_2)
	v_and_b32_e32 v16, 0x7c, v17
	v_and_b32_e32 v5, 3, v17
	v_cmp_ne_u32_e32 vcc_lo, 0x7c, v16
                                        ; implicit-def: $vgpr16
	s_and_saveexec_b32 s77, vcc_lo
	s_delay_alu instid0(SALU_CYCLE_1)
	s_xor_b32 s77, exec_lo, s77
	s_cbranch_execz .LBB4_6148
; %bb.6145:                             ;   in Loop: Header=BB4_5618 Depth=4
	v_bfe_u32 v16, v17, 2, 5
	s_mov_b32 s78, exec_lo
	s_delay_alu instid0(VALU_DEP_1)
	v_cmpx_eq_u32_e32 0, v16
	s_cbranch_execz .LBB4_6147
; %bb.6146:                             ;   in Loop: Header=BB4_5618 Depth=4
	v_clz_i32_u32_e32 v5, v5
	s_delay_alu instid0(VALU_DEP_1) | instskip(SKIP_1) | instid1(VALU_DEP_2)
	v_min_u32_e32 v16, 32, v5
	v_mov_b32_e32 v5, v3
	v_subrev_nc_u32_e32 v17, 29, v16
	v_sub_nc_u32_e32 v16, 30, v16
	s_delay_alu instid0(VALU_DEP_2) | instskip(NEXT) | instid1(VALU_DEP_1)
	v_lshlrev_b64_e32 v[4:5], v17, v[4:5]
	v_and_b32_e32 v5, 3, v4
.LBB4_6147:                             ;   in Loop: Header=BB4_5618 Depth=4
	s_or_b32 exec_lo, exec_lo, s78
	v_lshlrev_b32_e32 v4, 16, v44
                                        ; implicit-def: $vgpr44
	s_delay_alu instid0(VALU_DEP_1) | instskip(NEXT) | instid1(VALU_DEP_1)
	v_and_b32_e32 v4, 0x80000000, v4
	v_lshl_add_u32 v4, v16, 23, v4
	s_delay_alu instid0(VALU_DEP_1) | instskip(NEXT) | instid1(VALU_DEP_1)
	v_lshl_or_b32 v4, v5, 21, v4
                                        ; implicit-def: $vgpr5
	v_add_nc_u32_e32 v16, 0x38000000, v4
.LBB4_6148:                             ;   in Loop: Header=BB4_5618 Depth=4
	s_and_not1_saveexec_b32 s77, s77
; %bb.6149:                             ;   in Loop: Header=BB4_5618 Depth=4
	v_cmp_lt_i16_e32 vcc_lo, -1, v44
	v_cndmask_b32_e32 v4, 0xff800000, v48, vcc_lo
	v_cmp_eq_u32_e32 vcc_lo, 0, v5
	s_delay_alu instid0(VALU_DEP_2)
	v_cndmask_b32_e32 v16, 0x7f800001, v4, vcc_lo
; %bb.6150:                             ;   in Loop: Header=BB4_5618 Depth=4
	s_or_b32 exec_lo, exec_lo, s77
.LBB4_6151:                             ;   in Loop: Header=BB4_5618 Depth=4
	s_delay_alu instid0(SALU_CYCLE_1)
	s_or_b32 exec_lo, exec_lo, s76
.LBB4_6152:                             ;   in Loop: Header=BB4_5618 Depth=4
	s_delay_alu instid0(SALU_CYCLE_1) | instskip(SKIP_3) | instid1(VALU_DEP_1)
	s_or_b32 exec_lo, exec_lo, s14
	v_lshrrev_b16 v4, 8, v8
	s_mov_b32 s76, 0
	s_mov_b32 s14, exec_lo
	v_cmpx_lt_i16_e32 0x7f, v4
	s_xor_b32 s14, exec_lo, s14
	s_cbranch_execz .LBB4_6659
; %bb.6153:                             ;   in Loop: Header=BB4_5618 Depth=4
	s_mov_b32 s76, -1
	s_mov_b32 s77, exec_lo
	v_cmpx_eq_u16_e32 0x80, v4
; %bb.6154:                             ;   in Loop: Header=BB4_5618 Depth=4
	s_xor_b32 s76, exec_lo, -1
; %bb.6155:                             ;   in Loop: Header=BB4_5618 Depth=4
	s_or_b32 exec_lo, exec_lo, s77
	s_delay_alu instid0(SALU_CYCLE_1)
	s_and_b32 s76, s76, exec_lo
	s_or_saveexec_b32 s14, s14
	v_bfrev_b32_e32 v5, 1
	s_xor_b32 exec_lo, exec_lo, s14
	s_cbranch_execnz .LBB4_6660
.LBB4_6156:                             ;   in Loop: Header=BB4_5618 Depth=4
	s_or_b32 exec_lo, exec_lo, s14
	s_and_saveexec_b32 s14, s76
	s_cbranch_execz .LBB4_6158
.LBB4_6157:                             ;   in Loop: Header=BB4_5618 Depth=4
	v_and_b32_e32 v17, 0xffff, v4
	s_delay_alu instid0(VALU_DEP_1) | instskip(NEXT) | instid1(VALU_DEP_1)
	v_and_b32_e32 v19, 3, v17
	v_clz_i32_u32_e32 v5, v19
	s_delay_alu instid0(VALU_DEP_1) | instskip(SKIP_1) | instid1(VALU_DEP_2)
	v_min_u32_e32 v66, 32, v5
	v_mov_b32_e32 v5, v3
	v_subrev_nc_u32_e32 v86, 29, v66
	v_sub_nc_u32_e32 v66, 30, v66
	s_delay_alu instid0(VALU_DEP_2) | instskip(SKIP_3) | instid1(VALU_DEP_3)
	v_lshlrev_b64_e32 v[86:87], v86, v[4:5]
	v_bfe_u32 v5, v17, 2, 5
	v_lshlrev_b32_e32 v4, 24, v4
	v_and_b32_e32 v17, 0x7c, v17
	v_cmp_eq_u32_e32 vcc_lo, 0, v5
	s_delay_alu instid0(VALU_DEP_3) | instskip(SKIP_2) | instid1(VALU_DEP_2)
	v_and_b32_e32 v4, 0x80000000, v4
	v_and_b32_e32 v86, 3, v86
	v_cndmask_b32_e32 v5, v5, v66, vcc_lo
	v_cndmask_b32_e32 v66, v19, v86, vcc_lo
	v_cmp_lt_i16_e32 vcc_lo, -1, v8
	s_delay_alu instid0(VALU_DEP_3) | instskip(SKIP_2) | instid1(VALU_DEP_3)
	v_lshl_add_u32 v4, v5, 23, v4
	v_cndmask_b32_e32 v5, 0xff800000, v48, vcc_lo
	v_cmp_eq_u32_e32 vcc_lo, 0, v19
	v_lshl_or_b32 v4, v66, 21, v4
	s_delay_alu instid0(VALU_DEP_3) | instskip(NEXT) | instid1(VALU_DEP_2)
	v_cndmask_b32_e32 v5, 0x7f800001, v5, vcc_lo
	v_add_nc_u32_e32 v4, 0x38000000, v4
	v_cmp_eq_u32_e32 vcc_lo, 0x7c, v17
	s_delay_alu instid0(VALU_DEP_2)
	v_cndmask_b32_e32 v5, v4, v5, vcc_lo
.LBB4_6158:                             ;   in Loop: Header=BB4_5618 Depth=4
	s_or_b32 exec_lo, exec_lo, s14
	s_delay_alu instid0(VALU_DEP_1) | instskip(SKIP_2) | instid1(VALU_DEP_2)
	v_dual_add_f32 v16, v16, v5 :: v_dual_mov_b32 v87, v3
	v_mov_b32_e32 v5, v3
                                        ; implicit-def: $vgpr66
	s_mov_b32 s14, exec_lo
	v_and_b32_e32 v86, 0x7f800000, v16
	v_and_b32_e32 v4, 0x7fffff, v16
	v_lshrrev_b32_e32 v17, 24, v16
	s_delay_alu instid0(VALU_DEP_3)
	v_cmpx_ne_u64_e32 0x7f800000, v[86:87]
	s_xor_b32 s76, exec_lo, s14
	s_cbranch_execz .LBB4_6172
; %bb.6159:                             ;   in Loop: Header=BB4_5618 Depth=4
	v_and_b32_e32 v86, 0x7fffffff, v16
	v_mov_b32_e32 v87, v3
	v_and_b32_e32 v19, 0x80, v17
                                        ; implicit-def: $vgpr66
	s_mov_b32 s14, exec_lo
	s_delay_alu instid0(VALU_DEP_2)
	v_cmpx_gt_u64_e32 0x47600001, v[86:87]
	s_xor_b32 s77, exec_lo, s14
	s_cbranch_execz .LBB4_6169
; %bb.6160:                             ;   in Loop: Header=BB4_5618 Depth=4
	v_mov_b32_e32 v66, 0
	s_mov_b32 s78, exec_lo
	v_cmpx_ne_u32_e32 0, v16
	s_cbranch_execz .LBB4_6168
; %bb.6161:                             ;   in Loop: Header=BB4_5618 Depth=4
	v_bfe_u32 v66, v16, 23, 8
	v_or_b32_e32 v87, 0x800000, v4
	s_delay_alu instid0(VALU_DEP_2) | instskip(SKIP_1) | instid1(VALU_DEP_2)
	v_sub_nc_u32_e32 v16, 0x71, v66
	v_cmp_gt_u32_e32 vcc_lo, 0x72, v66
	v_cndmask_b32_e32 v16, 0, v16, vcc_lo
	v_cmp_eq_u32_e32 vcc_lo, 0, v66
	s_delay_alu instid0(VALU_DEP_2) | instskip(NEXT) | instid1(VALU_DEP_1)
	v_cndmask_b32_e64 v86, v16, 0x70, vcc_lo
	v_dual_cndmask_b32 v4, v87, v4, vcc_lo :: v_dual_add_nc_u32 v16, 21, v86
	v_add_nc_u32_e32 v96, 20, v86
	s_delay_alu instid0(VALU_DEP_2) | instskip(NEXT) | instid1(VALU_DEP_2)
	v_lshlrev_b64_e64 v[16:17], v16, -1
	v_lshlrev_b64_e64 v[96:97], v96, 1
	s_delay_alu instid0(VALU_DEP_2) | instskip(SKIP_1) | instid1(VALU_DEP_4)
	v_bfi_b32 v16, v16, 0, v4
	v_lshrrev_b64 v[4:5], v86, v[4:5]
	v_bfi_b32 v17, v17, 0, 0
	s_delay_alu instid0(VALU_DEP_1) | instskip(NEXT) | instid1(VALU_DEP_3)
	v_cmp_eq_u64_e64 s14, v[16:17], v[96:97]
	v_mov_b64_e32 v[16:17], v[4:5]
	s_and_saveexec_b32 s79, s14
; %bb.6162:                             ;   in Loop: Header=BB4_5618 Depth=4
	v_bfe_u32 v16, v4, 21, 1
	v_mov_b32_e32 v17, v3
	s_delay_alu instid0(VALU_DEP_1) | instskip(NEXT) | instid1(VALU_DEP_1)
	v_add_nc_u64_e32 v[16:17], v[4:5], v[16:17]
	v_add_nc_u64_e32 v[16:17], -1, v[16:17]
; %bb.6163:                             ;   in Loop: Header=BB4_5618 Depth=4
	s_or_b32 exec_lo, exec_lo, s79
	v_add_nc_u32_e32 v5, 0xffffff81, v66
	v_lshrrev_b32_e32 v17, 23, v4
	s_mov_b32 s14, exec_lo
	s_delay_alu instid0(VALU_DEP_2) | instskip(NEXT) | instid1(VALU_DEP_1)
	v_cndmask_b32_e64 v5, v5, 0xffffff82, vcc_lo
	v_add3_u32 v17, v86, v5, v17
	v_and_b32_e32 v5, 0x1fffff, v16
                                        ; implicit-def: $vgpr16
	s_delay_alu instid0(VALU_DEP_1) | instskip(SKIP_1) | instid1(VALU_DEP_2)
	v_dual_add_nc_u32 v66, 14, v17 :: v_dual_add_nc_u32 v4, v5, v4
	v_mov_b32_e32 v5, v3
	v_cmpx_ne_u32_e32 0, v66
	s_xor_b32 s14, exec_lo, s14
; %bb.6164:                             ;   in Loop: Header=BB4_5618 Depth=4
	s_delay_alu instid0(VALU_DEP_2) | instskip(SKIP_2) | instid1(VALU_DEP_2)
	v_cmp_lt_u64_e32 vcc_lo, 0xffffff, v[4:5]
	v_add_nc_u32_e32 v16, 15, v17
	v_cndmask_b32_e64 v17, 0, 1, vcc_lo
	v_cndmask_b32_e32 v16, v66, v16, vcc_lo
	s_delay_alu instid0(VALU_DEP_2)
	v_lshrrev_b64 v[4:5], v17, v[4:5]
; %bb.6165:                             ;   in Loop: Header=BB4_5618 Depth=4
	s_and_not1_saveexec_b32 s14, s14
; %bb.6166:                             ;   in Loop: Header=BB4_5618 Depth=4
	s_delay_alu instid0(VALU_DEP_1)
	v_bfe_u32 v16, v4, 23, 1
; %bb.6167:                             ;   in Loop: Header=BB4_5618 Depth=4
	s_or_b32 exec_lo, exec_lo, s14
	s_delay_alu instid0(VALU_DEP_2) | instskip(NEXT) | instid1(VALU_DEP_2)
	v_lshrrev_b64 v[4:5], 21, v[4:5]
	v_cmp_gt_i32_e32 vcc_lo, 32, v16
	v_min_i32_e32 v17, 31, v16
	v_cmp_eq_u32_e64 s14, 0, v16
	s_delay_alu instid0(VALU_DEP_4) | instskip(NEXT) | instid1(VALU_DEP_3)
	v_cndmask_b32_e32 v5, 0, v5, vcc_lo
	v_dual_cndmask_b32 v4, 3, v4 :: v_dual_lshlrev_b32 v17, 2, v17
	s_delay_alu instid0(VALU_DEP_1) | instskip(NEXT) | instid1(VALU_DEP_2)
	v_and_b32_e32 v17, 0xfc, v17
	v_cmp_eq_u64_e32 vcc_lo, 0, v[4:5]
	s_delay_alu instid0(VALU_DEP_2)
	v_and_or_b32 v4, v4, 3, v17
	s_and_b32 s14, s14, vcc_lo
	s_delay_alu instid0(VALU_DEP_1) | instid1(SALU_CYCLE_1)
	v_cndmask_b32_e64 v4, v4, 0, s14
	s_delay_alu instid0(VALU_DEP_1)
	v_or_b32_e32 v66, v4, v19
.LBB4_6168:                             ;   in Loop: Header=BB4_5618 Depth=4
	s_or_b32 exec_lo, exec_lo, s78
                                        ; implicit-def: $vgpr19
.LBB4_6169:                             ;   in Loop: Header=BB4_5618 Depth=4
	s_and_not1_saveexec_b32 s14, s77
; %bb.6170:                             ;   in Loop: Header=BB4_5618 Depth=4
	v_or_b32_e32 v66, 0x7b, v19
; %bb.6171:                             ;   in Loop: Header=BB4_5618 Depth=4
	s_or_b32 exec_lo, exec_lo, s14
                                        ; implicit-def: $vgpr16
                                        ; implicit-def: $vgpr4_vgpr5
                                        ; implicit-def: $vgpr17
.LBB4_6172:                             ;   in Loop: Header=BB4_5618 Depth=4
	s_and_not1_saveexec_b32 s14, s76
	s_cbranch_execz .LBB4_6178
; %bb.6173:                             ;   in Loop: Header=BB4_5618 Depth=4
	s_mov_b32 s76, exec_lo
                                        ; implicit-def: $vgpr66
	v_cmpx_ne_u64_e32 0, v[4:5]
	s_xor_b32 s76, exec_lo, s76
; %bb.6174:                             ;   in Loop: Header=BB4_5618 Depth=4
	v_or_b32_e32 v66, 0x7f, v17
                                        ; implicit-def: $vgpr16
; %bb.6175:                             ;   in Loop: Header=BB4_5618 Depth=4
	s_and_not1_saveexec_b32 s76, s76
; %bb.6176:                             ;   in Loop: Header=BB4_5618 Depth=4
	v_cmp_lt_i32_e32 vcc_lo, -1, v16
	v_cndmask_b32_e32 v66, 0xfc, v49, vcc_lo
; %bb.6177:                             ;   in Loop: Header=BB4_5618 Depth=4
	s_or_b32 exec_lo, exec_lo, s76
.LBB4_6178:                             ;   in Loop: Header=BB4_5618 Depth=4
	s_delay_alu instid0(SALU_CYCLE_1) | instskip(SKIP_2) | instid1(VALU_DEP_1)
	s_or_b32 exec_lo, exec_lo, s14
	v_dual_mov_b32 v5, 0 :: v_dual_lshrrev_b32 v4, 16, v2
	s_mov_b32 s14, exec_lo
	v_and_b32_e32 v16, 0xff, v4
	s_delay_alu instid0(VALU_DEP_1)
	v_cmpx_ne_u16_e32 0, v16
	s_cbranch_execz .LBB4_6188
; %bb.6179:                             ;   in Loop: Header=BB4_5618 Depth=4
	v_bfrev_b32_e32 v5, 1
	s_mov_b32 s76, exec_lo
	v_cmpx_ne_u16_e32 0x80, v16
	s_cbranch_execz .LBB4_6187
; %bb.6180:                             ;   in Loop: Header=BB4_5618 Depth=4
	v_and_b32_e32 v5, 0x7c0000, v2
	v_bfe_u32 v16, v2, 16, 2
	s_delay_alu instid0(VALU_DEP_2) | instskip(SKIP_1) | instid1(SALU_CYCLE_1)
	v_cmp_ne_u32_e32 vcc_lo, 0x7c0000, v5
                                        ; implicit-def: $vgpr5
	s_and_saveexec_b32 s77, vcc_lo
	s_xor_b32 s77, exec_lo, s77
	s_cbranch_execz .LBB4_6184
; %bb.6181:                             ;   in Loop: Header=BB4_5618 Depth=4
	v_bfe_u32 v5, v2, 18, 5
	v_lshrrev_b32_e32 v4, 16, v2
	s_mov_b32 s78, exec_lo
	s_delay_alu instid0(VALU_DEP_2)
	v_cmpx_eq_u32_e32 0, v5
; %bb.6182:                             ;   in Loop: Header=BB4_5618 Depth=4
	v_clz_i32_u32_e32 v5, v16
	s_delay_alu instid0(VALU_DEP_1) | instskip(NEXT) | instid1(VALU_DEP_1)
	v_min_u32_e32 v5, 32, v5
	v_subrev_nc_u32_e32 v16, 29, v5
	s_delay_alu instid0(VALU_DEP_1) | instskip(NEXT) | instid1(VALU_DEP_1)
	v_lshlrev_b64_e32 v[16:17], v16, v[4:5]
	v_dual_sub_nc_u32 v5, 30, v5 :: v_dual_bitop2_b32 v16, 3, v16 bitop3:0x40
; %bb.6183:                             ;   in Loop: Header=BB4_5618 Depth=4
	s_or_b32 exec_lo, exec_lo, s78
	v_lshlrev_b32_e32 v4, 24, v4
	s_delay_alu instid0(VALU_DEP_1) | instskip(NEXT) | instid1(VALU_DEP_1)
	v_and_b32_e32 v4, 0x80000000, v4
	v_lshl_add_u32 v4, v5, 23, v4
	s_delay_alu instid0(VALU_DEP_1) | instskip(NEXT) | instid1(VALU_DEP_1)
	v_lshl_or_b32 v4, v16, 21, v4
                                        ; implicit-def: $vgpr16
	v_add_nc_u32_e32 v5, 0x38000000, v4
                                        ; implicit-def: $vgpr4
.LBB4_6184:                             ;   in Loop: Header=BB4_5618 Depth=4
	s_and_not1_saveexec_b32 s77, s77
; %bb.6185:                             ;   in Loop: Header=BB4_5618 Depth=4
	v_bfe_i32 v4, v4, 0, 8
	s_delay_alu instid0(VALU_DEP_1) | instskip(SKIP_2) | instid1(VALU_DEP_2)
	v_cmp_lt_i16_e32 vcc_lo, -1, v4
	v_cndmask_b32_e32 v4, 0xff800000, v48, vcc_lo
	v_cmp_eq_u32_e32 vcc_lo, 0, v16
	v_cndmask_b32_e32 v5, 0x7f800001, v4, vcc_lo
; %bb.6186:                             ;   in Loop: Header=BB4_5618 Depth=4
	s_or_b32 exec_lo, exec_lo, s77
.LBB4_6187:                             ;   in Loop: Header=BB4_5618 Depth=4
	s_delay_alu instid0(SALU_CYCLE_1)
	s_or_b32 exec_lo, exec_lo, s76
.LBB4_6188:                             ;   in Loop: Header=BB4_5618 Depth=4
	s_delay_alu instid0(SALU_CYCLE_1) | instskip(SKIP_3) | instid1(VALU_DEP_1)
	s_or_b32 exec_lo, exec_lo, s14
	v_lshrrev_b32_e32 v4, 16, v8
	s_mov_b32 s76, 0
	s_mov_b32 s14, exec_lo
	v_and_b32_e32 v17, 0xff, v4
	s_delay_alu instid0(VALU_DEP_1)
	v_cmpx_lt_i16_e32 0x7f, v17
	s_xor_b32 s14, exec_lo, s14
	s_cbranch_execz .LBB4_6661
; %bb.6189:                             ;   in Loop: Header=BB4_5618 Depth=4
	s_mov_b32 s76, -1
	s_mov_b32 s77, exec_lo
	v_cmpx_eq_u16_e32 0x80, v17
; %bb.6190:                             ;   in Loop: Header=BB4_5618 Depth=4
	s_xor_b32 s76, exec_lo, -1
; %bb.6191:                             ;   in Loop: Header=BB4_5618 Depth=4
	s_or_b32 exec_lo, exec_lo, s77
	s_delay_alu instid0(SALU_CYCLE_1)
	s_and_b32 s76, s76, exec_lo
                                        ; implicit-def: $vgpr17
	s_or_saveexec_b32 s14, s14
	v_bfrev_b32_e32 v16, 1
	s_xor_b32 exec_lo, exec_lo, s14
	s_cbranch_execnz .LBB4_6662
.LBB4_6192:                             ;   in Loop: Header=BB4_5618 Depth=4
	s_or_b32 exec_lo, exec_lo, s14
	s_and_saveexec_b32 s14, s76
	s_cbranch_execz .LBB4_6194
.LBB4_6193:                             ;   in Loop: Header=BB4_5618 Depth=4
	v_and_b32_e32 v19, 3, v4
	v_bfe_u32 v87, v8, 18, 5
	s_delay_alu instid0(VALU_DEP_2) | instskip(NEXT) | instid1(VALU_DEP_2)
	v_clz_i32_u32_e32 v16, v19
	v_cmp_eq_u32_e32 vcc_lo, 0, v87
	s_delay_alu instid0(VALU_DEP_2) | instskip(NEXT) | instid1(VALU_DEP_1)
	v_min_u32_e32 v86, 32, v16
	v_subrev_nc_u32_e32 v16, 29, v86
	s_delay_alu instid0(VALU_DEP_1) | instskip(SKIP_2) | instid1(VALU_DEP_2)
	v_lshlrev_b64_e32 v[16:17], v16, v[4:5]
	v_dual_lshlrev_b32 v17, 24, v4 :: v_dual_sub_nc_u32 v86, 30, v86
	v_bfe_i32 v4, v4, 0, 8
	v_and_b32_e32 v17, 0x80000000, v17
	s_delay_alu instid0(VALU_DEP_3) | instskip(NEXT) | instid1(VALU_DEP_1)
	v_dual_cndmask_b32 v86, v87, v86, vcc_lo :: v_dual_bitop2_b32 v16, 3, v16 bitop3:0x40
	v_cndmask_b32_e32 v16, v19, v16, vcc_lo
	s_delay_alu instid0(VALU_DEP_2) | instskip(SKIP_1) | instid1(VALU_DEP_2)
	v_lshl_add_u32 v17, v86, 23, v17
	v_cmp_lt_i16_e32 vcc_lo, -1, v4
	v_lshl_or_b32 v16, v16, 21, v17
	v_cndmask_b32_e32 v4, 0xff800000, v48, vcc_lo
	v_and_b32_e32 v17, 0x7c0000, v8
	v_cmp_eq_u32_e32 vcc_lo, 0, v19
	s_delay_alu instid0(VALU_DEP_4) | instskip(NEXT) | instid1(VALU_DEP_4)
	v_add_nc_u32_e32 v16, 0x38000000, v16
	v_cndmask_b32_e32 v4, 0x7f800001, v4, vcc_lo
	s_delay_alu instid0(VALU_DEP_4) | instskip(NEXT) | instid1(VALU_DEP_2)
	v_cmp_eq_u32_e32 vcc_lo, 0x7c0000, v17
	v_cndmask_b32_e32 v16, v16, v4, vcc_lo
.LBB4_6194:                             ;   in Loop: Header=BB4_5618 Depth=4
	s_or_b32 exec_lo, exec_lo, s14
	s_delay_alu instid0(VALU_DEP_1) | instskip(SKIP_2) | instid1(VALU_DEP_2)
	v_dual_add_f32 v16, v5, v16 :: v_dual_mov_b32 v87, v3
	v_mov_b32_e32 v5, v3
                                        ; implicit-def: $vgpr101
	s_mov_b32 s14, exec_lo
	v_and_b32_e32 v86, 0x7f800000, v16
	v_and_b32_e32 v4, 0x7fffff, v16
	v_lshrrev_b32_e32 v17, 24, v16
	s_delay_alu instid0(VALU_DEP_3)
	v_cmpx_ne_u64_e32 0x7f800000, v[86:87]
	s_xor_b32 s76, exec_lo, s14
	s_cbranch_execz .LBB4_6208
; %bb.6195:                             ;   in Loop: Header=BB4_5618 Depth=4
	v_and_b32_e32 v86, 0x7fffffff, v16
	v_mov_b32_e32 v87, v3
	v_and_b32_e32 v19, 0x80, v17
                                        ; implicit-def: $vgpr101
	s_mov_b32 s14, exec_lo
	s_delay_alu instid0(VALU_DEP_2)
	v_cmpx_gt_u64_e32 0x47600001, v[86:87]
	s_xor_b32 s77, exec_lo, s14
	s_cbranch_execz .LBB4_6205
; %bb.6196:                             ;   in Loop: Header=BB4_5618 Depth=4
	v_mov_b32_e32 v101, 0
	s_mov_b32 s78, exec_lo
	v_cmpx_ne_u32_e32 0, v16
	s_cbranch_execz .LBB4_6204
; %bb.6197:                             ;   in Loop: Header=BB4_5618 Depth=4
	v_bfe_u32 v86, v16, 23, 8
	v_or_b32_e32 v96, 0x800000, v4
	s_delay_alu instid0(VALU_DEP_2) | instskip(SKIP_1) | instid1(VALU_DEP_2)
	v_sub_nc_u32_e32 v16, 0x71, v86
	v_cmp_gt_u32_e32 vcc_lo, 0x72, v86
	v_cndmask_b32_e32 v16, 0, v16, vcc_lo
	v_cmp_eq_u32_e32 vcc_lo, 0, v86
	s_delay_alu instid0(VALU_DEP_2) | instskip(NEXT) | instid1(VALU_DEP_1)
	v_cndmask_b32_e64 v87, v16, 0x70, vcc_lo
	v_dual_cndmask_b32 v4, v96, v4, vcc_lo :: v_dual_add_nc_u32 v16, 21, v87
	v_add_nc_u32_e32 v97, 20, v87
	s_delay_alu instid0(VALU_DEP_2) | instskip(NEXT) | instid1(VALU_DEP_2)
	v_lshlrev_b64_e64 v[16:17], v16, -1
	v_lshlrev_b64_e64 v[96:97], v97, 1
	s_delay_alu instid0(VALU_DEP_2) | instskip(SKIP_1) | instid1(VALU_DEP_4)
	v_bfi_b32 v16, v16, 0, v4
	v_lshrrev_b64 v[4:5], v87, v[4:5]
	v_bfi_b32 v17, v17, 0, 0
	s_delay_alu instid0(VALU_DEP_1) | instskip(NEXT) | instid1(VALU_DEP_3)
	v_cmp_eq_u64_e64 s14, v[16:17], v[96:97]
	v_mov_b64_e32 v[16:17], v[4:5]
	s_and_saveexec_b32 s79, s14
; %bb.6198:                             ;   in Loop: Header=BB4_5618 Depth=4
	v_bfe_u32 v16, v4, 21, 1
	v_mov_b32_e32 v17, v3
	s_delay_alu instid0(VALU_DEP_1) | instskip(NEXT) | instid1(VALU_DEP_1)
	v_add_nc_u64_e32 v[16:17], v[4:5], v[16:17]
	v_add_nc_u64_e32 v[16:17], -1, v[16:17]
; %bb.6199:                             ;   in Loop: Header=BB4_5618 Depth=4
	s_or_b32 exec_lo, exec_lo, s79
	v_add_nc_u32_e32 v5, 0xffffff81, v86
	v_lshrrev_b32_e32 v17, 23, v4
	s_mov_b32 s14, exec_lo
	s_delay_alu instid0(VALU_DEP_2) | instskip(NEXT) | instid1(VALU_DEP_1)
	v_cndmask_b32_e64 v5, v5, 0xffffff82, vcc_lo
	v_add3_u32 v17, v87, v5, v17
	v_and_b32_e32 v5, 0x1fffff, v16
                                        ; implicit-def: $vgpr16
	s_delay_alu instid0(VALU_DEP_1) | instskip(SKIP_1) | instid1(VALU_DEP_2)
	v_dual_add_nc_u32 v86, 14, v17 :: v_dual_add_nc_u32 v4, v5, v4
	v_mov_b32_e32 v5, v3
	v_cmpx_ne_u32_e32 0, v86
	s_xor_b32 s14, exec_lo, s14
; %bb.6200:                             ;   in Loop: Header=BB4_5618 Depth=4
	s_delay_alu instid0(VALU_DEP_2) | instskip(SKIP_2) | instid1(VALU_DEP_2)
	v_cmp_lt_u64_e32 vcc_lo, 0xffffff, v[4:5]
	v_add_nc_u32_e32 v16, 15, v17
	v_cndmask_b32_e64 v17, 0, 1, vcc_lo
	v_cndmask_b32_e32 v16, v86, v16, vcc_lo
	s_delay_alu instid0(VALU_DEP_2)
	v_lshrrev_b64 v[4:5], v17, v[4:5]
; %bb.6201:                             ;   in Loop: Header=BB4_5618 Depth=4
	s_and_not1_saveexec_b32 s14, s14
; %bb.6202:                             ;   in Loop: Header=BB4_5618 Depth=4
	s_delay_alu instid0(VALU_DEP_1)
	v_bfe_u32 v16, v4, 23, 1
; %bb.6203:                             ;   in Loop: Header=BB4_5618 Depth=4
	s_or_b32 exec_lo, exec_lo, s14
	s_delay_alu instid0(VALU_DEP_2) | instskip(NEXT) | instid1(VALU_DEP_2)
	v_lshrrev_b64 v[4:5], 21, v[4:5]
	v_cmp_gt_i32_e32 vcc_lo, 32, v16
	v_min_i32_e32 v17, 31, v16
	v_cmp_eq_u32_e64 s14, 0, v16
	s_delay_alu instid0(VALU_DEP_4) | instskip(NEXT) | instid1(VALU_DEP_3)
	v_cndmask_b32_e32 v5, 0, v5, vcc_lo
	v_dual_cndmask_b32 v4, 3, v4 :: v_dual_lshlrev_b32 v17, 2, v17
	s_delay_alu instid0(VALU_DEP_1) | instskip(NEXT) | instid1(VALU_DEP_2)
	v_and_b32_e32 v17, 0xfc, v17
	v_cmp_eq_u64_e32 vcc_lo, 0, v[4:5]
	s_delay_alu instid0(VALU_DEP_2)
	v_and_or_b32 v4, v4, 3, v17
	s_and_b32 s14, s14, vcc_lo
	s_delay_alu instid0(VALU_DEP_1) | instid1(SALU_CYCLE_1)
	v_cndmask_b32_e64 v4, v4, 0, s14
	s_delay_alu instid0(VALU_DEP_1)
	v_or_b32_e32 v101, v4, v19
.LBB4_6204:                             ;   in Loop: Header=BB4_5618 Depth=4
	s_or_b32 exec_lo, exec_lo, s78
                                        ; implicit-def: $vgpr19
.LBB4_6205:                             ;   in Loop: Header=BB4_5618 Depth=4
	s_and_not1_saveexec_b32 s14, s77
; %bb.6206:                             ;   in Loop: Header=BB4_5618 Depth=4
	v_or_b32_e32 v101, 0x7b, v19
; %bb.6207:                             ;   in Loop: Header=BB4_5618 Depth=4
	s_or_b32 exec_lo, exec_lo, s14
                                        ; implicit-def: $vgpr16
                                        ; implicit-def: $vgpr4_vgpr5
                                        ; implicit-def: $vgpr17
.LBB4_6208:                             ;   in Loop: Header=BB4_5618 Depth=4
	s_and_not1_saveexec_b32 s14, s76
	s_cbranch_execz .LBB4_6214
; %bb.6209:                             ;   in Loop: Header=BB4_5618 Depth=4
	s_mov_b32 s76, exec_lo
                                        ; implicit-def: $vgpr101
	v_cmpx_ne_u64_e32 0, v[4:5]
	s_xor_b32 s76, exec_lo, s76
; %bb.6210:                             ;   in Loop: Header=BB4_5618 Depth=4
	v_or_b32_e32 v101, 0x7f, v17
                                        ; implicit-def: $vgpr16
; %bb.6211:                             ;   in Loop: Header=BB4_5618 Depth=4
	s_and_not1_saveexec_b32 s76, s76
; %bb.6212:                             ;   in Loop: Header=BB4_5618 Depth=4
	v_cmp_lt_i32_e32 vcc_lo, -1, v16
	v_cndmask_b32_e32 v101, 0xfc, v49, vcc_lo
; %bb.6213:                             ;   in Loop: Header=BB4_5618 Depth=4
	s_or_b32 exec_lo, exec_lo, s76
.LBB4_6214:                             ;   in Loop: Header=BB4_5618 Depth=4
	s_delay_alu instid0(SALU_CYCLE_1)
	s_or_b32 exec_lo, exec_lo, s14
	v_mov_b32_e32 v5, 0
	s_mov_b32 s14, exec_lo
	v_cmpx_lt_u32_e32 0xffffff, v2
	s_cbranch_execz .LBB4_6224
; %bb.6215:                             ;   in Loop: Header=BB4_5618 Depth=4
	v_lshrrev_b32_e32 v4, 24, v2
	v_bfrev_b32_e32 v5, 1
	s_mov_b32 s76, exec_lo
	s_delay_alu instid0(VALU_DEP_2)
	v_cmpx_ne_u32_e32 0x80, v4
	s_cbranch_execz .LBB4_6223
; %bb.6216:                             ;   in Loop: Header=BB4_5618 Depth=4
	v_and_b32_e32 v5, 0x7c000000, v2
	v_bfe_u32 v16, v2, 24, 2
	s_delay_alu instid0(VALU_DEP_2) | instskip(SKIP_1) | instid1(SALU_CYCLE_1)
	v_cmp_ne_u32_e32 vcc_lo, 0x7c000000, v5
                                        ; implicit-def: $vgpr5
	s_and_saveexec_b32 s77, vcc_lo
	s_xor_b32 s77, exec_lo, s77
	s_cbranch_execz .LBB4_6220
; %bb.6217:                             ;   in Loop: Header=BB4_5618 Depth=4
	v_bfe_u32 v5, v2, 26, 5
	s_mov_b32 s78, exec_lo
	s_delay_alu instid0(VALU_DEP_1)
	v_cmpx_eq_u32_e32 0, v5
; %bb.6218:                             ;   in Loop: Header=BB4_5618 Depth=4
	v_clz_i32_u32_e32 v5, v16
	s_delay_alu instid0(VALU_DEP_1) | instskip(NEXT) | instid1(VALU_DEP_1)
	v_min_u32_e32 v16, 32, v5
	v_subrev_nc_u32_e32 v5, 29, v16
	s_delay_alu instid0(VALU_DEP_1) | instskip(SKIP_1) | instid1(VALU_DEP_2)
	v_lshlrev_b64_e32 v[4:5], v5, v[4:5]
	v_sub_nc_u32_e32 v5, 30, v16
	v_and_b32_e32 v16, 3, v4
; %bb.6219:                             ;   in Loop: Header=BB4_5618 Depth=4
	s_or_b32 exec_lo, exec_lo, s78
	v_and_b32_e32 v2, 0x80000000, v2
	s_delay_alu instid0(VALU_DEP_1) | instskip(NEXT) | instid1(VALU_DEP_1)
	v_lshl_add_u32 v2, v5, 23, v2
	v_lshl_or_b32 v2, v16, 21, v2
                                        ; implicit-def: $vgpr16
	s_delay_alu instid0(VALU_DEP_1)
	v_add_nc_u32_e32 v5, 0x38000000, v2
.LBB4_6220:                             ;   in Loop: Header=BB4_5618 Depth=4
	s_and_not1_saveexec_b32 s77, s77
; %bb.6221:                             ;   in Loop: Header=BB4_5618 Depth=4
	v_cmp_lt_i32_e32 vcc_lo, -1, v2
	v_cndmask_b32_e32 v2, 0xff800000, v48, vcc_lo
	v_cmp_eq_u32_e32 vcc_lo, 0, v16
	s_delay_alu instid0(VALU_DEP_2)
	v_cndmask_b32_e32 v5, 0x7f800001, v2, vcc_lo
; %bb.6222:                             ;   in Loop: Header=BB4_5618 Depth=4
	s_or_b32 exec_lo, exec_lo, s77
.LBB4_6223:                             ;   in Loop: Header=BB4_5618 Depth=4
	s_delay_alu instid0(SALU_CYCLE_1)
	s_or_b32 exec_lo, exec_lo, s76
.LBB4_6224:                             ;   in Loop: Header=BB4_5618 Depth=4
	s_delay_alu instid0(SALU_CYCLE_1) | instskip(SKIP_3) | instid1(VALU_DEP_2)
	s_or_b32 exec_lo, exec_lo, s14
	v_bfe_u32 v4, v8, 24, 2
	v_bfe_u32 v86, v8, 26, 5
                                        ; implicit-def: $vgpr44
	s_mov_b32 s14, exec_lo
	v_clz_i32_u32_e32 v2, v4
	s_delay_alu instid0(VALU_DEP_2) | instskip(NEXT) | instid1(VALU_DEP_2)
	v_cmp_eq_u32_e32 vcc_lo, 0, v86
	v_min_u32_e32 v19, 32, v2
	v_lshrrev_b32_e32 v2, 24, v8
	s_delay_alu instid0(VALU_DEP_2) | instskip(NEXT) | instid1(VALU_DEP_1)
	v_subrev_nc_u32_e32 v16, 29, v19
	v_lshlrev_b64_e32 v[16:17], v16, v[2:3]
	v_sub_nc_u32_e32 v17, 30, v19
	v_and_b32_e32 v19, 0x80000000, v8
	s_delay_alu instid0(VALU_DEP_2) | instskip(NEXT) | instid1(VALU_DEP_1)
	v_dual_cndmask_b32 v17, v86, v17, vcc_lo :: v_dual_bitop2_b32 v16, 3, v16 bitop3:0x40
	v_lshl_add_u32 v17, v17, 23, v19
	s_delay_alu instid0(VALU_DEP_2) | instskip(SKIP_1) | instid1(VALU_DEP_2)
	v_cndmask_b32_e32 v16, v4, v16, vcc_lo
	v_cmp_lt_i32_e32 vcc_lo, -1, v8
	v_lshl_or_b32 v16, v16, 21, v17
	v_cndmask_b32_e32 v19, 0xff800000, v48, vcc_lo
	v_and_b32_e32 v17, 0x7c000000, v8
	v_cmp_eq_u32_e32 vcc_lo, 0, v4
	s_delay_alu instid0(VALU_DEP_4) | instskip(NEXT) | instid1(VALU_DEP_4)
	v_add_nc_u32_e32 v16, 0x38000000, v16
	v_cndmask_b32_e32 v4, 0x7f800001, v19, vcc_lo
	s_delay_alu instid0(VALU_DEP_4) | instskip(NEXT) | instid1(VALU_DEP_2)
	v_cmp_eq_u32_e32 vcc_lo, 0x7c000000, v17
	v_dual_mov_b32 v17, v3 :: v_dual_cndmask_b32 v4, v16, v4
	v_cmp_ne_u32_e32 vcc_lo, 0x80, v2
	s_delay_alu instid0(VALU_DEP_2) | instskip(SKIP_1) | instid1(VALU_DEP_2)
	v_cndmask_b32_e32 v2, 0x80000000, v4, vcc_lo
	v_cmp_lt_u32_e32 vcc_lo, 0xffffff, v8
	v_cndmask_b32_e32 v2, 0, v2, vcc_lo
	s_delay_alu instid0(VALU_DEP_1) | instskip(NEXT) | instid1(VALU_DEP_1)
	v_add_f32_e32 v4, v2, v5
	v_and_b32_e32 v16, 0x7f800000, v4
	v_and_b32_e32 v2, 0x7fffff, v4
	v_lshrrev_b32_e32 v5, 24, v4
	s_delay_alu instid0(VALU_DEP_3)
	v_cmpx_ne_u64_e32 0x7f800000, v[16:17]
	s_xor_b32 s76, exec_lo, s14
	s_cbranch_execz .LBB4_6238
; %bb.6225:                             ;   in Loop: Header=BB4_5618 Depth=4
	v_and_b32_e32 v16, 0x7fffffff, v4
	v_mov_b32_e32 v17, v3
	v_and_b32_e32 v19, 0x80, v5
                                        ; implicit-def: $vgpr44
	s_mov_b32 s14, exec_lo
	s_delay_alu instid0(VALU_DEP_2)
	v_cmpx_gt_u64_e32 0x47600001, v[16:17]
	s_xor_b32 s77, exec_lo, s14
	s_cbranch_execz .LBB4_6235
; %bb.6226:                             ;   in Loop: Header=BB4_5618 Depth=4
	v_mov_b32_e32 v44, 0
	s_mov_b32 s78, exec_lo
	v_cmpx_ne_u32_e32 0, v4
	s_cbranch_execz .LBB4_6234
; %bb.6227:                             ;   in Loop: Header=BB4_5618 Depth=4
	v_bfe_u32 v86, v4, 23, 8
	v_or_b32_e32 v16, 0x800000, v2
	s_mov_b32 s79, exec_lo
	s_delay_alu instid0(VALU_DEP_2) | instskip(SKIP_1) | instid1(VALU_DEP_2)
	v_dual_mov_b32 v17, v3 :: v_dual_sub_nc_u32 v4, 0x71, v86
	v_cmp_gt_u32_e32 vcc_lo, 0x72, v86
	v_cndmask_b32_e32 v4, 0, v4, vcc_lo
	v_cmp_eq_u32_e32 vcc_lo, 0, v86
	s_delay_alu instid0(VALU_DEP_2) | instskip(NEXT) | instid1(VALU_DEP_1)
	v_cndmask_b32_e64 v87, v4, 0x70, vcc_lo
	v_dual_cndmask_b32 v16, v16, v2, vcc_lo :: v_dual_add_nc_u32 v4, 21, v87
	v_add_nc_u32_e32 v96, 20, v87
	s_delay_alu instid0(VALU_DEP_2) | instskip(NEXT) | instid1(VALU_DEP_2)
	v_lshlrev_b64_e64 v[4:5], v4, -1
	v_lshlrev_b64_e64 v[96:97], v96, 1
	s_delay_alu instid0(VALU_DEP_2) | instskip(NEXT) | instid1(VALU_DEP_3)
	v_bfi_b32 v61, v5, 0, 0
	v_bfi_b32 v60, v4, 0, v16
	v_lshrrev_b64 v[4:5], v87, v[16:17]
	s_delay_alu instid0(VALU_DEP_1) | instskip(NEXT) | instid1(VALU_DEP_3)
	v_mov_b64_e32 v[16:17], v[4:5]
	v_cmpx_eq_u64_e64 v[60:61], v[96:97]
; %bb.6228:                             ;   in Loop: Header=BB4_5618 Depth=4
	v_bfe_u32 v16, v4, 21, 1
	v_mov_b32_e32 v17, v3
	s_delay_alu instid0(VALU_DEP_1) | instskip(NEXT) | instid1(VALU_DEP_1)
	v_add_nc_u64_e32 v[16:17], v[4:5], v[16:17]
	v_add_nc_u64_e32 v[16:17], -1, v[16:17]
; %bb.6229:                             ;   in Loop: Header=BB4_5618 Depth=4
	s_or_b32 exec_lo, exec_lo, s79
	v_add_nc_u32_e32 v2, 0xffffff81, v86
	v_lshrrev_b32_e32 v5, 23, v4
	s_mov_b32 s14, exec_lo
	s_delay_alu instid0(VALU_DEP_2) | instskip(NEXT) | instid1(VALU_DEP_1)
	v_cndmask_b32_e64 v2, v2, 0xffffff82, vcc_lo
	v_add3_u32 v17, v87, v2, v5
	v_and_b32_e32 v2, 0x1fffff, v16
                                        ; implicit-def: $vgpr16
	s_delay_alu instid0(VALU_DEP_1) | instskip(NEXT) | instid1(VALU_DEP_1)
	v_dual_add_nc_u32 v86, 14, v17 :: v_dual_add_nc_u32 v2, v2, v4
                                        ; implicit-def: $vgpr4_vgpr5
	v_cmpx_ne_u32_e32 0, v86
	s_xor_b32 s14, exec_lo, s14
; %bb.6230:                             ;   in Loop: Header=BB4_5618 Depth=4
	s_delay_alu instid0(VALU_DEP_2) | instskip(SKIP_1) | instid1(VALU_DEP_1)
	v_cmp_lt_u64_e32 vcc_lo, 0xffffff, v[2:3]
	v_add_nc_u32_e32 v4, 15, v17
	v_cndmask_b32_e32 v16, v86, v4, vcc_lo
	v_cndmask_b32_e64 v4, 0, 1, vcc_lo
	s_delay_alu instid0(VALU_DEP_1)
	v_lshrrev_b64 v[4:5], v4, v[2:3]
; %bb.6231:                             ;   in Loop: Header=BB4_5618 Depth=4
	s_and_not1_saveexec_b32 s14, s14
; %bb.6232:                             ;   in Loop: Header=BB4_5618 Depth=4
	v_mov_b64_e32 v[4:5], v[2:3]
	v_bfe_u32 v16, v2, 23, 1
; %bb.6233:                             ;   in Loop: Header=BB4_5618 Depth=4
	s_or_b32 exec_lo, exec_lo, s14
	s_delay_alu instid0(VALU_DEP_2) | instskip(NEXT) | instid1(VALU_DEP_2)
	v_lshrrev_b64 v[4:5], 21, v[4:5]
	v_cmp_gt_i32_e32 vcc_lo, 32, v16
	v_min_i32_e32 v2, 31, v16
	v_cmp_eq_u32_e64 s14, 0, v16
	s_delay_alu instid0(VALU_DEP_2) | instskip(SKIP_1) | instid1(VALU_DEP_2)
	v_dual_cndmask_b32 v5, 0, v5 :: v_dual_lshlrev_b32 v2, 2, v2
	v_cndmask_b32_e32 v4, 3, v4, vcc_lo
	v_and_b32_e32 v2, 0xfc, v2
	s_delay_alu instid0(VALU_DEP_2) | instskip(NEXT) | instid1(VALU_DEP_2)
	v_cmp_eq_u64_e32 vcc_lo, 0, v[4:5]
	v_and_or_b32 v2, v4, 3, v2
	s_and_b32 s14, s14, vcc_lo
	s_delay_alu instid0(VALU_DEP_1) | instid1(SALU_CYCLE_1)
	v_cndmask_b32_e64 v2, v2, 0, s14
	s_delay_alu instid0(VALU_DEP_1)
	v_or_b32_e32 v44, v2, v19
.LBB4_6234:                             ;   in Loop: Header=BB4_5618 Depth=4
	s_or_b32 exec_lo, exec_lo, s78
                                        ; implicit-def: $vgpr19
.LBB4_6235:                             ;   in Loop: Header=BB4_5618 Depth=4
	s_and_not1_saveexec_b32 s14, s77
; %bb.6236:                             ;   in Loop: Header=BB4_5618 Depth=4
	v_or_b32_e32 v44, 0x7b, v19
; %bb.6237:                             ;   in Loop: Header=BB4_5618 Depth=4
	s_or_b32 exec_lo, exec_lo, s14
                                        ; implicit-def: $vgpr4
                                        ; implicit-def: $vgpr5
.LBB4_6238:                             ;   in Loop: Header=BB4_5618 Depth=4
	s_and_not1_saveexec_b32 s14, s76
	s_cbranch_execz .LBB4_6244
; %bb.6239:                             ;   in Loop: Header=BB4_5618 Depth=4
	s_mov_b32 s76, exec_lo
                                        ; implicit-def: $vgpr44
	v_cmpx_ne_u64_e32 0, v[2:3]
	s_xor_b32 s76, exec_lo, s76
; %bb.6240:                             ;   in Loop: Header=BB4_5618 Depth=4
	v_or_b32_e32 v44, 0x7f, v5
                                        ; implicit-def: $vgpr4
; %bb.6241:                             ;   in Loop: Header=BB4_5618 Depth=4
	s_and_not1_saveexec_b32 s76, s76
; %bb.6242:                             ;   in Loop: Header=BB4_5618 Depth=4
	v_cmp_lt_i32_e32 vcc_lo, -1, v4
	v_cndmask_b32_e32 v44, 0xfc, v49, vcc_lo
; %bb.6243:                             ;   in Loop: Header=BB4_5618 Depth=4
	s_or_b32 exec_lo, exec_lo, s76
.LBB4_6244:                             ;   in Loop: Header=BB4_5618 Depth=4
	s_delay_alu instid0(SALU_CYCLE_1) | instskip(SKIP_4) | instid1(VALU_DEP_2)
	s_or_b32 exec_lo, exec_lo, s14
	v_lshl_or_b32 v47, v47, 8, v18
	v_dual_lshlrev_b32 v2, 16, v57 :: v_dual_lshlrev_b32 v4, 24, v58
	v_mov_b32_e32 v16, 0
	s_mov_b32 s14, exec_lo
	v_or3_b32 v2, v2, v4, v47
	v_cmpx_ne_u32_e32 0, v18
	s_cbranch_execz .LBB4_6254
; %bb.6245:                             ;   in Loop: Header=BB4_5618 Depth=4
	v_bfrev_b32_e32 v16, 1
	s_mov_b32 s76, exec_lo
	v_cmpx_ne_u32_e32 0x80, v18
	s_cbranch_execz .LBB4_6253
; %bb.6246:                             ;   in Loop: Header=BB4_5618 Depth=4
	v_and_b32_e32 v5, 0x7c, v18
	v_and_b32_e32 v4, 3, v18
	s_mov_b32 s77, exec_lo
                                        ; implicit-def: $vgpr16
	s_delay_alu instid0(VALU_DEP_2)
	v_cmpx_ne_u32_e32 0x7c, v5
	s_xor_b32 s77, exec_lo, s77
	s_cbranch_execz .LBB4_6250
; %bb.6247:                             ;   in Loop: Header=BB4_5618 Depth=4
	v_bfe_u32 v5, v18, 2, 5
	s_mov_b32 s78, exec_lo
	s_delay_alu instid0(VALU_DEP_1)
	v_cmpx_eq_u32_e32 0, v5
; %bb.6248:                             ;   in Loop: Header=BB4_5618 Depth=4
	v_clz_i32_u32_e32 v4, v4
	s_delay_alu instid0(VALU_DEP_1) | instskip(NEXT) | instid1(VALU_DEP_1)
	v_min_u32_e32 v16, 32, v4
	v_subrev_nc_u32_e32 v4, 29, v16
	s_delay_alu instid0(VALU_DEP_1) | instskip(SKIP_1) | instid1(VALU_DEP_2)
	v_lshlrev_b64_e32 v[4:5], v4, v[2:3]
	v_sub_nc_u32_e32 v5, 30, v16
	v_and_b32_e32 v4, 3, v4
; %bb.6249:                             ;   in Loop: Header=BB4_5618 Depth=4
	s_or_b32 exec_lo, exec_lo, s78
	v_lshlrev_b32_e32 v16, 24, v18
                                        ; implicit-def: $vgpr18
	s_delay_alu instid0(VALU_DEP_1) | instskip(NEXT) | instid1(VALU_DEP_1)
	v_and_b32_e32 v16, 0x80000000, v16
	v_lshl_add_u32 v5, v5, 23, v16
	s_delay_alu instid0(VALU_DEP_1) | instskip(NEXT) | instid1(VALU_DEP_1)
	v_lshl_or_b32 v4, v4, 21, v5
	v_add_nc_u32_e32 v16, 0x38000000, v4
                                        ; implicit-def: $vgpr4
.LBB4_6250:                             ;   in Loop: Header=BB4_5618 Depth=4
	s_and_not1_saveexec_b32 s77, s77
; %bb.6251:                             ;   in Loop: Header=BB4_5618 Depth=4
	v_and_b32_e32 v5, 0x80, v18
	s_delay_alu instid0(VALU_DEP_1) | instskip(SKIP_2) | instid1(VALU_DEP_2)
	v_cmp_eq_u32_e32 vcc_lo, 0, v5
	v_cndmask_b32_e32 v5, 0xff800000, v48, vcc_lo
	v_cmp_eq_u32_e32 vcc_lo, 0, v4
	v_cndmask_b32_e32 v16, 0x7f800001, v5, vcc_lo
; %bb.6252:                             ;   in Loop: Header=BB4_5618 Depth=4
	s_or_b32 exec_lo, exec_lo, s77
.LBB4_6253:                             ;   in Loop: Header=BB4_5618 Depth=4
	s_delay_alu instid0(SALU_CYCLE_1)
	s_or_b32 exec_lo, exec_lo, s76
.LBB4_6254:                             ;   in Loop: Header=BB4_5618 Depth=4
	s_delay_alu instid0(SALU_CYCLE_1) | instskip(SKIP_4) | instid1(VALU_DEP_2)
	s_or_b32 exec_lo, exec_lo, s14
	v_and_b32_e32 v5, 0xff, v9
	v_mov_b32_e32 v4, v9
	s_mov_b32 s76, 0
	s_mov_b32 s14, exec_lo
	v_cmpx_lt_i16_e32 0x7f, v5
	s_xor_b32 s14, exec_lo, s14
	s_cbranch_execz .LBB4_6663
; %bb.6255:                             ;   in Loop: Header=BB4_5618 Depth=4
	s_mov_b32 s76, -1
	s_mov_b32 s77, exec_lo
	v_cmpx_eq_u16_e32 0x80, v5
; %bb.6256:                             ;   in Loop: Header=BB4_5618 Depth=4
	s_xor_b32 s76, exec_lo, -1
; %bb.6257:                             ;   in Loop: Header=BB4_5618 Depth=4
	s_or_b32 exec_lo, exec_lo, s77
	s_delay_alu instid0(SALU_CYCLE_1)
	s_and_b32 s76, s76, exec_lo
                                        ; implicit-def: $vgpr5
	s_or_saveexec_b32 s14, s14
	v_bfrev_b32_e32 v17, 1
	s_xor_b32 exec_lo, exec_lo, s14
	s_cbranch_execnz .LBB4_6664
.LBB4_6258:                             ;   in Loop: Header=BB4_5618 Depth=4
	s_or_b32 exec_lo, exec_lo, s14
	v_mov_b32_e32 v5, v3
	s_and_saveexec_b32 s14, s76
	s_cbranch_execz .LBB4_6260
.LBB4_6259:                             ;   in Loop: Header=BB4_5618 Depth=4
	v_and_b32_e32 v17, 3, v9
	s_delay_alu instid0(VALU_DEP_1) | instskip(NEXT) | instid1(VALU_DEP_1)
	v_clz_i32_u32_e32 v18, v17
	v_min_u32_e32 v86, 32, v18
	s_delay_alu instid0(VALU_DEP_1) | instskip(SKIP_1) | instid1(VALU_DEP_2)
	v_subrev_nc_u32_e32 v18, 29, v86
	v_sub_nc_u32_e32 v86, 30, v86
	v_lshlrev_b64_e32 v[18:19], v18, v[4:5]
	v_bfe_u32 v19, v9, 2, 5
	v_lshlrev_b32_e32 v5, 24, v9
	s_delay_alu instid0(VALU_DEP_2) | instskip(NEXT) | instid1(VALU_DEP_2)
	v_cmp_eq_u32_e32 vcc_lo, 0, v19
	v_and_b32_e32 v5, 0x80000000, v5
	v_and_b32_e32 v18, 3, v18
	v_cndmask_b32_e32 v19, v19, v86, vcc_lo
	v_bfe_i32 v86, v9, 0, 8
	s_delay_alu instid0(VALU_DEP_3) | instskip(NEXT) | instid1(VALU_DEP_3)
	v_cndmask_b32_e32 v18, v17, v18, vcc_lo
	v_lshl_add_u32 v5, v19, 23, v5
	s_delay_alu instid0(VALU_DEP_3) | instskip(NEXT) | instid1(VALU_DEP_2)
	v_cmp_lt_i16_e32 vcc_lo, -1, v86
	v_lshl_or_b32 v5, v18, 21, v5
	v_cndmask_b32_e32 v19, 0xff800000, v48, vcc_lo
	v_and_b32_e32 v18, 0x7c, v9
	v_cmp_eq_u32_e32 vcc_lo, 0, v17
	s_delay_alu instid0(VALU_DEP_4) | instskip(NEXT) | instid1(VALU_DEP_4)
	v_add_nc_u32_e32 v5, 0x38000000, v5
	v_cndmask_b32_e32 v17, 0x7f800001, v19, vcc_lo
	s_delay_alu instid0(VALU_DEP_4) | instskip(NEXT) | instid1(VALU_DEP_2)
	v_cmp_eq_u32_e32 vcc_lo, 0x7c, v18
	v_cndmask_b32_e32 v17, v5, v17, vcc_lo
.LBB4_6260:                             ;   in Loop: Header=BB4_5618 Depth=4
	s_or_b32 exec_lo, exec_lo, s14
	s_delay_alu instid0(VALU_DEP_1) | instskip(SKIP_2) | instid1(VALU_DEP_2)
	v_dual_add_f32 v19, v16, v17 :: v_dual_mov_b32 v87, v3
	v_mov_b32_e32 v17, v3
                                        ; implicit-def: $vgpr18
	s_mov_b32 s14, exec_lo
	v_and_b32_e32 v86, 0x7f800000, v19
	v_and_b32_e32 v16, 0x7fffff, v19
	v_lshrrev_b32_e32 v5, 24, v19
	s_delay_alu instid0(VALU_DEP_3)
	v_cmpx_ne_u64_e32 0x7f800000, v[86:87]
	s_xor_b32 s76, exec_lo, s14
	s_cbranch_execz .LBB4_6274
; %bb.6261:                             ;   in Loop: Header=BB4_5618 Depth=4
	v_and_b32_e32 v86, 0x7fffffff, v19
	v_mov_b32_e32 v87, v3
	v_and_b32_e32 v5, 0x80, v5
                                        ; implicit-def: $vgpr18
	s_mov_b32 s14, exec_lo
	s_delay_alu instid0(VALU_DEP_2)
	v_cmpx_gt_u64_e32 0x47600001, v[86:87]
	s_xor_b32 s77, exec_lo, s14
	s_cbranch_execz .LBB4_6271
; %bb.6262:                             ;   in Loop: Header=BB4_5618 Depth=4
	v_mov_b32_e32 v18, 0
	s_mov_b32 s78, exec_lo
	v_cmpx_ne_u32_e32 0, v19
	s_cbranch_execz .LBB4_6270
; %bb.6263:                             ;   in Loop: Header=BB4_5618 Depth=4
	v_bfe_u32 v86, v19, 23, 8
	v_or_b32_e32 v96, 0x800000, v16
	s_delay_alu instid0(VALU_DEP_2) | instskip(SKIP_1) | instid1(VALU_DEP_2)
	v_sub_nc_u32_e32 v18, 0x71, v86
	v_cmp_gt_u32_e32 vcc_lo, 0x72, v86
	v_cndmask_b32_e32 v18, 0, v18, vcc_lo
	v_cmp_eq_u32_e32 vcc_lo, 0, v86
	s_delay_alu instid0(VALU_DEP_2) | instskip(NEXT) | instid1(VALU_DEP_1)
	v_cndmask_b32_e64 v87, v18, 0x70, vcc_lo
	v_dual_cndmask_b32 v16, v96, v16, vcc_lo :: v_dual_add_nc_u32 v18, 21, v87
	v_add_nc_u32_e32 v97, 20, v87
	s_delay_alu instid0(VALU_DEP_2) | instskip(NEXT) | instid1(VALU_DEP_2)
	v_lshlrev_b64_e64 v[18:19], v18, -1
	v_lshlrev_b64_e64 v[96:97], v97, 1
	s_delay_alu instid0(VALU_DEP_2) | instskip(SKIP_1) | instid1(VALU_DEP_4)
	v_bfi_b32 v18, v18, 0, v16
	v_lshrrev_b64 v[16:17], v87, v[16:17]
	v_bfi_b32 v19, v19, 0, 0
	s_delay_alu instid0(VALU_DEP_1) | instskip(NEXT) | instid1(VALU_DEP_3)
	v_cmp_eq_u64_e64 s14, v[18:19], v[96:97]
	v_mov_b64_e32 v[18:19], v[16:17]
	s_and_saveexec_b32 s79, s14
; %bb.6264:                             ;   in Loop: Header=BB4_5618 Depth=4
	v_bfe_u32 v18, v16, 21, 1
	v_mov_b32_e32 v19, v3
	s_delay_alu instid0(VALU_DEP_1) | instskip(NEXT) | instid1(VALU_DEP_1)
	v_add_nc_u64_e32 v[18:19], v[16:17], v[18:19]
	v_add_nc_u64_e32 v[18:19], -1, v[18:19]
; %bb.6265:                             ;   in Loop: Header=BB4_5618 Depth=4
	s_or_b32 exec_lo, exec_lo, s79
	v_add_nc_u32_e32 v17, 0xffffff81, v86
	v_lshrrev_b32_e32 v19, 23, v16
	s_mov_b32 s14, exec_lo
	s_delay_alu instid0(VALU_DEP_2) | instskip(NEXT) | instid1(VALU_DEP_1)
	v_cndmask_b32_e64 v17, v17, 0xffffff82, vcc_lo
	v_add3_u32 v19, v87, v17, v19
	v_and_b32_e32 v17, 0x1fffff, v18
                                        ; implicit-def: $vgpr18
	s_delay_alu instid0(VALU_DEP_1) | instskip(SKIP_1) | instid1(VALU_DEP_2)
	v_dual_add_nc_u32 v86, 14, v19 :: v_dual_add_nc_u32 v16, v17, v16
	v_mov_b32_e32 v17, v3
	v_cmpx_ne_u32_e32 0, v86
	s_xor_b32 s14, exec_lo, s14
; %bb.6266:                             ;   in Loop: Header=BB4_5618 Depth=4
	s_delay_alu instid0(VALU_DEP_2) | instskip(SKIP_2) | instid1(VALU_DEP_2)
	v_cmp_lt_u64_e32 vcc_lo, 0xffffff, v[16:17]
	v_add_nc_u32_e32 v18, 15, v19
	v_cndmask_b32_e64 v19, 0, 1, vcc_lo
	v_cndmask_b32_e32 v18, v86, v18, vcc_lo
	s_delay_alu instid0(VALU_DEP_2)
	v_lshrrev_b64 v[16:17], v19, v[16:17]
; %bb.6267:                             ;   in Loop: Header=BB4_5618 Depth=4
	s_and_not1_saveexec_b32 s14, s14
; %bb.6268:                             ;   in Loop: Header=BB4_5618 Depth=4
	s_delay_alu instid0(VALU_DEP_1)
	v_bfe_u32 v18, v16, 23, 1
; %bb.6269:                             ;   in Loop: Header=BB4_5618 Depth=4
	s_or_b32 exec_lo, exec_lo, s14
	s_delay_alu instid0(VALU_DEP_2) | instskip(NEXT) | instid1(VALU_DEP_2)
	v_lshrrev_b64 v[16:17], 21, v[16:17]
	v_cmp_gt_i32_e32 vcc_lo, 32, v18
	v_min_i32_e32 v19, 31, v18
	v_cmp_eq_u32_e64 s14, 0, v18
	s_delay_alu instid0(VALU_DEP_2) | instskip(SKIP_1) | instid1(VALU_DEP_2)
	v_dual_cndmask_b32 v17, 0, v17, vcc_lo :: v_dual_lshlrev_b32 v19, 2, v19
	v_cndmask_b32_e32 v16, 3, v16, vcc_lo
	v_and_b32_e32 v19, 0xfc, v19
	s_delay_alu instid0(VALU_DEP_2) | instskip(NEXT) | instid1(VALU_DEP_2)
	v_cmp_eq_u64_e32 vcc_lo, 0, v[16:17]
	v_and_or_b32 v16, v16, 3, v19
	s_and_b32 s14, s14, vcc_lo
	s_delay_alu instid0(VALU_DEP_1) | instid1(SALU_CYCLE_1)
	v_cndmask_b32_e64 v16, v16, 0, s14
	s_delay_alu instid0(VALU_DEP_1)
	v_or_b32_e32 v18, v16, v5
.LBB4_6270:                             ;   in Loop: Header=BB4_5618 Depth=4
	s_or_b32 exec_lo, exec_lo, s78
                                        ; implicit-def: $vgpr5
.LBB4_6271:                             ;   in Loop: Header=BB4_5618 Depth=4
	s_and_not1_saveexec_b32 s14, s77
; %bb.6272:                             ;   in Loop: Header=BB4_5618 Depth=4
	v_or_b32_e32 v18, 0x7b, v5
; %bb.6273:                             ;   in Loop: Header=BB4_5618 Depth=4
	s_or_b32 exec_lo, exec_lo, s14
                                        ; implicit-def: $vgpr19
                                        ; implicit-def: $vgpr16_vgpr17
                                        ; implicit-def: $vgpr5
.LBB4_6274:                             ;   in Loop: Header=BB4_5618 Depth=4
	s_and_not1_saveexec_b32 s14, s76
	s_cbranch_execz .LBB4_6280
; %bb.6275:                             ;   in Loop: Header=BB4_5618 Depth=4
	s_mov_b32 s76, exec_lo
                                        ; implicit-def: $vgpr18
	v_cmpx_ne_u64_e32 0, v[16:17]
	s_xor_b32 s76, exec_lo, s76
; %bb.6276:                             ;   in Loop: Header=BB4_5618 Depth=4
	v_or_b32_e32 v18, 0x7f, v5
                                        ; implicit-def: $vgpr19
; %bb.6277:                             ;   in Loop: Header=BB4_5618 Depth=4
	s_and_not1_saveexec_b32 s76, s76
; %bb.6278:                             ;   in Loop: Header=BB4_5618 Depth=4
	v_cmp_lt_i32_e32 vcc_lo, -1, v19
	v_cndmask_b32_e32 v18, 0xfc, v49, vcc_lo
; %bb.6279:                             ;   in Loop: Header=BB4_5618 Depth=4
	s_or_b32 exec_lo, exec_lo, s76
.LBB4_6280:                             ;   in Loop: Header=BB4_5618 Depth=4
	s_delay_alu instid0(SALU_CYCLE_1) | instskip(SKIP_3) | instid1(VALU_DEP_2)
	s_or_b32 exec_lo, exec_lo, s14
	v_lshrrev_b16 v16, 8, v47
	v_mov_b32_e32 v5, 0
	s_mov_b32 s14, exec_lo
	v_cmpx_ne_u16_e32 0, v16
	s_cbranch_execz .LBB4_6290
; %bb.6281:                             ;   in Loop: Header=BB4_5618 Depth=4
	v_bfrev_b32_e32 v5, 1
	s_mov_b32 s76, exec_lo
	v_cmpx_ne_u16_e32 0x80, v16
	s_cbranch_execz .LBB4_6289
; %bb.6282:                             ;   in Loop: Header=BB4_5618 Depth=4
	v_and_b32_e32 v19, 0xffff, v16
	s_delay_alu instid0(VALU_DEP_1) | instskip(SKIP_1) | instid1(VALU_DEP_2)
	v_and_b32_e32 v5, 0x7c, v19
	v_and_b32_e32 v17, 3, v19
	v_cmp_ne_u32_e32 vcc_lo, 0x7c, v5
                                        ; implicit-def: $vgpr5
	s_and_saveexec_b32 s77, vcc_lo
	s_delay_alu instid0(SALU_CYCLE_1)
	s_xor_b32 s77, exec_lo, s77
	s_cbranch_execz .LBB4_6286
; %bb.6283:                             ;   in Loop: Header=BB4_5618 Depth=4
	v_bfe_u32 v5, v19, 2, 5
	s_mov_b32 s78, exec_lo
	s_delay_alu instid0(VALU_DEP_1)
	v_cmpx_eq_u32_e32 0, v5
	s_cbranch_execz .LBB4_6285
; %bb.6284:                             ;   in Loop: Header=BB4_5618 Depth=4
	v_clz_i32_u32_e32 v5, v17
	s_delay_alu instid0(VALU_DEP_1) | instskip(SKIP_1) | instid1(VALU_DEP_2)
	v_min_u32_e32 v5, 32, v5
	v_mov_b32_e32 v17, v3
	v_subrev_nc_u32_e32 v19, 29, v5
	v_sub_nc_u32_e32 v5, 30, v5
	s_delay_alu instid0(VALU_DEP_2) | instskip(NEXT) | instid1(VALU_DEP_1)
	v_lshlrev_b64_e32 v[16:17], v19, v[16:17]
	v_and_b32_e32 v17, 3, v16
.LBB4_6285:                             ;   in Loop: Header=BB4_5618 Depth=4
	s_or_b32 exec_lo, exec_lo, s78
	v_lshlrev_b32_e32 v16, 16, v47
                                        ; implicit-def: $vgpr47
	s_delay_alu instid0(VALU_DEP_1) | instskip(NEXT) | instid1(VALU_DEP_1)
	v_and_b32_e32 v16, 0x80000000, v16
	v_lshl_add_u32 v5, v5, 23, v16
	s_delay_alu instid0(VALU_DEP_1) | instskip(NEXT) | instid1(VALU_DEP_1)
	v_lshl_or_b32 v5, v17, 21, v5
                                        ; implicit-def: $vgpr17
	v_add_nc_u32_e32 v5, 0x38000000, v5
.LBB4_6286:                             ;   in Loop: Header=BB4_5618 Depth=4
	s_and_not1_saveexec_b32 s77, s77
; %bb.6287:                             ;   in Loop: Header=BB4_5618 Depth=4
	v_cmp_lt_i16_e32 vcc_lo, -1, v47
	v_cndmask_b32_e32 v5, 0xff800000, v48, vcc_lo
	v_cmp_eq_u32_e32 vcc_lo, 0, v17
	s_delay_alu instid0(VALU_DEP_2)
	v_cndmask_b32_e32 v5, 0x7f800001, v5, vcc_lo
; %bb.6288:                             ;   in Loop: Header=BB4_5618 Depth=4
	s_or_b32 exec_lo, exec_lo, s77
.LBB4_6289:                             ;   in Loop: Header=BB4_5618 Depth=4
	s_delay_alu instid0(SALU_CYCLE_1)
	s_or_b32 exec_lo, exec_lo, s76
.LBB4_6290:                             ;   in Loop: Header=BB4_5618 Depth=4
	s_delay_alu instid0(SALU_CYCLE_1) | instskip(SKIP_3) | instid1(VALU_DEP_1)
	s_or_b32 exec_lo, exec_lo, s14
	v_lshrrev_b16 v16, 8, v4
	s_mov_b32 s76, 0
	s_mov_b32 s14, exec_lo
	v_cmpx_lt_i16_e32 0x7f, v16
	s_xor_b32 s14, exec_lo, s14
	s_cbranch_execz .LBB4_6665
; %bb.6291:                             ;   in Loop: Header=BB4_5618 Depth=4
	s_mov_b32 s76, -1
	s_mov_b32 s77, exec_lo
	v_cmpx_eq_u16_e32 0x80, v16
; %bb.6292:                             ;   in Loop: Header=BB4_5618 Depth=4
	s_xor_b32 s76, exec_lo, -1
; %bb.6293:                             ;   in Loop: Header=BB4_5618 Depth=4
	s_or_b32 exec_lo, exec_lo, s77
	s_delay_alu instid0(SALU_CYCLE_1)
	s_and_b32 s76, s76, exec_lo
	s_or_saveexec_b32 s14, s14
	v_bfrev_b32_e32 v17, 1
	s_xor_b32 exec_lo, exec_lo, s14
	s_cbranch_execnz .LBB4_6666
.LBB4_6294:                             ;   in Loop: Header=BB4_5618 Depth=4
	s_or_b32 exec_lo, exec_lo, s14
	s_and_saveexec_b32 s14, s76
	s_cbranch_execz .LBB4_6296
.LBB4_6295:                             ;   in Loop: Header=BB4_5618 Depth=4
	v_and_b32_e32 v19, 0xffff, v16
	s_delay_alu instid0(VALU_DEP_1) | instskip(NEXT) | instid1(VALU_DEP_1)
	v_and_b32_e32 v96, 3, v19
	v_clz_i32_u32_e32 v17, v96
	s_delay_alu instid0(VALU_DEP_1) | instskip(SKIP_1) | instid1(VALU_DEP_2)
	v_min_u32_e32 v97, 32, v17
	v_mov_b32_e32 v17, v3
	v_subrev_nc_u32_e32 v86, 29, v97
	s_delay_alu instid0(VALU_DEP_1) | instskip(SKIP_2) | instid1(VALU_DEP_2)
	v_lshlrev_b64_e32 v[86:87], v86, v[16:17]
	v_bfe_u32 v17, v19, 2, 5
	v_dual_lshlrev_b32 v16, 24, v16 :: v_dual_sub_nc_u32 v87, 30, v97
	v_cmp_eq_u32_e32 vcc_lo, 0, v17
	s_delay_alu instid0(VALU_DEP_2) | instskip(NEXT) | instid1(VALU_DEP_3)
	v_and_b32_e32 v16, 0x80000000, v16
	v_dual_cndmask_b32 v17, v17, v87, vcc_lo :: v_dual_bitop2_b32 v86, 3, v86 bitop3:0x40
	s_delay_alu instid0(VALU_DEP_1) | instskip(SKIP_1) | instid1(VALU_DEP_3)
	v_cndmask_b32_e32 v86, v96, v86, vcc_lo
	v_cmp_lt_i16_e32 vcc_lo, -1, v4
	v_lshl_add_u32 v16, v17, 23, v16
	v_and_b32_e32 v17, 0x7c, v19
	v_cndmask_b32_e32 v4, 0xff800000, v48, vcc_lo
	v_cmp_eq_u32_e32 vcc_lo, 0, v96
	s_delay_alu instid0(VALU_DEP_4) | instskip(NEXT) | instid1(VALU_DEP_3)
	v_lshl_or_b32 v16, v86, 21, v16
	v_cndmask_b32_e32 v4, 0x7f800001, v4, vcc_lo
	s_delay_alu instid0(VALU_DEP_2) | instskip(SKIP_1) | instid1(VALU_DEP_2)
	v_add_nc_u32_e32 v16, 0x38000000, v16
	v_cmp_eq_u32_e32 vcc_lo, 0x7c, v17
	v_cndmask_b32_e32 v17, v16, v4, vcc_lo
.LBB4_6296:                             ;   in Loop: Header=BB4_5618 Depth=4
	s_or_b32 exec_lo, exec_lo, s14
	s_delay_alu instid0(VALU_DEP_1) | instskip(SKIP_2) | instid1(VALU_DEP_2)
	v_dual_add_f32 v16, v5, v17 :: v_dual_mov_b32 v87, v3
	v_mov_b32_e32 v5, v3
                                        ; implicit-def: $vgpr19
	s_mov_b32 s14, exec_lo
	v_and_b32_e32 v86, 0x7f800000, v16
	v_and_b32_e32 v4, 0x7fffff, v16
	v_lshrrev_b32_e32 v17, 24, v16
	s_delay_alu instid0(VALU_DEP_3)
	v_cmpx_ne_u64_e32 0x7f800000, v[86:87]
	s_xor_b32 s76, exec_lo, s14
	s_cbranch_execz .LBB4_6310
; %bb.6297:                             ;   in Loop: Header=BB4_5618 Depth=4
	v_and_b32_e32 v86, 0x7fffffff, v16
	v_mov_b32_e32 v87, v3
	v_and_b32_e32 v47, 0x80, v17
                                        ; implicit-def: $vgpr19
	s_mov_b32 s14, exec_lo
	s_delay_alu instid0(VALU_DEP_2)
	v_cmpx_gt_u64_e32 0x47600001, v[86:87]
	s_xor_b32 s77, exec_lo, s14
	s_cbranch_execz .LBB4_6307
; %bb.6298:                             ;   in Loop: Header=BB4_5618 Depth=4
	v_mov_b32_e32 v19, 0
	s_mov_b32 s78, exec_lo
	v_cmpx_ne_u32_e32 0, v16
	s_cbranch_execz .LBB4_6306
; %bb.6299:                             ;   in Loop: Header=BB4_5618 Depth=4
	v_bfe_u32 v19, v16, 23, 8
	v_or_b32_e32 v87, 0x800000, v4
	s_delay_alu instid0(VALU_DEP_2) | instskip(SKIP_1) | instid1(VALU_DEP_2)
	v_sub_nc_u32_e32 v16, 0x71, v19
	v_cmp_gt_u32_e32 vcc_lo, 0x72, v19
	v_cndmask_b32_e32 v16, 0, v16, vcc_lo
	v_cmp_eq_u32_e32 vcc_lo, 0, v19
	s_delay_alu instid0(VALU_DEP_2) | instskip(NEXT) | instid1(VALU_DEP_1)
	v_cndmask_b32_e64 v86, v16, 0x70, vcc_lo
	v_dual_cndmask_b32 v4, v87, v4, vcc_lo :: v_dual_add_nc_u32 v16, 21, v86
	v_add_nc_u32_e32 v96, 20, v86
	s_delay_alu instid0(VALU_DEP_2) | instskip(NEXT) | instid1(VALU_DEP_2)
	v_lshlrev_b64_e64 v[16:17], v16, -1
	v_lshlrev_b64_e64 v[96:97], v96, 1
	s_delay_alu instid0(VALU_DEP_2) | instskip(SKIP_1) | instid1(VALU_DEP_4)
	v_bfi_b32 v16, v16, 0, v4
	v_lshrrev_b64 v[4:5], v86, v[4:5]
	v_bfi_b32 v17, v17, 0, 0
	s_delay_alu instid0(VALU_DEP_1) | instskip(NEXT) | instid1(VALU_DEP_3)
	v_cmp_eq_u64_e64 s14, v[16:17], v[96:97]
	v_mov_b64_e32 v[16:17], v[4:5]
	s_and_saveexec_b32 s79, s14
; %bb.6300:                             ;   in Loop: Header=BB4_5618 Depth=4
	v_bfe_u32 v16, v4, 21, 1
	v_mov_b32_e32 v17, v3
	s_delay_alu instid0(VALU_DEP_1) | instskip(NEXT) | instid1(VALU_DEP_1)
	v_add_nc_u64_e32 v[16:17], v[4:5], v[16:17]
	v_add_nc_u64_e32 v[16:17], -1, v[16:17]
; %bb.6301:                             ;   in Loop: Header=BB4_5618 Depth=4
	s_or_b32 exec_lo, exec_lo, s79
	v_add_nc_u32_e32 v5, 0xffffff81, v19
	v_lshrrev_b32_e32 v17, 23, v4
	s_mov_b32 s14, exec_lo
	s_delay_alu instid0(VALU_DEP_2) | instskip(NEXT) | instid1(VALU_DEP_1)
	v_cndmask_b32_e64 v5, v5, 0xffffff82, vcc_lo
	v_add3_u32 v17, v86, v5, v17
	v_and_b32_e32 v5, 0x1fffff, v16
                                        ; implicit-def: $vgpr16
	s_delay_alu instid0(VALU_DEP_1) | instskip(SKIP_1) | instid1(VALU_DEP_2)
	v_dual_add_nc_u32 v19, 14, v17 :: v_dual_add_nc_u32 v4, v5, v4
	v_mov_b32_e32 v5, v3
	v_cmpx_ne_u32_e32 0, v19
	s_xor_b32 s14, exec_lo, s14
; %bb.6302:                             ;   in Loop: Header=BB4_5618 Depth=4
	s_delay_alu instid0(VALU_DEP_2) | instskip(SKIP_2) | instid1(VALU_DEP_2)
	v_cmp_lt_u64_e32 vcc_lo, 0xffffff, v[4:5]
	v_add_nc_u32_e32 v16, 15, v17
	v_cndmask_b32_e64 v17, 0, 1, vcc_lo
	v_cndmask_b32_e32 v16, v19, v16, vcc_lo
	s_delay_alu instid0(VALU_DEP_2)
	v_lshrrev_b64 v[4:5], v17, v[4:5]
; %bb.6303:                             ;   in Loop: Header=BB4_5618 Depth=4
	s_and_not1_saveexec_b32 s14, s14
; %bb.6304:                             ;   in Loop: Header=BB4_5618 Depth=4
	s_delay_alu instid0(VALU_DEP_1)
	v_bfe_u32 v16, v4, 23, 1
; %bb.6305:                             ;   in Loop: Header=BB4_5618 Depth=4
	s_or_b32 exec_lo, exec_lo, s14
	s_delay_alu instid0(VALU_DEP_2) | instskip(NEXT) | instid1(VALU_DEP_2)
	v_lshrrev_b64 v[4:5], 21, v[4:5]
	v_cmp_gt_i32_e32 vcc_lo, 32, v16
	v_min_i32_e32 v17, 31, v16
	v_cmp_eq_u32_e64 s14, 0, v16
	s_delay_alu instid0(VALU_DEP_4) | instskip(NEXT) | instid1(VALU_DEP_3)
	v_cndmask_b32_e32 v5, 0, v5, vcc_lo
	v_dual_cndmask_b32 v4, 3, v4 :: v_dual_lshlrev_b32 v17, 2, v17
	s_delay_alu instid0(VALU_DEP_1) | instskip(NEXT) | instid1(VALU_DEP_2)
	v_and_b32_e32 v17, 0xfc, v17
	v_cmp_eq_u64_e32 vcc_lo, 0, v[4:5]
	s_delay_alu instid0(VALU_DEP_2)
	v_and_or_b32 v4, v4, 3, v17
	s_and_b32 s14, s14, vcc_lo
	s_delay_alu instid0(VALU_DEP_1) | instid1(SALU_CYCLE_1)
	v_cndmask_b32_e64 v4, v4, 0, s14
	s_delay_alu instid0(VALU_DEP_1)
	v_or_b32_e32 v19, v4, v47
.LBB4_6306:                             ;   in Loop: Header=BB4_5618 Depth=4
	s_or_b32 exec_lo, exec_lo, s78
                                        ; implicit-def: $vgpr47
.LBB4_6307:                             ;   in Loop: Header=BB4_5618 Depth=4
	s_and_not1_saveexec_b32 s14, s77
; %bb.6308:                             ;   in Loop: Header=BB4_5618 Depth=4
	v_or_b32_e32 v19, 0x7b, v47
; %bb.6309:                             ;   in Loop: Header=BB4_5618 Depth=4
	s_or_b32 exec_lo, exec_lo, s14
                                        ; implicit-def: $vgpr16
                                        ; implicit-def: $vgpr4_vgpr5
                                        ; implicit-def: $vgpr17
.LBB4_6310:                             ;   in Loop: Header=BB4_5618 Depth=4
	s_and_not1_saveexec_b32 s14, s76
	s_cbranch_execz .LBB4_6316
; %bb.6311:                             ;   in Loop: Header=BB4_5618 Depth=4
	s_mov_b32 s76, exec_lo
                                        ; implicit-def: $vgpr19
	v_cmpx_ne_u64_e32 0, v[4:5]
	s_xor_b32 s76, exec_lo, s76
; %bb.6312:                             ;   in Loop: Header=BB4_5618 Depth=4
	v_or_b32_e32 v19, 0x7f, v17
                                        ; implicit-def: $vgpr16
; %bb.6313:                             ;   in Loop: Header=BB4_5618 Depth=4
	s_and_not1_saveexec_b32 s76, s76
; %bb.6314:                             ;   in Loop: Header=BB4_5618 Depth=4
	v_cmp_lt_i32_e32 vcc_lo, -1, v16
	v_cndmask_b32_e32 v19, 0xfc, v49, vcc_lo
; %bb.6315:                             ;   in Loop: Header=BB4_5618 Depth=4
	s_or_b32 exec_lo, exec_lo, s76
.LBB4_6316:                             ;   in Loop: Header=BB4_5618 Depth=4
	s_delay_alu instid0(SALU_CYCLE_1) | instskip(SKIP_2) | instid1(VALU_DEP_1)
	s_or_b32 exec_lo, exec_lo, s14
	v_dual_mov_b32 v5, 0 :: v_dual_lshrrev_b32 v4, 16, v2
	s_mov_b32 s14, exec_lo
	v_and_b32_e32 v16, 0xff, v4
	s_delay_alu instid0(VALU_DEP_1)
	v_cmpx_ne_u16_e32 0, v16
	s_cbranch_execz .LBB4_6326
; %bb.6317:                             ;   in Loop: Header=BB4_5618 Depth=4
	v_bfrev_b32_e32 v5, 1
	s_mov_b32 s76, exec_lo
	v_cmpx_ne_u16_e32 0x80, v16
	s_cbranch_execz .LBB4_6325
; %bb.6318:                             ;   in Loop: Header=BB4_5618 Depth=4
	v_and_b32_e32 v5, 0x7c0000, v2
	v_bfe_u32 v16, v2, 16, 2
	s_delay_alu instid0(VALU_DEP_2) | instskip(SKIP_1) | instid1(SALU_CYCLE_1)
	v_cmp_ne_u32_e32 vcc_lo, 0x7c0000, v5
                                        ; implicit-def: $vgpr5
	s_and_saveexec_b32 s77, vcc_lo
	s_xor_b32 s77, exec_lo, s77
	s_cbranch_execz .LBB4_6322
; %bb.6319:                             ;   in Loop: Header=BB4_5618 Depth=4
	v_bfe_u32 v5, v2, 18, 5
	s_mov_b32 s78, exec_lo
	s_delay_alu instid0(VALU_DEP_1)
	v_cmpx_eq_u32_e32 0, v5
; %bb.6320:                             ;   in Loop: Header=BB4_5618 Depth=4
	v_clz_i32_u32_e32 v5, v16
	s_delay_alu instid0(VALU_DEP_1) | instskip(NEXT) | instid1(VALU_DEP_1)
	v_min_u32_e32 v5, 32, v5
	v_subrev_nc_u32_e32 v16, 29, v5
	s_delay_alu instid0(VALU_DEP_1) | instskip(NEXT) | instid1(VALU_DEP_1)
	v_lshlrev_b64_e32 v[16:17], v16, v[4:5]
	v_dual_sub_nc_u32 v5, 30, v5 :: v_dual_bitop2_b32 v16, 3, v16 bitop3:0x40
; %bb.6321:                             ;   in Loop: Header=BB4_5618 Depth=4
	s_or_b32 exec_lo, exec_lo, s78
	v_lshlrev_b32_e32 v4, 24, v4
	s_delay_alu instid0(VALU_DEP_1) | instskip(NEXT) | instid1(VALU_DEP_1)
	v_and_b32_e32 v4, 0x80000000, v4
	v_lshl_add_u32 v4, v5, 23, v4
	s_delay_alu instid0(VALU_DEP_1) | instskip(NEXT) | instid1(VALU_DEP_1)
	v_lshl_or_b32 v4, v16, 21, v4
                                        ; implicit-def: $vgpr16
	v_add_nc_u32_e32 v5, 0x38000000, v4
                                        ; implicit-def: $vgpr4
.LBB4_6322:                             ;   in Loop: Header=BB4_5618 Depth=4
	s_and_not1_saveexec_b32 s77, s77
; %bb.6323:                             ;   in Loop: Header=BB4_5618 Depth=4
	v_bfe_i32 v4, v4, 0, 8
	s_delay_alu instid0(VALU_DEP_1) | instskip(SKIP_2) | instid1(VALU_DEP_2)
	v_cmp_lt_i16_e32 vcc_lo, -1, v4
	v_cndmask_b32_e32 v4, 0xff800000, v48, vcc_lo
	v_cmp_eq_u32_e32 vcc_lo, 0, v16
	v_cndmask_b32_e32 v5, 0x7f800001, v4, vcc_lo
; %bb.6324:                             ;   in Loop: Header=BB4_5618 Depth=4
	s_or_b32 exec_lo, exec_lo, s77
.LBB4_6325:                             ;   in Loop: Header=BB4_5618 Depth=4
	s_delay_alu instid0(SALU_CYCLE_1)
	s_or_b32 exec_lo, exec_lo, s76
.LBB4_6326:                             ;   in Loop: Header=BB4_5618 Depth=4
	s_delay_alu instid0(SALU_CYCLE_1) | instskip(SKIP_3) | instid1(VALU_DEP_1)
	s_or_b32 exec_lo, exec_lo, s14
	v_lshrrev_b32_e32 v4, 16, v9
	s_mov_b32 s76, 0
	s_mov_b32 s14, exec_lo
	v_and_b32_e32 v17, 0xff, v4
	s_delay_alu instid0(VALU_DEP_1)
	v_cmpx_lt_i16_e32 0x7f, v17
	s_xor_b32 s14, exec_lo, s14
	s_cbranch_execz .LBB4_6667
; %bb.6327:                             ;   in Loop: Header=BB4_5618 Depth=4
	s_mov_b32 s76, -1
	s_mov_b32 s77, exec_lo
	v_cmpx_eq_u16_e32 0x80, v17
; %bb.6328:                             ;   in Loop: Header=BB4_5618 Depth=4
	s_xor_b32 s76, exec_lo, -1
; %bb.6329:                             ;   in Loop: Header=BB4_5618 Depth=4
	s_or_b32 exec_lo, exec_lo, s77
	s_delay_alu instid0(SALU_CYCLE_1)
	s_and_b32 s76, s76, exec_lo
                                        ; implicit-def: $vgpr17
	s_or_saveexec_b32 s14, s14
	v_bfrev_b32_e32 v16, 1
	s_xor_b32 exec_lo, exec_lo, s14
	s_cbranch_execnz .LBB4_6668
.LBB4_6330:                             ;   in Loop: Header=BB4_5618 Depth=4
	s_or_b32 exec_lo, exec_lo, s14
	s_and_saveexec_b32 s14, s76
	s_cbranch_execz .LBB4_6332
.LBB4_6331:                             ;   in Loop: Header=BB4_5618 Depth=4
	v_and_b32_e32 v86, 3, v4
	v_bfe_u32 v96, v9, 18, 5
	s_delay_alu instid0(VALU_DEP_2) | instskip(NEXT) | instid1(VALU_DEP_2)
	v_clz_i32_u32_e32 v16, v86
	v_cmp_eq_u32_e32 vcc_lo, 0, v96
	s_delay_alu instid0(VALU_DEP_2) | instskip(NEXT) | instid1(VALU_DEP_1)
	v_min_u32_e32 v87, 32, v16
	v_subrev_nc_u32_e32 v16, 29, v87
	s_delay_alu instid0(VALU_DEP_1) | instskip(SKIP_2) | instid1(VALU_DEP_2)
	v_lshlrev_b64_e32 v[16:17], v16, v[4:5]
	v_dual_lshlrev_b32 v17, 24, v4 :: v_dual_sub_nc_u32 v87, 30, v87
	v_bfe_i32 v4, v4, 0, 8
	v_and_b32_e32 v17, 0x80000000, v17
	s_delay_alu instid0(VALU_DEP_3) | instskip(NEXT) | instid1(VALU_DEP_1)
	v_dual_cndmask_b32 v87, v96, v87, vcc_lo :: v_dual_bitop2_b32 v16, 3, v16 bitop3:0x40
	v_cndmask_b32_e32 v16, v86, v16, vcc_lo
	s_delay_alu instid0(VALU_DEP_2) | instskip(SKIP_1) | instid1(VALU_DEP_2)
	v_lshl_add_u32 v17, v87, 23, v17
	v_cmp_lt_i16_e32 vcc_lo, -1, v4
	v_lshl_or_b32 v16, v16, 21, v17
	v_cndmask_b32_e32 v4, 0xff800000, v48, vcc_lo
	v_and_b32_e32 v17, 0x7c0000, v9
	v_cmp_eq_u32_e32 vcc_lo, 0, v86
	s_delay_alu instid0(VALU_DEP_4) | instskip(NEXT) | instid1(VALU_DEP_4)
	v_add_nc_u32_e32 v16, 0x38000000, v16
	v_cndmask_b32_e32 v4, 0x7f800001, v4, vcc_lo
	s_delay_alu instid0(VALU_DEP_4) | instskip(NEXT) | instid1(VALU_DEP_2)
	v_cmp_eq_u32_e32 vcc_lo, 0x7c0000, v17
	v_cndmask_b32_e32 v16, v16, v4, vcc_lo
.LBB4_6332:                             ;   in Loop: Header=BB4_5618 Depth=4
	s_or_b32 exec_lo, exec_lo, s14
	s_delay_alu instid0(VALU_DEP_1) | instskip(SKIP_2) | instid1(VALU_DEP_2)
	v_dual_add_f32 v16, v5, v16 :: v_dual_mov_b32 v87, v3
	v_mov_b32_e32 v5, v3
                                        ; implicit-def: $vgpr47
	s_mov_b32 s14, exec_lo
	v_and_b32_e32 v86, 0x7f800000, v16
	v_and_b32_e32 v4, 0x7fffff, v16
	v_lshrrev_b32_e32 v17, 24, v16
	s_delay_alu instid0(VALU_DEP_3)
	v_cmpx_ne_u64_e32 0x7f800000, v[86:87]
	s_xor_b32 s76, exec_lo, s14
	s_cbranch_execz .LBB4_6346
; %bb.6333:                             ;   in Loop: Header=BB4_5618 Depth=4
	v_and_b32_e32 v86, 0x7fffffff, v16
	v_mov_b32_e32 v87, v3
	v_and_b32_e32 v57, 0x80, v17
                                        ; implicit-def: $vgpr47
	s_mov_b32 s14, exec_lo
	s_delay_alu instid0(VALU_DEP_2)
	v_cmpx_gt_u64_e32 0x47600001, v[86:87]
	s_xor_b32 s77, exec_lo, s14
	s_cbranch_execz .LBB4_6343
; %bb.6334:                             ;   in Loop: Header=BB4_5618 Depth=4
	v_mov_b32_e32 v47, 0
	s_mov_b32 s78, exec_lo
	v_cmpx_ne_u32_e32 0, v16
	s_cbranch_execz .LBB4_6342
; %bb.6335:                             ;   in Loop: Header=BB4_5618 Depth=4
	v_bfe_u32 v86, v16, 23, 8
	v_or_b32_e32 v96, 0x800000, v4
	s_delay_alu instid0(VALU_DEP_2) | instskip(SKIP_1) | instid1(VALU_DEP_2)
	v_sub_nc_u32_e32 v16, 0x71, v86
	v_cmp_gt_u32_e32 vcc_lo, 0x72, v86
	v_cndmask_b32_e32 v16, 0, v16, vcc_lo
	v_cmp_eq_u32_e32 vcc_lo, 0, v86
	s_delay_alu instid0(VALU_DEP_2) | instskip(NEXT) | instid1(VALU_DEP_1)
	v_cndmask_b32_e64 v87, v16, 0x70, vcc_lo
	v_dual_cndmask_b32 v4, v96, v4, vcc_lo :: v_dual_add_nc_u32 v16, 21, v87
	v_add_nc_u32_e32 v97, 20, v87
	s_delay_alu instid0(VALU_DEP_2) | instskip(NEXT) | instid1(VALU_DEP_2)
	v_lshlrev_b64_e64 v[16:17], v16, -1
	v_lshlrev_b64_e64 v[96:97], v97, 1
	s_delay_alu instid0(VALU_DEP_2) | instskip(SKIP_1) | instid1(VALU_DEP_4)
	v_bfi_b32 v16, v16, 0, v4
	v_lshrrev_b64 v[4:5], v87, v[4:5]
	v_bfi_b32 v17, v17, 0, 0
	s_delay_alu instid0(VALU_DEP_1) | instskip(NEXT) | instid1(VALU_DEP_3)
	v_cmp_eq_u64_e64 s14, v[16:17], v[96:97]
	v_mov_b64_e32 v[16:17], v[4:5]
	s_and_saveexec_b32 s79, s14
; %bb.6336:                             ;   in Loop: Header=BB4_5618 Depth=4
	v_bfe_u32 v16, v4, 21, 1
	v_mov_b32_e32 v17, v3
	s_delay_alu instid0(VALU_DEP_1) | instskip(NEXT) | instid1(VALU_DEP_1)
	v_add_nc_u64_e32 v[16:17], v[4:5], v[16:17]
	v_add_nc_u64_e32 v[16:17], -1, v[16:17]
; %bb.6337:                             ;   in Loop: Header=BB4_5618 Depth=4
	s_or_b32 exec_lo, exec_lo, s79
	v_add_nc_u32_e32 v5, 0xffffff81, v86
	v_lshrrev_b32_e32 v17, 23, v4
	s_mov_b32 s14, exec_lo
	s_delay_alu instid0(VALU_DEP_2) | instskip(NEXT) | instid1(VALU_DEP_1)
	v_cndmask_b32_e64 v5, v5, 0xffffff82, vcc_lo
	v_add3_u32 v17, v87, v5, v17
	v_and_b32_e32 v5, 0x1fffff, v16
                                        ; implicit-def: $vgpr16
	s_delay_alu instid0(VALU_DEP_1) | instskip(SKIP_1) | instid1(VALU_DEP_2)
	v_dual_add_nc_u32 v86, 14, v17 :: v_dual_add_nc_u32 v4, v5, v4
	v_mov_b32_e32 v5, v3
	v_cmpx_ne_u32_e32 0, v86
	s_xor_b32 s14, exec_lo, s14
; %bb.6338:                             ;   in Loop: Header=BB4_5618 Depth=4
	s_delay_alu instid0(VALU_DEP_2) | instskip(SKIP_2) | instid1(VALU_DEP_2)
	v_cmp_lt_u64_e32 vcc_lo, 0xffffff, v[4:5]
	v_add_nc_u32_e32 v16, 15, v17
	v_cndmask_b32_e64 v17, 0, 1, vcc_lo
	v_cndmask_b32_e32 v16, v86, v16, vcc_lo
	s_delay_alu instid0(VALU_DEP_2)
	v_lshrrev_b64 v[4:5], v17, v[4:5]
; %bb.6339:                             ;   in Loop: Header=BB4_5618 Depth=4
	s_and_not1_saveexec_b32 s14, s14
; %bb.6340:                             ;   in Loop: Header=BB4_5618 Depth=4
	s_delay_alu instid0(VALU_DEP_1)
	v_bfe_u32 v16, v4, 23, 1
; %bb.6341:                             ;   in Loop: Header=BB4_5618 Depth=4
	s_or_b32 exec_lo, exec_lo, s14
	s_delay_alu instid0(VALU_DEP_2) | instskip(NEXT) | instid1(VALU_DEP_2)
	v_lshrrev_b64 v[4:5], 21, v[4:5]
	v_cmp_gt_i32_e32 vcc_lo, 32, v16
	v_min_i32_e32 v17, 31, v16
	v_cmp_eq_u32_e64 s14, 0, v16
	s_delay_alu instid0(VALU_DEP_4) | instskip(NEXT) | instid1(VALU_DEP_3)
	v_cndmask_b32_e32 v5, 0, v5, vcc_lo
	v_dual_cndmask_b32 v4, 3, v4 :: v_dual_lshlrev_b32 v17, 2, v17
	s_delay_alu instid0(VALU_DEP_1) | instskip(NEXT) | instid1(VALU_DEP_2)
	v_and_b32_e32 v17, 0xfc, v17
	v_cmp_eq_u64_e32 vcc_lo, 0, v[4:5]
	s_delay_alu instid0(VALU_DEP_2)
	v_and_or_b32 v4, v4, 3, v17
	s_and_b32 s14, s14, vcc_lo
	s_delay_alu instid0(VALU_DEP_1) | instid1(SALU_CYCLE_1)
	v_cndmask_b32_e64 v4, v4, 0, s14
	s_delay_alu instid0(VALU_DEP_1)
	v_or_b32_e32 v47, v4, v57
.LBB4_6342:                             ;   in Loop: Header=BB4_5618 Depth=4
	s_or_b32 exec_lo, exec_lo, s78
                                        ; implicit-def: $vgpr57
.LBB4_6343:                             ;   in Loop: Header=BB4_5618 Depth=4
	s_and_not1_saveexec_b32 s14, s77
; %bb.6344:                             ;   in Loop: Header=BB4_5618 Depth=4
	v_or_b32_e32 v47, 0x7b, v57
; %bb.6345:                             ;   in Loop: Header=BB4_5618 Depth=4
	s_or_b32 exec_lo, exec_lo, s14
                                        ; implicit-def: $vgpr16
                                        ; implicit-def: $vgpr4_vgpr5
                                        ; implicit-def: $vgpr17
.LBB4_6346:                             ;   in Loop: Header=BB4_5618 Depth=4
	s_and_not1_saveexec_b32 s14, s76
	s_cbranch_execz .LBB4_6352
; %bb.6347:                             ;   in Loop: Header=BB4_5618 Depth=4
	s_mov_b32 s76, exec_lo
                                        ; implicit-def: $vgpr47
	v_cmpx_ne_u64_e32 0, v[4:5]
	s_xor_b32 s76, exec_lo, s76
; %bb.6348:                             ;   in Loop: Header=BB4_5618 Depth=4
	v_or_b32_e32 v47, 0x7f, v17
                                        ; implicit-def: $vgpr16
; %bb.6349:                             ;   in Loop: Header=BB4_5618 Depth=4
	s_and_not1_saveexec_b32 s76, s76
; %bb.6350:                             ;   in Loop: Header=BB4_5618 Depth=4
	v_cmp_lt_i32_e32 vcc_lo, -1, v16
	v_cndmask_b32_e32 v47, 0xfc, v49, vcc_lo
; %bb.6351:                             ;   in Loop: Header=BB4_5618 Depth=4
	s_or_b32 exec_lo, exec_lo, s76
.LBB4_6352:                             ;   in Loop: Header=BB4_5618 Depth=4
	s_delay_alu instid0(SALU_CYCLE_1)
	s_or_b32 exec_lo, exec_lo, s14
	v_mov_b32_e32 v5, 0
	s_mov_b32 s14, exec_lo
	v_cmpx_lt_u32_e32 0xffffff, v2
	s_cbranch_execz .LBB4_6362
; %bb.6353:                             ;   in Loop: Header=BB4_5618 Depth=4
	v_lshrrev_b32_e32 v4, 24, v2
	v_bfrev_b32_e32 v5, 1
	s_mov_b32 s76, exec_lo
	s_delay_alu instid0(VALU_DEP_2)
	v_cmpx_ne_u32_e32 0x80, v4
	s_cbranch_execz .LBB4_6361
; %bb.6354:                             ;   in Loop: Header=BB4_5618 Depth=4
	v_and_b32_e32 v5, 0x7c000000, v2
	v_bfe_u32 v16, v2, 24, 2
	s_delay_alu instid0(VALU_DEP_2) | instskip(SKIP_1) | instid1(SALU_CYCLE_1)
	v_cmp_ne_u32_e32 vcc_lo, 0x7c000000, v5
                                        ; implicit-def: $vgpr5
	s_and_saveexec_b32 s77, vcc_lo
	s_xor_b32 s77, exec_lo, s77
	s_cbranch_execz .LBB4_6358
; %bb.6355:                             ;   in Loop: Header=BB4_5618 Depth=4
	v_bfe_u32 v5, v2, 26, 5
	s_mov_b32 s78, exec_lo
	s_delay_alu instid0(VALU_DEP_1)
	v_cmpx_eq_u32_e32 0, v5
; %bb.6356:                             ;   in Loop: Header=BB4_5618 Depth=4
	v_clz_i32_u32_e32 v5, v16
	s_delay_alu instid0(VALU_DEP_1) | instskip(NEXT) | instid1(VALU_DEP_1)
	v_min_u32_e32 v16, 32, v5
	v_subrev_nc_u32_e32 v5, 29, v16
	s_delay_alu instid0(VALU_DEP_1) | instskip(SKIP_1) | instid1(VALU_DEP_2)
	v_lshlrev_b64_e32 v[4:5], v5, v[4:5]
	v_sub_nc_u32_e32 v5, 30, v16
	v_and_b32_e32 v16, 3, v4
; %bb.6357:                             ;   in Loop: Header=BB4_5618 Depth=4
	s_or_b32 exec_lo, exec_lo, s78
	v_and_b32_e32 v2, 0x80000000, v2
	s_delay_alu instid0(VALU_DEP_1) | instskip(NEXT) | instid1(VALU_DEP_1)
	v_lshl_add_u32 v2, v5, 23, v2
	v_lshl_or_b32 v2, v16, 21, v2
                                        ; implicit-def: $vgpr16
	s_delay_alu instid0(VALU_DEP_1)
	v_add_nc_u32_e32 v5, 0x38000000, v2
.LBB4_6358:                             ;   in Loop: Header=BB4_5618 Depth=4
	s_and_not1_saveexec_b32 s77, s77
; %bb.6359:                             ;   in Loop: Header=BB4_5618 Depth=4
	v_cmp_lt_i32_e32 vcc_lo, -1, v2
	v_cndmask_b32_e32 v2, 0xff800000, v48, vcc_lo
	v_cmp_eq_u32_e32 vcc_lo, 0, v16
	s_delay_alu instid0(VALU_DEP_2)
	v_cndmask_b32_e32 v5, 0x7f800001, v2, vcc_lo
; %bb.6360:                             ;   in Loop: Header=BB4_5618 Depth=4
	s_or_b32 exec_lo, exec_lo, s77
.LBB4_6361:                             ;   in Loop: Header=BB4_5618 Depth=4
	s_delay_alu instid0(SALU_CYCLE_1)
	s_or_b32 exec_lo, exec_lo, s76
.LBB4_6362:                             ;   in Loop: Header=BB4_5618 Depth=4
	s_delay_alu instid0(SALU_CYCLE_1) | instskip(SKIP_3) | instid1(VALU_DEP_2)
	s_or_b32 exec_lo, exec_lo, s14
	v_bfe_u32 v4, v9, 24, 2
	v_bfe_u32 v87, v9, 26, 5
                                        ; implicit-def: $vgpr57
	s_mov_b32 s14, exec_lo
	v_clz_i32_u32_e32 v2, v4
	s_delay_alu instid0(VALU_DEP_2) | instskip(NEXT) | instid1(VALU_DEP_2)
	v_cmp_eq_u32_e32 vcc_lo, 0, v87
	v_min_u32_e32 v86, 32, v2
	v_lshrrev_b32_e32 v2, 24, v9
	s_delay_alu instid0(VALU_DEP_2) | instskip(NEXT) | instid1(VALU_DEP_1)
	v_subrev_nc_u32_e32 v16, 29, v86
	v_lshlrev_b64_e32 v[16:17], v16, v[2:3]
	v_sub_nc_u32_e32 v17, 30, v86
	v_and_b32_e32 v86, 0x80000000, v9
	s_delay_alu instid0(VALU_DEP_2) | instskip(NEXT) | instid1(VALU_DEP_1)
	v_dual_cndmask_b32 v17, v87, v17, vcc_lo :: v_dual_bitop2_b32 v16, 3, v16 bitop3:0x40
	v_lshl_add_u32 v17, v17, 23, v86
	s_delay_alu instid0(VALU_DEP_2) | instskip(SKIP_1) | instid1(VALU_DEP_2)
	v_cndmask_b32_e32 v16, v4, v16, vcc_lo
	v_cmp_lt_i64_e32 vcc_lo, -1, v[8:9]
	v_lshl_or_b32 v16, v16, 21, v17
	v_and_b32_e32 v17, 0x7c000000, v9
	v_cndmask_b32_e32 v86, 0xff800000, v48, vcc_lo
	v_cmp_eq_u32_e32 vcc_lo, 0, v4
	s_delay_alu instid0(VALU_DEP_4) | instskip(NEXT) | instid1(VALU_DEP_3)
	v_add_nc_u32_e32 v16, 0x38000000, v16
	v_cndmask_b32_e32 v4, 0x7f800001, v86, vcc_lo
	v_cmp_eq_u32_e32 vcc_lo, 0x7c000000, v17
	s_delay_alu instid0(VALU_DEP_2) | instskip(SKIP_1) | instid1(VALU_DEP_2)
	v_cndmask_b32_e32 v4, v16, v4, vcc_lo
	v_cmp_ne_u32_e32 vcc_lo, 0x80, v2
	v_cndmask_b32_e32 v2, 0x80000000, v4, vcc_lo
	v_cmp_lt_u64_e32 vcc_lo, s[22:23], v[8:9]
	s_delay_alu instid0(VALU_DEP_2) | instskip(NEXT) | instid1(VALU_DEP_1)
	v_dual_mov_b32 v9, v3 :: v_dual_cndmask_b32 v2, 0, v2
	v_add_f32_e32 v4, v2, v5
	s_delay_alu instid0(VALU_DEP_1) | instskip(SKIP_2) | instid1(VALU_DEP_3)
	v_and_b32_e32 v8, 0x7f800000, v4
	v_and_b32_e32 v2, 0x7fffff, v4
	v_lshrrev_b32_e32 v5, 24, v4
	v_cmpx_ne_u64_e32 0x7f800000, v[8:9]
	s_xor_b32 s76, exec_lo, s14
	s_cbranch_execz .LBB4_6376
; %bb.6363:                             ;   in Loop: Header=BB4_5618 Depth=4
	v_and_b32_e32 v8, 0x7fffffff, v4
	v_mov_b32_e32 v9, v3
	v_and_b32_e32 v16, 0x80, v5
                                        ; implicit-def: $vgpr57
	s_mov_b32 s14, exec_lo
	s_delay_alu instid0(VALU_DEP_2)
	v_cmpx_gt_u64_e32 0x47600001, v[8:9]
	s_xor_b32 s77, exec_lo, s14
	s_cbranch_execz .LBB4_6373
; %bb.6364:                             ;   in Loop: Header=BB4_5618 Depth=4
	v_mov_b32_e32 v57, 0
	s_mov_b32 s78, exec_lo
	v_cmpx_ne_u32_e32 0, v4
	s_cbranch_execz .LBB4_6372
; %bb.6365:                             ;   in Loop: Header=BB4_5618 Depth=4
	v_bfe_u32 v17, v4, 23, 8
	v_or_b32_e32 v8, 0x800000, v2
	s_mov_b32 s79, exec_lo
	s_delay_alu instid0(VALU_DEP_2) | instskip(SKIP_1) | instid1(VALU_DEP_2)
	v_dual_mov_b32 v9, v3 :: v_dual_sub_nc_u32 v4, 0x71, v17
	v_cmp_gt_u32_e32 vcc_lo, 0x72, v17
	v_cndmask_b32_e32 v4, 0, v4, vcc_lo
	v_cmp_eq_u32_e32 vcc_lo, 0, v17
	s_delay_alu instid0(VALU_DEP_2) | instskip(SKIP_1) | instid1(VALU_DEP_2)
	v_cndmask_b32_e64 v86, v4, 0x70, vcc_lo
	v_cndmask_b32_e32 v8, v8, v2, vcc_lo
	v_dual_add_nc_u32 v4, 21, v86 :: v_dual_add_nc_u32 v87, 20, v86
	s_delay_alu instid0(VALU_DEP_1) | instskip(NEXT) | instid1(VALU_DEP_2)
	v_lshlrev_b64_e64 v[4:5], v4, -1
	v_lshlrev_b64_e64 v[96:97], v87, 1
	s_delay_alu instid0(VALU_DEP_2) | instskip(NEXT) | instid1(VALU_DEP_3)
	v_bfi_b32 v59, v5, 0, 0
	v_bfi_b32 v58, v4, 0, v8
	v_lshrrev_b64 v[4:5], v86, v[8:9]
	s_delay_alu instid0(VALU_DEP_1) | instskip(NEXT) | instid1(VALU_DEP_3)
	v_mov_b64_e32 v[8:9], v[4:5]
	v_cmpx_eq_u64_e64 v[58:59], v[96:97]
; %bb.6366:                             ;   in Loop: Header=BB4_5618 Depth=4
	v_bfe_u32 v8, v4, 21, 1
	v_mov_b32_e32 v9, v3
	s_delay_alu instid0(VALU_DEP_1) | instskip(NEXT) | instid1(VALU_DEP_1)
	v_add_nc_u64_e32 v[8:9], v[4:5], v[8:9]
	v_add_nc_u64_e32 v[8:9], -1, v[8:9]
; %bb.6367:                             ;   in Loop: Header=BB4_5618 Depth=4
	s_or_b32 exec_lo, exec_lo, s79
	v_add_nc_u32_e32 v2, 0xffffff81, v17
	v_lshrrev_b32_e32 v5, 23, v4
	s_mov_b32 s14, exec_lo
	s_delay_alu instid0(VALU_DEP_2) | instskip(NEXT) | instid1(VALU_DEP_1)
	v_cndmask_b32_e64 v2, v2, 0xffffff82, vcc_lo
	v_add3_u32 v9, v86, v2, v5
	v_and_b32_e32 v2, 0x1fffff, v8
                                        ; implicit-def: $vgpr8
	s_delay_alu instid0(VALU_DEP_1) | instskip(NEXT) | instid1(VALU_DEP_1)
	v_dual_add_nc_u32 v17, 14, v9 :: v_dual_add_nc_u32 v2, v2, v4
                                        ; implicit-def: $vgpr4_vgpr5
	v_cmpx_ne_u32_e32 0, v17
	s_xor_b32 s14, exec_lo, s14
; %bb.6368:                             ;   in Loop: Header=BB4_5618 Depth=4
	s_delay_alu instid0(VALU_DEP_2) | instskip(SKIP_1) | instid1(VALU_DEP_1)
	v_cmp_lt_u64_e32 vcc_lo, 0xffffff, v[2:3]
	v_add_nc_u32_e32 v4, 15, v9
	v_cndmask_b32_e32 v8, v17, v4, vcc_lo
	v_cndmask_b32_e64 v4, 0, 1, vcc_lo
	s_delay_alu instid0(VALU_DEP_1)
	v_lshrrev_b64 v[4:5], v4, v[2:3]
; %bb.6369:                             ;   in Loop: Header=BB4_5618 Depth=4
	s_and_not1_saveexec_b32 s14, s14
; %bb.6370:                             ;   in Loop: Header=BB4_5618 Depth=4
	v_mov_b64_e32 v[4:5], v[2:3]
	v_bfe_u32 v8, v2, 23, 1
; %bb.6371:                             ;   in Loop: Header=BB4_5618 Depth=4
	s_or_b32 exec_lo, exec_lo, s14
	s_delay_alu instid0(VALU_DEP_2) | instskip(NEXT) | instid1(VALU_DEP_2)
	v_lshrrev_b64 v[4:5], 21, v[4:5]
	v_cmp_gt_i32_e32 vcc_lo, 32, v8
	v_min_i32_e32 v2, 31, v8
	v_cmp_eq_u32_e64 s14, 0, v8
	s_delay_alu instid0(VALU_DEP_2) | instskip(SKIP_1) | instid1(VALU_DEP_2)
	v_dual_cndmask_b32 v5, 0, v5 :: v_dual_lshlrev_b32 v2, 2, v2
	v_cndmask_b32_e32 v4, 3, v4, vcc_lo
	v_and_b32_e32 v2, 0xfc, v2
	s_delay_alu instid0(VALU_DEP_2) | instskip(NEXT) | instid1(VALU_DEP_2)
	v_cmp_eq_u64_e32 vcc_lo, 0, v[4:5]
	v_and_or_b32 v2, v4, 3, v2
	s_and_b32 s14, s14, vcc_lo
	s_delay_alu instid0(VALU_DEP_1) | instid1(SALU_CYCLE_1)
	v_cndmask_b32_e64 v2, v2, 0, s14
	s_delay_alu instid0(VALU_DEP_1)
	v_or_b32_e32 v57, v2, v16
.LBB4_6372:                             ;   in Loop: Header=BB4_5618 Depth=4
	s_or_b32 exec_lo, exec_lo, s78
                                        ; implicit-def: $vgpr16
.LBB4_6373:                             ;   in Loop: Header=BB4_5618 Depth=4
	s_and_not1_saveexec_b32 s14, s77
; %bb.6374:                             ;   in Loop: Header=BB4_5618 Depth=4
	v_or_b32_e32 v57, 0x7b, v16
; %bb.6375:                             ;   in Loop: Header=BB4_5618 Depth=4
	s_or_b32 exec_lo, exec_lo, s14
                                        ; implicit-def: $vgpr4
                                        ; implicit-def: $vgpr5
.LBB4_6376:                             ;   in Loop: Header=BB4_5618 Depth=4
	s_and_not1_saveexec_b32 s14, s76
	s_cbranch_execz .LBB4_6382
; %bb.6377:                             ;   in Loop: Header=BB4_5618 Depth=4
	s_mov_b32 s76, exec_lo
                                        ; implicit-def: $vgpr57
	v_cmpx_ne_u64_e32 0, v[2:3]
	s_xor_b32 s76, exec_lo, s76
; %bb.6378:                             ;   in Loop: Header=BB4_5618 Depth=4
	v_or_b32_e32 v57, 0x7f, v5
                                        ; implicit-def: $vgpr4
; %bb.6379:                             ;   in Loop: Header=BB4_5618 Depth=4
	s_and_not1_saveexec_b32 s76, s76
; %bb.6380:                             ;   in Loop: Header=BB4_5618 Depth=4
	v_cmp_lt_i32_e32 vcc_lo, -1, v4
	v_cndmask_b32_e32 v57, 0xfc, v49, vcc_lo
; %bb.6381:                             ;   in Loop: Header=BB4_5618 Depth=4
	s_or_b32 exec_lo, exec_lo, s76
.LBB4_6382:                             ;   in Loop: Header=BB4_5618 Depth=4
	s_delay_alu instid0(SALU_CYCLE_1) | instskip(SKIP_3) | instid1(VALU_DEP_1)
	s_or_b32 exec_lo, exec_lo, s14
	v_lshl_or_b32 v16, v115, 8, v67
	v_dual_lshlrev_b32 v2, 16, v46 :: v_dual_lshlrev_b32 v4, 24, v56
	s_mov_b32 s14, exec_lo
	v_or3_b32 v2, v2, v4, v16
	v_mov_b32_e32 v4, 0
	v_cmpx_ne_u32_e32 0, v67
	s_cbranch_execz .LBB4_6392
; %bb.6383:                             ;   in Loop: Header=BB4_5618 Depth=4
	v_bfrev_b32_e32 v4, 1
	s_mov_b32 s76, exec_lo
	v_cmpx_ne_u32_e32 0x80, v67
	s_cbranch_execz .LBB4_6391
; %bb.6384:                             ;   in Loop: Header=BB4_5618 Depth=4
	v_and_b32_e32 v4, 0x7c, v67
	v_and_b32_e32 v5, 3, v67
	s_delay_alu instid0(VALU_DEP_2) | instskip(SKIP_1) | instid1(SALU_CYCLE_1)
	v_cmp_ne_u32_e32 vcc_lo, 0x7c, v4
                                        ; implicit-def: $vgpr4
	s_and_saveexec_b32 s77, vcc_lo
	s_xor_b32 s77, exec_lo, s77
	s_cbranch_execz .LBB4_6388
; %bb.6385:                             ;   in Loop: Header=BB4_5618 Depth=4
	v_bfe_u32 v4, v67, 2, 5
	s_mov_b32 s78, exec_lo
	s_delay_alu instid0(VALU_DEP_1)
	v_cmpx_eq_u32_e32 0, v4
; %bb.6386:                             ;   in Loop: Header=BB4_5618 Depth=4
	v_clz_i32_u32_e32 v4, v5
	s_delay_alu instid0(VALU_DEP_1) | instskip(NEXT) | instid1(VALU_DEP_1)
	v_min_u32_e32 v4, 32, v4
	v_subrev_nc_u32_e32 v5, 29, v4
	v_sub_nc_u32_e32 v4, 30, v4
	s_delay_alu instid0(VALU_DEP_2) | instskip(NEXT) | instid1(VALU_DEP_1)
	v_lshlrev_b64_e32 v[8:9], v5, v[2:3]
	v_and_b32_e32 v5, 3, v8
; %bb.6387:                             ;   in Loop: Header=BB4_5618 Depth=4
	s_or_b32 exec_lo, exec_lo, s78
	v_lshlrev_b32_e32 v8, 24, v67
                                        ; implicit-def: $vgpr67
	s_delay_alu instid0(VALU_DEP_1) | instskip(NEXT) | instid1(VALU_DEP_1)
	v_and_b32_e32 v8, 0x80000000, v8
	v_lshl_add_u32 v4, v4, 23, v8
	s_delay_alu instid0(VALU_DEP_1) | instskip(NEXT) | instid1(VALU_DEP_1)
	v_lshl_or_b32 v4, v5, 21, v4
                                        ; implicit-def: $vgpr5
	v_add_nc_u32_e32 v4, 0x38000000, v4
.LBB4_6388:                             ;   in Loop: Header=BB4_5618 Depth=4
	s_and_not1_saveexec_b32 s77, s77
; %bb.6389:                             ;   in Loop: Header=BB4_5618 Depth=4
	v_and_b32_e32 v4, 0x80, v67
	s_delay_alu instid0(VALU_DEP_1) | instskip(SKIP_2) | instid1(VALU_DEP_2)
	v_cmp_eq_u32_e32 vcc_lo, 0, v4
	v_cndmask_b32_e32 v4, 0xff800000, v48, vcc_lo
	v_cmp_eq_u32_e32 vcc_lo, 0, v5
	v_cndmask_b32_e32 v4, 0x7f800001, v4, vcc_lo
; %bb.6390:                             ;   in Loop: Header=BB4_5618 Depth=4
	s_or_b32 exec_lo, exec_lo, s77
.LBB4_6391:                             ;   in Loop: Header=BB4_5618 Depth=4
	s_delay_alu instid0(SALU_CYCLE_1)
	s_or_b32 exec_lo, exec_lo, s76
.LBB4_6392:                             ;   in Loop: Header=BB4_5618 Depth=4
	s_delay_alu instid0(SALU_CYCLE_1) | instskip(SKIP_3) | instid1(VALU_DEP_1)
	s_or_b32 exec_lo, exec_lo, s14
	v_and_b32_e32 v8, 0xff, v10
	s_mov_b32 s76, 0
	s_mov_b32 s14, exec_lo
	v_cmpx_lt_i16_e32 0x7f, v8
	s_xor_b32 s14, exec_lo, s14
	s_cbranch_execz .LBB4_6669
; %bb.6393:                             ;   in Loop: Header=BB4_5618 Depth=4
	s_mov_b32 s76, -1
	s_mov_b32 s77, exec_lo
	v_cmpx_eq_u16_e32 0x80, v8
; %bb.6394:                             ;   in Loop: Header=BB4_5618 Depth=4
	s_xor_b32 s76, exec_lo, -1
; %bb.6395:                             ;   in Loop: Header=BB4_5618 Depth=4
	s_or_b32 exec_lo, exec_lo, s77
	s_delay_alu instid0(SALU_CYCLE_1)
	s_and_b32 s76, s76, exec_lo
                                        ; implicit-def: $vgpr8
	s_or_saveexec_b32 s14, s14
	v_bfrev_b32_e32 v5, 1
	s_xor_b32 exec_lo, exec_lo, s14
	s_cbranch_execnz .LBB4_6670
.LBB4_6396:                             ;   in Loop: Header=BB4_5618 Depth=4
	s_or_b32 exec_lo, exec_lo, s14
	s_and_saveexec_b32 s14, s76
	s_cbranch_execz .LBB4_6398
.LBB4_6397:                             ;   in Loop: Header=BB4_5618 Depth=4
	v_and_b32_e32 v5, 3, v10
	v_bfe_u32 v67, v10, 2, 5
	s_delay_alu instid0(VALU_DEP_2) | instskip(NEXT) | instid1(VALU_DEP_2)
	v_clz_i32_u32_e32 v8, v5
	v_cmp_eq_u32_e32 vcc_lo, 0, v67
	s_delay_alu instid0(VALU_DEP_2) | instskip(NEXT) | instid1(VALU_DEP_1)
	v_min_u32_e32 v17, 32, v8
	v_subrev_nc_u32_e32 v8, 29, v17
	s_delay_alu instid0(VALU_DEP_1) | instskip(SKIP_1) | instid1(VALU_DEP_1)
	v_lshlrev_b64_e32 v[8:9], v8, v[10:11]
	v_dual_lshlrev_b32 v9, 24, v10 :: v_dual_sub_nc_u32 v17, 30, v17
	v_and_b32_e32 v9, 0x80000000, v9
	s_delay_alu instid0(VALU_DEP_2) | instskip(SKIP_1) | instid1(VALU_DEP_2)
	v_dual_cndmask_b32 v17, v67, v17, vcc_lo :: v_dual_bitop2_b32 v8, 3, v8 bitop3:0x40
	v_bfe_i32 v67, v10, 0, 8
	v_cndmask_b32_e32 v8, v5, v8, vcc_lo
	s_delay_alu instid0(VALU_DEP_3) | instskip(NEXT) | instid1(VALU_DEP_3)
	v_lshl_add_u32 v9, v17, 23, v9
	v_cmp_lt_i16_e32 vcc_lo, -1, v67
	s_delay_alu instid0(VALU_DEP_2) | instskip(SKIP_3) | instid1(VALU_DEP_4)
	v_lshl_or_b32 v8, v8, 21, v9
	v_cndmask_b32_e32 v17, 0xff800000, v48, vcc_lo
	v_and_b32_e32 v9, 0x7c, v10
	v_cmp_eq_u32_e32 vcc_lo, 0, v5
	v_add_nc_u32_e32 v8, 0x38000000, v8
	s_delay_alu instid0(VALU_DEP_4) | instskip(NEXT) | instid1(VALU_DEP_4)
	v_cndmask_b32_e32 v5, 0x7f800001, v17, vcc_lo
	v_cmp_eq_u32_e32 vcc_lo, 0x7c, v9
	s_delay_alu instid0(VALU_DEP_2)
	v_cndmask_b32_e32 v5, v8, v5, vcc_lo
.LBB4_6398:                             ;   in Loop: Header=BB4_5618 Depth=4
	s_or_b32 exec_lo, exec_lo, s14
	s_delay_alu instid0(VALU_DEP_1) | instskip(SKIP_2) | instid1(VALU_DEP_2)
	v_dual_add_f32 v8, v4, v5 :: v_dual_mov_b32 v87, v3
	v_mov_b32_e32 v5, v3
                                        ; implicit-def: $vgpr67
	s_mov_b32 s14, exec_lo
	v_and_b32_e32 v86, 0x7f800000, v8
	v_and_b32_e32 v4, 0x7fffff, v8
	v_lshrrev_b32_e32 v9, 24, v8
	s_delay_alu instid0(VALU_DEP_3)
	v_cmpx_ne_u64_e32 0x7f800000, v[86:87]
	s_xor_b32 s76, exec_lo, s14
	s_cbranch_execz .LBB4_6412
; %bb.6399:                             ;   in Loop: Header=BB4_5618 Depth=4
	v_and_b32_e32 v86, 0x7fffffff, v8
	v_mov_b32_e32 v87, v3
	v_and_b32_e32 v17, 0x80, v9
                                        ; implicit-def: $vgpr67
	s_mov_b32 s14, exec_lo
	s_delay_alu instid0(VALU_DEP_2)
	v_cmpx_gt_u64_e32 0x47600001, v[86:87]
	s_xor_b32 s77, exec_lo, s14
	s_cbranch_execz .LBB4_6409
; %bb.6400:                             ;   in Loop: Header=BB4_5618 Depth=4
	v_mov_b32_e32 v67, 0
	s_mov_b32 s78, exec_lo
	v_cmpx_ne_u32_e32 0, v8
	s_cbranch_execz .LBB4_6408
; %bb.6401:                             ;   in Loop: Header=BB4_5618 Depth=4
	v_bfe_u32 v67, v8, 23, 8
	v_or_b32_e32 v87, 0x800000, v4
	s_delay_alu instid0(VALU_DEP_2) | instskip(SKIP_1) | instid1(VALU_DEP_2)
	v_sub_nc_u32_e32 v8, 0x71, v67
	v_cmp_gt_u32_e32 vcc_lo, 0x72, v67
	v_cndmask_b32_e32 v8, 0, v8, vcc_lo
	v_cmp_eq_u32_e32 vcc_lo, 0, v67
	s_delay_alu instid0(VALU_DEP_2) | instskip(NEXT) | instid1(VALU_DEP_1)
	v_cndmask_b32_e64 v86, v8, 0x70, vcc_lo
	v_dual_cndmask_b32 v4, v87, v4, vcc_lo :: v_dual_add_nc_u32 v8, 21, v86
	v_add_nc_u32_e32 v96, 20, v86
	s_delay_alu instid0(VALU_DEP_2) | instskip(NEXT) | instid1(VALU_DEP_2)
	v_lshlrev_b64_e64 v[8:9], v8, -1
	v_lshlrev_b64_e64 v[96:97], v96, 1
	s_delay_alu instid0(VALU_DEP_2) | instskip(SKIP_1) | instid1(VALU_DEP_4)
	v_bfi_b32 v8, v8, 0, v4
	v_lshrrev_b64 v[4:5], v86, v[4:5]
	v_bfi_b32 v9, v9, 0, 0
	s_delay_alu instid0(VALU_DEP_1) | instskip(NEXT) | instid1(VALU_DEP_3)
	v_cmp_eq_u64_e64 s14, v[8:9], v[96:97]
	v_mov_b64_e32 v[8:9], v[4:5]
	s_and_saveexec_b32 s79, s14
; %bb.6402:                             ;   in Loop: Header=BB4_5618 Depth=4
	v_bfe_u32 v8, v4, 21, 1
	v_mov_b32_e32 v9, v3
	s_delay_alu instid0(VALU_DEP_1) | instskip(NEXT) | instid1(VALU_DEP_1)
	v_add_nc_u64_e32 v[8:9], v[4:5], v[8:9]
	v_add_nc_u64_e32 v[8:9], -1, v[8:9]
; %bb.6403:                             ;   in Loop: Header=BB4_5618 Depth=4
	s_or_b32 exec_lo, exec_lo, s79
	v_add_nc_u32_e32 v5, 0xffffff81, v67
	v_lshrrev_b32_e32 v9, 23, v4
	s_mov_b32 s14, exec_lo
	s_delay_alu instid0(VALU_DEP_2) | instskip(NEXT) | instid1(VALU_DEP_1)
	v_cndmask_b32_e64 v5, v5, 0xffffff82, vcc_lo
	v_add3_u32 v9, v86, v5, v9
	v_and_b32_e32 v5, 0x1fffff, v8
                                        ; implicit-def: $vgpr8
	s_delay_alu instid0(VALU_DEP_1) | instskip(SKIP_1) | instid1(VALU_DEP_2)
	v_dual_add_nc_u32 v67, 14, v9 :: v_dual_add_nc_u32 v4, v5, v4
	v_mov_b32_e32 v5, v3
	v_cmpx_ne_u32_e32 0, v67
	s_xor_b32 s14, exec_lo, s14
; %bb.6404:                             ;   in Loop: Header=BB4_5618 Depth=4
	s_delay_alu instid0(VALU_DEP_2) | instskip(SKIP_2) | instid1(VALU_DEP_2)
	v_cmp_lt_u64_e32 vcc_lo, 0xffffff, v[4:5]
	v_add_nc_u32_e32 v8, 15, v9
	v_cndmask_b32_e64 v9, 0, 1, vcc_lo
	v_cndmask_b32_e32 v8, v67, v8, vcc_lo
	s_delay_alu instid0(VALU_DEP_2)
	v_lshrrev_b64 v[4:5], v9, v[4:5]
; %bb.6405:                             ;   in Loop: Header=BB4_5618 Depth=4
	s_and_not1_saveexec_b32 s14, s14
; %bb.6406:                             ;   in Loop: Header=BB4_5618 Depth=4
	s_delay_alu instid0(VALU_DEP_1)
	v_bfe_u32 v8, v4, 23, 1
; %bb.6407:                             ;   in Loop: Header=BB4_5618 Depth=4
	s_or_b32 exec_lo, exec_lo, s14
	s_delay_alu instid0(VALU_DEP_2) | instskip(NEXT) | instid1(VALU_DEP_2)
	v_lshrrev_b64 v[4:5], 21, v[4:5]
	v_cmp_gt_i32_e32 vcc_lo, 32, v8
	v_min_i32_e32 v9, 31, v8
	v_cmp_eq_u32_e64 s14, 0, v8
	s_delay_alu instid0(VALU_DEP_4) | instskip(NEXT) | instid1(VALU_DEP_3)
	v_cndmask_b32_e32 v5, 0, v5, vcc_lo
	v_dual_cndmask_b32 v4, 3, v4 :: v_dual_lshlrev_b32 v9, 2, v9
	s_delay_alu instid0(VALU_DEP_1) | instskip(NEXT) | instid1(VALU_DEP_2)
	v_and_b32_e32 v9, 0xfc, v9
	v_cmp_eq_u64_e32 vcc_lo, 0, v[4:5]
	s_delay_alu instid0(VALU_DEP_2)
	v_and_or_b32 v4, v4, 3, v9
	s_and_b32 s14, s14, vcc_lo
	s_delay_alu instid0(VALU_DEP_1) | instid1(SALU_CYCLE_1)
	v_cndmask_b32_e64 v4, v4, 0, s14
	s_delay_alu instid0(VALU_DEP_1)
	v_or_b32_e32 v67, v4, v17
.LBB4_6408:                             ;   in Loop: Header=BB4_5618 Depth=4
	s_or_b32 exec_lo, exec_lo, s78
                                        ; implicit-def: $vgpr17
.LBB4_6409:                             ;   in Loop: Header=BB4_5618 Depth=4
	s_and_not1_saveexec_b32 s14, s77
; %bb.6410:                             ;   in Loop: Header=BB4_5618 Depth=4
	v_or_b32_e32 v67, 0x7b, v17
; %bb.6411:                             ;   in Loop: Header=BB4_5618 Depth=4
	s_or_b32 exec_lo, exec_lo, s14
                                        ; implicit-def: $vgpr8
                                        ; implicit-def: $vgpr4_vgpr5
                                        ; implicit-def: $vgpr9
.LBB4_6412:                             ;   in Loop: Header=BB4_5618 Depth=4
	s_and_not1_saveexec_b32 s14, s76
	s_cbranch_execz .LBB4_6418
; %bb.6413:                             ;   in Loop: Header=BB4_5618 Depth=4
	s_mov_b32 s76, exec_lo
                                        ; implicit-def: $vgpr67
	v_cmpx_ne_u64_e32 0, v[4:5]
	s_xor_b32 s76, exec_lo, s76
; %bb.6414:                             ;   in Loop: Header=BB4_5618 Depth=4
	v_or_b32_e32 v67, 0x7f, v9
                                        ; implicit-def: $vgpr8
; %bb.6415:                             ;   in Loop: Header=BB4_5618 Depth=4
	s_and_not1_saveexec_b32 s76, s76
; %bb.6416:                             ;   in Loop: Header=BB4_5618 Depth=4
	v_cmp_lt_i32_e32 vcc_lo, -1, v8
	v_cndmask_b32_e32 v67, 0xfc, v49, vcc_lo
; %bb.6417:                             ;   in Loop: Header=BB4_5618 Depth=4
	s_or_b32 exec_lo, exec_lo, s76
.LBB4_6418:                             ;   in Loop: Header=BB4_5618 Depth=4
	s_delay_alu instid0(SALU_CYCLE_1) | instskip(SKIP_3) | instid1(VALU_DEP_2)
	s_or_b32 exec_lo, exec_lo, s14
	v_lshrrev_b16 v4, 8, v16
	v_mov_b32_e32 v8, 0
	s_mov_b32 s14, exec_lo
	v_cmpx_ne_u16_e32 0, v4
	s_cbranch_execz .LBB4_6428
; %bb.6419:                             ;   in Loop: Header=BB4_5618 Depth=4
	v_bfrev_b32_e32 v8, 1
	s_mov_b32 s76, exec_lo
	v_cmpx_ne_u16_e32 0x80, v4
	s_cbranch_execz .LBB4_6427
; %bb.6420:                             ;   in Loop: Header=BB4_5618 Depth=4
	v_and_b32_e32 v9, 0xffff, v4
	s_delay_alu instid0(VALU_DEP_1) | instskip(SKIP_1) | instid1(VALU_DEP_2)
	v_and_b32_e32 v8, 0x7c, v9
	v_and_b32_e32 v5, 3, v9
	v_cmp_ne_u32_e32 vcc_lo, 0x7c, v8
                                        ; implicit-def: $vgpr8
	s_and_saveexec_b32 s77, vcc_lo
	s_delay_alu instid0(SALU_CYCLE_1)
	s_xor_b32 s77, exec_lo, s77
	s_cbranch_execz .LBB4_6424
; %bb.6421:                             ;   in Loop: Header=BB4_5618 Depth=4
	v_bfe_u32 v8, v9, 2, 5
	s_mov_b32 s78, exec_lo
	s_delay_alu instid0(VALU_DEP_1)
	v_cmpx_eq_u32_e32 0, v8
	s_cbranch_execz .LBB4_6423
; %bb.6422:                             ;   in Loop: Header=BB4_5618 Depth=4
	v_clz_i32_u32_e32 v5, v5
	s_delay_alu instid0(VALU_DEP_1) | instskip(SKIP_1) | instid1(VALU_DEP_2)
	v_min_u32_e32 v8, 32, v5
	v_mov_b32_e32 v5, v3
	v_subrev_nc_u32_e32 v9, 29, v8
	v_sub_nc_u32_e32 v8, 30, v8
	s_delay_alu instid0(VALU_DEP_2) | instskip(NEXT) | instid1(VALU_DEP_1)
	v_lshlrev_b64_e32 v[4:5], v9, v[4:5]
	v_and_b32_e32 v5, 3, v4
.LBB4_6423:                             ;   in Loop: Header=BB4_5618 Depth=4
	s_or_b32 exec_lo, exec_lo, s78
	v_lshlrev_b32_e32 v4, 16, v16
                                        ; implicit-def: $vgpr16
	s_delay_alu instid0(VALU_DEP_1) | instskip(NEXT) | instid1(VALU_DEP_1)
	v_and_b32_e32 v4, 0x80000000, v4
	v_lshl_add_u32 v4, v8, 23, v4
	s_delay_alu instid0(VALU_DEP_1) | instskip(NEXT) | instid1(VALU_DEP_1)
	v_lshl_or_b32 v4, v5, 21, v4
                                        ; implicit-def: $vgpr5
	v_add_nc_u32_e32 v8, 0x38000000, v4
.LBB4_6424:                             ;   in Loop: Header=BB4_5618 Depth=4
	s_and_not1_saveexec_b32 s77, s77
; %bb.6425:                             ;   in Loop: Header=BB4_5618 Depth=4
	v_cmp_lt_i16_e32 vcc_lo, -1, v16
	v_cndmask_b32_e32 v4, 0xff800000, v48, vcc_lo
	v_cmp_eq_u32_e32 vcc_lo, 0, v5
	s_delay_alu instid0(VALU_DEP_2)
	v_cndmask_b32_e32 v8, 0x7f800001, v4, vcc_lo
; %bb.6426:                             ;   in Loop: Header=BB4_5618 Depth=4
	s_or_b32 exec_lo, exec_lo, s77
.LBB4_6427:                             ;   in Loop: Header=BB4_5618 Depth=4
	s_delay_alu instid0(SALU_CYCLE_1)
	s_or_b32 exec_lo, exec_lo, s76
.LBB4_6428:                             ;   in Loop: Header=BB4_5618 Depth=4
	s_delay_alu instid0(SALU_CYCLE_1) | instskip(SKIP_3) | instid1(VALU_DEP_1)
	s_or_b32 exec_lo, exec_lo, s14
	v_lshrrev_b16 v4, 8, v10
	s_mov_b32 s76, 0
	s_mov_b32 s14, exec_lo
	v_cmpx_lt_i16_e32 0x7f, v4
	s_xor_b32 s14, exec_lo, s14
	s_cbranch_execz .LBB4_6671
; %bb.6429:                             ;   in Loop: Header=BB4_5618 Depth=4
	s_mov_b32 s76, -1
	s_mov_b32 s77, exec_lo
	v_cmpx_eq_u16_e32 0x80, v4
; %bb.6430:                             ;   in Loop: Header=BB4_5618 Depth=4
	s_xor_b32 s76, exec_lo, -1
; %bb.6431:                             ;   in Loop: Header=BB4_5618 Depth=4
	s_or_b32 exec_lo, exec_lo, s77
	s_delay_alu instid0(SALU_CYCLE_1)
	s_and_b32 s76, s76, exec_lo
	s_or_saveexec_b32 s14, s14
	v_bfrev_b32_e32 v5, 1
	s_xor_b32 exec_lo, exec_lo, s14
	s_cbranch_execnz .LBB4_6672
.LBB4_6432:                             ;   in Loop: Header=BB4_5618 Depth=4
	s_or_b32 exec_lo, exec_lo, s14
	s_and_saveexec_b32 s14, s76
	s_cbranch_execz .LBB4_6434
.LBB4_6433:                             ;   in Loop: Header=BB4_5618 Depth=4
	v_and_b32_e32 v9, 0xffff, v4
	s_delay_alu instid0(VALU_DEP_1) | instskip(NEXT) | instid1(VALU_DEP_1)
	v_and_b32_e32 v86, 3, v9
	v_clz_i32_u32_e32 v5, v86
	s_delay_alu instid0(VALU_DEP_1) | instskip(SKIP_1) | instid1(VALU_DEP_2)
	v_min_u32_e32 v87, 32, v5
	v_mov_b32_e32 v5, v3
	v_subrev_nc_u32_e32 v16, 29, v87
	s_delay_alu instid0(VALU_DEP_1) | instskip(SKIP_3) | instid1(VALU_DEP_3)
	v_lshlrev_b64_e32 v[16:17], v16, v[4:5]
	v_bfe_u32 v5, v9, 2, 5
	v_dual_lshlrev_b32 v4, 24, v4 :: v_dual_sub_nc_u32 v17, 30, v87
	v_and_b32_e32 v9, 0x7c, v9
	v_cmp_eq_u32_e32 vcc_lo, 0, v5
	s_delay_alu instid0(VALU_DEP_3) | instskip(NEXT) | instid1(VALU_DEP_4)
	v_and_b32_e32 v4, 0x80000000, v4
	v_dual_cndmask_b32 v5, v5, v17, vcc_lo :: v_dual_bitop2_b32 v16, 3, v16 bitop3:0x40
	s_delay_alu instid0(VALU_DEP_1) | instskip(SKIP_1) | instid1(VALU_DEP_3)
	v_cndmask_b32_e32 v16, v86, v16, vcc_lo
	v_cmp_lt_i16_e32 vcc_lo, -1, v10
	v_lshl_add_u32 v4, v5, 23, v4
	v_cndmask_b32_e32 v5, 0xff800000, v48, vcc_lo
	v_cmp_eq_u32_e32 vcc_lo, 0, v86
	s_delay_alu instid0(VALU_DEP_3) | instskip(NEXT) | instid1(VALU_DEP_3)
	v_lshl_or_b32 v4, v16, 21, v4
	v_cndmask_b32_e32 v5, 0x7f800001, v5, vcc_lo
	s_delay_alu instid0(VALU_DEP_2) | instskip(SKIP_1) | instid1(VALU_DEP_2)
	v_add_nc_u32_e32 v4, 0x38000000, v4
	v_cmp_eq_u32_e32 vcc_lo, 0x7c, v9
	v_cndmask_b32_e32 v5, v4, v5, vcc_lo
.LBB4_6434:                             ;   in Loop: Header=BB4_5618 Depth=4
	s_or_b32 exec_lo, exec_lo, s14
	s_delay_alu instid0(VALU_DEP_1) | instskip(SKIP_2) | instid1(VALU_DEP_2)
	v_dual_add_f32 v8, v8, v5 :: v_dual_mov_b32 v17, v3
	v_mov_b32_e32 v5, v3
                                        ; implicit-def: $vgpr115
	s_mov_b32 s14, exec_lo
	v_and_b32_e32 v16, 0x7f800000, v8
	v_and_b32_e32 v4, 0x7fffff, v8
	v_lshrrev_b32_e32 v9, 24, v8
	s_delay_alu instid0(VALU_DEP_3)
	v_cmpx_ne_u64_e32 0x7f800000, v[16:17]
	s_xor_b32 s76, exec_lo, s14
	s_cbranch_execz .LBB4_6448
; %bb.6435:                             ;   in Loop: Header=BB4_5618 Depth=4
	v_and_b32_e32 v16, 0x7fffffff, v8
	v_mov_b32_e32 v17, v3
                                        ; implicit-def: $vgpr115
	s_delay_alu instid0(VALU_DEP_1) | instskip(SKIP_2) | instid1(SALU_CYCLE_1)
	v_cmp_gt_u64_e32 vcc_lo, 0x47600001, v[16:17]
	v_and_b32_e32 v16, 0x80, v9
	s_and_saveexec_b32 s14, vcc_lo
	s_xor_b32 s77, exec_lo, s14
	s_cbranch_execz .LBB4_6445
; %bb.6436:                             ;   in Loop: Header=BB4_5618 Depth=4
	v_mov_b32_e32 v115, 0
	s_mov_b32 s78, exec_lo
	v_cmpx_ne_u32_e32 0, v8
	s_cbranch_execz .LBB4_6444
; %bb.6437:                             ;   in Loop: Header=BB4_5618 Depth=4
	v_bfe_u32 v17, v8, 23, 8
	v_or_b32_e32 v87, 0x800000, v4
	s_delay_alu instid0(VALU_DEP_2) | instskip(SKIP_1) | instid1(VALU_DEP_2)
	v_sub_nc_u32_e32 v8, 0x71, v17
	v_cmp_gt_u32_e32 vcc_lo, 0x72, v17
	v_cndmask_b32_e32 v8, 0, v8, vcc_lo
	v_cmp_eq_u32_e32 vcc_lo, 0, v17
	s_delay_alu instid0(VALU_DEP_2) | instskip(NEXT) | instid1(VALU_DEP_1)
	v_cndmask_b32_e64 v86, v8, 0x70, vcc_lo
	v_dual_cndmask_b32 v4, v87, v4, vcc_lo :: v_dual_add_nc_u32 v8, 21, v86
	v_add_nc_u32_e32 v96, 20, v86
	s_delay_alu instid0(VALU_DEP_2) | instskip(NEXT) | instid1(VALU_DEP_2)
	v_lshlrev_b64_e64 v[8:9], v8, -1
	v_lshlrev_b64_e64 v[96:97], v96, 1
	s_delay_alu instid0(VALU_DEP_2) | instskip(SKIP_1) | instid1(VALU_DEP_4)
	v_bfi_b32 v8, v8, 0, v4
	v_lshrrev_b64 v[4:5], v86, v[4:5]
	v_bfi_b32 v9, v9, 0, 0
	s_delay_alu instid0(VALU_DEP_1) | instskip(NEXT) | instid1(VALU_DEP_3)
	v_cmp_eq_u64_e64 s14, v[8:9], v[96:97]
	v_mov_b64_e32 v[8:9], v[4:5]
	s_and_saveexec_b32 s79, s14
; %bb.6438:                             ;   in Loop: Header=BB4_5618 Depth=4
	v_bfe_u32 v8, v4, 21, 1
	v_mov_b32_e32 v9, v3
	s_delay_alu instid0(VALU_DEP_1) | instskip(NEXT) | instid1(VALU_DEP_1)
	v_add_nc_u64_e32 v[8:9], v[4:5], v[8:9]
	v_add_nc_u64_e32 v[8:9], -1, v[8:9]
; %bb.6439:                             ;   in Loop: Header=BB4_5618 Depth=4
	s_or_b32 exec_lo, exec_lo, s79
	v_add_nc_u32_e32 v5, 0xffffff81, v17
	v_lshrrev_b32_e32 v9, 23, v4
	s_mov_b32 s14, exec_lo
	s_delay_alu instid0(VALU_DEP_2) | instskip(NEXT) | instid1(VALU_DEP_1)
	v_cndmask_b32_e64 v5, v5, 0xffffff82, vcc_lo
	v_add3_u32 v9, v86, v5, v9
	v_and_b32_e32 v5, 0x1fffff, v8
                                        ; implicit-def: $vgpr8
	s_delay_alu instid0(VALU_DEP_1) | instskip(SKIP_1) | instid1(VALU_DEP_2)
	v_dual_add_nc_u32 v17, 14, v9 :: v_dual_add_nc_u32 v4, v5, v4
	v_mov_b32_e32 v5, v3
	v_cmpx_ne_u32_e32 0, v17
	s_xor_b32 s14, exec_lo, s14
; %bb.6440:                             ;   in Loop: Header=BB4_5618 Depth=4
	s_delay_alu instid0(VALU_DEP_2) | instskip(SKIP_2) | instid1(VALU_DEP_2)
	v_cmp_lt_u64_e32 vcc_lo, 0xffffff, v[4:5]
	v_add_nc_u32_e32 v8, 15, v9
	v_cndmask_b32_e64 v9, 0, 1, vcc_lo
	v_cndmask_b32_e32 v8, v17, v8, vcc_lo
	s_delay_alu instid0(VALU_DEP_2)
	v_lshrrev_b64 v[4:5], v9, v[4:5]
; %bb.6441:                             ;   in Loop: Header=BB4_5618 Depth=4
	s_and_not1_saveexec_b32 s14, s14
; %bb.6442:                             ;   in Loop: Header=BB4_5618 Depth=4
	s_delay_alu instid0(VALU_DEP_1)
	v_bfe_u32 v8, v4, 23, 1
; %bb.6443:                             ;   in Loop: Header=BB4_5618 Depth=4
	s_or_b32 exec_lo, exec_lo, s14
	s_delay_alu instid0(VALU_DEP_2) | instskip(NEXT) | instid1(VALU_DEP_2)
	v_lshrrev_b64 v[4:5], 21, v[4:5]
	v_cmp_gt_i32_e32 vcc_lo, 32, v8
	v_min_i32_e32 v9, 31, v8
	v_cmp_eq_u32_e64 s14, 0, v8
	s_delay_alu instid0(VALU_DEP_4) | instskip(NEXT) | instid1(VALU_DEP_3)
	v_cndmask_b32_e32 v5, 0, v5, vcc_lo
	v_dual_cndmask_b32 v4, 3, v4 :: v_dual_lshlrev_b32 v9, 2, v9
	s_delay_alu instid0(VALU_DEP_1) | instskip(NEXT) | instid1(VALU_DEP_2)
	v_and_b32_e32 v9, 0xfc, v9
	v_cmp_eq_u64_e32 vcc_lo, 0, v[4:5]
	s_delay_alu instid0(VALU_DEP_2)
	v_and_or_b32 v4, v4, 3, v9
	s_and_b32 s14, s14, vcc_lo
	s_delay_alu instid0(VALU_DEP_1) | instid1(SALU_CYCLE_1)
	v_cndmask_b32_e64 v4, v4, 0, s14
	s_delay_alu instid0(VALU_DEP_1)
	v_or_b32_e32 v115, v4, v16
.LBB4_6444:                             ;   in Loop: Header=BB4_5618 Depth=4
	s_or_b32 exec_lo, exec_lo, s78
                                        ; implicit-def: $vgpr16
.LBB4_6445:                             ;   in Loop: Header=BB4_5618 Depth=4
	s_and_not1_saveexec_b32 s14, s77
; %bb.6446:                             ;   in Loop: Header=BB4_5618 Depth=4
	v_or_b32_e32 v115, 0x7b, v16
; %bb.6447:                             ;   in Loop: Header=BB4_5618 Depth=4
	s_or_b32 exec_lo, exec_lo, s14
                                        ; implicit-def: $vgpr8
                                        ; implicit-def: $vgpr4_vgpr5
                                        ; implicit-def: $vgpr9
.LBB4_6448:                             ;   in Loop: Header=BB4_5618 Depth=4
	s_and_not1_saveexec_b32 s14, s76
	s_cbranch_execz .LBB4_6454
; %bb.6449:                             ;   in Loop: Header=BB4_5618 Depth=4
	s_mov_b32 s76, exec_lo
                                        ; implicit-def: $vgpr115
	v_cmpx_ne_u64_e32 0, v[4:5]
	s_xor_b32 s76, exec_lo, s76
; %bb.6450:                             ;   in Loop: Header=BB4_5618 Depth=4
	v_or_b32_e32 v115, 0x7f, v9
                                        ; implicit-def: $vgpr8
; %bb.6451:                             ;   in Loop: Header=BB4_5618 Depth=4
	s_and_not1_saveexec_b32 s76, s76
; %bb.6452:                             ;   in Loop: Header=BB4_5618 Depth=4
	v_cmp_lt_i32_e32 vcc_lo, -1, v8
	v_cndmask_b32_e32 v115, 0xfc, v49, vcc_lo
; %bb.6453:                             ;   in Loop: Header=BB4_5618 Depth=4
	s_or_b32 exec_lo, exec_lo, s76
.LBB4_6454:                             ;   in Loop: Header=BB4_5618 Depth=4
	s_delay_alu instid0(SALU_CYCLE_1) | instskip(SKIP_2) | instid1(VALU_DEP_1)
	s_or_b32 exec_lo, exec_lo, s14
	v_dual_mov_b32 v5, 0 :: v_dual_lshrrev_b32 v4, 16, v2
	s_mov_b32 s14, exec_lo
	v_and_b32_e32 v8, 0xff, v4
	s_delay_alu instid0(VALU_DEP_1)
	v_cmpx_ne_u16_e32 0, v8
	s_cbranch_execz .LBB4_6464
; %bb.6455:                             ;   in Loop: Header=BB4_5618 Depth=4
	v_bfrev_b32_e32 v5, 1
	s_mov_b32 s76, exec_lo
	v_cmpx_ne_u16_e32 0x80, v8
	s_cbranch_execz .LBB4_6463
; %bb.6456:                             ;   in Loop: Header=BB4_5618 Depth=4
	v_and_b32_e32 v5, 0x7c0000, v2
	v_bfe_u32 v8, v2, 16, 2
	s_delay_alu instid0(VALU_DEP_2) | instskip(SKIP_1) | instid1(SALU_CYCLE_1)
	v_cmp_ne_u32_e32 vcc_lo, 0x7c0000, v5
                                        ; implicit-def: $vgpr5
	s_and_saveexec_b32 s77, vcc_lo
	s_xor_b32 s77, exec_lo, s77
	s_cbranch_execz .LBB4_6460
; %bb.6457:                             ;   in Loop: Header=BB4_5618 Depth=4
	v_bfe_u32 v5, v2, 18, 5
	s_mov_b32 s78, exec_lo
	s_delay_alu instid0(VALU_DEP_1)
	v_cmpx_eq_u32_e32 0, v5
; %bb.6458:                             ;   in Loop: Header=BB4_5618 Depth=4
	v_clz_i32_u32_e32 v5, v8
	s_delay_alu instid0(VALU_DEP_1) | instskip(NEXT) | instid1(VALU_DEP_1)
	v_min_u32_e32 v5, 32, v5
	v_subrev_nc_u32_e32 v8, 29, v5
	s_delay_alu instid0(VALU_DEP_1) | instskip(NEXT) | instid1(VALU_DEP_1)
	v_lshlrev_b64_e32 v[8:9], v8, v[4:5]
	v_dual_sub_nc_u32 v5, 30, v5 :: v_dual_bitop2_b32 v8, 3, v8 bitop3:0x40
; %bb.6459:                             ;   in Loop: Header=BB4_5618 Depth=4
	s_or_b32 exec_lo, exec_lo, s78
	v_lshlrev_b32_e32 v4, 24, v4
	s_delay_alu instid0(VALU_DEP_1) | instskip(NEXT) | instid1(VALU_DEP_1)
	v_and_b32_e32 v4, 0x80000000, v4
	v_lshl_add_u32 v4, v5, 23, v4
	s_delay_alu instid0(VALU_DEP_1) | instskip(NEXT) | instid1(VALU_DEP_1)
	v_lshl_or_b32 v4, v8, 21, v4
                                        ; implicit-def: $vgpr8
	v_add_nc_u32_e32 v5, 0x38000000, v4
                                        ; implicit-def: $vgpr4
.LBB4_6460:                             ;   in Loop: Header=BB4_5618 Depth=4
	s_and_not1_saveexec_b32 s77, s77
; %bb.6461:                             ;   in Loop: Header=BB4_5618 Depth=4
	v_bfe_i32 v4, v4, 0, 8
	s_delay_alu instid0(VALU_DEP_1) | instskip(SKIP_2) | instid1(VALU_DEP_2)
	v_cmp_lt_i16_e32 vcc_lo, -1, v4
	v_cndmask_b32_e32 v4, 0xff800000, v48, vcc_lo
	v_cmp_eq_u32_e32 vcc_lo, 0, v8
	v_cndmask_b32_e32 v5, 0x7f800001, v4, vcc_lo
; %bb.6462:                             ;   in Loop: Header=BB4_5618 Depth=4
	s_or_b32 exec_lo, exec_lo, s77
.LBB4_6463:                             ;   in Loop: Header=BB4_5618 Depth=4
	s_delay_alu instid0(SALU_CYCLE_1)
	s_or_b32 exec_lo, exec_lo, s76
.LBB4_6464:                             ;   in Loop: Header=BB4_5618 Depth=4
	s_delay_alu instid0(SALU_CYCLE_1) | instskip(SKIP_3) | instid1(VALU_DEP_1)
	s_or_b32 exec_lo, exec_lo, s14
	v_lshrrev_b32_e32 v4, 16, v10
	s_mov_b32 s76, 0
	s_mov_b32 s14, exec_lo
	v_and_b32_e32 v9, 0xff, v4
	s_delay_alu instid0(VALU_DEP_1)
	v_cmpx_lt_i16_e32 0x7f, v9
	s_xor_b32 s14, exec_lo, s14
	s_cbranch_execz .LBB4_6673
; %bb.6465:                             ;   in Loop: Header=BB4_5618 Depth=4
	s_mov_b32 s76, -1
	s_mov_b32 s77, exec_lo
	v_cmpx_eq_u16_e32 0x80, v9
; %bb.6466:                             ;   in Loop: Header=BB4_5618 Depth=4
	s_xor_b32 s76, exec_lo, -1
; %bb.6467:                             ;   in Loop: Header=BB4_5618 Depth=4
	s_or_b32 exec_lo, exec_lo, s77
	s_delay_alu instid0(SALU_CYCLE_1)
	s_and_b32 s76, s76, exec_lo
                                        ; implicit-def: $vgpr9
	s_or_saveexec_b32 s14, s14
	v_bfrev_b32_e32 v8, 1
	s_xor_b32 exec_lo, exec_lo, s14
	s_cbranch_execnz .LBB4_6674
.LBB4_6468:                             ;   in Loop: Header=BB4_5618 Depth=4
	s_or_b32 exec_lo, exec_lo, s14
	s_and_saveexec_b32 s14, s76
	s_cbranch_execz .LBB4_6470
.LBB4_6469:                             ;   in Loop: Header=BB4_5618 Depth=4
	v_and_b32_e32 v16, 3, v4
	v_bfe_u32 v86, v10, 18, 5
	s_delay_alu instid0(VALU_DEP_2) | instskip(NEXT) | instid1(VALU_DEP_2)
	v_clz_i32_u32_e32 v8, v16
	v_cmp_eq_u32_e32 vcc_lo, 0, v86
	s_delay_alu instid0(VALU_DEP_2) | instskip(NEXT) | instid1(VALU_DEP_1)
	v_min_u32_e32 v17, 32, v8
	v_subrev_nc_u32_e32 v8, 29, v17
	s_delay_alu instid0(VALU_DEP_1) | instskip(SKIP_2) | instid1(VALU_DEP_2)
	v_lshlrev_b64_e32 v[8:9], v8, v[4:5]
	v_dual_lshlrev_b32 v9, 24, v4 :: v_dual_sub_nc_u32 v17, 30, v17
	v_bfe_i32 v4, v4, 0, 8
	v_and_b32_e32 v9, 0x80000000, v9
	s_delay_alu instid0(VALU_DEP_3) | instskip(NEXT) | instid1(VALU_DEP_1)
	v_dual_cndmask_b32 v17, v86, v17, vcc_lo :: v_dual_bitop2_b32 v8, 3, v8 bitop3:0x40
	v_cndmask_b32_e32 v8, v16, v8, vcc_lo
	s_delay_alu instid0(VALU_DEP_2) | instskip(SKIP_1) | instid1(VALU_DEP_2)
	v_lshl_add_u32 v9, v17, 23, v9
	v_cmp_lt_i16_e32 vcc_lo, -1, v4
	v_lshl_or_b32 v8, v8, 21, v9
	v_cndmask_b32_e32 v4, 0xff800000, v48, vcc_lo
	v_and_b32_e32 v9, 0x7c0000, v10
	v_cmp_eq_u32_e32 vcc_lo, 0, v16
	s_delay_alu instid0(VALU_DEP_4) | instskip(NEXT) | instid1(VALU_DEP_4)
	v_add_nc_u32_e32 v8, 0x38000000, v8
	v_cndmask_b32_e32 v4, 0x7f800001, v4, vcc_lo
	s_delay_alu instid0(VALU_DEP_4) | instskip(NEXT) | instid1(VALU_DEP_2)
	v_cmp_eq_u32_e32 vcc_lo, 0x7c0000, v9
	v_cndmask_b32_e32 v8, v8, v4, vcc_lo
.LBB4_6470:                             ;   in Loop: Header=BB4_5618 Depth=4
	s_or_b32 exec_lo, exec_lo, s14
	s_delay_alu instid0(VALU_DEP_1) | instskip(SKIP_2) | instid1(VALU_DEP_2)
	v_dual_add_f32 v8, v5, v8 :: v_dual_mov_b32 v17, v3
	v_mov_b32_e32 v5, v3
                                        ; implicit-def: $vgpr46
	s_mov_b32 s14, exec_lo
	v_and_b32_e32 v16, 0x7f800000, v8
	v_and_b32_e32 v4, 0x7fffff, v8
	v_lshrrev_b32_e32 v9, 24, v8
	s_delay_alu instid0(VALU_DEP_3)
	v_cmpx_ne_u64_e32 0x7f800000, v[16:17]
	s_xor_b32 s76, exec_lo, s14
	s_cbranch_execz .LBB4_6484
; %bb.6471:                             ;   in Loop: Header=BB4_5618 Depth=4
	v_and_b32_e32 v16, 0x7fffffff, v8
	v_mov_b32_e32 v17, v3
                                        ; implicit-def: $vgpr46
	s_delay_alu instid0(VALU_DEP_1) | instskip(SKIP_2) | instid1(SALU_CYCLE_1)
	v_cmp_gt_u64_e32 vcc_lo, 0x47600001, v[16:17]
	v_and_b32_e32 v16, 0x80, v9
	s_and_saveexec_b32 s14, vcc_lo
	s_xor_b32 s77, exec_lo, s14
	s_cbranch_execz .LBB4_6481
; %bb.6472:                             ;   in Loop: Header=BB4_5618 Depth=4
	v_mov_b32_e32 v46, 0
	s_mov_b32 s78, exec_lo
	v_cmpx_ne_u32_e32 0, v8
	s_cbranch_execz .LBB4_6480
; %bb.6473:                             ;   in Loop: Header=BB4_5618 Depth=4
	v_bfe_u32 v17, v8, 23, 8
	v_or_b32_e32 v87, 0x800000, v4
	s_delay_alu instid0(VALU_DEP_2) | instskip(SKIP_1) | instid1(VALU_DEP_2)
	v_sub_nc_u32_e32 v8, 0x71, v17
	v_cmp_gt_u32_e32 vcc_lo, 0x72, v17
	v_cndmask_b32_e32 v8, 0, v8, vcc_lo
	v_cmp_eq_u32_e32 vcc_lo, 0, v17
	s_delay_alu instid0(VALU_DEP_2) | instskip(NEXT) | instid1(VALU_DEP_1)
	v_cndmask_b32_e64 v86, v8, 0x70, vcc_lo
	v_dual_cndmask_b32 v4, v87, v4, vcc_lo :: v_dual_add_nc_u32 v8, 21, v86
	v_add_nc_u32_e32 v96, 20, v86
	s_delay_alu instid0(VALU_DEP_2) | instskip(NEXT) | instid1(VALU_DEP_2)
	v_lshlrev_b64_e64 v[8:9], v8, -1
	v_lshlrev_b64_e64 v[96:97], v96, 1
	s_delay_alu instid0(VALU_DEP_2) | instskip(SKIP_1) | instid1(VALU_DEP_4)
	v_bfi_b32 v8, v8, 0, v4
	v_lshrrev_b64 v[4:5], v86, v[4:5]
	v_bfi_b32 v9, v9, 0, 0
	s_delay_alu instid0(VALU_DEP_1) | instskip(NEXT) | instid1(VALU_DEP_3)
	v_cmp_eq_u64_e64 s14, v[8:9], v[96:97]
	v_mov_b64_e32 v[8:9], v[4:5]
	s_and_saveexec_b32 s79, s14
; %bb.6474:                             ;   in Loop: Header=BB4_5618 Depth=4
	v_bfe_u32 v8, v4, 21, 1
	v_mov_b32_e32 v9, v3
	s_delay_alu instid0(VALU_DEP_1) | instskip(NEXT) | instid1(VALU_DEP_1)
	v_add_nc_u64_e32 v[8:9], v[4:5], v[8:9]
	v_add_nc_u64_e32 v[8:9], -1, v[8:9]
; %bb.6475:                             ;   in Loop: Header=BB4_5618 Depth=4
	s_or_b32 exec_lo, exec_lo, s79
	v_add_nc_u32_e32 v5, 0xffffff81, v17
	v_lshrrev_b32_e32 v9, 23, v4
	s_mov_b32 s14, exec_lo
	s_delay_alu instid0(VALU_DEP_2) | instskip(NEXT) | instid1(VALU_DEP_1)
	v_cndmask_b32_e64 v5, v5, 0xffffff82, vcc_lo
	v_add3_u32 v9, v86, v5, v9
	v_and_b32_e32 v5, 0x1fffff, v8
                                        ; implicit-def: $vgpr8
	s_delay_alu instid0(VALU_DEP_1) | instskip(SKIP_1) | instid1(VALU_DEP_2)
	v_dual_add_nc_u32 v17, 14, v9 :: v_dual_add_nc_u32 v4, v5, v4
	v_mov_b32_e32 v5, v3
	v_cmpx_ne_u32_e32 0, v17
	s_xor_b32 s14, exec_lo, s14
; %bb.6476:                             ;   in Loop: Header=BB4_5618 Depth=4
	s_delay_alu instid0(VALU_DEP_2) | instskip(SKIP_2) | instid1(VALU_DEP_2)
	v_cmp_lt_u64_e32 vcc_lo, 0xffffff, v[4:5]
	v_add_nc_u32_e32 v8, 15, v9
	v_cndmask_b32_e64 v9, 0, 1, vcc_lo
	v_cndmask_b32_e32 v8, v17, v8, vcc_lo
	s_delay_alu instid0(VALU_DEP_2)
	v_lshrrev_b64 v[4:5], v9, v[4:5]
; %bb.6477:                             ;   in Loop: Header=BB4_5618 Depth=4
	s_and_not1_saveexec_b32 s14, s14
; %bb.6478:                             ;   in Loop: Header=BB4_5618 Depth=4
	s_delay_alu instid0(VALU_DEP_1)
	v_bfe_u32 v8, v4, 23, 1
; %bb.6479:                             ;   in Loop: Header=BB4_5618 Depth=4
	s_or_b32 exec_lo, exec_lo, s14
	s_delay_alu instid0(VALU_DEP_2) | instskip(NEXT) | instid1(VALU_DEP_2)
	v_lshrrev_b64 v[4:5], 21, v[4:5]
	v_cmp_gt_i32_e32 vcc_lo, 32, v8
	v_min_i32_e32 v9, 31, v8
	v_cmp_eq_u32_e64 s14, 0, v8
	s_delay_alu instid0(VALU_DEP_4) | instskip(NEXT) | instid1(VALU_DEP_3)
	v_cndmask_b32_e32 v5, 0, v5, vcc_lo
	v_dual_cndmask_b32 v4, 3, v4 :: v_dual_lshlrev_b32 v9, 2, v9
	s_delay_alu instid0(VALU_DEP_1) | instskip(NEXT) | instid1(VALU_DEP_2)
	v_and_b32_e32 v9, 0xfc, v9
	v_cmp_eq_u64_e32 vcc_lo, 0, v[4:5]
	s_delay_alu instid0(VALU_DEP_2)
	v_and_or_b32 v4, v4, 3, v9
	s_and_b32 s14, s14, vcc_lo
	s_delay_alu instid0(VALU_DEP_1) | instid1(SALU_CYCLE_1)
	v_cndmask_b32_e64 v4, v4, 0, s14
	s_delay_alu instid0(VALU_DEP_1)
	v_or_b32_e32 v46, v4, v16
.LBB4_6480:                             ;   in Loop: Header=BB4_5618 Depth=4
	s_or_b32 exec_lo, exec_lo, s78
                                        ; implicit-def: $vgpr16
.LBB4_6481:                             ;   in Loop: Header=BB4_5618 Depth=4
	s_and_not1_saveexec_b32 s14, s77
; %bb.6482:                             ;   in Loop: Header=BB4_5618 Depth=4
	v_or_b32_e32 v46, 0x7b, v16
; %bb.6483:                             ;   in Loop: Header=BB4_5618 Depth=4
	s_or_b32 exec_lo, exec_lo, s14
                                        ; implicit-def: $vgpr8
                                        ; implicit-def: $vgpr4_vgpr5
                                        ; implicit-def: $vgpr9
.LBB4_6484:                             ;   in Loop: Header=BB4_5618 Depth=4
	s_and_not1_saveexec_b32 s14, s76
	s_cbranch_execz .LBB4_6490
; %bb.6485:                             ;   in Loop: Header=BB4_5618 Depth=4
	s_mov_b32 s76, exec_lo
                                        ; implicit-def: $vgpr46
	v_cmpx_ne_u64_e32 0, v[4:5]
	s_xor_b32 s76, exec_lo, s76
; %bb.6486:                             ;   in Loop: Header=BB4_5618 Depth=4
	v_or_b32_e32 v46, 0x7f, v9
                                        ; implicit-def: $vgpr8
; %bb.6487:                             ;   in Loop: Header=BB4_5618 Depth=4
	s_and_not1_saveexec_b32 s76, s76
; %bb.6488:                             ;   in Loop: Header=BB4_5618 Depth=4
	v_cmp_lt_i32_e32 vcc_lo, -1, v8
	v_cndmask_b32_e32 v46, 0xfc, v49, vcc_lo
; %bb.6489:                             ;   in Loop: Header=BB4_5618 Depth=4
	s_or_b32 exec_lo, exec_lo, s76
.LBB4_6490:                             ;   in Loop: Header=BB4_5618 Depth=4
	s_delay_alu instid0(SALU_CYCLE_1)
	s_or_b32 exec_lo, exec_lo, s14
	v_mov_b32_e32 v5, 0
	s_mov_b32 s14, exec_lo
	v_cmpx_lt_u32_e32 0xffffff, v2
	s_cbranch_execz .LBB4_6500
; %bb.6491:                             ;   in Loop: Header=BB4_5618 Depth=4
	v_lshrrev_b32_e32 v4, 24, v2
	v_bfrev_b32_e32 v5, 1
	s_mov_b32 s76, exec_lo
	s_delay_alu instid0(VALU_DEP_2)
	v_cmpx_ne_u32_e32 0x80, v4
	s_cbranch_execz .LBB4_6499
; %bb.6492:                             ;   in Loop: Header=BB4_5618 Depth=4
	v_and_b32_e32 v5, 0x7c000000, v2
	v_bfe_u32 v8, v2, 24, 2
	s_delay_alu instid0(VALU_DEP_2) | instskip(SKIP_1) | instid1(SALU_CYCLE_1)
	v_cmp_ne_u32_e32 vcc_lo, 0x7c000000, v5
                                        ; implicit-def: $vgpr5
	s_and_saveexec_b32 s77, vcc_lo
	s_xor_b32 s77, exec_lo, s77
	s_cbranch_execz .LBB4_6496
; %bb.6493:                             ;   in Loop: Header=BB4_5618 Depth=4
	v_bfe_u32 v5, v2, 26, 5
	s_mov_b32 s78, exec_lo
	s_delay_alu instid0(VALU_DEP_1)
	v_cmpx_eq_u32_e32 0, v5
; %bb.6494:                             ;   in Loop: Header=BB4_5618 Depth=4
	v_clz_i32_u32_e32 v5, v8
	s_delay_alu instid0(VALU_DEP_1) | instskip(NEXT) | instid1(VALU_DEP_1)
	v_min_u32_e32 v8, 32, v5
	v_subrev_nc_u32_e32 v5, 29, v8
	s_delay_alu instid0(VALU_DEP_1) | instskip(SKIP_1) | instid1(VALU_DEP_2)
	v_lshlrev_b64_e32 v[4:5], v5, v[4:5]
	v_sub_nc_u32_e32 v5, 30, v8
	v_and_b32_e32 v8, 3, v4
; %bb.6495:                             ;   in Loop: Header=BB4_5618 Depth=4
	s_or_b32 exec_lo, exec_lo, s78
	v_and_b32_e32 v2, 0x80000000, v2
	s_delay_alu instid0(VALU_DEP_1) | instskip(NEXT) | instid1(VALU_DEP_1)
	v_lshl_add_u32 v2, v5, 23, v2
	v_lshl_or_b32 v2, v8, 21, v2
                                        ; implicit-def: $vgpr8
	s_delay_alu instid0(VALU_DEP_1)
	v_add_nc_u32_e32 v5, 0x38000000, v2
.LBB4_6496:                             ;   in Loop: Header=BB4_5618 Depth=4
	s_and_not1_saveexec_b32 s77, s77
; %bb.6497:                             ;   in Loop: Header=BB4_5618 Depth=4
	v_cmp_lt_i32_e32 vcc_lo, -1, v2
	v_cndmask_b32_e32 v2, 0xff800000, v48, vcc_lo
	v_cmp_eq_u32_e32 vcc_lo, 0, v8
	s_delay_alu instid0(VALU_DEP_2)
	v_cndmask_b32_e32 v5, 0x7f800001, v2, vcc_lo
; %bb.6498:                             ;   in Loop: Header=BB4_5618 Depth=4
	s_or_b32 exec_lo, exec_lo, s77
.LBB4_6499:                             ;   in Loop: Header=BB4_5618 Depth=4
	s_delay_alu instid0(SALU_CYCLE_1)
	s_or_b32 exec_lo, exec_lo, s76
.LBB4_6500:                             ;   in Loop: Header=BB4_5618 Depth=4
	s_delay_alu instid0(SALU_CYCLE_1) | instskip(SKIP_3) | instid1(VALU_DEP_2)
	s_or_b32 exec_lo, exec_lo, s14
	v_bfe_u32 v4, v10, 24, 2
	v_bfe_u32 v17, v10, 26, 5
                                        ; implicit-def: $vgpr56
	s_mov_b32 s14, exec_lo
	v_clz_i32_u32_e32 v2, v4
	s_delay_alu instid0(VALU_DEP_2) | instskip(NEXT) | instid1(VALU_DEP_2)
	v_cmp_eq_u32_e32 vcc_lo, 0, v17
	v_min_u32_e32 v16, 32, v2
	v_lshrrev_b32_e32 v2, 24, v10
	s_delay_alu instid0(VALU_DEP_2) | instskip(NEXT) | instid1(VALU_DEP_1)
	v_subrev_nc_u32_e32 v8, 29, v16
	v_lshlrev_b64_e32 v[8:9], v8, v[2:3]
	v_sub_nc_u32_e32 v9, 30, v16
	v_and_b32_e32 v16, 0x80000000, v10
	s_delay_alu instid0(VALU_DEP_2) | instskip(NEXT) | instid1(VALU_DEP_1)
	v_dual_cndmask_b32 v9, v17, v9, vcc_lo :: v_dual_bitop2_b32 v8, 3, v8 bitop3:0x40
	v_lshl_add_u32 v9, v9, 23, v16
	s_delay_alu instid0(VALU_DEP_2) | instskip(SKIP_1) | instid1(VALU_DEP_2)
	v_cndmask_b32_e32 v8, v4, v8, vcc_lo
	v_cmp_lt_i32_e32 vcc_lo, -1, v10
	v_lshl_or_b32 v8, v8, 21, v9
	v_cndmask_b32_e32 v16, 0xff800000, v48, vcc_lo
	v_and_b32_e32 v9, 0x7c000000, v10
	v_cmp_eq_u32_e32 vcc_lo, 0, v4
	s_delay_alu instid0(VALU_DEP_4) | instskip(NEXT) | instid1(VALU_DEP_4)
	v_add_nc_u32_e32 v8, 0x38000000, v8
	v_cndmask_b32_e32 v4, 0x7f800001, v16, vcc_lo
	s_delay_alu instid0(VALU_DEP_4) | instskip(NEXT) | instid1(VALU_DEP_2)
	v_cmp_eq_u32_e32 vcc_lo, 0x7c000000, v9
	v_dual_mov_b32 v9, v3 :: v_dual_cndmask_b32 v4, v8, v4
	v_cmp_ne_u32_e32 vcc_lo, 0x80, v2
	s_delay_alu instid0(VALU_DEP_2) | instskip(SKIP_1) | instid1(VALU_DEP_2)
	v_cndmask_b32_e32 v2, 0x80000000, v4, vcc_lo
	v_cmp_lt_u32_e32 vcc_lo, 0xffffff, v10
	v_cndmask_b32_e32 v2, 0, v2, vcc_lo
	s_delay_alu instid0(VALU_DEP_1) | instskip(NEXT) | instid1(VALU_DEP_1)
	v_add_f32_e32 v4, v2, v5
	v_and_b32_e32 v8, 0x7f800000, v4
	v_and_b32_e32 v2, 0x7fffff, v4
	v_lshrrev_b32_e32 v5, 24, v4
	s_delay_alu instid0(VALU_DEP_3)
	v_cmpx_ne_u64_e32 0x7f800000, v[8:9]
	s_xor_b32 s76, exec_lo, s14
	s_cbranch_execz .LBB4_6514
; %bb.6501:                             ;   in Loop: Header=BB4_5618 Depth=4
	v_and_b32_e32 v8, 0x7fffffff, v4
	v_mov_b32_e32 v9, v3
	v_and_b32_e32 v16, 0x80, v5
                                        ; implicit-def: $vgpr56
	s_mov_b32 s14, exec_lo
	s_delay_alu instid0(VALU_DEP_2)
	v_cmpx_gt_u64_e32 0x47600001, v[8:9]
	s_xor_b32 s77, exec_lo, s14
	s_cbranch_execz .LBB4_6511
; %bb.6502:                             ;   in Loop: Header=BB4_5618 Depth=4
	v_mov_b32_e32 v56, 0
	s_mov_b32 s78, exec_lo
	v_cmpx_ne_u32_e32 0, v4
	s_cbranch_execz .LBB4_6510
; %bb.6503:                             ;   in Loop: Header=BB4_5618 Depth=4
	v_bfe_u32 v17, v4, 23, 8
	v_or_b32_e32 v8, 0x800000, v2
	s_mov_b32 s79, exec_lo
	s_delay_alu instid0(VALU_DEP_2) | instskip(SKIP_1) | instid1(VALU_DEP_2)
	v_dual_mov_b32 v9, v3 :: v_dual_sub_nc_u32 v4, 0x71, v17
	v_cmp_gt_u32_e32 vcc_lo, 0x72, v17
	v_cndmask_b32_e32 v4, 0, v4, vcc_lo
	v_cmp_eq_u32_e32 vcc_lo, 0, v17
	s_delay_alu instid0(VALU_DEP_2) | instskip(SKIP_1) | instid1(VALU_DEP_2)
	v_cndmask_b32_e64 v86, v4, 0x70, vcc_lo
	v_cndmask_b32_e32 v8, v8, v2, vcc_lo
	v_dual_add_nc_u32 v4, 21, v86 :: v_dual_add_nc_u32 v87, 20, v86
	s_delay_alu instid0(VALU_DEP_1) | instskip(NEXT) | instid1(VALU_DEP_2)
	v_lshlrev_b64_e64 v[4:5], v4, -1
	v_lshlrev_b64_e64 v[96:97], v87, 1
	s_delay_alu instid0(VALU_DEP_2) | instskip(NEXT) | instid1(VALU_DEP_3)
	v_bfi_b32 v59, v5, 0, 0
	v_bfi_b32 v58, v4, 0, v8
	v_lshrrev_b64 v[4:5], v86, v[8:9]
	s_delay_alu instid0(VALU_DEP_1) | instskip(NEXT) | instid1(VALU_DEP_3)
	v_mov_b64_e32 v[8:9], v[4:5]
	v_cmpx_eq_u64_e64 v[58:59], v[96:97]
; %bb.6504:                             ;   in Loop: Header=BB4_5618 Depth=4
	v_bfe_u32 v8, v4, 21, 1
	v_mov_b32_e32 v9, v3
	s_delay_alu instid0(VALU_DEP_1) | instskip(NEXT) | instid1(VALU_DEP_1)
	v_add_nc_u64_e32 v[8:9], v[4:5], v[8:9]
	v_add_nc_u64_e32 v[8:9], -1, v[8:9]
; %bb.6505:                             ;   in Loop: Header=BB4_5618 Depth=4
	s_or_b32 exec_lo, exec_lo, s79
	v_add_nc_u32_e32 v2, 0xffffff81, v17
	v_lshrrev_b32_e32 v5, 23, v4
	s_mov_b32 s14, exec_lo
	s_delay_alu instid0(VALU_DEP_2) | instskip(NEXT) | instid1(VALU_DEP_1)
	v_cndmask_b32_e64 v2, v2, 0xffffff82, vcc_lo
	v_add3_u32 v9, v86, v2, v5
	v_and_b32_e32 v2, 0x1fffff, v8
                                        ; implicit-def: $vgpr8
	s_delay_alu instid0(VALU_DEP_1) | instskip(NEXT) | instid1(VALU_DEP_1)
	v_dual_add_nc_u32 v17, 14, v9 :: v_dual_add_nc_u32 v2, v2, v4
                                        ; implicit-def: $vgpr4_vgpr5
	v_cmpx_ne_u32_e32 0, v17
	s_xor_b32 s14, exec_lo, s14
; %bb.6506:                             ;   in Loop: Header=BB4_5618 Depth=4
	s_delay_alu instid0(VALU_DEP_2) | instskip(SKIP_1) | instid1(VALU_DEP_1)
	v_cmp_lt_u64_e32 vcc_lo, 0xffffff, v[2:3]
	v_add_nc_u32_e32 v4, 15, v9
	v_cndmask_b32_e32 v8, v17, v4, vcc_lo
	v_cndmask_b32_e64 v4, 0, 1, vcc_lo
	s_delay_alu instid0(VALU_DEP_1)
	v_lshrrev_b64 v[4:5], v4, v[2:3]
; %bb.6507:                             ;   in Loop: Header=BB4_5618 Depth=4
	s_and_not1_saveexec_b32 s14, s14
; %bb.6508:                             ;   in Loop: Header=BB4_5618 Depth=4
	v_mov_b64_e32 v[4:5], v[2:3]
	v_bfe_u32 v8, v2, 23, 1
; %bb.6509:                             ;   in Loop: Header=BB4_5618 Depth=4
	s_or_b32 exec_lo, exec_lo, s14
	s_delay_alu instid0(VALU_DEP_2) | instskip(NEXT) | instid1(VALU_DEP_2)
	v_lshrrev_b64 v[4:5], 21, v[4:5]
	v_cmp_gt_i32_e32 vcc_lo, 32, v8
	v_min_i32_e32 v2, 31, v8
	v_cmp_eq_u32_e64 s14, 0, v8
	s_delay_alu instid0(VALU_DEP_2) | instskip(SKIP_1) | instid1(VALU_DEP_2)
	v_dual_cndmask_b32 v5, 0, v5 :: v_dual_lshlrev_b32 v2, 2, v2
	v_cndmask_b32_e32 v4, 3, v4, vcc_lo
	v_and_b32_e32 v2, 0xfc, v2
	s_delay_alu instid0(VALU_DEP_2) | instskip(NEXT) | instid1(VALU_DEP_2)
	v_cmp_eq_u64_e32 vcc_lo, 0, v[4:5]
	v_and_or_b32 v2, v4, 3, v2
	s_and_b32 s14, s14, vcc_lo
	s_delay_alu instid0(VALU_DEP_1) | instid1(SALU_CYCLE_1)
	v_cndmask_b32_e64 v2, v2, 0, s14
	s_delay_alu instid0(VALU_DEP_1)
	v_or_b32_e32 v56, v2, v16
.LBB4_6510:                             ;   in Loop: Header=BB4_5618 Depth=4
	s_or_b32 exec_lo, exec_lo, s78
                                        ; implicit-def: $vgpr16
.LBB4_6511:                             ;   in Loop: Header=BB4_5618 Depth=4
	s_and_not1_saveexec_b32 s14, s77
; %bb.6512:                             ;   in Loop: Header=BB4_5618 Depth=4
	v_or_b32_e32 v56, 0x7b, v16
; %bb.6513:                             ;   in Loop: Header=BB4_5618 Depth=4
	s_or_b32 exec_lo, exec_lo, s14
                                        ; implicit-def: $vgpr4
                                        ; implicit-def: $vgpr5
.LBB4_6514:                             ;   in Loop: Header=BB4_5618 Depth=4
	s_and_not1_saveexec_b32 s14, s76
	s_cbranch_execz .LBB4_6520
; %bb.6515:                             ;   in Loop: Header=BB4_5618 Depth=4
	s_mov_b32 s76, exec_lo
                                        ; implicit-def: $vgpr56
	v_cmpx_ne_u64_e32 0, v[2:3]
	s_xor_b32 s76, exec_lo, s76
; %bb.6516:                             ;   in Loop: Header=BB4_5618 Depth=4
	v_or_b32_e32 v56, 0x7f, v5
                                        ; implicit-def: $vgpr4
; %bb.6517:                             ;   in Loop: Header=BB4_5618 Depth=4
	s_and_not1_saveexec_b32 s76, s76
; %bb.6518:                             ;   in Loop: Header=BB4_5618 Depth=4
	v_cmp_lt_i32_e32 vcc_lo, -1, v4
	v_cndmask_b32_e32 v56, 0xfc, v49, vcc_lo
; %bb.6519:                             ;   in Loop: Header=BB4_5618 Depth=4
	s_or_b32 exec_lo, exec_lo, s76
.LBB4_6520:                             ;   in Loop: Header=BB4_5618 Depth=4
	s_delay_alu instid0(SALU_CYCLE_1) | instskip(SKIP_4) | instid1(VALU_DEP_1)
	s_or_b32 exec_lo, exec_lo, s14
	v_dual_lshlrev_b32 v2, 24, v45 :: v_dual_mov_b32 v8, 0
	v_lshlrev_b32_e32 v4, 16, v113
	v_lshl_or_b32 v100, v100, 8, v65
	s_mov_b32 s14, exec_lo
	v_or3_b32 v2, v4, v2, v100
	v_cmpx_ne_u32_e32 0, v65
	s_cbranch_execz .LBB4_6530
; %bb.6521:                             ;   in Loop: Header=BB4_5618 Depth=4
	v_bfrev_b32_e32 v8, 1
	s_mov_b32 s76, exec_lo
	v_cmpx_ne_u32_e32 0x80, v65
	s_cbranch_execz .LBB4_6529
; %bb.6522:                             ;   in Loop: Header=BB4_5618 Depth=4
	v_and_b32_e32 v5, 0x7c, v65
	v_and_b32_e32 v4, 3, v65
	s_mov_b32 s77, exec_lo
                                        ; implicit-def: $vgpr8
	s_delay_alu instid0(VALU_DEP_2)
	v_cmpx_ne_u32_e32 0x7c, v5
	s_xor_b32 s77, exec_lo, s77
	s_cbranch_execz .LBB4_6526
; %bb.6523:                             ;   in Loop: Header=BB4_5618 Depth=4
	v_bfe_u32 v5, v65, 2, 5
	s_mov_b32 s78, exec_lo
	s_delay_alu instid0(VALU_DEP_1)
	v_cmpx_eq_u32_e32 0, v5
; %bb.6524:                             ;   in Loop: Header=BB4_5618 Depth=4
	v_clz_i32_u32_e32 v4, v4
	s_delay_alu instid0(VALU_DEP_1) | instskip(NEXT) | instid1(VALU_DEP_1)
	v_min_u32_e32 v8, 32, v4
	v_subrev_nc_u32_e32 v4, 29, v8
	s_delay_alu instid0(VALU_DEP_1) | instskip(SKIP_1) | instid1(VALU_DEP_2)
	v_lshlrev_b64_e32 v[4:5], v4, v[2:3]
	v_sub_nc_u32_e32 v5, 30, v8
	v_and_b32_e32 v4, 3, v4
; %bb.6525:                             ;   in Loop: Header=BB4_5618 Depth=4
	s_or_b32 exec_lo, exec_lo, s78
	v_lshlrev_b32_e32 v8, 24, v65
                                        ; implicit-def: $vgpr65
	s_delay_alu instid0(VALU_DEP_1) | instskip(NEXT) | instid1(VALU_DEP_1)
	v_and_b32_e32 v8, 0x80000000, v8
	v_lshl_add_u32 v5, v5, 23, v8
	s_delay_alu instid0(VALU_DEP_1) | instskip(NEXT) | instid1(VALU_DEP_1)
	v_lshl_or_b32 v4, v4, 21, v5
	v_add_nc_u32_e32 v8, 0x38000000, v4
                                        ; implicit-def: $vgpr4
.LBB4_6526:                             ;   in Loop: Header=BB4_5618 Depth=4
	s_and_not1_saveexec_b32 s77, s77
; %bb.6527:                             ;   in Loop: Header=BB4_5618 Depth=4
	v_and_b32_e32 v5, 0x80, v65
	s_delay_alu instid0(VALU_DEP_1) | instskip(SKIP_2) | instid1(VALU_DEP_2)
	v_cmp_eq_u32_e32 vcc_lo, 0, v5
	v_cndmask_b32_e32 v5, 0xff800000, v48, vcc_lo
	v_cmp_eq_u32_e32 vcc_lo, 0, v4
	v_cndmask_b32_e32 v8, 0x7f800001, v5, vcc_lo
; %bb.6528:                             ;   in Loop: Header=BB4_5618 Depth=4
	s_or_b32 exec_lo, exec_lo, s77
.LBB4_6529:                             ;   in Loop: Header=BB4_5618 Depth=4
	s_delay_alu instid0(SALU_CYCLE_1)
	s_or_b32 exec_lo, exec_lo, s76
.LBB4_6530:                             ;   in Loop: Header=BB4_5618 Depth=4
	s_delay_alu instid0(SALU_CYCLE_1) | instskip(SKIP_4) | instid1(VALU_DEP_2)
	s_or_b32 exec_lo, exec_lo, s14
	v_and_b32_e32 v5, 0xff, v11
	v_mov_b32_e32 v4, v11
	s_mov_b32 s76, 0
	s_mov_b32 s14, exec_lo
	v_cmpx_lt_i16_e32 0x7f, v5
	s_xor_b32 s14, exec_lo, s14
	s_cbranch_execz .LBB4_6675
; %bb.6531:                             ;   in Loop: Header=BB4_5618 Depth=4
	s_mov_b32 s76, -1
	s_mov_b32 s77, exec_lo
	v_cmpx_eq_u16_e32 0x80, v5
; %bb.6532:                             ;   in Loop: Header=BB4_5618 Depth=4
	s_xor_b32 s76, exec_lo, -1
; %bb.6533:                             ;   in Loop: Header=BB4_5618 Depth=4
	s_or_b32 exec_lo, exec_lo, s77
	s_delay_alu instid0(SALU_CYCLE_1)
	s_and_b32 s76, s76, exec_lo
                                        ; implicit-def: $vgpr5
	s_or_saveexec_b32 s14, s14
	v_bfrev_b32_e32 v9, 1
	s_xor_b32 exec_lo, exec_lo, s14
	s_cbranch_execnz .LBB4_6676
.LBB4_6534:                             ;   in Loop: Header=BB4_5618 Depth=4
	s_or_b32 exec_lo, exec_lo, s14
	v_mov_b32_e32 v5, v3
	s_and_saveexec_b32 s14, s76
	s_cbranch_execz .LBB4_6536
.LBB4_6535:                             ;   in Loop: Header=BB4_5618 Depth=4
	v_and_b32_e32 v9, 3, v11
	s_delay_alu instid0(VALU_DEP_1) | instskip(NEXT) | instid1(VALU_DEP_1)
	v_clz_i32_u32_e32 v16, v9
	v_min_u32_e32 v65, 32, v16
	s_delay_alu instid0(VALU_DEP_1) | instskip(NEXT) | instid1(VALU_DEP_1)
	v_subrev_nc_u32_e32 v16, 29, v65
	v_lshlrev_b64_e32 v[16:17], v16, v[4:5]
	v_bfe_u32 v17, v11, 2, 5
	v_dual_lshlrev_b32 v5, 24, v11 :: v_dual_sub_nc_u32 v65, 30, v65
	s_delay_alu instid0(VALU_DEP_2) | instskip(NEXT) | instid1(VALU_DEP_2)
	v_cmp_eq_u32_e32 vcc_lo, 0, v17
	v_and_b32_e32 v5, 0x80000000, v5
	s_delay_alu instid0(VALU_DEP_3) | instskip(SKIP_1) | instid1(VALU_DEP_2)
	v_dual_cndmask_b32 v17, v17, v65, vcc_lo :: v_dual_bitop2_b32 v16, 3, v16 bitop3:0x40
	v_bfe_i32 v65, v11, 0, 8
	v_cndmask_b32_e32 v16, v9, v16, vcc_lo
	s_delay_alu instid0(VALU_DEP_3) | instskip(NEXT) | instid1(VALU_DEP_3)
	v_lshl_add_u32 v5, v17, 23, v5
	v_cmp_lt_i16_e32 vcc_lo, -1, v65
	s_delay_alu instid0(VALU_DEP_2) | instskip(SKIP_3) | instid1(VALU_DEP_4)
	v_lshl_or_b32 v5, v16, 21, v5
	v_cndmask_b32_e32 v17, 0xff800000, v48, vcc_lo
	v_and_b32_e32 v16, 0x7c, v11
	v_cmp_eq_u32_e32 vcc_lo, 0, v9
	v_add_nc_u32_e32 v5, 0x38000000, v5
	s_delay_alu instid0(VALU_DEP_4) | instskip(NEXT) | instid1(VALU_DEP_4)
	v_cndmask_b32_e32 v9, 0x7f800001, v17, vcc_lo
	v_cmp_eq_u32_e32 vcc_lo, 0x7c, v16
	s_delay_alu instid0(VALU_DEP_2)
	v_cndmask_b32_e32 v9, v5, v9, vcc_lo
.LBB4_6536:                             ;   in Loop: Header=BB4_5618 Depth=4
	s_or_b32 exec_lo, exec_lo, s14
	s_delay_alu instid0(VALU_DEP_1) | instskip(SKIP_2) | instid1(VALU_DEP_2)
	v_dual_add_f32 v17, v8, v9 :: v_dual_mov_b32 v87, v3
	v_mov_b32_e32 v9, v3
                                        ; implicit-def: $vgpr16
	s_mov_b32 s14, exec_lo
	v_and_b32_e32 v86, 0x7f800000, v17
	v_and_b32_e32 v8, 0x7fffff, v17
	v_lshrrev_b32_e32 v5, 24, v17
	s_delay_alu instid0(VALU_DEP_3)
	v_cmpx_ne_u64_e32 0x7f800000, v[86:87]
	s_xor_b32 s76, exec_lo, s14
	s_cbranch_execz .LBB4_6550
; %bb.6537:                             ;   in Loop: Header=BB4_5618 Depth=4
	v_and_b32_e32 v86, 0x7fffffff, v17
	v_mov_b32_e32 v87, v3
	v_and_b32_e32 v5, 0x80, v5
                                        ; implicit-def: $vgpr16
	s_mov_b32 s14, exec_lo
	s_delay_alu instid0(VALU_DEP_2)
	v_cmpx_gt_u64_e32 0x47600001, v[86:87]
	s_xor_b32 s77, exec_lo, s14
	s_cbranch_execz .LBB4_6547
; %bb.6538:                             ;   in Loop: Header=BB4_5618 Depth=4
	v_mov_b32_e32 v16, 0
	s_mov_b32 s78, exec_lo
	v_cmpx_ne_u32_e32 0, v17
	s_cbranch_execz .LBB4_6546
; %bb.6539:                             ;   in Loop: Header=BB4_5618 Depth=4
	v_bfe_u32 v65, v17, 23, 8
	v_or_b32_e32 v87, 0x800000, v8
	s_delay_alu instid0(VALU_DEP_2) | instskip(SKIP_1) | instid1(VALU_DEP_2)
	v_sub_nc_u32_e32 v16, 0x71, v65
	v_cmp_gt_u32_e32 vcc_lo, 0x72, v65
	v_cndmask_b32_e32 v16, 0, v16, vcc_lo
	v_cmp_eq_u32_e32 vcc_lo, 0, v65
	s_delay_alu instid0(VALU_DEP_2) | instskip(NEXT) | instid1(VALU_DEP_1)
	v_cndmask_b32_e64 v86, v16, 0x70, vcc_lo
	v_dual_cndmask_b32 v8, v87, v8, vcc_lo :: v_dual_add_nc_u32 v16, 21, v86
	v_add_nc_u32_e32 v96, 20, v86
	s_delay_alu instid0(VALU_DEP_2) | instskip(NEXT) | instid1(VALU_DEP_2)
	v_lshlrev_b64_e64 v[16:17], v16, -1
	v_lshlrev_b64_e64 v[96:97], v96, 1
	s_delay_alu instid0(VALU_DEP_2) | instskip(SKIP_1) | instid1(VALU_DEP_4)
	v_bfi_b32 v16, v16, 0, v8
	v_lshrrev_b64 v[8:9], v86, v[8:9]
	v_bfi_b32 v17, v17, 0, 0
	s_delay_alu instid0(VALU_DEP_1) | instskip(NEXT) | instid1(VALU_DEP_3)
	v_cmp_eq_u64_e64 s14, v[16:17], v[96:97]
	v_mov_b64_e32 v[16:17], v[8:9]
	s_and_saveexec_b32 s79, s14
; %bb.6540:                             ;   in Loop: Header=BB4_5618 Depth=4
	v_bfe_u32 v16, v8, 21, 1
	v_mov_b32_e32 v17, v3
	s_delay_alu instid0(VALU_DEP_1) | instskip(NEXT) | instid1(VALU_DEP_1)
	v_add_nc_u64_e32 v[16:17], v[8:9], v[16:17]
	v_add_nc_u64_e32 v[16:17], -1, v[16:17]
; %bb.6541:                             ;   in Loop: Header=BB4_5618 Depth=4
	s_or_b32 exec_lo, exec_lo, s79
	v_add_nc_u32_e32 v9, 0xffffff81, v65
	v_lshrrev_b32_e32 v17, 23, v8
	s_mov_b32 s14, exec_lo
	s_delay_alu instid0(VALU_DEP_2) | instskip(NEXT) | instid1(VALU_DEP_1)
	v_cndmask_b32_e64 v9, v9, 0xffffff82, vcc_lo
	v_add3_u32 v17, v86, v9, v17
	v_and_b32_e32 v9, 0x1fffff, v16
                                        ; implicit-def: $vgpr16
	s_delay_alu instid0(VALU_DEP_1) | instskip(SKIP_1) | instid1(VALU_DEP_2)
	v_dual_add_nc_u32 v65, 14, v17 :: v_dual_add_nc_u32 v8, v9, v8
	v_mov_b32_e32 v9, v3
	v_cmpx_ne_u32_e32 0, v65
	s_xor_b32 s14, exec_lo, s14
; %bb.6542:                             ;   in Loop: Header=BB4_5618 Depth=4
	s_delay_alu instid0(VALU_DEP_2) | instskip(SKIP_2) | instid1(VALU_DEP_2)
	v_cmp_lt_u64_e32 vcc_lo, 0xffffff, v[8:9]
	v_add_nc_u32_e32 v16, 15, v17
	v_cndmask_b32_e64 v17, 0, 1, vcc_lo
	v_cndmask_b32_e32 v16, v65, v16, vcc_lo
	s_delay_alu instid0(VALU_DEP_2)
	v_lshrrev_b64 v[8:9], v17, v[8:9]
; %bb.6543:                             ;   in Loop: Header=BB4_5618 Depth=4
	s_and_not1_saveexec_b32 s14, s14
; %bb.6544:                             ;   in Loop: Header=BB4_5618 Depth=4
	s_delay_alu instid0(VALU_DEP_1)
	v_bfe_u32 v16, v8, 23, 1
; %bb.6545:                             ;   in Loop: Header=BB4_5618 Depth=4
	s_or_b32 exec_lo, exec_lo, s14
	s_delay_alu instid0(VALU_DEP_2) | instskip(NEXT) | instid1(VALU_DEP_2)
	v_lshrrev_b64 v[8:9], 21, v[8:9]
	v_cmp_gt_i32_e32 vcc_lo, 32, v16
	v_min_i32_e32 v17, 31, v16
	v_cmp_eq_u32_e64 s14, 0, v16
	s_delay_alu instid0(VALU_DEP_4) | instskip(NEXT) | instid1(VALU_DEP_3)
	v_cndmask_b32_e32 v9, 0, v9, vcc_lo
	v_dual_cndmask_b32 v8, 3, v8 :: v_dual_lshlrev_b32 v17, 2, v17
	s_delay_alu instid0(VALU_DEP_1) | instskip(NEXT) | instid1(VALU_DEP_2)
	v_and_b32_e32 v17, 0xfc, v17
	v_cmp_eq_u64_e32 vcc_lo, 0, v[8:9]
	s_delay_alu instid0(VALU_DEP_2)
	v_and_or_b32 v8, v8, 3, v17
	s_and_b32 s14, s14, vcc_lo
	s_delay_alu instid0(VALU_DEP_1) | instid1(SALU_CYCLE_1)
	v_cndmask_b32_e64 v8, v8, 0, s14
	s_delay_alu instid0(VALU_DEP_1)
	v_or_b32_e32 v16, v8, v5
.LBB4_6546:                             ;   in Loop: Header=BB4_5618 Depth=4
	s_or_b32 exec_lo, exec_lo, s78
                                        ; implicit-def: $vgpr5
.LBB4_6547:                             ;   in Loop: Header=BB4_5618 Depth=4
	s_and_not1_saveexec_b32 s14, s77
; %bb.6548:                             ;   in Loop: Header=BB4_5618 Depth=4
	v_or_b32_e32 v16, 0x7b, v5
; %bb.6549:                             ;   in Loop: Header=BB4_5618 Depth=4
	s_or_b32 exec_lo, exec_lo, s14
                                        ; implicit-def: $vgpr17
                                        ; implicit-def: $vgpr8_vgpr9
                                        ; implicit-def: $vgpr5
.LBB4_6550:                             ;   in Loop: Header=BB4_5618 Depth=4
	s_and_not1_saveexec_b32 s14, s76
	s_cbranch_execz .LBB4_6556
; %bb.6551:                             ;   in Loop: Header=BB4_5618 Depth=4
	s_mov_b32 s76, exec_lo
                                        ; implicit-def: $vgpr16
	v_cmpx_ne_u64_e32 0, v[8:9]
	s_xor_b32 s76, exec_lo, s76
; %bb.6552:                             ;   in Loop: Header=BB4_5618 Depth=4
	v_or_b32_e32 v16, 0x7f, v5
                                        ; implicit-def: $vgpr17
; %bb.6553:                             ;   in Loop: Header=BB4_5618 Depth=4
	s_and_not1_saveexec_b32 s76, s76
; %bb.6554:                             ;   in Loop: Header=BB4_5618 Depth=4
	v_cmp_lt_i32_e32 vcc_lo, -1, v17
	v_cndmask_b32_e32 v16, 0xfc, v49, vcc_lo
; %bb.6555:                             ;   in Loop: Header=BB4_5618 Depth=4
	s_or_b32 exec_lo, exec_lo, s76
.LBB4_6556:                             ;   in Loop: Header=BB4_5618 Depth=4
	s_delay_alu instid0(SALU_CYCLE_1) | instskip(SKIP_3) | instid1(VALU_DEP_2)
	s_or_b32 exec_lo, exec_lo, s14
	v_lshrrev_b16 v8, 8, v100
	v_mov_b32_e32 v5, 0
	s_mov_b32 s14, exec_lo
	v_cmpx_ne_u16_e32 0, v8
	s_cbranch_execz .LBB4_6566
; %bb.6557:                             ;   in Loop: Header=BB4_5618 Depth=4
	v_bfrev_b32_e32 v5, 1
	s_mov_b32 s76, exec_lo
	v_cmpx_ne_u16_e32 0x80, v8
	s_cbranch_execz .LBB4_6565
; %bb.6558:                             ;   in Loop: Header=BB4_5618 Depth=4
	v_and_b32_e32 v17, 0xffff, v8
	s_delay_alu instid0(VALU_DEP_1) | instskip(SKIP_1) | instid1(VALU_DEP_2)
	v_and_b32_e32 v5, 0x7c, v17
	v_and_b32_e32 v9, 3, v17
	v_cmp_ne_u32_e32 vcc_lo, 0x7c, v5
                                        ; implicit-def: $vgpr5
	s_and_saveexec_b32 s77, vcc_lo
	s_delay_alu instid0(SALU_CYCLE_1)
	s_xor_b32 s77, exec_lo, s77
	s_cbranch_execz .LBB4_6562
; %bb.6559:                             ;   in Loop: Header=BB4_5618 Depth=4
	v_bfe_u32 v5, v17, 2, 5
	s_mov_b32 s78, exec_lo
	s_delay_alu instid0(VALU_DEP_1)
	v_cmpx_eq_u32_e32 0, v5
	s_cbranch_execz .LBB4_6561
; %bb.6560:                             ;   in Loop: Header=BB4_5618 Depth=4
	v_clz_i32_u32_e32 v5, v9
	s_delay_alu instid0(VALU_DEP_1) | instskip(SKIP_1) | instid1(VALU_DEP_2)
	v_min_u32_e32 v5, 32, v5
	v_mov_b32_e32 v9, v3
	v_subrev_nc_u32_e32 v17, 29, v5
	v_sub_nc_u32_e32 v5, 30, v5
	s_delay_alu instid0(VALU_DEP_2) | instskip(NEXT) | instid1(VALU_DEP_1)
	v_lshlrev_b64_e32 v[8:9], v17, v[8:9]
	v_and_b32_e32 v9, 3, v8
.LBB4_6561:                             ;   in Loop: Header=BB4_5618 Depth=4
	s_or_b32 exec_lo, exec_lo, s78
	v_lshlrev_b32_e32 v8, 16, v100
                                        ; implicit-def: $vgpr100
	s_delay_alu instid0(VALU_DEP_1) | instskip(NEXT) | instid1(VALU_DEP_1)
	v_and_b32_e32 v8, 0x80000000, v8
	v_lshl_add_u32 v5, v5, 23, v8
	s_delay_alu instid0(VALU_DEP_1) | instskip(NEXT) | instid1(VALU_DEP_1)
	v_lshl_or_b32 v5, v9, 21, v5
                                        ; implicit-def: $vgpr9
	v_add_nc_u32_e32 v5, 0x38000000, v5
.LBB4_6562:                             ;   in Loop: Header=BB4_5618 Depth=4
	s_and_not1_saveexec_b32 s77, s77
; %bb.6563:                             ;   in Loop: Header=BB4_5618 Depth=4
	v_cmp_lt_i16_e32 vcc_lo, -1, v100
	v_cndmask_b32_e32 v5, 0xff800000, v48, vcc_lo
	v_cmp_eq_u32_e32 vcc_lo, 0, v9
	s_delay_alu instid0(VALU_DEP_2)
	v_cndmask_b32_e32 v5, 0x7f800001, v5, vcc_lo
; %bb.6564:                             ;   in Loop: Header=BB4_5618 Depth=4
	s_or_b32 exec_lo, exec_lo, s77
.LBB4_6565:                             ;   in Loop: Header=BB4_5618 Depth=4
	s_delay_alu instid0(SALU_CYCLE_1)
	s_or_b32 exec_lo, exec_lo, s76
.LBB4_6566:                             ;   in Loop: Header=BB4_5618 Depth=4
	s_delay_alu instid0(SALU_CYCLE_1) | instskip(SKIP_3) | instid1(VALU_DEP_1)
	s_or_b32 exec_lo, exec_lo, s14
	v_lshrrev_b16 v8, 8, v4
	s_mov_b32 s76, 0
	s_mov_b32 s14, exec_lo
	v_cmpx_lt_i16_e32 0x7f, v8
	s_xor_b32 s14, exec_lo, s14
	s_cbranch_execz .LBB4_6677
; %bb.6567:                             ;   in Loop: Header=BB4_5618 Depth=4
	s_mov_b32 s76, -1
	s_mov_b32 s77, exec_lo
	v_cmpx_eq_u16_e32 0x80, v8
; %bb.6568:                             ;   in Loop: Header=BB4_5618 Depth=4
	s_xor_b32 s76, exec_lo, -1
; %bb.6569:                             ;   in Loop: Header=BB4_5618 Depth=4
	s_or_b32 exec_lo, exec_lo, s77
	s_delay_alu instid0(SALU_CYCLE_1)
	s_and_b32 s76, s76, exec_lo
	s_or_saveexec_b32 s14, s14
	v_bfrev_b32_e32 v9, 1
	s_xor_b32 exec_lo, exec_lo, s14
	s_cbranch_execnz .LBB4_6678
.LBB4_6570:                             ;   in Loop: Header=BB4_5618 Depth=4
	s_or_b32 exec_lo, exec_lo, s14
	s_and_saveexec_b32 s14, s76
	s_cbranch_execz .LBB4_6572
.LBB4_6571:                             ;   in Loop: Header=BB4_5618 Depth=4
	v_and_b32_e32 v17, 0xffff, v8
	s_delay_alu instid0(VALU_DEP_1) | instskip(NEXT) | instid1(VALU_DEP_1)
	v_and_b32_e32 v65, 3, v17
	v_clz_i32_u32_e32 v9, v65
	s_delay_alu instid0(VALU_DEP_1) | instskip(SKIP_1) | instid1(VALU_DEP_2)
	v_min_u32_e32 v96, 32, v9
	v_mov_b32_e32 v9, v3
	v_subrev_nc_u32_e32 v86, 29, v96
	s_delay_alu instid0(VALU_DEP_1) | instskip(SKIP_2) | instid1(VALU_DEP_2)
	v_lshlrev_b64_e32 v[86:87], v86, v[8:9]
	v_bfe_u32 v9, v17, 2, 5
	v_lshlrev_b32_e32 v8, 24, v8
	v_cmp_eq_u32_e32 vcc_lo, 0, v9
	s_delay_alu instid0(VALU_DEP_4) | instskip(NEXT) | instid1(VALU_DEP_3)
	v_dual_sub_nc_u32 v87, 30, v96 :: v_dual_bitop2_b32 v86, 3, v86 bitop3:0x40
	v_and_b32_e32 v8, 0x80000000, v8
	s_delay_alu instid0(VALU_DEP_2) | instskip(NEXT) | instid1(VALU_DEP_3)
	v_cndmask_b32_e32 v86, v65, v86, vcc_lo
	v_cndmask_b32_e32 v9, v9, v87, vcc_lo
	v_cmp_lt_i16_e32 vcc_lo, -1, v4
	s_delay_alu instid0(VALU_DEP_2) | instskip(SKIP_3) | instid1(VALU_DEP_4)
	v_lshl_add_u32 v8, v9, 23, v8
	v_cndmask_b32_e32 v4, 0xff800000, v48, vcc_lo
	v_and_b32_e32 v9, 0x7c, v17
	v_cmp_eq_u32_e32 vcc_lo, 0, v65
	v_lshl_or_b32 v8, v86, 21, v8
	s_delay_alu instid0(VALU_DEP_4) | instskip(NEXT) | instid1(VALU_DEP_4)
	v_cndmask_b32_e32 v4, 0x7f800001, v4, vcc_lo
	v_cmp_eq_u32_e32 vcc_lo, 0x7c, v9
	s_delay_alu instid0(VALU_DEP_3) | instskip(NEXT) | instid1(VALU_DEP_1)
	v_add_nc_u32_e32 v8, 0x38000000, v8
	v_cndmask_b32_e32 v9, v8, v4, vcc_lo
.LBB4_6572:                             ;   in Loop: Header=BB4_5618 Depth=4
	s_or_b32 exec_lo, exec_lo, s14
	s_delay_alu instid0(VALU_DEP_1) | instskip(SKIP_2) | instid1(VALU_DEP_2)
	v_dual_add_f32 v8, v5, v9 :: v_dual_mov_b32 v87, v3
	v_mov_b32_e32 v5, v3
                                        ; implicit-def: $vgpr17
	s_mov_b32 s14, exec_lo
	v_and_b32_e32 v86, 0x7f800000, v8
	v_and_b32_e32 v4, 0x7fffff, v8
	v_lshrrev_b32_e32 v9, 24, v8
	s_delay_alu instid0(VALU_DEP_3)
	v_cmpx_ne_u64_e32 0x7f800000, v[86:87]
	s_xor_b32 s76, exec_lo, s14
	s_cbranch_execz .LBB4_6586
; %bb.6573:                             ;   in Loop: Header=BB4_5618 Depth=4
	v_and_b32_e32 v86, 0x7fffffff, v8
	v_mov_b32_e32 v87, v3
	v_and_b32_e32 v65, 0x80, v9
                                        ; implicit-def: $vgpr17
	s_mov_b32 s14, exec_lo
	s_delay_alu instid0(VALU_DEP_2)
	v_cmpx_gt_u64_e32 0x47600001, v[86:87]
	s_xor_b32 s77, exec_lo, s14
	s_cbranch_execz .LBB4_6583
; %bb.6574:                             ;   in Loop: Header=BB4_5618 Depth=4
	v_mov_b32_e32 v17, 0
	s_mov_b32 s78, exec_lo
	v_cmpx_ne_u32_e32 0, v8
	s_cbranch_execz .LBB4_6582
; %bb.6575:                             ;   in Loop: Header=BB4_5618 Depth=4
	v_bfe_u32 v17, v8, 23, 8
	v_or_b32_e32 v87, 0x800000, v4
	s_delay_alu instid0(VALU_DEP_2) | instskip(SKIP_1) | instid1(VALU_DEP_2)
	v_sub_nc_u32_e32 v8, 0x71, v17
	v_cmp_gt_u32_e32 vcc_lo, 0x72, v17
	v_cndmask_b32_e32 v8, 0, v8, vcc_lo
	v_cmp_eq_u32_e32 vcc_lo, 0, v17
	s_delay_alu instid0(VALU_DEP_2) | instskip(NEXT) | instid1(VALU_DEP_1)
	v_cndmask_b32_e64 v86, v8, 0x70, vcc_lo
	v_dual_cndmask_b32 v4, v87, v4, vcc_lo :: v_dual_add_nc_u32 v8, 21, v86
	v_add_nc_u32_e32 v96, 20, v86
	s_delay_alu instid0(VALU_DEP_2) | instskip(NEXT) | instid1(VALU_DEP_2)
	v_lshlrev_b64_e64 v[8:9], v8, -1
	v_lshlrev_b64_e64 v[96:97], v96, 1
	s_delay_alu instid0(VALU_DEP_2) | instskip(SKIP_1) | instid1(VALU_DEP_4)
	v_bfi_b32 v8, v8, 0, v4
	v_lshrrev_b64 v[4:5], v86, v[4:5]
	v_bfi_b32 v9, v9, 0, 0
	s_delay_alu instid0(VALU_DEP_1) | instskip(NEXT) | instid1(VALU_DEP_3)
	v_cmp_eq_u64_e64 s14, v[8:9], v[96:97]
	v_mov_b64_e32 v[8:9], v[4:5]
	s_and_saveexec_b32 s79, s14
; %bb.6576:                             ;   in Loop: Header=BB4_5618 Depth=4
	v_bfe_u32 v8, v4, 21, 1
	v_mov_b32_e32 v9, v3
	s_delay_alu instid0(VALU_DEP_1) | instskip(NEXT) | instid1(VALU_DEP_1)
	v_add_nc_u64_e32 v[8:9], v[4:5], v[8:9]
	v_add_nc_u64_e32 v[8:9], -1, v[8:9]
; %bb.6577:                             ;   in Loop: Header=BB4_5618 Depth=4
	s_or_b32 exec_lo, exec_lo, s79
	v_add_nc_u32_e32 v5, 0xffffff81, v17
	v_lshrrev_b32_e32 v9, 23, v4
	s_mov_b32 s14, exec_lo
	s_delay_alu instid0(VALU_DEP_2) | instskip(NEXT) | instid1(VALU_DEP_1)
	v_cndmask_b32_e64 v5, v5, 0xffffff82, vcc_lo
	v_add3_u32 v9, v86, v5, v9
	v_and_b32_e32 v5, 0x1fffff, v8
                                        ; implicit-def: $vgpr8
	s_delay_alu instid0(VALU_DEP_1) | instskip(SKIP_1) | instid1(VALU_DEP_2)
	v_dual_add_nc_u32 v17, 14, v9 :: v_dual_add_nc_u32 v4, v5, v4
	v_mov_b32_e32 v5, v3
	v_cmpx_ne_u32_e32 0, v17
	s_xor_b32 s14, exec_lo, s14
; %bb.6578:                             ;   in Loop: Header=BB4_5618 Depth=4
	s_delay_alu instid0(VALU_DEP_2) | instskip(SKIP_2) | instid1(VALU_DEP_2)
	v_cmp_lt_u64_e32 vcc_lo, 0xffffff, v[4:5]
	v_add_nc_u32_e32 v8, 15, v9
	v_cndmask_b32_e64 v9, 0, 1, vcc_lo
	v_cndmask_b32_e32 v8, v17, v8, vcc_lo
	s_delay_alu instid0(VALU_DEP_2)
	v_lshrrev_b64 v[4:5], v9, v[4:5]
; %bb.6579:                             ;   in Loop: Header=BB4_5618 Depth=4
	s_and_not1_saveexec_b32 s14, s14
; %bb.6580:                             ;   in Loop: Header=BB4_5618 Depth=4
	s_delay_alu instid0(VALU_DEP_1)
	v_bfe_u32 v8, v4, 23, 1
; %bb.6581:                             ;   in Loop: Header=BB4_5618 Depth=4
	s_or_b32 exec_lo, exec_lo, s14
	s_delay_alu instid0(VALU_DEP_2) | instskip(NEXT) | instid1(VALU_DEP_2)
	v_lshrrev_b64 v[4:5], 21, v[4:5]
	v_cmp_gt_i32_e32 vcc_lo, 32, v8
	v_min_i32_e32 v9, 31, v8
	v_cmp_eq_u32_e64 s14, 0, v8
	s_delay_alu instid0(VALU_DEP_4) | instskip(NEXT) | instid1(VALU_DEP_3)
	v_cndmask_b32_e32 v5, 0, v5, vcc_lo
	v_dual_cndmask_b32 v4, 3, v4 :: v_dual_lshlrev_b32 v9, 2, v9
	s_delay_alu instid0(VALU_DEP_1) | instskip(NEXT) | instid1(VALU_DEP_2)
	v_and_b32_e32 v9, 0xfc, v9
	v_cmp_eq_u64_e32 vcc_lo, 0, v[4:5]
	s_delay_alu instid0(VALU_DEP_2)
	v_and_or_b32 v4, v4, 3, v9
	s_and_b32 s14, s14, vcc_lo
	s_delay_alu instid0(VALU_DEP_1) | instid1(SALU_CYCLE_1)
	v_cndmask_b32_e64 v4, v4, 0, s14
	s_delay_alu instid0(VALU_DEP_1)
	v_or_b32_e32 v17, v4, v65
.LBB4_6582:                             ;   in Loop: Header=BB4_5618 Depth=4
	s_or_b32 exec_lo, exec_lo, s78
                                        ; implicit-def: $vgpr65
.LBB4_6583:                             ;   in Loop: Header=BB4_5618 Depth=4
	s_and_not1_saveexec_b32 s14, s77
; %bb.6584:                             ;   in Loop: Header=BB4_5618 Depth=4
	v_or_b32_e32 v17, 0x7b, v65
; %bb.6585:                             ;   in Loop: Header=BB4_5618 Depth=4
	s_or_b32 exec_lo, exec_lo, s14
                                        ; implicit-def: $vgpr8
                                        ; implicit-def: $vgpr4_vgpr5
                                        ; implicit-def: $vgpr9
.LBB4_6586:                             ;   in Loop: Header=BB4_5618 Depth=4
	s_and_not1_saveexec_b32 s14, s76
	s_cbranch_execz .LBB4_6592
; %bb.6587:                             ;   in Loop: Header=BB4_5618 Depth=4
	s_mov_b32 s76, exec_lo
                                        ; implicit-def: $vgpr17
	v_cmpx_ne_u64_e32 0, v[4:5]
	s_xor_b32 s76, exec_lo, s76
; %bb.6588:                             ;   in Loop: Header=BB4_5618 Depth=4
	v_or_b32_e32 v17, 0x7f, v9
                                        ; implicit-def: $vgpr8
; %bb.6589:                             ;   in Loop: Header=BB4_5618 Depth=4
	s_and_not1_saveexec_b32 s76, s76
; %bb.6590:                             ;   in Loop: Header=BB4_5618 Depth=4
	v_cmp_lt_i32_e32 vcc_lo, -1, v8
	v_cndmask_b32_e32 v17, 0xfc, v49, vcc_lo
; %bb.6591:                             ;   in Loop: Header=BB4_5618 Depth=4
	s_or_b32 exec_lo, exec_lo, s76
.LBB4_6592:                             ;   in Loop: Header=BB4_5618 Depth=4
	s_delay_alu instid0(SALU_CYCLE_1) | instskip(SKIP_2) | instid1(VALU_DEP_1)
	s_or_b32 exec_lo, exec_lo, s14
	v_dual_mov_b32 v5, 0 :: v_dual_lshrrev_b32 v4, 16, v2
	s_mov_b32 s14, exec_lo
	v_and_b32_e32 v8, 0xff, v4
	s_delay_alu instid0(VALU_DEP_1)
	v_cmpx_ne_u16_e32 0, v8
	s_cbranch_execz .LBB4_6602
; %bb.6593:                             ;   in Loop: Header=BB4_5618 Depth=4
	v_bfrev_b32_e32 v5, 1
	s_mov_b32 s76, exec_lo
	v_cmpx_ne_u16_e32 0x80, v8
	s_cbranch_execz .LBB4_6601
; %bb.6594:                             ;   in Loop: Header=BB4_5618 Depth=4
	v_and_b32_e32 v5, 0x7c0000, v2
	v_bfe_u32 v8, v2, 16, 2
	s_delay_alu instid0(VALU_DEP_2) | instskip(SKIP_1) | instid1(SALU_CYCLE_1)
	v_cmp_ne_u32_e32 vcc_lo, 0x7c0000, v5
                                        ; implicit-def: $vgpr5
	s_and_saveexec_b32 s77, vcc_lo
	s_xor_b32 s77, exec_lo, s77
	s_cbranch_execz .LBB4_6598
; %bb.6595:                             ;   in Loop: Header=BB4_5618 Depth=4
	v_bfe_u32 v5, v2, 18, 5
	s_mov_b32 s78, exec_lo
	s_delay_alu instid0(VALU_DEP_1)
	v_cmpx_eq_u32_e32 0, v5
; %bb.6596:                             ;   in Loop: Header=BB4_5618 Depth=4
	v_clz_i32_u32_e32 v5, v8
	s_delay_alu instid0(VALU_DEP_1) | instskip(NEXT) | instid1(VALU_DEP_1)
	v_min_u32_e32 v5, 32, v5
	v_subrev_nc_u32_e32 v8, 29, v5
	s_delay_alu instid0(VALU_DEP_1) | instskip(NEXT) | instid1(VALU_DEP_1)
	v_lshlrev_b64_e32 v[8:9], v8, v[4:5]
	v_dual_sub_nc_u32 v5, 30, v5 :: v_dual_bitop2_b32 v8, 3, v8 bitop3:0x40
; %bb.6597:                             ;   in Loop: Header=BB4_5618 Depth=4
	s_or_b32 exec_lo, exec_lo, s78
	v_lshlrev_b32_e32 v4, 24, v4
	s_delay_alu instid0(VALU_DEP_1) | instskip(NEXT) | instid1(VALU_DEP_1)
	v_and_b32_e32 v4, 0x80000000, v4
	v_lshl_add_u32 v4, v5, 23, v4
	s_delay_alu instid0(VALU_DEP_1) | instskip(NEXT) | instid1(VALU_DEP_1)
	v_lshl_or_b32 v4, v8, 21, v4
                                        ; implicit-def: $vgpr8
	v_add_nc_u32_e32 v5, 0x38000000, v4
                                        ; implicit-def: $vgpr4
.LBB4_6598:                             ;   in Loop: Header=BB4_5618 Depth=4
	s_and_not1_saveexec_b32 s77, s77
; %bb.6599:                             ;   in Loop: Header=BB4_5618 Depth=4
	v_bfe_i32 v4, v4, 0, 8
	s_delay_alu instid0(VALU_DEP_1) | instskip(SKIP_2) | instid1(VALU_DEP_2)
	v_cmp_lt_i16_e32 vcc_lo, -1, v4
	v_cndmask_b32_e32 v4, 0xff800000, v48, vcc_lo
	v_cmp_eq_u32_e32 vcc_lo, 0, v8
	v_cndmask_b32_e32 v5, 0x7f800001, v4, vcc_lo
; %bb.6600:                             ;   in Loop: Header=BB4_5618 Depth=4
	s_or_b32 exec_lo, exec_lo, s77
.LBB4_6601:                             ;   in Loop: Header=BB4_5618 Depth=4
	s_delay_alu instid0(SALU_CYCLE_1)
	s_or_b32 exec_lo, exec_lo, s76
.LBB4_6602:                             ;   in Loop: Header=BB4_5618 Depth=4
	s_delay_alu instid0(SALU_CYCLE_1) | instskip(SKIP_3) | instid1(VALU_DEP_1)
	s_or_b32 exec_lo, exec_lo, s14
	v_lshrrev_b32_e32 v4, 16, v11
	s_mov_b32 s76, 0
	s_mov_b32 s14, exec_lo
	v_and_b32_e32 v9, 0xff, v4
	s_delay_alu instid0(VALU_DEP_1)
	v_cmpx_lt_i16_e32 0x7f, v9
	s_xor_b32 s14, exec_lo, s14
	s_cbranch_execz .LBB4_6679
; %bb.6603:                             ;   in Loop: Header=BB4_5618 Depth=4
	s_mov_b32 s76, -1
	s_mov_b32 s77, exec_lo
	v_cmpx_eq_u16_e32 0x80, v9
; %bb.6604:                             ;   in Loop: Header=BB4_5618 Depth=4
	s_xor_b32 s76, exec_lo, -1
; %bb.6605:                             ;   in Loop: Header=BB4_5618 Depth=4
	s_or_b32 exec_lo, exec_lo, s77
	s_delay_alu instid0(SALU_CYCLE_1)
	s_and_b32 s76, s76, exec_lo
                                        ; implicit-def: $vgpr9
	s_or_saveexec_b32 s14, s14
	v_bfrev_b32_e32 v8, 1
	s_xor_b32 exec_lo, exec_lo, s14
	s_cbranch_execnz .LBB4_6680
.LBB4_6606:                             ;   in Loop: Header=BB4_5618 Depth=4
	s_or_b32 exec_lo, exec_lo, s14
	s_and_saveexec_b32 s14, s76
	s_cbranch_execz .LBB4_6608
.LBB4_6607:                             ;   in Loop: Header=BB4_5618 Depth=4
	v_and_b32_e32 v65, 3, v4
	v_bfe_u32 v87, v11, 18, 5
	s_delay_alu instid0(VALU_DEP_2) | instskip(NEXT) | instid1(VALU_DEP_2)
	v_clz_i32_u32_e32 v8, v65
	v_cmp_eq_u32_e32 vcc_lo, 0, v87
	s_delay_alu instid0(VALU_DEP_2) | instskip(NEXT) | instid1(VALU_DEP_1)
	v_min_u32_e32 v86, 32, v8
	v_subrev_nc_u32_e32 v8, 29, v86
	s_delay_alu instid0(VALU_DEP_1) | instskip(SKIP_2) | instid1(VALU_DEP_2)
	v_lshlrev_b64_e32 v[8:9], v8, v[4:5]
	v_dual_lshlrev_b32 v9, 24, v4 :: v_dual_sub_nc_u32 v86, 30, v86
	v_bfe_i32 v4, v4, 0, 8
	v_and_b32_e32 v9, 0x80000000, v9
	s_delay_alu instid0(VALU_DEP_3) | instskip(NEXT) | instid1(VALU_DEP_1)
	v_dual_cndmask_b32 v86, v87, v86, vcc_lo :: v_dual_bitop2_b32 v8, 3, v8 bitop3:0x40
	v_cndmask_b32_e32 v8, v65, v8, vcc_lo
	s_delay_alu instid0(VALU_DEP_2) | instskip(SKIP_1) | instid1(VALU_DEP_2)
	v_lshl_add_u32 v9, v86, 23, v9
	v_cmp_lt_i16_e32 vcc_lo, -1, v4
	v_lshl_or_b32 v8, v8, 21, v9
	v_cndmask_b32_e32 v4, 0xff800000, v48, vcc_lo
	v_and_b32_e32 v9, 0x7c0000, v11
	v_cmp_eq_u32_e32 vcc_lo, 0, v65
	s_delay_alu instid0(VALU_DEP_4) | instskip(NEXT) | instid1(VALU_DEP_4)
	v_add_nc_u32_e32 v8, 0x38000000, v8
	v_cndmask_b32_e32 v4, 0x7f800001, v4, vcc_lo
	s_delay_alu instid0(VALU_DEP_4) | instskip(NEXT) | instid1(VALU_DEP_2)
	v_cmp_eq_u32_e32 vcc_lo, 0x7c0000, v9
	v_cndmask_b32_e32 v8, v8, v4, vcc_lo
.LBB4_6608:                             ;   in Loop: Header=BB4_5618 Depth=4
	s_or_b32 exec_lo, exec_lo, s14
	s_delay_alu instid0(VALU_DEP_1) | instskip(SKIP_2) | instid1(VALU_DEP_2)
	v_dual_add_f32 v8, v5, v8 :: v_dual_mov_b32 v87, v3
	v_mov_b32_e32 v5, v3
                                        ; implicit-def: $vgpr65
	s_mov_b32 s14, exec_lo
	v_and_b32_e32 v86, 0x7f800000, v8
	v_and_b32_e32 v4, 0x7fffff, v8
	v_lshrrev_b32_e32 v9, 24, v8
	s_delay_alu instid0(VALU_DEP_3)
	v_cmpx_ne_u64_e32 0x7f800000, v[86:87]
	s_xor_b32 s76, exec_lo, s14
	s_cbranch_execz .LBB4_6622
; %bb.6609:                             ;   in Loop: Header=BB4_5618 Depth=4
	v_and_b32_e32 v86, 0x7fffffff, v8
	v_mov_b32_e32 v87, v3
	v_and_b32_e32 v100, 0x80, v9
                                        ; implicit-def: $vgpr65
	s_mov_b32 s14, exec_lo
	s_delay_alu instid0(VALU_DEP_2)
	v_cmpx_gt_u64_e32 0x47600001, v[86:87]
	s_xor_b32 s77, exec_lo, s14
	s_cbranch_execz .LBB4_6619
; %bb.6610:                             ;   in Loop: Header=BB4_5618 Depth=4
	v_mov_b32_e32 v65, 0
	s_mov_b32 s78, exec_lo
	v_cmpx_ne_u32_e32 0, v8
	s_cbranch_execz .LBB4_6618
; %bb.6611:                             ;   in Loop: Header=BB4_5618 Depth=4
	v_bfe_u32 v65, v8, 23, 8
	v_or_b32_e32 v87, 0x800000, v4
	s_delay_alu instid0(VALU_DEP_2) | instskip(SKIP_1) | instid1(VALU_DEP_2)
	v_sub_nc_u32_e32 v8, 0x71, v65
	v_cmp_gt_u32_e32 vcc_lo, 0x72, v65
	v_cndmask_b32_e32 v8, 0, v8, vcc_lo
	v_cmp_eq_u32_e32 vcc_lo, 0, v65
	s_delay_alu instid0(VALU_DEP_2) | instskip(NEXT) | instid1(VALU_DEP_1)
	v_cndmask_b32_e64 v86, v8, 0x70, vcc_lo
	v_dual_cndmask_b32 v4, v87, v4, vcc_lo :: v_dual_add_nc_u32 v8, 21, v86
	v_add_nc_u32_e32 v96, 20, v86
	s_delay_alu instid0(VALU_DEP_2) | instskip(NEXT) | instid1(VALU_DEP_2)
	v_lshlrev_b64_e64 v[8:9], v8, -1
	v_lshlrev_b64_e64 v[96:97], v96, 1
	s_delay_alu instid0(VALU_DEP_2) | instskip(SKIP_1) | instid1(VALU_DEP_4)
	v_bfi_b32 v8, v8, 0, v4
	v_lshrrev_b64 v[4:5], v86, v[4:5]
	v_bfi_b32 v9, v9, 0, 0
	s_delay_alu instid0(VALU_DEP_1) | instskip(NEXT) | instid1(VALU_DEP_3)
	v_cmp_eq_u64_e64 s14, v[8:9], v[96:97]
	v_mov_b64_e32 v[8:9], v[4:5]
	s_and_saveexec_b32 s79, s14
; %bb.6612:                             ;   in Loop: Header=BB4_5618 Depth=4
	v_bfe_u32 v8, v4, 21, 1
	v_mov_b32_e32 v9, v3
	s_delay_alu instid0(VALU_DEP_1) | instskip(NEXT) | instid1(VALU_DEP_1)
	v_add_nc_u64_e32 v[8:9], v[4:5], v[8:9]
	v_add_nc_u64_e32 v[8:9], -1, v[8:9]
; %bb.6613:                             ;   in Loop: Header=BB4_5618 Depth=4
	s_or_b32 exec_lo, exec_lo, s79
	v_add_nc_u32_e32 v5, 0xffffff81, v65
	v_lshrrev_b32_e32 v9, 23, v4
	s_mov_b32 s14, exec_lo
	s_delay_alu instid0(VALU_DEP_2) | instskip(NEXT) | instid1(VALU_DEP_1)
	v_cndmask_b32_e64 v5, v5, 0xffffff82, vcc_lo
	v_add3_u32 v9, v86, v5, v9
	v_and_b32_e32 v5, 0x1fffff, v8
                                        ; implicit-def: $vgpr8
	s_delay_alu instid0(VALU_DEP_1) | instskip(SKIP_1) | instid1(VALU_DEP_2)
	v_dual_add_nc_u32 v65, 14, v9 :: v_dual_add_nc_u32 v4, v5, v4
	v_mov_b32_e32 v5, v3
	v_cmpx_ne_u32_e32 0, v65
	s_xor_b32 s14, exec_lo, s14
; %bb.6614:                             ;   in Loop: Header=BB4_5618 Depth=4
	s_delay_alu instid0(VALU_DEP_2) | instskip(SKIP_2) | instid1(VALU_DEP_2)
	v_cmp_lt_u64_e32 vcc_lo, 0xffffff, v[4:5]
	v_add_nc_u32_e32 v8, 15, v9
	v_cndmask_b32_e64 v9, 0, 1, vcc_lo
	v_cndmask_b32_e32 v8, v65, v8, vcc_lo
	s_delay_alu instid0(VALU_DEP_2)
	v_lshrrev_b64 v[4:5], v9, v[4:5]
; %bb.6615:                             ;   in Loop: Header=BB4_5618 Depth=4
	s_and_not1_saveexec_b32 s14, s14
; %bb.6616:                             ;   in Loop: Header=BB4_5618 Depth=4
	s_delay_alu instid0(VALU_DEP_1)
	v_bfe_u32 v8, v4, 23, 1
; %bb.6617:                             ;   in Loop: Header=BB4_5618 Depth=4
	s_or_b32 exec_lo, exec_lo, s14
	s_delay_alu instid0(VALU_DEP_2) | instskip(NEXT) | instid1(VALU_DEP_2)
	v_lshrrev_b64 v[4:5], 21, v[4:5]
	v_cmp_gt_i32_e32 vcc_lo, 32, v8
	v_min_i32_e32 v9, 31, v8
	v_cmp_eq_u32_e64 s14, 0, v8
	s_delay_alu instid0(VALU_DEP_4) | instskip(NEXT) | instid1(VALU_DEP_3)
	v_cndmask_b32_e32 v5, 0, v5, vcc_lo
	v_dual_cndmask_b32 v4, 3, v4 :: v_dual_lshlrev_b32 v9, 2, v9
	s_delay_alu instid0(VALU_DEP_1) | instskip(NEXT) | instid1(VALU_DEP_2)
	v_and_b32_e32 v9, 0xfc, v9
	v_cmp_eq_u64_e32 vcc_lo, 0, v[4:5]
	s_delay_alu instid0(VALU_DEP_2)
	v_and_or_b32 v4, v4, 3, v9
	s_and_b32 s14, s14, vcc_lo
	s_delay_alu instid0(VALU_DEP_1) | instid1(SALU_CYCLE_1)
	v_cndmask_b32_e64 v4, v4, 0, s14
	s_delay_alu instid0(VALU_DEP_1)
	v_or_b32_e32 v65, v4, v100
.LBB4_6618:                             ;   in Loop: Header=BB4_5618 Depth=4
	s_or_b32 exec_lo, exec_lo, s78
                                        ; implicit-def: $vgpr100
.LBB4_6619:                             ;   in Loop: Header=BB4_5618 Depth=4
	s_and_not1_saveexec_b32 s14, s77
; %bb.6620:                             ;   in Loop: Header=BB4_5618 Depth=4
	v_or_b32_e32 v65, 0x7b, v100
; %bb.6621:                             ;   in Loop: Header=BB4_5618 Depth=4
	s_or_b32 exec_lo, exec_lo, s14
                                        ; implicit-def: $vgpr8
                                        ; implicit-def: $vgpr4_vgpr5
                                        ; implicit-def: $vgpr9
.LBB4_6622:                             ;   in Loop: Header=BB4_5618 Depth=4
	s_and_not1_saveexec_b32 s14, s76
	s_cbranch_execz .LBB4_6628
; %bb.6623:                             ;   in Loop: Header=BB4_5618 Depth=4
	s_mov_b32 s76, exec_lo
                                        ; implicit-def: $vgpr65
	v_cmpx_ne_u64_e32 0, v[4:5]
	s_xor_b32 s76, exec_lo, s76
; %bb.6624:                             ;   in Loop: Header=BB4_5618 Depth=4
	v_or_b32_e32 v65, 0x7f, v9
                                        ; implicit-def: $vgpr8
; %bb.6625:                             ;   in Loop: Header=BB4_5618 Depth=4
	s_and_not1_saveexec_b32 s76, s76
; %bb.6626:                             ;   in Loop: Header=BB4_5618 Depth=4
	v_cmp_lt_i32_e32 vcc_lo, -1, v8
	v_cndmask_b32_e32 v65, 0xfc, v49, vcc_lo
; %bb.6627:                             ;   in Loop: Header=BB4_5618 Depth=4
	s_or_b32 exec_lo, exec_lo, s76
.LBB4_6628:                             ;   in Loop: Header=BB4_5618 Depth=4
	s_delay_alu instid0(SALU_CYCLE_1)
	s_or_b32 exec_lo, exec_lo, s14
	v_mov_b32_e32 v5, 0
	s_mov_b32 s14, exec_lo
	v_cmpx_lt_u32_e32 0xffffff, v2
	s_cbranch_execz .LBB4_6638
; %bb.6629:                             ;   in Loop: Header=BB4_5618 Depth=4
	v_lshrrev_b32_e32 v4, 24, v2
	v_bfrev_b32_e32 v5, 1
	s_mov_b32 s76, exec_lo
	s_delay_alu instid0(VALU_DEP_2)
	v_cmpx_ne_u32_e32 0x80, v4
	s_cbranch_execz .LBB4_6637
; %bb.6630:                             ;   in Loop: Header=BB4_5618 Depth=4
	v_and_b32_e32 v5, 0x7c000000, v2
	v_bfe_u32 v8, v2, 24, 2
	s_delay_alu instid0(VALU_DEP_2) | instskip(SKIP_1) | instid1(SALU_CYCLE_1)
	v_cmp_ne_u32_e32 vcc_lo, 0x7c000000, v5
                                        ; implicit-def: $vgpr5
	s_and_saveexec_b32 s77, vcc_lo
	s_xor_b32 s77, exec_lo, s77
	s_cbranch_execz .LBB4_6634
; %bb.6631:                             ;   in Loop: Header=BB4_5618 Depth=4
	v_bfe_u32 v5, v2, 26, 5
	s_mov_b32 s78, exec_lo
	s_delay_alu instid0(VALU_DEP_1)
	v_cmpx_eq_u32_e32 0, v5
; %bb.6632:                             ;   in Loop: Header=BB4_5618 Depth=4
	v_clz_i32_u32_e32 v5, v8
	s_delay_alu instid0(VALU_DEP_1) | instskip(NEXT) | instid1(VALU_DEP_1)
	v_min_u32_e32 v8, 32, v5
	v_subrev_nc_u32_e32 v5, 29, v8
	s_delay_alu instid0(VALU_DEP_1) | instskip(SKIP_1) | instid1(VALU_DEP_2)
	v_lshlrev_b64_e32 v[4:5], v5, v[4:5]
	v_sub_nc_u32_e32 v5, 30, v8
	v_and_b32_e32 v8, 3, v4
; %bb.6633:                             ;   in Loop: Header=BB4_5618 Depth=4
	s_or_b32 exec_lo, exec_lo, s78
	v_and_b32_e32 v2, 0x80000000, v2
	s_delay_alu instid0(VALU_DEP_1) | instskip(NEXT) | instid1(VALU_DEP_1)
	v_lshl_add_u32 v2, v5, 23, v2
	v_lshl_or_b32 v2, v8, 21, v2
                                        ; implicit-def: $vgpr8
	s_delay_alu instid0(VALU_DEP_1)
	v_add_nc_u32_e32 v5, 0x38000000, v2
.LBB4_6634:                             ;   in Loop: Header=BB4_5618 Depth=4
	s_and_not1_saveexec_b32 s77, s77
; %bb.6635:                             ;   in Loop: Header=BB4_5618 Depth=4
	v_cmp_lt_i32_e32 vcc_lo, -1, v2
	v_cndmask_b32_e32 v2, 0xff800000, v48, vcc_lo
	v_cmp_eq_u32_e32 vcc_lo, 0, v8
	s_delay_alu instid0(VALU_DEP_2)
	v_cndmask_b32_e32 v5, 0x7f800001, v2, vcc_lo
; %bb.6636:                             ;   in Loop: Header=BB4_5618 Depth=4
	s_or_b32 exec_lo, exec_lo, s77
.LBB4_6637:                             ;   in Loop: Header=BB4_5618 Depth=4
	s_delay_alu instid0(SALU_CYCLE_1)
	s_or_b32 exec_lo, exec_lo, s76
.LBB4_6638:                             ;   in Loop: Header=BB4_5618 Depth=4
	s_delay_alu instid0(SALU_CYCLE_1) | instskip(SKIP_2) | instid1(VALU_DEP_2)
	s_or_b32 exec_lo, exec_lo, s14
	v_bfe_u32 v4, v11, 24, 2
	v_bfe_u32 v87, v11, 26, 5
	v_clz_i32_u32_e32 v2, v4
	s_delay_alu instid0(VALU_DEP_2) | instskip(NEXT) | instid1(VALU_DEP_2)
	v_cmp_eq_u32_e32 vcc_lo, 0, v87
	v_min_u32_e32 v86, 32, v2
	v_lshrrev_b32_e32 v2, 24, v11
	s_delay_alu instid0(VALU_DEP_2) | instskip(NEXT) | instid1(VALU_DEP_1)
	v_subrev_nc_u32_e32 v8, 29, v86
	v_lshlrev_b64_e32 v[8:9], v8, v[2:3]
	v_sub_nc_u32_e32 v9, 30, v86
	v_and_b32_e32 v86, 0x80000000, v11
	s_delay_alu instid0(VALU_DEP_2) | instskip(NEXT) | instid1(VALU_DEP_1)
	v_dual_cndmask_b32 v9, v87, v9, vcc_lo :: v_dual_bitop2_b32 v8, 3, v8 bitop3:0x40
	v_lshl_add_u32 v9, v9, 23, v86
	s_delay_alu instid0(VALU_DEP_2) | instskip(SKIP_1) | instid1(VALU_DEP_2)
	v_cndmask_b32_e32 v8, v4, v8, vcc_lo
	v_cmp_lt_i64_e32 vcc_lo, -1, v[10:11]
	v_lshl_or_b32 v8, v8, 21, v9
	v_and_b32_e32 v9, 0x7c000000, v11
	v_cndmask_b32_e32 v86, 0xff800000, v48, vcc_lo
	v_cmp_eq_u32_e32 vcc_lo, 0, v4
	s_delay_alu instid0(VALU_DEP_4) | instskip(NEXT) | instid1(VALU_DEP_3)
	v_add_nc_u32_e32 v8, 0x38000000, v8
	v_cndmask_b32_e32 v4, 0x7f800001, v86, vcc_lo
	v_cmp_eq_u32_e32 vcc_lo, 0x7c000000, v9
	s_delay_alu instid0(VALU_DEP_2) | instskip(SKIP_1) | instid1(VALU_DEP_2)
	v_dual_mov_b32 v9, v3 :: v_dual_cndmask_b32 v4, v8, v4
	v_cmp_ne_u32_e32 vcc_lo, 0x80, v2
	v_cndmask_b32_e32 v2, 0x80000000, v4, vcc_lo
	v_cmp_lt_u64_e32 vcc_lo, s[22:23], v[10:11]
                                        ; implicit-def: $vgpr4
	s_delay_alu instid0(VALU_DEP_2) | instskip(NEXT) | instid1(VALU_DEP_1)
	v_cndmask_b32_e32 v2, 0, v2, vcc_lo
	v_add_f32_e32 v5, v2, v5
	s_delay_alu instid0(VALU_DEP_1) | instskip(SKIP_1) | instid1(VALU_DEP_2)
	v_and_b32_e32 v8, 0x7f800000, v5
	v_and_b32_e32 v2, 0x7fffff, v5
	v_cmp_ne_u64_e32 vcc_lo, 0x7f800000, v[8:9]
	v_lshrrev_b32_e32 v8, 24, v5
	s_and_saveexec_b32 s14, vcc_lo
	s_delay_alu instid0(SALU_CYCLE_1)
	s_xor_b32 s76, exec_lo, s14
	s_cbranch_execz .LBB4_6652
; %bb.6639:                             ;   in Loop: Header=BB4_5618 Depth=4
	v_and_b32_e32 v10, 0x7fffffff, v5
	v_mov_b32_e32 v11, v3
                                        ; implicit-def: $vgpr4
	s_delay_alu instid0(VALU_DEP_1) | instskip(SKIP_2) | instid1(SALU_CYCLE_1)
	v_cmp_gt_u64_e32 vcc_lo, 0x47600001, v[10:11]
	v_and_b32_e32 v10, 0x80, v8
	s_and_saveexec_b32 s14, vcc_lo
	s_xor_b32 s77, exec_lo, s14
	s_cbranch_execz .LBB4_6649
; %bb.6640:                             ;   in Loop: Header=BB4_5618 Depth=4
	v_mov_b32_e32 v4, 0
	s_mov_b32 s78, exec_lo
	v_cmpx_ne_u32_e32 0, v5
	s_cbranch_execz .LBB4_6648
; %bb.6641:                             ;   in Loop: Header=BB4_5618 Depth=4
	v_bfe_u32 v11, v5, 23, 8
	v_or_b32_e32 v8, 0x800000, v2
	s_mov_b32 s79, exec_lo
	s_delay_alu instid0(VALU_DEP_2) | instskip(SKIP_1) | instid1(VALU_DEP_2)
	v_dual_mov_b32 v9, v3 :: v_dual_sub_nc_u32 v4, 0x71, v11
	v_cmp_gt_u32_e32 vcc_lo, 0x72, v11
	v_cndmask_b32_e32 v4, 0, v4, vcc_lo
	v_cmp_eq_u32_e32 vcc_lo, 0, v11
	s_delay_alu instid0(VALU_DEP_2) | instskip(SKIP_1) | instid1(VALU_DEP_2)
	v_cndmask_b32_e64 v86, v4, 0x70, vcc_lo
	v_cndmask_b32_e32 v8, v8, v2, vcc_lo
	v_dual_add_nc_u32 v4, 21, v86 :: v_dual_add_nc_u32 v87, 20, v86
	s_delay_alu instid0(VALU_DEP_1) | instskip(NEXT) | instid1(VALU_DEP_2)
	v_lshlrev_b64_e64 v[4:5], v4, -1
	v_lshlrev_b64_e64 v[96:97], v87, 1
	s_delay_alu instid0(VALU_DEP_2) | instskip(NEXT) | instid1(VALU_DEP_3)
	v_bfi_b32 v59, v5, 0, 0
	v_bfi_b32 v58, v4, 0, v8
	v_lshrrev_b64 v[4:5], v86, v[8:9]
	s_delay_alu instid0(VALU_DEP_1) | instskip(NEXT) | instid1(VALU_DEP_3)
	v_mov_b64_e32 v[8:9], v[4:5]
	v_cmpx_eq_u64_e64 v[58:59], v[96:97]
; %bb.6642:                             ;   in Loop: Header=BB4_5618 Depth=4
	v_bfe_u32 v8, v4, 21, 1
	v_mov_b32_e32 v9, v3
	s_delay_alu instid0(VALU_DEP_1) | instskip(NEXT) | instid1(VALU_DEP_1)
	v_add_nc_u64_e32 v[8:9], v[4:5], v[8:9]
	v_add_nc_u64_e32 v[8:9], -1, v[8:9]
; %bb.6643:                             ;   in Loop: Header=BB4_5618 Depth=4
	s_or_b32 exec_lo, exec_lo, s79
	v_add_nc_u32_e32 v2, 0xffffff81, v11
	v_lshrrev_b32_e32 v5, 23, v4
	s_mov_b32 s14, exec_lo
	s_delay_alu instid0(VALU_DEP_2) | instskip(NEXT) | instid1(VALU_DEP_1)
	v_cndmask_b32_e64 v2, v2, 0xffffff82, vcc_lo
	v_add3_u32 v9, v86, v2, v5
	v_and_b32_e32 v2, 0x1fffff, v8
                                        ; implicit-def: $vgpr8
	s_delay_alu instid0(VALU_DEP_1) | instskip(NEXT) | instid1(VALU_DEP_1)
	v_dual_add_nc_u32 v11, 14, v9 :: v_dual_add_nc_u32 v2, v2, v4
                                        ; implicit-def: $vgpr4_vgpr5
	v_cmpx_ne_u32_e32 0, v11
	s_xor_b32 s14, exec_lo, s14
; %bb.6644:                             ;   in Loop: Header=BB4_5618 Depth=4
	s_delay_alu instid0(VALU_DEP_2) | instskip(SKIP_1) | instid1(VALU_DEP_1)
	v_cmp_lt_u64_e32 vcc_lo, 0xffffff, v[2:3]
	v_add_nc_u32_e32 v4, 15, v9
	v_cndmask_b32_e32 v8, v11, v4, vcc_lo
	v_cndmask_b32_e64 v4, 0, 1, vcc_lo
	s_delay_alu instid0(VALU_DEP_1)
	v_lshrrev_b64 v[4:5], v4, v[2:3]
; %bb.6645:                             ;   in Loop: Header=BB4_5618 Depth=4
	s_and_not1_saveexec_b32 s14, s14
; %bb.6646:                             ;   in Loop: Header=BB4_5618 Depth=4
	v_mov_b64_e32 v[4:5], v[2:3]
	v_bfe_u32 v8, v2, 23, 1
; %bb.6647:                             ;   in Loop: Header=BB4_5618 Depth=4
	s_or_b32 exec_lo, exec_lo, s14
	s_delay_alu instid0(VALU_DEP_2) | instskip(NEXT) | instid1(VALU_DEP_2)
	v_lshrrev_b64 v[4:5], 21, v[4:5]
	v_cmp_gt_i32_e32 vcc_lo, 32, v8
	v_min_i32_e32 v2, 31, v8
	v_cmp_eq_u32_e64 s14, 0, v8
	s_delay_alu instid0(VALU_DEP_2) | instskip(SKIP_1) | instid1(VALU_DEP_2)
	v_dual_cndmask_b32 v5, 0, v5 :: v_dual_lshlrev_b32 v2, 2, v2
	v_cndmask_b32_e32 v4, 3, v4, vcc_lo
	v_and_b32_e32 v2, 0xfc, v2
	s_delay_alu instid0(VALU_DEP_2) | instskip(NEXT) | instid1(VALU_DEP_2)
	v_cmp_eq_u64_e32 vcc_lo, 0, v[4:5]
	v_and_or_b32 v2, v4, 3, v2
	s_and_b32 s14, s14, vcc_lo
	s_delay_alu instid0(VALU_DEP_1) | instid1(SALU_CYCLE_1)
	v_cndmask_b32_e64 v2, v2, 0, s14
	s_delay_alu instid0(VALU_DEP_1)
	v_or_b32_e32 v4, v2, v10
.LBB4_6648:                             ;   in Loop: Header=BB4_5618 Depth=4
	s_or_b32 exec_lo, exec_lo, s78
                                        ; implicit-def: $vgpr10
.LBB4_6649:                             ;   in Loop: Header=BB4_5618 Depth=4
	s_and_not1_saveexec_b32 s14, s77
; %bb.6650:                             ;   in Loop: Header=BB4_5618 Depth=4
	v_or_b32_e32 v4, 0x7b, v10
; %bb.6651:                             ;   in Loop: Header=BB4_5618 Depth=4
	s_or_b32 exec_lo, exec_lo, s14
                                        ; implicit-def: $vgpr5
                                        ; implicit-def: $vgpr8
.LBB4_6652:                             ;   in Loop: Header=BB4_5618 Depth=4
	s_and_not1_saveexec_b32 s14, s76
	s_cbranch_execz .LBB4_5617
; %bb.6653:                             ;   in Loop: Header=BB4_5618 Depth=4
	s_mov_b32 s76, exec_lo
                                        ; implicit-def: $vgpr4
	v_cmpx_ne_u64_e32 0, v[2:3]
	s_xor_b32 s76, exec_lo, s76
; %bb.6654:                             ;   in Loop: Header=BB4_5618 Depth=4
	v_or_b32_e32 v4, 0x7f, v8
                                        ; implicit-def: $vgpr5
; %bb.6655:                             ;   in Loop: Header=BB4_5618 Depth=4
	s_and_not1_saveexec_b32 s76, s76
	s_cbranch_execz .LBB4_5616
; %bb.6656:                             ;   in Loop: Header=BB4_5618 Depth=4
	v_cmp_lt_i32_e32 vcc_lo, -1, v5
	v_cndmask_b32_e32 v4, 0xfc, v49, vcc_lo
	s_branch .LBB4_5616
.LBB4_6657:                             ;   in Loop: Header=BB4_5618 Depth=4
	s_or_saveexec_b32 s14, s14
	v_bfrev_b32_e32 v5, 1
	s_xor_b32 exec_lo, exec_lo, s14
	s_cbranch_execz .LBB4_6120
.LBB4_6658:                             ;   in Loop: Header=BB4_5618 Depth=4
	v_cmp_ne_u16_e32 vcc_lo, 0, v16
	v_mov_b32_e32 v5, 0
	s_and_not1_b32 s76, s76, exec_lo
	s_and_b32 s77, vcc_lo, exec_lo
	s_delay_alu instid0(SALU_CYCLE_1)
	s_or_b32 s76, s76, s77
	s_or_b32 exec_lo, exec_lo, s14
	s_and_saveexec_b32 s14, s76
	s_cbranch_execnz .LBB4_6121
	s_branch .LBB4_6122
.LBB4_6659:                             ;   in Loop: Header=BB4_5618 Depth=4
	s_or_saveexec_b32 s14, s14
	v_bfrev_b32_e32 v5, 1
	s_xor_b32 exec_lo, exec_lo, s14
	s_cbranch_execz .LBB4_6156
.LBB4_6660:                             ;   in Loop: Header=BB4_5618 Depth=4
	v_cmp_ne_u16_e32 vcc_lo, 0, v4
	v_mov_b32_e32 v5, 0
	s_and_not1_b32 s76, s76, exec_lo
	s_and_b32 s77, vcc_lo, exec_lo
	s_delay_alu instid0(SALU_CYCLE_1)
	s_or_b32 s76, s76, s77
	s_or_b32 exec_lo, exec_lo, s14
	s_and_saveexec_b32 s14, s76
	s_cbranch_execnz .LBB4_6157
	s_branch .LBB4_6158
.LBB4_6661:                             ;   in Loop: Header=BB4_5618 Depth=4
	s_or_saveexec_b32 s14, s14
	v_bfrev_b32_e32 v16, 1
	s_xor_b32 exec_lo, exec_lo, s14
	s_cbranch_execz .LBB4_6192
.LBB4_6662:                             ;   in Loop: Header=BB4_5618 Depth=4
	v_cmp_ne_u16_e32 vcc_lo, 0, v17
	v_mov_b32_e32 v16, 0
	s_and_not1_b32 s76, s76, exec_lo
	s_and_b32 s77, vcc_lo, exec_lo
	s_delay_alu instid0(SALU_CYCLE_1)
	s_or_b32 s76, s76, s77
	s_or_b32 exec_lo, exec_lo, s14
	s_and_saveexec_b32 s14, s76
	s_cbranch_execnz .LBB4_6193
	s_branch .LBB4_6194
.LBB4_6663:                             ;   in Loop: Header=BB4_5618 Depth=4
	s_or_saveexec_b32 s14, s14
	v_bfrev_b32_e32 v17, 1
	s_xor_b32 exec_lo, exec_lo, s14
	s_cbranch_execz .LBB4_6258
.LBB4_6664:                             ;   in Loop: Header=BB4_5618 Depth=4
	v_cmp_ne_u16_e32 vcc_lo, 0, v5
	v_mov_b32_e32 v17, 0
	s_and_not1_b32 s76, s76, exec_lo
	s_and_b32 s77, vcc_lo, exec_lo
	s_delay_alu instid0(SALU_CYCLE_1)
	s_or_b32 s76, s76, s77
	s_or_b32 exec_lo, exec_lo, s14
	v_mov_b32_e32 v5, v3
	s_and_saveexec_b32 s14, s76
	s_cbranch_execnz .LBB4_6259
	s_branch .LBB4_6260
.LBB4_6665:                             ;   in Loop: Header=BB4_5618 Depth=4
	s_or_saveexec_b32 s14, s14
	v_bfrev_b32_e32 v17, 1
	s_xor_b32 exec_lo, exec_lo, s14
	s_cbranch_execz .LBB4_6294
.LBB4_6666:                             ;   in Loop: Header=BB4_5618 Depth=4
	v_cmp_ne_u16_e32 vcc_lo, 0, v16
	v_mov_b32_e32 v17, 0
	s_and_not1_b32 s76, s76, exec_lo
	s_and_b32 s77, vcc_lo, exec_lo
	s_delay_alu instid0(SALU_CYCLE_1)
	s_or_b32 s76, s76, s77
	s_or_b32 exec_lo, exec_lo, s14
	s_and_saveexec_b32 s14, s76
	s_cbranch_execnz .LBB4_6295
	s_branch .LBB4_6296
.LBB4_6667:                             ;   in Loop: Header=BB4_5618 Depth=4
	s_or_saveexec_b32 s14, s14
	v_bfrev_b32_e32 v16, 1
	s_xor_b32 exec_lo, exec_lo, s14
	s_cbranch_execz .LBB4_6330
.LBB4_6668:                             ;   in Loop: Header=BB4_5618 Depth=4
	v_cmp_ne_u16_e32 vcc_lo, 0, v17
	v_mov_b32_e32 v16, 0
	s_and_not1_b32 s76, s76, exec_lo
	s_and_b32 s77, vcc_lo, exec_lo
	s_delay_alu instid0(SALU_CYCLE_1)
	s_or_b32 s76, s76, s77
	s_or_b32 exec_lo, exec_lo, s14
	s_and_saveexec_b32 s14, s76
	s_cbranch_execnz .LBB4_6331
	s_branch .LBB4_6332
.LBB4_6669:                             ;   in Loop: Header=BB4_5618 Depth=4
	s_or_saveexec_b32 s14, s14
	v_bfrev_b32_e32 v5, 1
	s_xor_b32 exec_lo, exec_lo, s14
	s_cbranch_execz .LBB4_6396
.LBB4_6670:                             ;   in Loop: Header=BB4_5618 Depth=4
	v_cmp_ne_u16_e32 vcc_lo, 0, v8
	v_mov_b32_e32 v5, 0
	s_and_not1_b32 s76, s76, exec_lo
	s_and_b32 s77, vcc_lo, exec_lo
	s_delay_alu instid0(SALU_CYCLE_1)
	s_or_b32 s76, s76, s77
	s_or_b32 exec_lo, exec_lo, s14
	s_and_saveexec_b32 s14, s76
	s_cbranch_execnz .LBB4_6397
	s_branch .LBB4_6398
.LBB4_6671:                             ;   in Loop: Header=BB4_5618 Depth=4
	s_or_saveexec_b32 s14, s14
	v_bfrev_b32_e32 v5, 1
	s_xor_b32 exec_lo, exec_lo, s14
	s_cbranch_execz .LBB4_6432
.LBB4_6672:                             ;   in Loop: Header=BB4_5618 Depth=4
	v_cmp_ne_u16_e32 vcc_lo, 0, v4
	v_mov_b32_e32 v5, 0
	s_and_not1_b32 s76, s76, exec_lo
	s_and_b32 s77, vcc_lo, exec_lo
	s_delay_alu instid0(SALU_CYCLE_1)
	s_or_b32 s76, s76, s77
	s_or_b32 exec_lo, exec_lo, s14
	s_and_saveexec_b32 s14, s76
	s_cbranch_execnz .LBB4_6433
	s_branch .LBB4_6434
.LBB4_6673:                             ;   in Loop: Header=BB4_5618 Depth=4
	s_or_saveexec_b32 s14, s14
	v_bfrev_b32_e32 v8, 1
	s_xor_b32 exec_lo, exec_lo, s14
	s_cbranch_execz .LBB4_6468
.LBB4_6674:                             ;   in Loop: Header=BB4_5618 Depth=4
	v_cmp_ne_u16_e32 vcc_lo, 0, v9
	v_mov_b32_e32 v8, 0
	s_and_not1_b32 s76, s76, exec_lo
	s_and_b32 s77, vcc_lo, exec_lo
	s_delay_alu instid0(SALU_CYCLE_1)
	s_or_b32 s76, s76, s77
	s_or_b32 exec_lo, exec_lo, s14
	s_and_saveexec_b32 s14, s76
	s_cbranch_execnz .LBB4_6469
	s_branch .LBB4_6470
.LBB4_6675:                             ;   in Loop: Header=BB4_5618 Depth=4
	s_or_saveexec_b32 s14, s14
	v_bfrev_b32_e32 v9, 1
	s_xor_b32 exec_lo, exec_lo, s14
	s_cbranch_execz .LBB4_6534
.LBB4_6676:                             ;   in Loop: Header=BB4_5618 Depth=4
	v_cmp_ne_u16_e32 vcc_lo, 0, v5
	v_mov_b32_e32 v9, 0
	s_and_not1_b32 s76, s76, exec_lo
	s_and_b32 s77, vcc_lo, exec_lo
	s_delay_alu instid0(SALU_CYCLE_1)
	s_or_b32 s76, s76, s77
	s_or_b32 exec_lo, exec_lo, s14
	v_mov_b32_e32 v5, v3
	s_and_saveexec_b32 s14, s76
	s_cbranch_execnz .LBB4_6535
	s_branch .LBB4_6536
.LBB4_6677:                             ;   in Loop: Header=BB4_5618 Depth=4
	s_or_saveexec_b32 s14, s14
	v_bfrev_b32_e32 v9, 1
	s_xor_b32 exec_lo, exec_lo, s14
	s_cbranch_execz .LBB4_6570
.LBB4_6678:                             ;   in Loop: Header=BB4_5618 Depth=4
	v_cmp_ne_u16_e32 vcc_lo, 0, v8
	v_mov_b32_e32 v9, 0
	s_and_not1_b32 s76, s76, exec_lo
	s_and_b32 s77, vcc_lo, exec_lo
	s_delay_alu instid0(SALU_CYCLE_1)
	s_or_b32 s76, s76, s77
	s_or_b32 exec_lo, exec_lo, s14
	s_and_saveexec_b32 s14, s76
	s_cbranch_execnz .LBB4_6571
	s_branch .LBB4_6572
.LBB4_6679:                             ;   in Loop: Header=BB4_5618 Depth=4
	s_or_saveexec_b32 s14, s14
	v_bfrev_b32_e32 v8, 1
	s_xor_b32 exec_lo, exec_lo, s14
	s_cbranch_execz .LBB4_6606
.LBB4_6680:                             ;   in Loop: Header=BB4_5618 Depth=4
	v_cmp_ne_u16_e32 vcc_lo, 0, v9
	v_mov_b32_e32 v8, 0
	s_and_not1_b32 s76, s76, exec_lo
	s_and_b32 s77, vcc_lo, exec_lo
	s_delay_alu instid0(SALU_CYCLE_1)
	s_or_b32 s76, s76, s77
	s_or_b32 exec_lo, exec_lo, s14
	s_and_saveexec_b32 s14, s76
	s_cbranch_execnz .LBB4_6607
	s_branch .LBB4_6608
.LBB4_6681:                             ;   in Loop: Header=BB4_3282 Depth=3
	s_or_b32 exec_lo, exec_lo, s73
.LBB4_6682:                             ;   in Loop: Header=BB4_3282 Depth=3
	s_delay_alu instid0(SALU_CYCLE_1) | instskip(NEXT) | instid1(VALU_DEP_2)
	s_or_b32 exec_lo, exec_lo, s72
	v_cmp_lt_i32_e32 vcc_lo, 0, v50
	v_dual_cndmask_b32 v5, 0, v36, vcc_lo :: v_dual_bitop2_b32 v2, 15, v103 bitop3:0x40
	s_delay_alu instid0(VALU_DEP_1) | instskip(NEXT) | instid1(VALU_DEP_1)
	v_dual_sub_nc_u32 v4, v31, v2 :: v_dual_cndmask_b32 v115, v31, v2, s13
	v_dual_cndmask_b32 v2, 0, v4, s13 :: v_dual_sub_nc_u32 v4, v5, v50
	s_delay_alu instid0(VALU_DEP_2) | instskip(NEXT) | instid1(VALU_DEP_2)
	v_cmp_ne_u32_e32 vcc_lo, 0, v115
	v_add3_u32 v113, v30, v20, v2
	s_delay_alu instid0(VALU_DEP_3)
	v_lshl_add_u32 v124, v4, 5, v21
	s_and_b32 s13, vcc_lo, exec_lo
.LBB4_6683:                             ;   in Loop: Header=BB4_3282 Depth=3
	s_or_b32 exec_lo, exec_lo, s15
	s_and_saveexec_b32 s72, s13
	s_cbranch_execz .LBB4_8034
.LBB4_6684:                             ;   in Loop: Header=BB4_3282 Depth=3
	v_dual_ashrrev_i32 v2, 31, v124 :: v_dual_ashrrev_i32 v4, 31, v115
	s_mov_b32 s73, exec_lo
	s_delay_alu instid0(VALU_DEP_1) | instskip(NEXT) | instid1(VALU_DEP_1)
	v_dual_lshrrev_b32 v2, 27, v2 :: v_dual_lshrrev_b32 v4, 23, v4
	v_dual_add_nc_u32 v2, v124, v2 :: v_dual_add_nc_u32 v4, v115, v4
	s_delay_alu instid0(VALU_DEP_1) | instskip(NEXT) | instid1(VALU_DEP_1)
	v_dual_ashrrev_i32 v125, 5, v2 :: v_dual_ashrrev_i32 v67, 9, v4
	v_sub_nc_u32_e32 v66, v67, v125
	s_delay_alu instid0(VALU_DEP_1)
	v_cmpx_lt_i32_e32 0, v66
	s_cbranch_execz .LBB4_7944
; %bb.6685:                             ;   in Loop: Header=BB4_3282 Depth=3
	v_and_b32_e32 v2, 0xffffffe0, v2
	s_trap 2
	ds_load_b64 v[4:5], v0
	v_lshlrev_b32_e32 v8, 9, v125
	v_add_nc_u64_e32 v[14:15], 0x1e0, v[40:41]
	v_sub_nc_u32_e32 v2, v124, v2
	s_mov_b32 s74, 0
	s_delay_alu instid0(VALU_DEP_1) | instskip(NEXT) | instid1(VALU_DEP_1)
	v_add3_u32 v12, v113, v2, v8
	v_ashrrev_i32_e32 v13, 31, v12
	s_delay_alu instid0(VALU_DEP_1)
	v_add_nc_u64_e32 v[8:9], v[12:13], v[118:119]
	s_wait_dscnt 0x0
	v_add_nc_u64_e32 v[10:11], v[4:5], v[12:13]
	v_add_nc_u64_e32 v[12:13], v[14:15], v[12:13]
	s_branch .LBB4_6688
.LBB4_6686:                             ;   in Loop: Header=BB4_6688 Depth=4
	s_or_b32 exec_lo, exec_lo, s14
.LBB4_6687:                             ;   in Loop: Header=BB4_6688 Depth=4
	s_delay_alu instid0(SALU_CYCLE_1)
	s_or_b32 exec_lo, exec_lo, s13
	v_sub_nc_u32_e32 v66, v66, v36
	s_clause 0xf
	flat_store_b8 v[12:13], v122 offset:-480 th:TH_STORE_NT
	flat_store_b8 v[12:13], v105 offset:-448 th:TH_STORE_NT
	;; [unrolled: 1-line block ×15, first 2 shown]
	flat_store_b8 v[12:13], v5 th:TH_STORE_NT
	v_add_nc_u64_e32 v[8:9], v[8:9], v[54:55]
	v_add_nc_u64_e32 v[10:11], v[10:11], v[54:55]
	v_cmp_gt_i32_e32 vcc_lo, 1, v66
	s_wait_xcnt 0x0
	v_add_nc_u64_e32 v[12:13], v[12:13], v[54:55]
	s_or_b32 s74, vcc_lo, s74
	s_delay_alu instid0(SALU_CYCLE_1)
	s_and_not1_b32 exec_lo, exec_lo, s74
	s_cbranch_execz .LBB4_7943
.LBB4_6688:                             ;   Parent Loop BB4_47 Depth=1
                                        ;     Parent Loop BB4_3279 Depth=2
                                        ;       Parent Loop BB4_3282 Depth=3
                                        ; =>      This Inner Loop Header: Depth=4
	s_trap 2
	ds_load_b64 v[4:5], v0
	s_mov_b32 s75, 0
	s_wait_dscnt 0x0
	v_and_b32_e32 v2, 0xff, v4
	v_readfirstlane_b32 s14, v4
	v_readfirstlane_b32 s15, v5
	s_delay_alu instid0(VALU_DEP_3)
	v_cmp_eq_u32_e32 vcc_lo, 0, v2
	s_cbranch_vccnz .LBB4_6696
; %bb.6689:                             ;   in Loop: Header=BB4_6688 Depth=4
	s_bfe_i32 s76, s14, 0x80000
	s_brev_b32 s75, 1
	s_and_b32 s13, 0xffff, s76
	s_delay_alu instid0(SALU_CYCLE_1)
	s_cmp_eq_u32 s13, 0xff80
	s_cbranch_scc1 .LBB4_6696
; %bb.6690:                             ;   in Loop: Header=BB4_6688 Depth=4
	s_and_b32 s75, s14, 0x7c
	s_and_b32 s13, s14, 3
	s_mov_b32 s77, -1
	s_cmp_lg_u32 s75, 0x7c
	s_sext_i32_i16 s76, s76
                                        ; implicit-def: $sgpr75
	s_cbranch_scc0 .LBB4_6694
; %bb.6691:                             ;   in Loop: Header=BB4_6688 Depth=4
	s_bfe_u32 s75, s14, 0x50002
	s_mov_b32 s77, s13
	s_cmp_lg_u32 s75, 0
	s_cbranch_scc1 .LBB4_6693
; %bb.6692:                             ;   in Loop: Header=BB4_6688 Depth=4
	s_clz_i32_u32 s75, s13
	s_delay_alu instid0(SALU_CYCLE_1) | instskip(NEXT) | instid1(SALU_CYCLE_1)
	s_min_u32 s75, s75, 32
	s_sub_co_i32 s77, s75, 29
	s_sub_co_i32 s75, 30, s75
	s_lshl_b64 s[14:15], s[14:15], s77
	s_delay_alu instid0(SALU_CYCLE_1)
	s_and_b32 s77, s14, 3
.LBB4_6693:                             ;   in Loop: Header=BB4_6688 Depth=4
	s_and_b32 s14, s76, 0x80000000
	s_lshl_b32 s15, s75, 23
	s_lshl_b32 s75, s77, 21
	s_add_co_i32 s15, s15, s14
	s_mov_b32 s77, 0
	s_or_b32 s14, s15, s75
	s_delay_alu instid0(SALU_CYCLE_1)
	s_add_co_i32 s75, s14, 0x38000000
.LBB4_6694:                             ;   in Loop: Header=BB4_6688 Depth=4
	s_and_b32 vcc_lo, exec_lo, s77
	s_cbranch_vccz .LBB4_6696
; %bb.6695:                             ;   in Loop: Header=BB4_6688 Depth=4
	s_cmp_gt_i32 s76, -1
	s_cselect_b32 s14, s47, 0xff800000
	s_cmp_eq_u32 s13, 0
	s_cselect_b32 s75, s14, 0x7f800001
.LBB4_6696:                             ;   in Loop: Header=BB4_6688 Depth=4
	flat_load_i8 v4, v[8:9] th:TH_LOAD_NT
	v_mov_b32_e32 v5, 0
	s_mov_b32 s13, exec_lo
	s_wait_loadcnt_dscnt 0x0
	v_cmpx_ne_u16_e32 0, v4
	s_cbranch_execz .LBB4_6706
; %bb.6697:                             ;   in Loop: Header=BB4_6688 Depth=4
	v_bfrev_b32_e32 v5, 1
	s_mov_b32 s14, exec_lo
	v_cmpx_ne_u16_e32 0xff80, v4
	s_cbranch_execz .LBB4_6705
; %bb.6698:                             ;   in Loop: Header=BB4_6688 Depth=4
	v_and_b32_e32 v5, 0x7c, v4
	v_and_b32_e32 v2, 3, v4
	s_delay_alu instid0(VALU_DEP_2) | instskip(SKIP_1) | instid1(SALU_CYCLE_1)
	v_cmp_ne_u32_e32 vcc_lo, 0x7c, v5
                                        ; implicit-def: $vgpr5
	s_and_saveexec_b32 s15, vcc_lo
	s_xor_b32 s15, exec_lo, s15
	s_cbranch_execz .LBB4_6702
; %bb.6699:                             ;   in Loop: Header=BB4_6688 Depth=4
	v_and_b32_e32 v5, 0xff, v4
	s_mov_b32 s76, exec_lo
	s_delay_alu instid0(VALU_DEP_1) | instskip(NEXT) | instid1(VALU_DEP_1)
	v_bfe_u32 v5, v5, 2, 5
	v_cmpx_eq_u32_e32 0, v5
	s_cbranch_execz .LBB4_6701
; %bb.6700:                             ;   in Loop: Header=BB4_6688 Depth=4
	v_clz_i32_u32_e32 v2, v2
	v_mov_b32_e32 v5, v3
	s_delay_alu instid0(VALU_DEP_2) | instskip(NEXT) | instid1(VALU_DEP_1)
	v_min_u32_e32 v2, 32, v2
	v_subrev_nc_u32_e32 v14, 29, v2
	s_delay_alu instid0(VALU_DEP_1) | instskip(SKIP_1) | instid1(VALU_DEP_2)
	v_lshlrev_b64_e32 v[14:15], v14, v[4:5]
	v_sub_nc_u32_e32 v5, 30, v2
	v_and_b32_e32 v2, 3, v14
.LBB4_6701:                             ;   in Loop: Header=BB4_6688 Depth=4
	s_or_b32 exec_lo, exec_lo, s76
	v_bfe_i32 v4, v4, 0, 16
	s_delay_alu instid0(VALU_DEP_1) | instskip(NEXT) | instid1(VALU_DEP_1)
	v_and_b32_e32 v4, 0x80000000, v4
	v_lshl_add_u32 v4, v5, 23, v4
	s_delay_alu instid0(VALU_DEP_1) | instskip(NEXT) | instid1(VALU_DEP_1)
	v_lshl_or_b32 v2, v2, 21, v4
                                        ; implicit-def: $vgpr4
	v_add_nc_u32_e32 v5, 0x38000000, v2
                                        ; implicit-def: $vgpr2
.LBB4_6702:                             ;   in Loop: Header=BB4_6688 Depth=4
	s_and_not1_saveexec_b32 s15, s15
; %bb.6703:                             ;   in Loop: Header=BB4_6688 Depth=4
	v_cmp_lt_i16_e32 vcc_lo, -1, v4
	v_cndmask_b32_e32 v4, 0xff800000, v48, vcc_lo
	v_cmp_eq_u32_e32 vcc_lo, 0, v2
	s_delay_alu instid0(VALU_DEP_2)
	v_cndmask_b32_e32 v5, 0x7f800001, v4, vcc_lo
; %bb.6704:                             ;   in Loop: Header=BB4_6688 Depth=4
	s_or_b32 exec_lo, exec_lo, s15
.LBB4_6705:                             ;   in Loop: Header=BB4_6688 Depth=4
	s_delay_alu instid0(SALU_CYCLE_1)
	s_or_b32 exec_lo, exec_lo, s14
.LBB4_6706:                             ;   in Loop: Header=BB4_6688 Depth=4
	s_delay_alu instid0(SALU_CYCLE_1) | instskip(NEXT) | instid1(VALU_DEP_1)
	s_or_b32 exec_lo, exec_lo, s13
	v_dual_mul_f32 v4, s75, v5 :: v_dual_mov_b32 v15, v3
                                        ; implicit-def: $vgpr106
	s_mov_b32 s13, exec_lo
	s_delay_alu instid0(VALU_DEP_1) | instskip(SKIP_1) | instid1(VALU_DEP_2)
	v_and_b32_e32 v14, 0x7f800000, v4
	v_and_b32_e32 v2, 0x7fffff, v4
	v_cmpx_ne_u64_e32 0x7f800000, v[14:15]
	s_xor_b32 s14, exec_lo, s13
	s_cbranch_execz .LBB4_6724
; %bb.6707:                             ;   in Loop: Header=BB4_6688 Depth=4
	v_dual_mov_b32 v15, v3 :: v_dual_lshrrev_b32 v5, 24, v4
	v_and_b32_e32 v14, 0x7fffffff, v4
                                        ; implicit-def: $vgpr106
	s_mov_b32 s13, exec_lo
	s_delay_alu instid0(VALU_DEP_2) | instskip(NEXT) | instid1(VALU_DEP_2)
	v_and_b32_e32 v16, 0x80, v5
	v_cmpx_gt_u64_e32 0x47600001, v[14:15]
	s_xor_b32 s15, exec_lo, s13
	s_cbranch_execz .LBB4_6721
; %bb.6708:                             ;   in Loop: Header=BB4_6688 Depth=4
	v_mov_b32_e32 v106, 0
	s_mov_b32 s76, exec_lo
	v_cmpx_ne_u32_e32 0, v4
	s_cbranch_execz .LBB4_6720
; %bb.6709:                             ;   in Loop: Header=BB4_6688 Depth=4
	v_bfe_u32 v17, v4, 23, 8
	v_or_b32_e32 v14, 0x800000, v2
	s_mov_b32 s77, exec_lo
	s_delay_alu instid0(VALU_DEP_2) | instskip(SKIP_1) | instid1(VALU_DEP_2)
	v_dual_mov_b32 v15, v3 :: v_dual_sub_nc_u32 v4, 0x71, v17
	v_cmp_gt_u32_e32 vcc_lo, 0x72, v17
	v_cndmask_b32_e32 v4, 0, v4, vcc_lo
	v_cmp_eq_u32_e32 vcc_lo, 0, v17
	s_delay_alu instid0(VALU_DEP_2) | instskip(SKIP_1) | instid1(VALU_DEP_2)
	v_cndmask_b32_e64 v18, v4, 0x70, vcc_lo
	v_cndmask_b32_e32 v14, v14, v2, vcc_lo
	v_dual_add_nc_u32 v4, 21, v18 :: v_dual_add_nc_u32 v19, 20, v18
	s_delay_alu instid0(VALU_DEP_1) | instskip(NEXT) | instid1(VALU_DEP_2)
	v_lshlrev_b64_e64 v[4:5], v4, -1
	v_lshlrev_b64_e64 v[20:21], v19, 1
	s_delay_alu instid0(VALU_DEP_2) | instskip(NEXT) | instid1(VALU_DEP_3)
	v_bfi_b32 v31, v5, 0, 0
	v_bfi_b32 v30, v4, 0, v14
	v_lshrrev_b64 v[4:5], v18, v[14:15]
	s_delay_alu instid0(VALU_DEP_1) | instskip(NEXT) | instid1(VALU_DEP_3)
	v_mov_b64_e32 v[14:15], v[4:5]
	v_cmpx_eq_u64_e64 v[30:31], v[20:21]
; %bb.6710:                             ;   in Loop: Header=BB4_6688 Depth=4
	v_bfe_u32 v14, v4, 21, 1
	v_mov_b32_e32 v15, v3
	s_delay_alu instid0(VALU_DEP_1) | instskip(NEXT) | instid1(VALU_DEP_1)
	v_add_nc_u64_e32 v[14:15], v[4:5], v[14:15]
	v_add_nc_u64_e32 v[14:15], -1, v[14:15]
; %bb.6711:                             ;   in Loop: Header=BB4_6688 Depth=4
	s_or_b32 exec_lo, exec_lo, s77
	v_add_nc_u32_e32 v2, 0xffffff81, v17
	v_lshrrev_b32_e32 v5, 23, v4
	s_mov_b32 s13, exec_lo
	s_delay_alu instid0(VALU_DEP_2) | instskip(NEXT) | instid1(VALU_DEP_1)
	v_cndmask_b32_e64 v2, v2, 0xffffff82, vcc_lo
	v_add3_u32 v15, v18, v2, v5
	v_and_b32_e32 v2, 0x1fffff, v14
                                        ; implicit-def: $vgpr14
	s_delay_alu instid0(VALU_DEP_1) | instskip(NEXT) | instid1(VALU_DEP_1)
	v_dual_add_nc_u32 v17, 14, v15 :: v_dual_add_nc_u32 v2, v2, v4
                                        ; implicit-def: $vgpr4_vgpr5
	v_cmpx_ne_u32_e32 0, v17
	s_xor_b32 s13, exec_lo, s13
; %bb.6712:                             ;   in Loop: Header=BB4_6688 Depth=4
	s_delay_alu instid0(VALU_DEP_2) | instskip(SKIP_1) | instid1(VALU_DEP_1)
	v_cmp_lt_u64_e32 vcc_lo, 0xffffff, v[2:3]
	v_add_nc_u32_e32 v4, 15, v15
	v_cndmask_b32_e32 v14, v17, v4, vcc_lo
	v_cndmask_b32_e64 v4, 0, 1, vcc_lo
	s_delay_alu instid0(VALU_DEP_1)
	v_lshrrev_b64 v[4:5], v4, v[2:3]
; %bb.6713:                             ;   in Loop: Header=BB4_6688 Depth=4
	s_and_not1_saveexec_b32 s13, s13
; %bb.6714:                             ;   in Loop: Header=BB4_6688 Depth=4
	v_mov_b64_e32 v[4:5], v[2:3]
	v_bfe_u32 v14, v2, 23, 1
; %bb.6715:                             ;   in Loop: Header=BB4_6688 Depth=4
	s_or_b32 exec_lo, exec_lo, s13
	s_delay_alu instid0(VALU_DEP_2) | instskip(NEXT) | instid1(VALU_DEP_2)
	v_lshrrev_b64 v[4:5], 21, v[4:5]
	v_cmp_gt_i32_e32 vcc_lo, 32, v14
	v_cmp_ne_u32_e64 s13, 0, v14
                                        ; implicit-def: $vgpr106
	s_delay_alu instid0(VALU_DEP_3) | instskip(NEXT) | instid1(VALU_DEP_1)
	v_dual_cndmask_b32 v5, 0, v5 :: v_dual_cndmask_b32 v4, 3, v4
	v_cmp_ne_u64_e32 vcc_lo, 0, v[4:5]
	s_or_b32 s13, s13, vcc_lo
	s_delay_alu instid0(SALU_CYCLE_1) | instskip(NEXT) | instid1(SALU_CYCLE_1)
	s_and_saveexec_b32 s77, s13
	s_xor_b32 s13, exec_lo, s77
; %bb.6716:                             ;   in Loop: Header=BB4_6688 Depth=4
	v_min_i32_e32 v2, 31, v14
	s_delay_alu instid0(VALU_DEP_1) | instskip(NEXT) | instid1(VALU_DEP_1)
	v_lshl_or_b32 v2, v2, 2, v16
                                        ; implicit-def: $vgpr16
	v_and_or_b32 v106, v4, 3, v2
; %bb.6717:                             ;   in Loop: Header=BB4_6688 Depth=4
	s_and_not1_saveexec_b32 s13, s13
; %bb.6718:                             ;   in Loop: Header=BB4_6688 Depth=4
	v_mov_b32_e32 v106, v16
; %bb.6719:                             ;   in Loop: Header=BB4_6688 Depth=4
	s_or_b32 exec_lo, exec_lo, s13
.LBB4_6720:                             ;   in Loop: Header=BB4_6688 Depth=4
	s_delay_alu instid0(SALU_CYCLE_1)
	s_or_b32 exec_lo, exec_lo, s76
                                        ; implicit-def: $vgpr16
.LBB4_6721:                             ;   in Loop: Header=BB4_6688 Depth=4
	s_and_not1_saveexec_b32 s13, s15
; %bb.6722:                             ;   in Loop: Header=BB4_6688 Depth=4
	v_or_b32_e32 v106, 0x7b, v16
; %bb.6723:                             ;   in Loop: Header=BB4_6688 Depth=4
	s_or_b32 exec_lo, exec_lo, s13
                                        ; implicit-def: $vgpr4
.LBB4_6724:                             ;   in Loop: Header=BB4_6688 Depth=4
	s_and_not1_saveexec_b32 s13, s14
	s_cbranch_execz .LBB4_6730
; %bb.6725:                             ;   in Loop: Header=BB4_6688 Depth=4
	s_mov_b32 s14, exec_lo
                                        ; implicit-def: $vgpr106
	v_cmpx_ne_u64_e32 0, v[2:3]
	s_xor_b32 s14, exec_lo, s14
; %bb.6726:                             ;   in Loop: Header=BB4_6688 Depth=4
	v_lshrrev_b32_e32 v2, 24, v4
                                        ; implicit-def: $vgpr4
	s_delay_alu instid0(VALU_DEP_1)
	v_or_b32_e32 v106, 0x7f, v2
; %bb.6727:                             ;   in Loop: Header=BB4_6688 Depth=4
	s_and_not1_saveexec_b32 s14, s14
; %bb.6728:                             ;   in Loop: Header=BB4_6688 Depth=4
	v_cmp_lt_i32_e32 vcc_lo, -1, v4
	v_cndmask_b32_e64 v106, -4, 0x7c, vcc_lo
; %bb.6729:                             ;   in Loop: Header=BB4_6688 Depth=4
	s_or_b32 exec_lo, exec_lo, s14
.LBB4_6730:                             ;   in Loop: Header=BB4_6688 Depth=4
	s_delay_alu instid0(SALU_CYCLE_1)
	s_or_b32 exec_lo, exec_lo, s13
	flat_load_i8 v4, v[8:9] offset:32 th:TH_LOAD_NT
	v_mov_b32_e32 v5, 0
	s_mov_b32 s13, exec_lo
	s_wait_loadcnt_dscnt 0x0
	v_cmpx_ne_u16_e32 0, v4
	s_cbranch_execz .LBB4_6740
; %bb.6731:                             ;   in Loop: Header=BB4_6688 Depth=4
	v_bfrev_b32_e32 v5, 1
	s_mov_b32 s14, exec_lo
	v_cmpx_ne_u16_e32 0xff80, v4
	s_cbranch_execz .LBB4_6739
; %bb.6732:                             ;   in Loop: Header=BB4_6688 Depth=4
	v_and_b32_e32 v5, 0x7c, v4
	v_and_b32_e32 v2, 3, v4
	s_delay_alu instid0(VALU_DEP_2) | instskip(SKIP_1) | instid1(SALU_CYCLE_1)
	v_cmp_ne_u32_e32 vcc_lo, 0x7c, v5
                                        ; implicit-def: $vgpr5
	s_and_saveexec_b32 s15, vcc_lo
	s_xor_b32 s15, exec_lo, s15
	s_cbranch_execz .LBB4_6736
; %bb.6733:                             ;   in Loop: Header=BB4_6688 Depth=4
	v_and_b32_e32 v5, 0xff, v4
	s_mov_b32 s76, exec_lo
	s_delay_alu instid0(VALU_DEP_1) | instskip(NEXT) | instid1(VALU_DEP_1)
	v_bfe_u32 v5, v5, 2, 5
	v_cmpx_eq_u32_e32 0, v5
	s_cbranch_execz .LBB4_6735
; %bb.6734:                             ;   in Loop: Header=BB4_6688 Depth=4
	v_clz_i32_u32_e32 v2, v2
	v_mov_b32_e32 v5, v3
	s_delay_alu instid0(VALU_DEP_2) | instskip(NEXT) | instid1(VALU_DEP_1)
	v_min_u32_e32 v2, 32, v2
	v_subrev_nc_u32_e32 v14, 29, v2
	s_delay_alu instid0(VALU_DEP_1) | instskip(SKIP_1) | instid1(VALU_DEP_2)
	v_lshlrev_b64_e32 v[14:15], v14, v[4:5]
	v_sub_nc_u32_e32 v5, 30, v2
	v_and_b32_e32 v2, 3, v14
.LBB4_6735:                             ;   in Loop: Header=BB4_6688 Depth=4
	s_or_b32 exec_lo, exec_lo, s76
	v_bfe_i32 v4, v4, 0, 16
	s_delay_alu instid0(VALU_DEP_1) | instskip(NEXT) | instid1(VALU_DEP_1)
	v_and_b32_e32 v4, 0x80000000, v4
	v_lshl_add_u32 v4, v5, 23, v4
	s_delay_alu instid0(VALU_DEP_1) | instskip(NEXT) | instid1(VALU_DEP_1)
	v_lshl_or_b32 v2, v2, 21, v4
                                        ; implicit-def: $vgpr4
	v_add_nc_u32_e32 v5, 0x38000000, v2
                                        ; implicit-def: $vgpr2
.LBB4_6736:                             ;   in Loop: Header=BB4_6688 Depth=4
	s_and_not1_saveexec_b32 s15, s15
; %bb.6737:                             ;   in Loop: Header=BB4_6688 Depth=4
	v_cmp_lt_i16_e32 vcc_lo, -1, v4
	v_cndmask_b32_e32 v4, 0xff800000, v48, vcc_lo
	v_cmp_eq_u32_e32 vcc_lo, 0, v2
	s_delay_alu instid0(VALU_DEP_2)
	v_cndmask_b32_e32 v5, 0x7f800001, v4, vcc_lo
; %bb.6738:                             ;   in Loop: Header=BB4_6688 Depth=4
	s_or_b32 exec_lo, exec_lo, s15
.LBB4_6739:                             ;   in Loop: Header=BB4_6688 Depth=4
	s_delay_alu instid0(SALU_CYCLE_1)
	s_or_b32 exec_lo, exec_lo, s14
.LBB4_6740:                             ;   in Loop: Header=BB4_6688 Depth=4
	s_delay_alu instid0(SALU_CYCLE_1) | instskip(NEXT) | instid1(VALU_DEP_1)
	s_or_b32 exec_lo, exec_lo, s13
	v_dual_mul_f32 v4, s75, v5 :: v_dual_mov_b32 v15, v3
                                        ; implicit-def: $vgpr104
	s_mov_b32 s13, exec_lo
	s_delay_alu instid0(VALU_DEP_1) | instskip(SKIP_1) | instid1(VALU_DEP_2)
	v_and_b32_e32 v14, 0x7f800000, v4
	v_and_b32_e32 v2, 0x7fffff, v4
	v_cmpx_ne_u64_e32 0x7f800000, v[14:15]
	s_xor_b32 s14, exec_lo, s13
	s_cbranch_execz .LBB4_6758
; %bb.6741:                             ;   in Loop: Header=BB4_6688 Depth=4
	v_dual_mov_b32 v15, v3 :: v_dual_lshrrev_b32 v5, 24, v4
	v_and_b32_e32 v14, 0x7fffffff, v4
                                        ; implicit-def: $vgpr104
	s_mov_b32 s13, exec_lo
	s_delay_alu instid0(VALU_DEP_2) | instskip(NEXT) | instid1(VALU_DEP_2)
	v_and_b32_e32 v16, 0x80, v5
	v_cmpx_gt_u64_e32 0x47600001, v[14:15]
	s_xor_b32 s15, exec_lo, s13
	s_cbranch_execz .LBB4_6755
; %bb.6742:                             ;   in Loop: Header=BB4_6688 Depth=4
	v_mov_b32_e32 v104, 0
	s_mov_b32 s76, exec_lo
	v_cmpx_ne_u32_e32 0, v4
	s_cbranch_execz .LBB4_6754
; %bb.6743:                             ;   in Loop: Header=BB4_6688 Depth=4
	v_bfe_u32 v17, v4, 23, 8
	v_or_b32_e32 v14, 0x800000, v2
	s_mov_b32 s77, exec_lo
	s_delay_alu instid0(VALU_DEP_2) | instskip(SKIP_1) | instid1(VALU_DEP_2)
	v_dual_mov_b32 v15, v3 :: v_dual_sub_nc_u32 v4, 0x71, v17
	v_cmp_gt_u32_e32 vcc_lo, 0x72, v17
	v_cndmask_b32_e32 v4, 0, v4, vcc_lo
	v_cmp_eq_u32_e32 vcc_lo, 0, v17
	s_delay_alu instid0(VALU_DEP_2) | instskip(SKIP_1) | instid1(VALU_DEP_2)
	v_cndmask_b32_e64 v18, v4, 0x70, vcc_lo
	v_cndmask_b32_e32 v14, v14, v2, vcc_lo
	v_dual_add_nc_u32 v4, 21, v18 :: v_dual_add_nc_u32 v19, 20, v18
	s_delay_alu instid0(VALU_DEP_1) | instskip(NEXT) | instid1(VALU_DEP_2)
	v_lshlrev_b64_e64 v[4:5], v4, -1
	v_lshlrev_b64_e64 v[20:21], v19, 1
	s_delay_alu instid0(VALU_DEP_2) | instskip(NEXT) | instid1(VALU_DEP_3)
	v_bfi_b32 v31, v5, 0, 0
	v_bfi_b32 v30, v4, 0, v14
	v_lshrrev_b64 v[4:5], v18, v[14:15]
	s_delay_alu instid0(VALU_DEP_1) | instskip(NEXT) | instid1(VALU_DEP_3)
	v_mov_b64_e32 v[14:15], v[4:5]
	v_cmpx_eq_u64_e64 v[30:31], v[20:21]
; %bb.6744:                             ;   in Loop: Header=BB4_6688 Depth=4
	v_bfe_u32 v14, v4, 21, 1
	v_mov_b32_e32 v15, v3
	s_delay_alu instid0(VALU_DEP_1) | instskip(NEXT) | instid1(VALU_DEP_1)
	v_add_nc_u64_e32 v[14:15], v[4:5], v[14:15]
	v_add_nc_u64_e32 v[14:15], -1, v[14:15]
; %bb.6745:                             ;   in Loop: Header=BB4_6688 Depth=4
	s_or_b32 exec_lo, exec_lo, s77
	v_add_nc_u32_e32 v2, 0xffffff81, v17
	v_lshrrev_b32_e32 v5, 23, v4
	s_mov_b32 s13, exec_lo
	s_delay_alu instid0(VALU_DEP_2) | instskip(NEXT) | instid1(VALU_DEP_1)
	v_cndmask_b32_e64 v2, v2, 0xffffff82, vcc_lo
	v_add3_u32 v15, v18, v2, v5
	v_and_b32_e32 v2, 0x1fffff, v14
                                        ; implicit-def: $vgpr14
	s_delay_alu instid0(VALU_DEP_1) | instskip(NEXT) | instid1(VALU_DEP_1)
	v_dual_add_nc_u32 v17, 14, v15 :: v_dual_add_nc_u32 v2, v2, v4
                                        ; implicit-def: $vgpr4_vgpr5
	v_cmpx_ne_u32_e32 0, v17
	s_xor_b32 s13, exec_lo, s13
; %bb.6746:                             ;   in Loop: Header=BB4_6688 Depth=4
	s_delay_alu instid0(VALU_DEP_2) | instskip(SKIP_1) | instid1(VALU_DEP_1)
	v_cmp_lt_u64_e32 vcc_lo, 0xffffff, v[2:3]
	v_add_nc_u32_e32 v4, 15, v15
	v_cndmask_b32_e32 v14, v17, v4, vcc_lo
	v_cndmask_b32_e64 v4, 0, 1, vcc_lo
	s_delay_alu instid0(VALU_DEP_1)
	v_lshrrev_b64 v[4:5], v4, v[2:3]
; %bb.6747:                             ;   in Loop: Header=BB4_6688 Depth=4
	s_and_not1_saveexec_b32 s13, s13
; %bb.6748:                             ;   in Loop: Header=BB4_6688 Depth=4
	v_mov_b64_e32 v[4:5], v[2:3]
	v_bfe_u32 v14, v2, 23, 1
; %bb.6749:                             ;   in Loop: Header=BB4_6688 Depth=4
	s_or_b32 exec_lo, exec_lo, s13
	s_delay_alu instid0(VALU_DEP_2) | instskip(NEXT) | instid1(VALU_DEP_2)
	v_lshrrev_b64 v[4:5], 21, v[4:5]
	v_cmp_gt_i32_e32 vcc_lo, 32, v14
	v_cmp_ne_u32_e64 s13, 0, v14
                                        ; implicit-def: $vgpr104
	s_delay_alu instid0(VALU_DEP_3) | instskip(NEXT) | instid1(VALU_DEP_1)
	v_dual_cndmask_b32 v5, 0, v5 :: v_dual_cndmask_b32 v4, 3, v4
	v_cmp_ne_u64_e32 vcc_lo, 0, v[4:5]
	s_or_b32 s13, s13, vcc_lo
	s_delay_alu instid0(SALU_CYCLE_1) | instskip(NEXT) | instid1(SALU_CYCLE_1)
	s_and_saveexec_b32 s77, s13
	s_xor_b32 s13, exec_lo, s77
; %bb.6750:                             ;   in Loop: Header=BB4_6688 Depth=4
	v_min_i32_e32 v2, 31, v14
	s_delay_alu instid0(VALU_DEP_1) | instskip(NEXT) | instid1(VALU_DEP_1)
	v_lshl_or_b32 v2, v2, 2, v16
                                        ; implicit-def: $vgpr16
	v_and_or_b32 v104, v4, 3, v2
; %bb.6751:                             ;   in Loop: Header=BB4_6688 Depth=4
	s_and_not1_saveexec_b32 s13, s13
; %bb.6752:                             ;   in Loop: Header=BB4_6688 Depth=4
	v_mov_b32_e32 v104, v16
; %bb.6753:                             ;   in Loop: Header=BB4_6688 Depth=4
	s_or_b32 exec_lo, exec_lo, s13
.LBB4_6754:                             ;   in Loop: Header=BB4_6688 Depth=4
	s_delay_alu instid0(SALU_CYCLE_1)
	s_or_b32 exec_lo, exec_lo, s76
                                        ; implicit-def: $vgpr16
.LBB4_6755:                             ;   in Loop: Header=BB4_6688 Depth=4
	s_and_not1_saveexec_b32 s13, s15
; %bb.6756:                             ;   in Loop: Header=BB4_6688 Depth=4
	v_or_b32_e32 v104, 0x7b, v16
; %bb.6757:                             ;   in Loop: Header=BB4_6688 Depth=4
	s_or_b32 exec_lo, exec_lo, s13
                                        ; implicit-def: $vgpr4
.LBB4_6758:                             ;   in Loop: Header=BB4_6688 Depth=4
	s_and_not1_saveexec_b32 s13, s14
	s_cbranch_execz .LBB4_6764
; %bb.6759:                             ;   in Loop: Header=BB4_6688 Depth=4
	s_mov_b32 s14, exec_lo
                                        ; implicit-def: $vgpr104
	v_cmpx_ne_u64_e32 0, v[2:3]
	s_xor_b32 s14, exec_lo, s14
; %bb.6760:                             ;   in Loop: Header=BB4_6688 Depth=4
	v_lshrrev_b32_e32 v2, 24, v4
                                        ; implicit-def: $vgpr4
	s_delay_alu instid0(VALU_DEP_1)
	v_or_b32_e32 v104, 0x7f, v2
; %bb.6761:                             ;   in Loop: Header=BB4_6688 Depth=4
	s_and_not1_saveexec_b32 s14, s14
; %bb.6762:                             ;   in Loop: Header=BB4_6688 Depth=4
	v_cmp_lt_i32_e32 vcc_lo, -1, v4
	v_cndmask_b32_e64 v104, -4, 0x7c, vcc_lo
; %bb.6763:                             ;   in Loop: Header=BB4_6688 Depth=4
	s_or_b32 exec_lo, exec_lo, s14
.LBB4_6764:                             ;   in Loop: Header=BB4_6688 Depth=4
	s_delay_alu instid0(SALU_CYCLE_1)
	s_or_b32 exec_lo, exec_lo, s13
	flat_load_i8 v4, v[8:9] offset:64 th:TH_LOAD_NT
	v_mov_b32_e32 v5, 0
	s_mov_b32 s13, exec_lo
	s_wait_loadcnt_dscnt 0x0
	v_cmpx_ne_u16_e32 0, v4
	s_cbranch_execz .LBB4_6774
; %bb.6765:                             ;   in Loop: Header=BB4_6688 Depth=4
	v_bfrev_b32_e32 v5, 1
	s_mov_b32 s14, exec_lo
	v_cmpx_ne_u16_e32 0xff80, v4
	s_cbranch_execz .LBB4_6773
; %bb.6766:                             ;   in Loop: Header=BB4_6688 Depth=4
	v_and_b32_e32 v5, 0x7c, v4
	v_and_b32_e32 v2, 3, v4
	s_delay_alu instid0(VALU_DEP_2) | instskip(SKIP_1) | instid1(SALU_CYCLE_1)
	v_cmp_ne_u32_e32 vcc_lo, 0x7c, v5
                                        ; implicit-def: $vgpr5
	s_and_saveexec_b32 s15, vcc_lo
	s_xor_b32 s15, exec_lo, s15
	s_cbranch_execz .LBB4_6770
; %bb.6767:                             ;   in Loop: Header=BB4_6688 Depth=4
	v_and_b32_e32 v5, 0xff, v4
	s_mov_b32 s76, exec_lo
	s_delay_alu instid0(VALU_DEP_1) | instskip(NEXT) | instid1(VALU_DEP_1)
	v_bfe_u32 v5, v5, 2, 5
	v_cmpx_eq_u32_e32 0, v5
	s_cbranch_execz .LBB4_6769
; %bb.6768:                             ;   in Loop: Header=BB4_6688 Depth=4
	v_clz_i32_u32_e32 v2, v2
	v_mov_b32_e32 v5, v3
	s_delay_alu instid0(VALU_DEP_2) | instskip(NEXT) | instid1(VALU_DEP_1)
	v_min_u32_e32 v2, 32, v2
	v_subrev_nc_u32_e32 v14, 29, v2
	s_delay_alu instid0(VALU_DEP_1) | instskip(SKIP_1) | instid1(VALU_DEP_2)
	v_lshlrev_b64_e32 v[14:15], v14, v[4:5]
	v_sub_nc_u32_e32 v5, 30, v2
	v_and_b32_e32 v2, 3, v14
.LBB4_6769:                             ;   in Loop: Header=BB4_6688 Depth=4
	s_or_b32 exec_lo, exec_lo, s76
	v_bfe_i32 v4, v4, 0, 16
	s_delay_alu instid0(VALU_DEP_1) | instskip(NEXT) | instid1(VALU_DEP_1)
	v_and_b32_e32 v4, 0x80000000, v4
	v_lshl_add_u32 v4, v5, 23, v4
	s_delay_alu instid0(VALU_DEP_1) | instskip(NEXT) | instid1(VALU_DEP_1)
	v_lshl_or_b32 v2, v2, 21, v4
                                        ; implicit-def: $vgpr4
	v_add_nc_u32_e32 v5, 0x38000000, v2
                                        ; implicit-def: $vgpr2
.LBB4_6770:                             ;   in Loop: Header=BB4_6688 Depth=4
	s_and_not1_saveexec_b32 s15, s15
; %bb.6771:                             ;   in Loop: Header=BB4_6688 Depth=4
	v_cmp_lt_i16_e32 vcc_lo, -1, v4
	v_cndmask_b32_e32 v4, 0xff800000, v48, vcc_lo
	v_cmp_eq_u32_e32 vcc_lo, 0, v2
	s_delay_alu instid0(VALU_DEP_2)
	v_cndmask_b32_e32 v5, 0x7f800001, v4, vcc_lo
; %bb.6772:                             ;   in Loop: Header=BB4_6688 Depth=4
	s_or_b32 exec_lo, exec_lo, s15
.LBB4_6773:                             ;   in Loop: Header=BB4_6688 Depth=4
	s_delay_alu instid0(SALU_CYCLE_1)
	s_or_b32 exec_lo, exec_lo, s14
.LBB4_6774:                             ;   in Loop: Header=BB4_6688 Depth=4
	s_delay_alu instid0(SALU_CYCLE_1) | instskip(NEXT) | instid1(VALU_DEP_1)
	s_or_b32 exec_lo, exec_lo, s13
	v_dual_mul_f32 v4, s75, v5 :: v_dual_mov_b32 v15, v3
                                        ; implicit-def: $vgpr92
	s_mov_b32 s13, exec_lo
	s_delay_alu instid0(VALU_DEP_1) | instskip(SKIP_1) | instid1(VALU_DEP_2)
	v_and_b32_e32 v14, 0x7f800000, v4
	v_and_b32_e32 v2, 0x7fffff, v4
	v_cmpx_ne_u64_e32 0x7f800000, v[14:15]
	s_xor_b32 s14, exec_lo, s13
	s_cbranch_execz .LBB4_6792
; %bb.6775:                             ;   in Loop: Header=BB4_6688 Depth=4
	v_dual_mov_b32 v15, v3 :: v_dual_lshrrev_b32 v5, 24, v4
	v_and_b32_e32 v14, 0x7fffffff, v4
                                        ; implicit-def: $vgpr92
	s_mov_b32 s13, exec_lo
	s_delay_alu instid0(VALU_DEP_2) | instskip(NEXT) | instid1(VALU_DEP_2)
	v_and_b32_e32 v16, 0x80, v5
	v_cmpx_gt_u64_e32 0x47600001, v[14:15]
	s_xor_b32 s15, exec_lo, s13
	s_cbranch_execz .LBB4_6789
; %bb.6776:                             ;   in Loop: Header=BB4_6688 Depth=4
	v_mov_b32_e32 v92, 0
	s_mov_b32 s76, exec_lo
	v_cmpx_ne_u32_e32 0, v4
	s_cbranch_execz .LBB4_6788
; %bb.6777:                             ;   in Loop: Header=BB4_6688 Depth=4
	v_bfe_u32 v17, v4, 23, 8
	v_or_b32_e32 v14, 0x800000, v2
	s_mov_b32 s77, exec_lo
	s_delay_alu instid0(VALU_DEP_2) | instskip(SKIP_1) | instid1(VALU_DEP_2)
	v_dual_mov_b32 v15, v3 :: v_dual_sub_nc_u32 v4, 0x71, v17
	v_cmp_gt_u32_e32 vcc_lo, 0x72, v17
	v_cndmask_b32_e32 v4, 0, v4, vcc_lo
	v_cmp_eq_u32_e32 vcc_lo, 0, v17
	s_delay_alu instid0(VALU_DEP_2) | instskip(SKIP_1) | instid1(VALU_DEP_2)
	v_cndmask_b32_e64 v18, v4, 0x70, vcc_lo
	v_cndmask_b32_e32 v14, v14, v2, vcc_lo
	v_dual_add_nc_u32 v4, 21, v18 :: v_dual_add_nc_u32 v19, 20, v18
	s_delay_alu instid0(VALU_DEP_1) | instskip(NEXT) | instid1(VALU_DEP_2)
	v_lshlrev_b64_e64 v[4:5], v4, -1
	v_lshlrev_b64_e64 v[20:21], v19, 1
	s_delay_alu instid0(VALU_DEP_2) | instskip(NEXT) | instid1(VALU_DEP_3)
	v_bfi_b32 v31, v5, 0, 0
	v_bfi_b32 v30, v4, 0, v14
	v_lshrrev_b64 v[4:5], v18, v[14:15]
	s_delay_alu instid0(VALU_DEP_1) | instskip(NEXT) | instid1(VALU_DEP_3)
	v_mov_b64_e32 v[14:15], v[4:5]
	v_cmpx_eq_u64_e64 v[30:31], v[20:21]
; %bb.6778:                             ;   in Loop: Header=BB4_6688 Depth=4
	v_bfe_u32 v14, v4, 21, 1
	v_mov_b32_e32 v15, v3
	s_delay_alu instid0(VALU_DEP_1) | instskip(NEXT) | instid1(VALU_DEP_1)
	v_add_nc_u64_e32 v[14:15], v[4:5], v[14:15]
	v_add_nc_u64_e32 v[14:15], -1, v[14:15]
; %bb.6779:                             ;   in Loop: Header=BB4_6688 Depth=4
	s_or_b32 exec_lo, exec_lo, s77
	v_add_nc_u32_e32 v2, 0xffffff81, v17
	v_lshrrev_b32_e32 v5, 23, v4
	s_mov_b32 s13, exec_lo
	s_delay_alu instid0(VALU_DEP_2) | instskip(NEXT) | instid1(VALU_DEP_1)
	v_cndmask_b32_e64 v2, v2, 0xffffff82, vcc_lo
	v_add3_u32 v15, v18, v2, v5
	v_and_b32_e32 v2, 0x1fffff, v14
                                        ; implicit-def: $vgpr14
	s_delay_alu instid0(VALU_DEP_1) | instskip(NEXT) | instid1(VALU_DEP_1)
	v_dual_add_nc_u32 v17, 14, v15 :: v_dual_add_nc_u32 v2, v2, v4
                                        ; implicit-def: $vgpr4_vgpr5
	v_cmpx_ne_u32_e32 0, v17
	s_xor_b32 s13, exec_lo, s13
; %bb.6780:                             ;   in Loop: Header=BB4_6688 Depth=4
	s_delay_alu instid0(VALU_DEP_2) | instskip(SKIP_1) | instid1(VALU_DEP_1)
	v_cmp_lt_u64_e32 vcc_lo, 0xffffff, v[2:3]
	v_add_nc_u32_e32 v4, 15, v15
	v_cndmask_b32_e32 v14, v17, v4, vcc_lo
	v_cndmask_b32_e64 v4, 0, 1, vcc_lo
	s_delay_alu instid0(VALU_DEP_1)
	v_lshrrev_b64 v[4:5], v4, v[2:3]
; %bb.6781:                             ;   in Loop: Header=BB4_6688 Depth=4
	s_and_not1_saveexec_b32 s13, s13
; %bb.6782:                             ;   in Loop: Header=BB4_6688 Depth=4
	v_mov_b64_e32 v[4:5], v[2:3]
	v_bfe_u32 v14, v2, 23, 1
; %bb.6783:                             ;   in Loop: Header=BB4_6688 Depth=4
	s_or_b32 exec_lo, exec_lo, s13
	s_delay_alu instid0(VALU_DEP_2) | instskip(NEXT) | instid1(VALU_DEP_2)
	v_lshrrev_b64 v[4:5], 21, v[4:5]
	v_cmp_gt_i32_e32 vcc_lo, 32, v14
	v_cmp_ne_u32_e64 s13, 0, v14
                                        ; implicit-def: $vgpr92
	s_delay_alu instid0(VALU_DEP_3) | instskip(NEXT) | instid1(VALU_DEP_1)
	v_dual_cndmask_b32 v5, 0, v5 :: v_dual_cndmask_b32 v4, 3, v4
	v_cmp_ne_u64_e32 vcc_lo, 0, v[4:5]
	s_or_b32 s13, s13, vcc_lo
	s_delay_alu instid0(SALU_CYCLE_1) | instskip(NEXT) | instid1(SALU_CYCLE_1)
	s_and_saveexec_b32 s77, s13
	s_xor_b32 s13, exec_lo, s77
; %bb.6784:                             ;   in Loop: Header=BB4_6688 Depth=4
	v_min_i32_e32 v2, 31, v14
	s_delay_alu instid0(VALU_DEP_1) | instskip(NEXT) | instid1(VALU_DEP_1)
	v_lshl_or_b32 v2, v2, 2, v16
                                        ; implicit-def: $vgpr16
	v_and_or_b32 v92, v4, 3, v2
; %bb.6785:                             ;   in Loop: Header=BB4_6688 Depth=4
	s_and_not1_saveexec_b32 s13, s13
; %bb.6786:                             ;   in Loop: Header=BB4_6688 Depth=4
	v_mov_b32_e32 v92, v16
; %bb.6787:                             ;   in Loop: Header=BB4_6688 Depth=4
	s_or_b32 exec_lo, exec_lo, s13
.LBB4_6788:                             ;   in Loop: Header=BB4_6688 Depth=4
	s_delay_alu instid0(SALU_CYCLE_1)
	s_or_b32 exec_lo, exec_lo, s76
                                        ; implicit-def: $vgpr16
.LBB4_6789:                             ;   in Loop: Header=BB4_6688 Depth=4
	s_and_not1_saveexec_b32 s13, s15
; %bb.6790:                             ;   in Loop: Header=BB4_6688 Depth=4
	v_or_b32_e32 v92, 0x7b, v16
; %bb.6791:                             ;   in Loop: Header=BB4_6688 Depth=4
	s_or_b32 exec_lo, exec_lo, s13
                                        ; implicit-def: $vgpr4
.LBB4_6792:                             ;   in Loop: Header=BB4_6688 Depth=4
	s_and_not1_saveexec_b32 s13, s14
	s_cbranch_execz .LBB4_6798
; %bb.6793:                             ;   in Loop: Header=BB4_6688 Depth=4
	s_mov_b32 s14, exec_lo
                                        ; implicit-def: $vgpr92
	v_cmpx_ne_u64_e32 0, v[2:3]
	s_xor_b32 s14, exec_lo, s14
; %bb.6794:                             ;   in Loop: Header=BB4_6688 Depth=4
	v_lshrrev_b32_e32 v2, 24, v4
                                        ; implicit-def: $vgpr4
	s_delay_alu instid0(VALU_DEP_1)
	v_or_b32_e32 v92, 0x7f, v2
; %bb.6795:                             ;   in Loop: Header=BB4_6688 Depth=4
	s_and_not1_saveexec_b32 s14, s14
; %bb.6796:                             ;   in Loop: Header=BB4_6688 Depth=4
	v_cmp_lt_i32_e32 vcc_lo, -1, v4
	v_cndmask_b32_e64 v92, -4, 0x7c, vcc_lo
; %bb.6797:                             ;   in Loop: Header=BB4_6688 Depth=4
	s_or_b32 exec_lo, exec_lo, s14
.LBB4_6798:                             ;   in Loop: Header=BB4_6688 Depth=4
	s_delay_alu instid0(SALU_CYCLE_1)
	s_or_b32 exec_lo, exec_lo, s13
	flat_load_i8 v4, v[8:9] offset:96 th:TH_LOAD_NT
	v_mov_b32_e32 v5, 0
	s_mov_b32 s13, exec_lo
	s_wait_loadcnt_dscnt 0x0
	v_cmpx_ne_u16_e32 0, v4
	s_cbranch_execz .LBB4_6808
; %bb.6799:                             ;   in Loop: Header=BB4_6688 Depth=4
	v_bfrev_b32_e32 v5, 1
	s_mov_b32 s14, exec_lo
	v_cmpx_ne_u16_e32 0xff80, v4
	s_cbranch_execz .LBB4_6807
; %bb.6800:                             ;   in Loop: Header=BB4_6688 Depth=4
	v_and_b32_e32 v5, 0x7c, v4
	v_and_b32_e32 v2, 3, v4
	s_delay_alu instid0(VALU_DEP_2) | instskip(SKIP_1) | instid1(SALU_CYCLE_1)
	v_cmp_ne_u32_e32 vcc_lo, 0x7c, v5
                                        ; implicit-def: $vgpr5
	s_and_saveexec_b32 s15, vcc_lo
	s_xor_b32 s15, exec_lo, s15
	s_cbranch_execz .LBB4_6804
; %bb.6801:                             ;   in Loop: Header=BB4_6688 Depth=4
	v_and_b32_e32 v5, 0xff, v4
	s_mov_b32 s76, exec_lo
	s_delay_alu instid0(VALU_DEP_1) | instskip(NEXT) | instid1(VALU_DEP_1)
	v_bfe_u32 v5, v5, 2, 5
	v_cmpx_eq_u32_e32 0, v5
	s_cbranch_execz .LBB4_6803
; %bb.6802:                             ;   in Loop: Header=BB4_6688 Depth=4
	v_clz_i32_u32_e32 v2, v2
	v_mov_b32_e32 v5, v3
	s_delay_alu instid0(VALU_DEP_2) | instskip(NEXT) | instid1(VALU_DEP_1)
	v_min_u32_e32 v2, 32, v2
	v_subrev_nc_u32_e32 v14, 29, v2
	s_delay_alu instid0(VALU_DEP_1) | instskip(SKIP_1) | instid1(VALU_DEP_2)
	v_lshlrev_b64_e32 v[14:15], v14, v[4:5]
	v_sub_nc_u32_e32 v5, 30, v2
	v_and_b32_e32 v2, 3, v14
.LBB4_6803:                             ;   in Loop: Header=BB4_6688 Depth=4
	s_or_b32 exec_lo, exec_lo, s76
	v_bfe_i32 v4, v4, 0, 16
	s_delay_alu instid0(VALU_DEP_1) | instskip(NEXT) | instid1(VALU_DEP_1)
	v_and_b32_e32 v4, 0x80000000, v4
	v_lshl_add_u32 v4, v5, 23, v4
	s_delay_alu instid0(VALU_DEP_1) | instskip(NEXT) | instid1(VALU_DEP_1)
	v_lshl_or_b32 v2, v2, 21, v4
                                        ; implicit-def: $vgpr4
	v_add_nc_u32_e32 v5, 0x38000000, v2
                                        ; implicit-def: $vgpr2
.LBB4_6804:                             ;   in Loop: Header=BB4_6688 Depth=4
	s_and_not1_saveexec_b32 s15, s15
; %bb.6805:                             ;   in Loop: Header=BB4_6688 Depth=4
	v_cmp_lt_i16_e32 vcc_lo, -1, v4
	v_cndmask_b32_e32 v4, 0xff800000, v48, vcc_lo
	v_cmp_eq_u32_e32 vcc_lo, 0, v2
	s_delay_alu instid0(VALU_DEP_2)
	v_cndmask_b32_e32 v5, 0x7f800001, v4, vcc_lo
; %bb.6806:                             ;   in Loop: Header=BB4_6688 Depth=4
	s_or_b32 exec_lo, exec_lo, s15
.LBB4_6807:                             ;   in Loop: Header=BB4_6688 Depth=4
	s_delay_alu instid0(SALU_CYCLE_1)
	s_or_b32 exec_lo, exec_lo, s14
.LBB4_6808:                             ;   in Loop: Header=BB4_6688 Depth=4
	s_delay_alu instid0(SALU_CYCLE_1) | instskip(NEXT) | instid1(VALU_DEP_1)
	s_or_b32 exec_lo, exec_lo, s13
	v_dual_mul_f32 v4, s75, v5 :: v_dual_mov_b32 v15, v3
                                        ; implicit-def: $vgpr90
	s_mov_b32 s13, exec_lo
	s_delay_alu instid0(VALU_DEP_1) | instskip(SKIP_1) | instid1(VALU_DEP_2)
	v_and_b32_e32 v14, 0x7f800000, v4
	v_and_b32_e32 v2, 0x7fffff, v4
	v_cmpx_ne_u64_e32 0x7f800000, v[14:15]
	s_xor_b32 s14, exec_lo, s13
	s_cbranch_execz .LBB4_6826
; %bb.6809:                             ;   in Loop: Header=BB4_6688 Depth=4
	v_dual_mov_b32 v15, v3 :: v_dual_lshrrev_b32 v5, 24, v4
	v_and_b32_e32 v14, 0x7fffffff, v4
                                        ; implicit-def: $vgpr90
	s_mov_b32 s13, exec_lo
	s_delay_alu instid0(VALU_DEP_2) | instskip(NEXT) | instid1(VALU_DEP_2)
	v_and_b32_e32 v16, 0x80, v5
	v_cmpx_gt_u64_e32 0x47600001, v[14:15]
	s_xor_b32 s15, exec_lo, s13
	s_cbranch_execz .LBB4_6823
; %bb.6810:                             ;   in Loop: Header=BB4_6688 Depth=4
	v_mov_b32_e32 v90, 0
	s_mov_b32 s76, exec_lo
	v_cmpx_ne_u32_e32 0, v4
	s_cbranch_execz .LBB4_6822
; %bb.6811:                             ;   in Loop: Header=BB4_6688 Depth=4
	v_bfe_u32 v17, v4, 23, 8
	v_or_b32_e32 v14, 0x800000, v2
	s_mov_b32 s77, exec_lo
	s_delay_alu instid0(VALU_DEP_2) | instskip(SKIP_1) | instid1(VALU_DEP_2)
	v_dual_mov_b32 v15, v3 :: v_dual_sub_nc_u32 v4, 0x71, v17
	v_cmp_gt_u32_e32 vcc_lo, 0x72, v17
	v_cndmask_b32_e32 v4, 0, v4, vcc_lo
	v_cmp_eq_u32_e32 vcc_lo, 0, v17
	s_delay_alu instid0(VALU_DEP_2) | instskip(SKIP_1) | instid1(VALU_DEP_2)
	v_cndmask_b32_e64 v18, v4, 0x70, vcc_lo
	v_cndmask_b32_e32 v14, v14, v2, vcc_lo
	v_dual_add_nc_u32 v4, 21, v18 :: v_dual_add_nc_u32 v19, 20, v18
	s_delay_alu instid0(VALU_DEP_1) | instskip(NEXT) | instid1(VALU_DEP_2)
	v_lshlrev_b64_e64 v[4:5], v4, -1
	v_lshlrev_b64_e64 v[20:21], v19, 1
	s_delay_alu instid0(VALU_DEP_2) | instskip(NEXT) | instid1(VALU_DEP_3)
	v_bfi_b32 v31, v5, 0, 0
	v_bfi_b32 v30, v4, 0, v14
	v_lshrrev_b64 v[4:5], v18, v[14:15]
	s_delay_alu instid0(VALU_DEP_1) | instskip(NEXT) | instid1(VALU_DEP_3)
	v_mov_b64_e32 v[14:15], v[4:5]
	v_cmpx_eq_u64_e64 v[30:31], v[20:21]
; %bb.6812:                             ;   in Loop: Header=BB4_6688 Depth=4
	v_bfe_u32 v14, v4, 21, 1
	v_mov_b32_e32 v15, v3
	s_delay_alu instid0(VALU_DEP_1) | instskip(NEXT) | instid1(VALU_DEP_1)
	v_add_nc_u64_e32 v[14:15], v[4:5], v[14:15]
	v_add_nc_u64_e32 v[14:15], -1, v[14:15]
; %bb.6813:                             ;   in Loop: Header=BB4_6688 Depth=4
	s_or_b32 exec_lo, exec_lo, s77
	v_add_nc_u32_e32 v2, 0xffffff81, v17
	v_lshrrev_b32_e32 v5, 23, v4
	s_mov_b32 s13, exec_lo
	s_delay_alu instid0(VALU_DEP_2) | instskip(NEXT) | instid1(VALU_DEP_1)
	v_cndmask_b32_e64 v2, v2, 0xffffff82, vcc_lo
	v_add3_u32 v15, v18, v2, v5
	v_and_b32_e32 v2, 0x1fffff, v14
                                        ; implicit-def: $vgpr14
	s_delay_alu instid0(VALU_DEP_1) | instskip(NEXT) | instid1(VALU_DEP_1)
	v_dual_add_nc_u32 v17, 14, v15 :: v_dual_add_nc_u32 v2, v2, v4
                                        ; implicit-def: $vgpr4_vgpr5
	v_cmpx_ne_u32_e32 0, v17
	s_xor_b32 s13, exec_lo, s13
; %bb.6814:                             ;   in Loop: Header=BB4_6688 Depth=4
	s_delay_alu instid0(VALU_DEP_2) | instskip(SKIP_1) | instid1(VALU_DEP_1)
	v_cmp_lt_u64_e32 vcc_lo, 0xffffff, v[2:3]
	v_add_nc_u32_e32 v4, 15, v15
	v_cndmask_b32_e32 v14, v17, v4, vcc_lo
	v_cndmask_b32_e64 v4, 0, 1, vcc_lo
	s_delay_alu instid0(VALU_DEP_1)
	v_lshrrev_b64 v[4:5], v4, v[2:3]
; %bb.6815:                             ;   in Loop: Header=BB4_6688 Depth=4
	s_and_not1_saveexec_b32 s13, s13
; %bb.6816:                             ;   in Loop: Header=BB4_6688 Depth=4
	v_mov_b64_e32 v[4:5], v[2:3]
	v_bfe_u32 v14, v2, 23, 1
; %bb.6817:                             ;   in Loop: Header=BB4_6688 Depth=4
	s_or_b32 exec_lo, exec_lo, s13
	s_delay_alu instid0(VALU_DEP_2) | instskip(NEXT) | instid1(VALU_DEP_2)
	v_lshrrev_b64 v[4:5], 21, v[4:5]
	v_cmp_gt_i32_e32 vcc_lo, 32, v14
	v_cmp_ne_u32_e64 s13, 0, v14
                                        ; implicit-def: $vgpr90
	s_delay_alu instid0(VALU_DEP_3) | instskip(NEXT) | instid1(VALU_DEP_1)
	v_dual_cndmask_b32 v5, 0, v5 :: v_dual_cndmask_b32 v4, 3, v4
	v_cmp_ne_u64_e32 vcc_lo, 0, v[4:5]
	s_or_b32 s13, s13, vcc_lo
	s_delay_alu instid0(SALU_CYCLE_1) | instskip(NEXT) | instid1(SALU_CYCLE_1)
	s_and_saveexec_b32 s77, s13
	s_xor_b32 s13, exec_lo, s77
; %bb.6818:                             ;   in Loop: Header=BB4_6688 Depth=4
	v_min_i32_e32 v2, 31, v14
	s_delay_alu instid0(VALU_DEP_1) | instskip(NEXT) | instid1(VALU_DEP_1)
	v_lshl_or_b32 v2, v2, 2, v16
                                        ; implicit-def: $vgpr16
	v_and_or_b32 v90, v4, 3, v2
; %bb.6819:                             ;   in Loop: Header=BB4_6688 Depth=4
	s_and_not1_saveexec_b32 s13, s13
; %bb.6820:                             ;   in Loop: Header=BB4_6688 Depth=4
	v_mov_b32_e32 v90, v16
; %bb.6821:                             ;   in Loop: Header=BB4_6688 Depth=4
	s_or_b32 exec_lo, exec_lo, s13
.LBB4_6822:                             ;   in Loop: Header=BB4_6688 Depth=4
	s_delay_alu instid0(SALU_CYCLE_1)
	s_or_b32 exec_lo, exec_lo, s76
                                        ; implicit-def: $vgpr16
.LBB4_6823:                             ;   in Loop: Header=BB4_6688 Depth=4
	s_and_not1_saveexec_b32 s13, s15
; %bb.6824:                             ;   in Loop: Header=BB4_6688 Depth=4
	v_or_b32_e32 v90, 0x7b, v16
; %bb.6825:                             ;   in Loop: Header=BB4_6688 Depth=4
	s_or_b32 exec_lo, exec_lo, s13
                                        ; implicit-def: $vgpr4
.LBB4_6826:                             ;   in Loop: Header=BB4_6688 Depth=4
	s_and_not1_saveexec_b32 s13, s14
	s_cbranch_execz .LBB4_6832
; %bb.6827:                             ;   in Loop: Header=BB4_6688 Depth=4
	s_mov_b32 s14, exec_lo
                                        ; implicit-def: $vgpr90
	v_cmpx_ne_u64_e32 0, v[2:3]
	s_xor_b32 s14, exec_lo, s14
; %bb.6828:                             ;   in Loop: Header=BB4_6688 Depth=4
	v_lshrrev_b32_e32 v2, 24, v4
                                        ; implicit-def: $vgpr4
	s_delay_alu instid0(VALU_DEP_1)
	v_or_b32_e32 v90, 0x7f, v2
; %bb.6829:                             ;   in Loop: Header=BB4_6688 Depth=4
	s_and_not1_saveexec_b32 s14, s14
; %bb.6830:                             ;   in Loop: Header=BB4_6688 Depth=4
	v_cmp_lt_i32_e32 vcc_lo, -1, v4
	v_cndmask_b32_e64 v90, -4, 0x7c, vcc_lo
; %bb.6831:                             ;   in Loop: Header=BB4_6688 Depth=4
	s_or_b32 exec_lo, exec_lo, s14
.LBB4_6832:                             ;   in Loop: Header=BB4_6688 Depth=4
	s_delay_alu instid0(SALU_CYCLE_1)
	s_or_b32 exec_lo, exec_lo, s13
	flat_load_i8 v4, v[8:9] offset:128 th:TH_LOAD_NT
	v_mov_b32_e32 v5, 0
	s_mov_b32 s13, exec_lo
	s_wait_loadcnt_dscnt 0x0
	v_cmpx_ne_u16_e32 0, v4
	s_cbranch_execz .LBB4_6842
; %bb.6833:                             ;   in Loop: Header=BB4_6688 Depth=4
	v_bfrev_b32_e32 v5, 1
	s_mov_b32 s14, exec_lo
	v_cmpx_ne_u16_e32 0xff80, v4
	s_cbranch_execz .LBB4_6841
; %bb.6834:                             ;   in Loop: Header=BB4_6688 Depth=4
	v_and_b32_e32 v5, 0x7c, v4
	v_and_b32_e32 v2, 3, v4
	s_delay_alu instid0(VALU_DEP_2) | instskip(SKIP_1) | instid1(SALU_CYCLE_1)
	v_cmp_ne_u32_e32 vcc_lo, 0x7c, v5
                                        ; implicit-def: $vgpr5
	s_and_saveexec_b32 s15, vcc_lo
	s_xor_b32 s15, exec_lo, s15
	s_cbranch_execz .LBB4_6838
; %bb.6835:                             ;   in Loop: Header=BB4_6688 Depth=4
	v_and_b32_e32 v5, 0xff, v4
	s_mov_b32 s76, exec_lo
	s_delay_alu instid0(VALU_DEP_1) | instskip(NEXT) | instid1(VALU_DEP_1)
	v_bfe_u32 v5, v5, 2, 5
	v_cmpx_eq_u32_e32 0, v5
	s_cbranch_execz .LBB4_6837
; %bb.6836:                             ;   in Loop: Header=BB4_6688 Depth=4
	v_clz_i32_u32_e32 v2, v2
	v_mov_b32_e32 v5, v3
	s_delay_alu instid0(VALU_DEP_2) | instskip(NEXT) | instid1(VALU_DEP_1)
	v_min_u32_e32 v2, 32, v2
	v_subrev_nc_u32_e32 v14, 29, v2
	s_delay_alu instid0(VALU_DEP_1) | instskip(SKIP_1) | instid1(VALU_DEP_2)
	v_lshlrev_b64_e32 v[14:15], v14, v[4:5]
	v_sub_nc_u32_e32 v5, 30, v2
	v_and_b32_e32 v2, 3, v14
.LBB4_6837:                             ;   in Loop: Header=BB4_6688 Depth=4
	s_or_b32 exec_lo, exec_lo, s76
	v_bfe_i32 v4, v4, 0, 16
	s_delay_alu instid0(VALU_DEP_1) | instskip(NEXT) | instid1(VALU_DEP_1)
	v_and_b32_e32 v4, 0x80000000, v4
	v_lshl_add_u32 v4, v5, 23, v4
	s_delay_alu instid0(VALU_DEP_1) | instskip(NEXT) | instid1(VALU_DEP_1)
	v_lshl_or_b32 v2, v2, 21, v4
                                        ; implicit-def: $vgpr4
	v_add_nc_u32_e32 v5, 0x38000000, v2
                                        ; implicit-def: $vgpr2
.LBB4_6838:                             ;   in Loop: Header=BB4_6688 Depth=4
	s_and_not1_saveexec_b32 s15, s15
; %bb.6839:                             ;   in Loop: Header=BB4_6688 Depth=4
	v_cmp_lt_i16_e32 vcc_lo, -1, v4
	v_cndmask_b32_e32 v4, 0xff800000, v48, vcc_lo
	v_cmp_eq_u32_e32 vcc_lo, 0, v2
	s_delay_alu instid0(VALU_DEP_2)
	v_cndmask_b32_e32 v5, 0x7f800001, v4, vcc_lo
; %bb.6840:                             ;   in Loop: Header=BB4_6688 Depth=4
	s_or_b32 exec_lo, exec_lo, s15
.LBB4_6841:                             ;   in Loop: Header=BB4_6688 Depth=4
	s_delay_alu instid0(SALU_CYCLE_1)
	s_or_b32 exec_lo, exec_lo, s14
.LBB4_6842:                             ;   in Loop: Header=BB4_6688 Depth=4
	s_delay_alu instid0(SALU_CYCLE_1) | instskip(NEXT) | instid1(VALU_DEP_1)
	s_or_b32 exec_lo, exec_lo, s13
	v_dual_mul_f32 v4, s75, v5 :: v_dual_mov_b32 v15, v3
                                        ; implicit-def: $vgpr88
	s_mov_b32 s13, exec_lo
	s_delay_alu instid0(VALU_DEP_1) | instskip(SKIP_1) | instid1(VALU_DEP_2)
	v_and_b32_e32 v14, 0x7f800000, v4
	v_and_b32_e32 v2, 0x7fffff, v4
	v_cmpx_ne_u64_e32 0x7f800000, v[14:15]
	s_xor_b32 s14, exec_lo, s13
	s_cbranch_execz .LBB4_6860
; %bb.6843:                             ;   in Loop: Header=BB4_6688 Depth=4
	v_dual_mov_b32 v15, v3 :: v_dual_lshrrev_b32 v5, 24, v4
	v_and_b32_e32 v14, 0x7fffffff, v4
                                        ; implicit-def: $vgpr88
	s_mov_b32 s13, exec_lo
	s_delay_alu instid0(VALU_DEP_2) | instskip(NEXT) | instid1(VALU_DEP_2)
	v_and_b32_e32 v16, 0x80, v5
	v_cmpx_gt_u64_e32 0x47600001, v[14:15]
	s_xor_b32 s15, exec_lo, s13
	s_cbranch_execz .LBB4_6857
; %bb.6844:                             ;   in Loop: Header=BB4_6688 Depth=4
	v_mov_b32_e32 v88, 0
	s_mov_b32 s76, exec_lo
	v_cmpx_ne_u32_e32 0, v4
	s_cbranch_execz .LBB4_6856
; %bb.6845:                             ;   in Loop: Header=BB4_6688 Depth=4
	v_bfe_u32 v17, v4, 23, 8
	v_or_b32_e32 v14, 0x800000, v2
	s_mov_b32 s77, exec_lo
	s_delay_alu instid0(VALU_DEP_2) | instskip(SKIP_1) | instid1(VALU_DEP_2)
	v_dual_mov_b32 v15, v3 :: v_dual_sub_nc_u32 v4, 0x71, v17
	v_cmp_gt_u32_e32 vcc_lo, 0x72, v17
	v_cndmask_b32_e32 v4, 0, v4, vcc_lo
	v_cmp_eq_u32_e32 vcc_lo, 0, v17
	s_delay_alu instid0(VALU_DEP_2) | instskip(SKIP_1) | instid1(VALU_DEP_2)
	v_cndmask_b32_e64 v18, v4, 0x70, vcc_lo
	v_cndmask_b32_e32 v14, v14, v2, vcc_lo
	v_dual_add_nc_u32 v4, 21, v18 :: v_dual_add_nc_u32 v19, 20, v18
	s_delay_alu instid0(VALU_DEP_1) | instskip(NEXT) | instid1(VALU_DEP_2)
	v_lshlrev_b64_e64 v[4:5], v4, -1
	v_lshlrev_b64_e64 v[20:21], v19, 1
	s_delay_alu instid0(VALU_DEP_2) | instskip(NEXT) | instid1(VALU_DEP_3)
	v_bfi_b32 v31, v5, 0, 0
	v_bfi_b32 v30, v4, 0, v14
	v_lshrrev_b64 v[4:5], v18, v[14:15]
	s_delay_alu instid0(VALU_DEP_1) | instskip(NEXT) | instid1(VALU_DEP_3)
	v_mov_b64_e32 v[14:15], v[4:5]
	v_cmpx_eq_u64_e64 v[30:31], v[20:21]
; %bb.6846:                             ;   in Loop: Header=BB4_6688 Depth=4
	v_bfe_u32 v14, v4, 21, 1
	v_mov_b32_e32 v15, v3
	s_delay_alu instid0(VALU_DEP_1) | instskip(NEXT) | instid1(VALU_DEP_1)
	v_add_nc_u64_e32 v[14:15], v[4:5], v[14:15]
	v_add_nc_u64_e32 v[14:15], -1, v[14:15]
; %bb.6847:                             ;   in Loop: Header=BB4_6688 Depth=4
	s_or_b32 exec_lo, exec_lo, s77
	v_add_nc_u32_e32 v2, 0xffffff81, v17
	v_lshrrev_b32_e32 v5, 23, v4
	s_mov_b32 s13, exec_lo
	s_delay_alu instid0(VALU_DEP_2) | instskip(NEXT) | instid1(VALU_DEP_1)
	v_cndmask_b32_e64 v2, v2, 0xffffff82, vcc_lo
	v_add3_u32 v15, v18, v2, v5
	v_and_b32_e32 v2, 0x1fffff, v14
                                        ; implicit-def: $vgpr14
	s_delay_alu instid0(VALU_DEP_1) | instskip(NEXT) | instid1(VALU_DEP_1)
	v_dual_add_nc_u32 v17, 14, v15 :: v_dual_add_nc_u32 v2, v2, v4
                                        ; implicit-def: $vgpr4_vgpr5
	v_cmpx_ne_u32_e32 0, v17
	s_xor_b32 s13, exec_lo, s13
; %bb.6848:                             ;   in Loop: Header=BB4_6688 Depth=4
	s_delay_alu instid0(VALU_DEP_2) | instskip(SKIP_1) | instid1(VALU_DEP_1)
	v_cmp_lt_u64_e32 vcc_lo, 0xffffff, v[2:3]
	v_add_nc_u32_e32 v4, 15, v15
	v_cndmask_b32_e32 v14, v17, v4, vcc_lo
	v_cndmask_b32_e64 v4, 0, 1, vcc_lo
	s_delay_alu instid0(VALU_DEP_1)
	v_lshrrev_b64 v[4:5], v4, v[2:3]
; %bb.6849:                             ;   in Loop: Header=BB4_6688 Depth=4
	s_and_not1_saveexec_b32 s13, s13
; %bb.6850:                             ;   in Loop: Header=BB4_6688 Depth=4
	v_mov_b64_e32 v[4:5], v[2:3]
	v_bfe_u32 v14, v2, 23, 1
; %bb.6851:                             ;   in Loop: Header=BB4_6688 Depth=4
	s_or_b32 exec_lo, exec_lo, s13
	s_delay_alu instid0(VALU_DEP_2) | instskip(NEXT) | instid1(VALU_DEP_2)
	v_lshrrev_b64 v[4:5], 21, v[4:5]
	v_cmp_gt_i32_e32 vcc_lo, 32, v14
	v_cmp_ne_u32_e64 s13, 0, v14
                                        ; implicit-def: $vgpr88
	s_delay_alu instid0(VALU_DEP_3) | instskip(NEXT) | instid1(VALU_DEP_1)
	v_dual_cndmask_b32 v5, 0, v5 :: v_dual_cndmask_b32 v4, 3, v4
	v_cmp_ne_u64_e32 vcc_lo, 0, v[4:5]
	s_or_b32 s13, s13, vcc_lo
	s_delay_alu instid0(SALU_CYCLE_1) | instskip(NEXT) | instid1(SALU_CYCLE_1)
	s_and_saveexec_b32 s77, s13
	s_xor_b32 s13, exec_lo, s77
; %bb.6852:                             ;   in Loop: Header=BB4_6688 Depth=4
	v_min_i32_e32 v2, 31, v14
	s_delay_alu instid0(VALU_DEP_1) | instskip(NEXT) | instid1(VALU_DEP_1)
	v_lshl_or_b32 v2, v2, 2, v16
                                        ; implicit-def: $vgpr16
	v_and_or_b32 v88, v4, 3, v2
; %bb.6853:                             ;   in Loop: Header=BB4_6688 Depth=4
	s_and_not1_saveexec_b32 s13, s13
; %bb.6854:                             ;   in Loop: Header=BB4_6688 Depth=4
	v_mov_b32_e32 v88, v16
; %bb.6855:                             ;   in Loop: Header=BB4_6688 Depth=4
	s_or_b32 exec_lo, exec_lo, s13
.LBB4_6856:                             ;   in Loop: Header=BB4_6688 Depth=4
	s_delay_alu instid0(SALU_CYCLE_1)
	s_or_b32 exec_lo, exec_lo, s76
                                        ; implicit-def: $vgpr16
.LBB4_6857:                             ;   in Loop: Header=BB4_6688 Depth=4
	s_and_not1_saveexec_b32 s13, s15
; %bb.6858:                             ;   in Loop: Header=BB4_6688 Depth=4
	v_or_b32_e32 v88, 0x7b, v16
; %bb.6859:                             ;   in Loop: Header=BB4_6688 Depth=4
	s_or_b32 exec_lo, exec_lo, s13
                                        ; implicit-def: $vgpr4
.LBB4_6860:                             ;   in Loop: Header=BB4_6688 Depth=4
	s_and_not1_saveexec_b32 s13, s14
	s_cbranch_execz .LBB4_6866
; %bb.6861:                             ;   in Loop: Header=BB4_6688 Depth=4
	s_mov_b32 s14, exec_lo
                                        ; implicit-def: $vgpr88
	v_cmpx_ne_u64_e32 0, v[2:3]
	s_xor_b32 s14, exec_lo, s14
; %bb.6862:                             ;   in Loop: Header=BB4_6688 Depth=4
	v_lshrrev_b32_e32 v2, 24, v4
                                        ; implicit-def: $vgpr4
	s_delay_alu instid0(VALU_DEP_1)
	v_or_b32_e32 v88, 0x7f, v2
; %bb.6863:                             ;   in Loop: Header=BB4_6688 Depth=4
	s_and_not1_saveexec_b32 s14, s14
; %bb.6864:                             ;   in Loop: Header=BB4_6688 Depth=4
	v_cmp_lt_i32_e32 vcc_lo, -1, v4
	v_cndmask_b32_e64 v88, -4, 0x7c, vcc_lo
; %bb.6865:                             ;   in Loop: Header=BB4_6688 Depth=4
	s_or_b32 exec_lo, exec_lo, s14
.LBB4_6866:                             ;   in Loop: Header=BB4_6688 Depth=4
	s_delay_alu instid0(SALU_CYCLE_1)
	s_or_b32 exec_lo, exec_lo, s13
	flat_load_i8 v4, v[8:9] offset:160 th:TH_LOAD_NT
	v_mov_b32_e32 v5, 0
	s_mov_b32 s13, exec_lo
	s_wait_loadcnt_dscnt 0x0
	v_cmpx_ne_u16_e32 0, v4
	s_cbranch_execz .LBB4_6876
; %bb.6867:                             ;   in Loop: Header=BB4_6688 Depth=4
	v_bfrev_b32_e32 v5, 1
	s_mov_b32 s14, exec_lo
	v_cmpx_ne_u16_e32 0xff80, v4
	s_cbranch_execz .LBB4_6875
; %bb.6868:                             ;   in Loop: Header=BB4_6688 Depth=4
	v_and_b32_e32 v5, 0x7c, v4
	v_and_b32_e32 v2, 3, v4
	s_delay_alu instid0(VALU_DEP_2) | instskip(SKIP_1) | instid1(SALU_CYCLE_1)
	v_cmp_ne_u32_e32 vcc_lo, 0x7c, v5
                                        ; implicit-def: $vgpr5
	s_and_saveexec_b32 s15, vcc_lo
	s_xor_b32 s15, exec_lo, s15
	s_cbranch_execz .LBB4_6872
; %bb.6869:                             ;   in Loop: Header=BB4_6688 Depth=4
	v_and_b32_e32 v5, 0xff, v4
	s_mov_b32 s76, exec_lo
	s_delay_alu instid0(VALU_DEP_1) | instskip(NEXT) | instid1(VALU_DEP_1)
	v_bfe_u32 v5, v5, 2, 5
	v_cmpx_eq_u32_e32 0, v5
	s_cbranch_execz .LBB4_6871
; %bb.6870:                             ;   in Loop: Header=BB4_6688 Depth=4
	v_clz_i32_u32_e32 v2, v2
	v_mov_b32_e32 v5, v3
	s_delay_alu instid0(VALU_DEP_2) | instskip(NEXT) | instid1(VALU_DEP_1)
	v_min_u32_e32 v2, 32, v2
	v_subrev_nc_u32_e32 v14, 29, v2
	s_delay_alu instid0(VALU_DEP_1) | instskip(SKIP_1) | instid1(VALU_DEP_2)
	v_lshlrev_b64_e32 v[14:15], v14, v[4:5]
	v_sub_nc_u32_e32 v5, 30, v2
	v_and_b32_e32 v2, 3, v14
.LBB4_6871:                             ;   in Loop: Header=BB4_6688 Depth=4
	s_or_b32 exec_lo, exec_lo, s76
	v_bfe_i32 v4, v4, 0, 16
	s_delay_alu instid0(VALU_DEP_1) | instskip(NEXT) | instid1(VALU_DEP_1)
	v_and_b32_e32 v4, 0x80000000, v4
	v_lshl_add_u32 v4, v5, 23, v4
	s_delay_alu instid0(VALU_DEP_1) | instskip(NEXT) | instid1(VALU_DEP_1)
	v_lshl_or_b32 v2, v2, 21, v4
                                        ; implicit-def: $vgpr4
	v_add_nc_u32_e32 v5, 0x38000000, v2
                                        ; implicit-def: $vgpr2
.LBB4_6872:                             ;   in Loop: Header=BB4_6688 Depth=4
	s_and_not1_saveexec_b32 s15, s15
; %bb.6873:                             ;   in Loop: Header=BB4_6688 Depth=4
	v_cmp_lt_i16_e32 vcc_lo, -1, v4
	v_cndmask_b32_e32 v4, 0xff800000, v48, vcc_lo
	v_cmp_eq_u32_e32 vcc_lo, 0, v2
	s_delay_alu instid0(VALU_DEP_2)
	v_cndmask_b32_e32 v5, 0x7f800001, v4, vcc_lo
; %bb.6874:                             ;   in Loop: Header=BB4_6688 Depth=4
	s_or_b32 exec_lo, exec_lo, s15
.LBB4_6875:                             ;   in Loop: Header=BB4_6688 Depth=4
	s_delay_alu instid0(SALU_CYCLE_1)
	s_or_b32 exec_lo, exec_lo, s14
.LBB4_6876:                             ;   in Loop: Header=BB4_6688 Depth=4
	s_delay_alu instid0(SALU_CYCLE_1) | instskip(NEXT) | instid1(VALU_DEP_1)
	s_or_b32 exec_lo, exec_lo, s13
	v_dual_mul_f32 v4, s75, v5 :: v_dual_mov_b32 v15, v3
                                        ; implicit-def: $vgpr78
	s_mov_b32 s13, exec_lo
	s_delay_alu instid0(VALU_DEP_1) | instskip(SKIP_1) | instid1(VALU_DEP_2)
	v_and_b32_e32 v14, 0x7f800000, v4
	v_and_b32_e32 v2, 0x7fffff, v4
	v_cmpx_ne_u64_e32 0x7f800000, v[14:15]
	s_xor_b32 s14, exec_lo, s13
	s_cbranch_execz .LBB4_6894
; %bb.6877:                             ;   in Loop: Header=BB4_6688 Depth=4
	v_dual_mov_b32 v15, v3 :: v_dual_lshrrev_b32 v5, 24, v4
	v_and_b32_e32 v14, 0x7fffffff, v4
                                        ; implicit-def: $vgpr78
	s_mov_b32 s13, exec_lo
	s_delay_alu instid0(VALU_DEP_2) | instskip(NEXT) | instid1(VALU_DEP_2)
	v_and_b32_e32 v16, 0x80, v5
	v_cmpx_gt_u64_e32 0x47600001, v[14:15]
	s_xor_b32 s15, exec_lo, s13
	s_cbranch_execz .LBB4_6891
; %bb.6878:                             ;   in Loop: Header=BB4_6688 Depth=4
	v_mov_b32_e32 v78, 0
	s_mov_b32 s76, exec_lo
	v_cmpx_ne_u32_e32 0, v4
	s_cbranch_execz .LBB4_6890
; %bb.6879:                             ;   in Loop: Header=BB4_6688 Depth=4
	v_bfe_u32 v17, v4, 23, 8
	v_or_b32_e32 v14, 0x800000, v2
	s_mov_b32 s77, exec_lo
	s_delay_alu instid0(VALU_DEP_2) | instskip(SKIP_1) | instid1(VALU_DEP_2)
	v_dual_mov_b32 v15, v3 :: v_dual_sub_nc_u32 v4, 0x71, v17
	v_cmp_gt_u32_e32 vcc_lo, 0x72, v17
	v_cndmask_b32_e32 v4, 0, v4, vcc_lo
	v_cmp_eq_u32_e32 vcc_lo, 0, v17
	s_delay_alu instid0(VALU_DEP_2) | instskip(SKIP_1) | instid1(VALU_DEP_2)
	v_cndmask_b32_e64 v18, v4, 0x70, vcc_lo
	v_cndmask_b32_e32 v14, v14, v2, vcc_lo
	v_dual_add_nc_u32 v4, 21, v18 :: v_dual_add_nc_u32 v19, 20, v18
	s_delay_alu instid0(VALU_DEP_1) | instskip(NEXT) | instid1(VALU_DEP_2)
	v_lshlrev_b64_e64 v[4:5], v4, -1
	v_lshlrev_b64_e64 v[20:21], v19, 1
	s_delay_alu instid0(VALU_DEP_2) | instskip(NEXT) | instid1(VALU_DEP_3)
	v_bfi_b32 v31, v5, 0, 0
	v_bfi_b32 v30, v4, 0, v14
	v_lshrrev_b64 v[4:5], v18, v[14:15]
	s_delay_alu instid0(VALU_DEP_1) | instskip(NEXT) | instid1(VALU_DEP_3)
	v_mov_b64_e32 v[14:15], v[4:5]
	v_cmpx_eq_u64_e64 v[30:31], v[20:21]
; %bb.6880:                             ;   in Loop: Header=BB4_6688 Depth=4
	v_bfe_u32 v14, v4, 21, 1
	v_mov_b32_e32 v15, v3
	s_delay_alu instid0(VALU_DEP_1) | instskip(NEXT) | instid1(VALU_DEP_1)
	v_add_nc_u64_e32 v[14:15], v[4:5], v[14:15]
	v_add_nc_u64_e32 v[14:15], -1, v[14:15]
; %bb.6881:                             ;   in Loop: Header=BB4_6688 Depth=4
	s_or_b32 exec_lo, exec_lo, s77
	v_add_nc_u32_e32 v2, 0xffffff81, v17
	v_lshrrev_b32_e32 v5, 23, v4
	s_mov_b32 s13, exec_lo
	s_delay_alu instid0(VALU_DEP_2) | instskip(NEXT) | instid1(VALU_DEP_1)
	v_cndmask_b32_e64 v2, v2, 0xffffff82, vcc_lo
	v_add3_u32 v15, v18, v2, v5
	v_and_b32_e32 v2, 0x1fffff, v14
                                        ; implicit-def: $vgpr14
	s_delay_alu instid0(VALU_DEP_1) | instskip(NEXT) | instid1(VALU_DEP_1)
	v_dual_add_nc_u32 v17, 14, v15 :: v_dual_add_nc_u32 v2, v2, v4
                                        ; implicit-def: $vgpr4_vgpr5
	v_cmpx_ne_u32_e32 0, v17
	s_xor_b32 s13, exec_lo, s13
; %bb.6882:                             ;   in Loop: Header=BB4_6688 Depth=4
	s_delay_alu instid0(VALU_DEP_2) | instskip(SKIP_1) | instid1(VALU_DEP_1)
	v_cmp_lt_u64_e32 vcc_lo, 0xffffff, v[2:3]
	v_add_nc_u32_e32 v4, 15, v15
	v_cndmask_b32_e32 v14, v17, v4, vcc_lo
	v_cndmask_b32_e64 v4, 0, 1, vcc_lo
	s_delay_alu instid0(VALU_DEP_1)
	v_lshrrev_b64 v[4:5], v4, v[2:3]
; %bb.6883:                             ;   in Loop: Header=BB4_6688 Depth=4
	s_and_not1_saveexec_b32 s13, s13
; %bb.6884:                             ;   in Loop: Header=BB4_6688 Depth=4
	v_mov_b64_e32 v[4:5], v[2:3]
	v_bfe_u32 v14, v2, 23, 1
; %bb.6885:                             ;   in Loop: Header=BB4_6688 Depth=4
	s_or_b32 exec_lo, exec_lo, s13
	s_delay_alu instid0(VALU_DEP_2) | instskip(NEXT) | instid1(VALU_DEP_2)
	v_lshrrev_b64 v[4:5], 21, v[4:5]
	v_cmp_gt_i32_e32 vcc_lo, 32, v14
	v_cmp_ne_u32_e64 s13, 0, v14
                                        ; implicit-def: $vgpr78
	s_delay_alu instid0(VALU_DEP_3) | instskip(NEXT) | instid1(VALU_DEP_1)
	v_dual_cndmask_b32 v5, 0, v5 :: v_dual_cndmask_b32 v4, 3, v4
	v_cmp_ne_u64_e32 vcc_lo, 0, v[4:5]
	s_or_b32 s13, s13, vcc_lo
	s_delay_alu instid0(SALU_CYCLE_1) | instskip(NEXT) | instid1(SALU_CYCLE_1)
	s_and_saveexec_b32 s77, s13
	s_xor_b32 s13, exec_lo, s77
; %bb.6886:                             ;   in Loop: Header=BB4_6688 Depth=4
	v_min_i32_e32 v2, 31, v14
	s_delay_alu instid0(VALU_DEP_1) | instskip(NEXT) | instid1(VALU_DEP_1)
	v_lshl_or_b32 v2, v2, 2, v16
                                        ; implicit-def: $vgpr16
	v_and_or_b32 v78, v4, 3, v2
; %bb.6887:                             ;   in Loop: Header=BB4_6688 Depth=4
	s_and_not1_saveexec_b32 s13, s13
; %bb.6888:                             ;   in Loop: Header=BB4_6688 Depth=4
	v_mov_b32_e32 v78, v16
; %bb.6889:                             ;   in Loop: Header=BB4_6688 Depth=4
	s_or_b32 exec_lo, exec_lo, s13
.LBB4_6890:                             ;   in Loop: Header=BB4_6688 Depth=4
	s_delay_alu instid0(SALU_CYCLE_1)
	s_or_b32 exec_lo, exec_lo, s76
                                        ; implicit-def: $vgpr16
.LBB4_6891:                             ;   in Loop: Header=BB4_6688 Depth=4
	s_and_not1_saveexec_b32 s13, s15
; %bb.6892:                             ;   in Loop: Header=BB4_6688 Depth=4
	v_or_b32_e32 v78, 0x7b, v16
; %bb.6893:                             ;   in Loop: Header=BB4_6688 Depth=4
	s_or_b32 exec_lo, exec_lo, s13
                                        ; implicit-def: $vgpr4
.LBB4_6894:                             ;   in Loop: Header=BB4_6688 Depth=4
	s_and_not1_saveexec_b32 s13, s14
	s_cbranch_execz .LBB4_6900
; %bb.6895:                             ;   in Loop: Header=BB4_6688 Depth=4
	s_mov_b32 s14, exec_lo
                                        ; implicit-def: $vgpr78
	v_cmpx_ne_u64_e32 0, v[2:3]
	s_xor_b32 s14, exec_lo, s14
; %bb.6896:                             ;   in Loop: Header=BB4_6688 Depth=4
	v_lshrrev_b32_e32 v2, 24, v4
                                        ; implicit-def: $vgpr4
	s_delay_alu instid0(VALU_DEP_1)
	v_or_b32_e32 v78, 0x7f, v2
; %bb.6897:                             ;   in Loop: Header=BB4_6688 Depth=4
	s_and_not1_saveexec_b32 s14, s14
; %bb.6898:                             ;   in Loop: Header=BB4_6688 Depth=4
	v_cmp_lt_i32_e32 vcc_lo, -1, v4
	v_cndmask_b32_e64 v78, -4, 0x7c, vcc_lo
; %bb.6899:                             ;   in Loop: Header=BB4_6688 Depth=4
	s_or_b32 exec_lo, exec_lo, s14
.LBB4_6900:                             ;   in Loop: Header=BB4_6688 Depth=4
	s_delay_alu instid0(SALU_CYCLE_1)
	s_or_b32 exec_lo, exec_lo, s13
	flat_load_i8 v4, v[8:9] offset:192 th:TH_LOAD_NT
	v_mov_b32_e32 v5, 0
	s_mov_b32 s13, exec_lo
	s_wait_loadcnt_dscnt 0x0
	v_cmpx_ne_u16_e32 0, v4
	s_cbranch_execz .LBB4_6910
; %bb.6901:                             ;   in Loop: Header=BB4_6688 Depth=4
	v_bfrev_b32_e32 v5, 1
	s_mov_b32 s14, exec_lo
	v_cmpx_ne_u16_e32 0xff80, v4
	s_cbranch_execz .LBB4_6909
; %bb.6902:                             ;   in Loop: Header=BB4_6688 Depth=4
	v_and_b32_e32 v5, 0x7c, v4
	v_and_b32_e32 v2, 3, v4
	s_delay_alu instid0(VALU_DEP_2) | instskip(SKIP_1) | instid1(SALU_CYCLE_1)
	v_cmp_ne_u32_e32 vcc_lo, 0x7c, v5
                                        ; implicit-def: $vgpr5
	s_and_saveexec_b32 s15, vcc_lo
	s_xor_b32 s15, exec_lo, s15
	s_cbranch_execz .LBB4_6906
; %bb.6903:                             ;   in Loop: Header=BB4_6688 Depth=4
	v_and_b32_e32 v5, 0xff, v4
	s_mov_b32 s76, exec_lo
	s_delay_alu instid0(VALU_DEP_1) | instskip(NEXT) | instid1(VALU_DEP_1)
	v_bfe_u32 v5, v5, 2, 5
	v_cmpx_eq_u32_e32 0, v5
	s_cbranch_execz .LBB4_6905
; %bb.6904:                             ;   in Loop: Header=BB4_6688 Depth=4
	v_clz_i32_u32_e32 v2, v2
	v_mov_b32_e32 v5, v3
	s_delay_alu instid0(VALU_DEP_2) | instskip(NEXT) | instid1(VALU_DEP_1)
	v_min_u32_e32 v2, 32, v2
	v_subrev_nc_u32_e32 v14, 29, v2
	s_delay_alu instid0(VALU_DEP_1) | instskip(SKIP_1) | instid1(VALU_DEP_2)
	v_lshlrev_b64_e32 v[14:15], v14, v[4:5]
	v_sub_nc_u32_e32 v5, 30, v2
	v_and_b32_e32 v2, 3, v14
.LBB4_6905:                             ;   in Loop: Header=BB4_6688 Depth=4
	s_or_b32 exec_lo, exec_lo, s76
	v_bfe_i32 v4, v4, 0, 16
	s_delay_alu instid0(VALU_DEP_1) | instskip(NEXT) | instid1(VALU_DEP_1)
	v_and_b32_e32 v4, 0x80000000, v4
	v_lshl_add_u32 v4, v5, 23, v4
	s_delay_alu instid0(VALU_DEP_1) | instskip(NEXT) | instid1(VALU_DEP_1)
	v_lshl_or_b32 v2, v2, 21, v4
                                        ; implicit-def: $vgpr4
	v_add_nc_u32_e32 v5, 0x38000000, v2
                                        ; implicit-def: $vgpr2
.LBB4_6906:                             ;   in Loop: Header=BB4_6688 Depth=4
	s_and_not1_saveexec_b32 s15, s15
; %bb.6907:                             ;   in Loop: Header=BB4_6688 Depth=4
	v_cmp_lt_i16_e32 vcc_lo, -1, v4
	v_cndmask_b32_e32 v4, 0xff800000, v48, vcc_lo
	v_cmp_eq_u32_e32 vcc_lo, 0, v2
	s_delay_alu instid0(VALU_DEP_2)
	v_cndmask_b32_e32 v5, 0x7f800001, v4, vcc_lo
; %bb.6908:                             ;   in Loop: Header=BB4_6688 Depth=4
	s_or_b32 exec_lo, exec_lo, s15
.LBB4_6909:                             ;   in Loop: Header=BB4_6688 Depth=4
	s_delay_alu instid0(SALU_CYCLE_1)
	s_or_b32 exec_lo, exec_lo, s14
.LBB4_6910:                             ;   in Loop: Header=BB4_6688 Depth=4
	s_delay_alu instid0(SALU_CYCLE_1) | instskip(NEXT) | instid1(VALU_DEP_1)
	s_or_b32 exec_lo, exec_lo, s13
	v_dual_mul_f32 v4, s75, v5 :: v_dual_mov_b32 v15, v3
                                        ; implicit-def: $vgpr74
	s_mov_b32 s13, exec_lo
	s_delay_alu instid0(VALU_DEP_1) | instskip(SKIP_1) | instid1(VALU_DEP_2)
	v_and_b32_e32 v14, 0x7f800000, v4
	v_and_b32_e32 v2, 0x7fffff, v4
	v_cmpx_ne_u64_e32 0x7f800000, v[14:15]
	s_xor_b32 s14, exec_lo, s13
	s_cbranch_execz .LBB4_6928
; %bb.6911:                             ;   in Loop: Header=BB4_6688 Depth=4
	v_dual_mov_b32 v15, v3 :: v_dual_lshrrev_b32 v5, 24, v4
	v_and_b32_e32 v14, 0x7fffffff, v4
                                        ; implicit-def: $vgpr74
	s_mov_b32 s13, exec_lo
	s_delay_alu instid0(VALU_DEP_2) | instskip(NEXT) | instid1(VALU_DEP_2)
	v_and_b32_e32 v16, 0x80, v5
	v_cmpx_gt_u64_e32 0x47600001, v[14:15]
	s_xor_b32 s15, exec_lo, s13
	s_cbranch_execz .LBB4_6925
; %bb.6912:                             ;   in Loop: Header=BB4_6688 Depth=4
	v_mov_b32_e32 v74, 0
	s_mov_b32 s76, exec_lo
	v_cmpx_ne_u32_e32 0, v4
	s_cbranch_execz .LBB4_6924
; %bb.6913:                             ;   in Loop: Header=BB4_6688 Depth=4
	v_bfe_u32 v17, v4, 23, 8
	v_or_b32_e32 v14, 0x800000, v2
	s_mov_b32 s77, exec_lo
	s_delay_alu instid0(VALU_DEP_2) | instskip(SKIP_1) | instid1(VALU_DEP_2)
	v_dual_mov_b32 v15, v3 :: v_dual_sub_nc_u32 v4, 0x71, v17
	v_cmp_gt_u32_e32 vcc_lo, 0x72, v17
	v_cndmask_b32_e32 v4, 0, v4, vcc_lo
	v_cmp_eq_u32_e32 vcc_lo, 0, v17
	s_delay_alu instid0(VALU_DEP_2) | instskip(SKIP_1) | instid1(VALU_DEP_2)
	v_cndmask_b32_e64 v18, v4, 0x70, vcc_lo
	v_cndmask_b32_e32 v14, v14, v2, vcc_lo
	v_dual_add_nc_u32 v4, 21, v18 :: v_dual_add_nc_u32 v19, 20, v18
	s_delay_alu instid0(VALU_DEP_1) | instskip(NEXT) | instid1(VALU_DEP_2)
	v_lshlrev_b64_e64 v[4:5], v4, -1
	v_lshlrev_b64_e64 v[20:21], v19, 1
	s_delay_alu instid0(VALU_DEP_2) | instskip(NEXT) | instid1(VALU_DEP_3)
	v_bfi_b32 v31, v5, 0, 0
	v_bfi_b32 v30, v4, 0, v14
	v_lshrrev_b64 v[4:5], v18, v[14:15]
	s_delay_alu instid0(VALU_DEP_1) | instskip(NEXT) | instid1(VALU_DEP_3)
	v_mov_b64_e32 v[14:15], v[4:5]
	v_cmpx_eq_u64_e64 v[30:31], v[20:21]
; %bb.6914:                             ;   in Loop: Header=BB4_6688 Depth=4
	v_bfe_u32 v14, v4, 21, 1
	v_mov_b32_e32 v15, v3
	s_delay_alu instid0(VALU_DEP_1) | instskip(NEXT) | instid1(VALU_DEP_1)
	v_add_nc_u64_e32 v[14:15], v[4:5], v[14:15]
	v_add_nc_u64_e32 v[14:15], -1, v[14:15]
; %bb.6915:                             ;   in Loop: Header=BB4_6688 Depth=4
	s_or_b32 exec_lo, exec_lo, s77
	v_add_nc_u32_e32 v2, 0xffffff81, v17
	v_lshrrev_b32_e32 v5, 23, v4
	s_mov_b32 s13, exec_lo
	s_delay_alu instid0(VALU_DEP_2) | instskip(NEXT) | instid1(VALU_DEP_1)
	v_cndmask_b32_e64 v2, v2, 0xffffff82, vcc_lo
	v_add3_u32 v15, v18, v2, v5
	v_and_b32_e32 v2, 0x1fffff, v14
                                        ; implicit-def: $vgpr14
	s_delay_alu instid0(VALU_DEP_1) | instskip(NEXT) | instid1(VALU_DEP_1)
	v_dual_add_nc_u32 v17, 14, v15 :: v_dual_add_nc_u32 v2, v2, v4
                                        ; implicit-def: $vgpr4_vgpr5
	v_cmpx_ne_u32_e32 0, v17
	s_xor_b32 s13, exec_lo, s13
; %bb.6916:                             ;   in Loop: Header=BB4_6688 Depth=4
	s_delay_alu instid0(VALU_DEP_2) | instskip(SKIP_1) | instid1(VALU_DEP_1)
	v_cmp_lt_u64_e32 vcc_lo, 0xffffff, v[2:3]
	v_add_nc_u32_e32 v4, 15, v15
	v_cndmask_b32_e32 v14, v17, v4, vcc_lo
	v_cndmask_b32_e64 v4, 0, 1, vcc_lo
	s_delay_alu instid0(VALU_DEP_1)
	v_lshrrev_b64 v[4:5], v4, v[2:3]
; %bb.6917:                             ;   in Loop: Header=BB4_6688 Depth=4
	s_and_not1_saveexec_b32 s13, s13
; %bb.6918:                             ;   in Loop: Header=BB4_6688 Depth=4
	v_mov_b64_e32 v[4:5], v[2:3]
	v_bfe_u32 v14, v2, 23, 1
; %bb.6919:                             ;   in Loop: Header=BB4_6688 Depth=4
	s_or_b32 exec_lo, exec_lo, s13
	s_delay_alu instid0(VALU_DEP_2) | instskip(NEXT) | instid1(VALU_DEP_2)
	v_lshrrev_b64 v[4:5], 21, v[4:5]
	v_cmp_gt_i32_e32 vcc_lo, 32, v14
	v_cmp_ne_u32_e64 s13, 0, v14
                                        ; implicit-def: $vgpr74
	s_delay_alu instid0(VALU_DEP_3) | instskip(NEXT) | instid1(VALU_DEP_1)
	v_dual_cndmask_b32 v5, 0, v5 :: v_dual_cndmask_b32 v4, 3, v4
	v_cmp_ne_u64_e32 vcc_lo, 0, v[4:5]
	s_or_b32 s13, s13, vcc_lo
	s_delay_alu instid0(SALU_CYCLE_1) | instskip(NEXT) | instid1(SALU_CYCLE_1)
	s_and_saveexec_b32 s77, s13
	s_xor_b32 s13, exec_lo, s77
; %bb.6920:                             ;   in Loop: Header=BB4_6688 Depth=4
	v_min_i32_e32 v2, 31, v14
	s_delay_alu instid0(VALU_DEP_1) | instskip(NEXT) | instid1(VALU_DEP_1)
	v_lshl_or_b32 v2, v2, 2, v16
                                        ; implicit-def: $vgpr16
	v_and_or_b32 v74, v4, 3, v2
; %bb.6921:                             ;   in Loop: Header=BB4_6688 Depth=4
	s_and_not1_saveexec_b32 s13, s13
; %bb.6922:                             ;   in Loop: Header=BB4_6688 Depth=4
	v_mov_b32_e32 v74, v16
; %bb.6923:                             ;   in Loop: Header=BB4_6688 Depth=4
	s_or_b32 exec_lo, exec_lo, s13
.LBB4_6924:                             ;   in Loop: Header=BB4_6688 Depth=4
	s_delay_alu instid0(SALU_CYCLE_1)
	s_or_b32 exec_lo, exec_lo, s76
                                        ; implicit-def: $vgpr16
.LBB4_6925:                             ;   in Loop: Header=BB4_6688 Depth=4
	s_and_not1_saveexec_b32 s13, s15
; %bb.6926:                             ;   in Loop: Header=BB4_6688 Depth=4
	v_or_b32_e32 v74, 0x7b, v16
; %bb.6927:                             ;   in Loop: Header=BB4_6688 Depth=4
	s_or_b32 exec_lo, exec_lo, s13
                                        ; implicit-def: $vgpr4
.LBB4_6928:                             ;   in Loop: Header=BB4_6688 Depth=4
	s_and_not1_saveexec_b32 s13, s14
	s_cbranch_execz .LBB4_6934
; %bb.6929:                             ;   in Loop: Header=BB4_6688 Depth=4
	s_mov_b32 s14, exec_lo
                                        ; implicit-def: $vgpr74
	v_cmpx_ne_u64_e32 0, v[2:3]
	s_xor_b32 s14, exec_lo, s14
; %bb.6930:                             ;   in Loop: Header=BB4_6688 Depth=4
	v_lshrrev_b32_e32 v2, 24, v4
                                        ; implicit-def: $vgpr4
	s_delay_alu instid0(VALU_DEP_1)
	v_or_b32_e32 v74, 0x7f, v2
; %bb.6931:                             ;   in Loop: Header=BB4_6688 Depth=4
	s_and_not1_saveexec_b32 s14, s14
; %bb.6932:                             ;   in Loop: Header=BB4_6688 Depth=4
	v_cmp_lt_i32_e32 vcc_lo, -1, v4
	v_cndmask_b32_e64 v74, -4, 0x7c, vcc_lo
; %bb.6933:                             ;   in Loop: Header=BB4_6688 Depth=4
	s_or_b32 exec_lo, exec_lo, s14
.LBB4_6934:                             ;   in Loop: Header=BB4_6688 Depth=4
	s_delay_alu instid0(SALU_CYCLE_1)
	s_or_b32 exec_lo, exec_lo, s13
	flat_load_i8 v4, v[8:9] offset:224 th:TH_LOAD_NT
	v_mov_b32_e32 v5, 0
	s_mov_b32 s13, exec_lo
	s_wait_loadcnt_dscnt 0x0
	v_cmpx_ne_u16_e32 0, v4
	s_cbranch_execz .LBB4_6944
; %bb.6935:                             ;   in Loop: Header=BB4_6688 Depth=4
	v_bfrev_b32_e32 v5, 1
	s_mov_b32 s14, exec_lo
	v_cmpx_ne_u16_e32 0xff80, v4
	s_cbranch_execz .LBB4_6943
; %bb.6936:                             ;   in Loop: Header=BB4_6688 Depth=4
	v_and_b32_e32 v5, 0x7c, v4
	v_and_b32_e32 v2, 3, v4
	s_delay_alu instid0(VALU_DEP_2) | instskip(SKIP_1) | instid1(SALU_CYCLE_1)
	v_cmp_ne_u32_e32 vcc_lo, 0x7c, v5
                                        ; implicit-def: $vgpr5
	s_and_saveexec_b32 s15, vcc_lo
	s_xor_b32 s15, exec_lo, s15
	s_cbranch_execz .LBB4_6940
; %bb.6937:                             ;   in Loop: Header=BB4_6688 Depth=4
	v_and_b32_e32 v5, 0xff, v4
	s_mov_b32 s76, exec_lo
	s_delay_alu instid0(VALU_DEP_1) | instskip(NEXT) | instid1(VALU_DEP_1)
	v_bfe_u32 v5, v5, 2, 5
	v_cmpx_eq_u32_e32 0, v5
	s_cbranch_execz .LBB4_6939
; %bb.6938:                             ;   in Loop: Header=BB4_6688 Depth=4
	v_clz_i32_u32_e32 v2, v2
	v_mov_b32_e32 v5, v3
	s_delay_alu instid0(VALU_DEP_2) | instskip(NEXT) | instid1(VALU_DEP_1)
	v_min_u32_e32 v2, 32, v2
	v_subrev_nc_u32_e32 v14, 29, v2
	s_delay_alu instid0(VALU_DEP_1) | instskip(SKIP_1) | instid1(VALU_DEP_2)
	v_lshlrev_b64_e32 v[14:15], v14, v[4:5]
	v_sub_nc_u32_e32 v5, 30, v2
	v_and_b32_e32 v2, 3, v14
.LBB4_6939:                             ;   in Loop: Header=BB4_6688 Depth=4
	s_or_b32 exec_lo, exec_lo, s76
	v_bfe_i32 v4, v4, 0, 16
	s_delay_alu instid0(VALU_DEP_1) | instskip(NEXT) | instid1(VALU_DEP_1)
	v_and_b32_e32 v4, 0x80000000, v4
	v_lshl_add_u32 v4, v5, 23, v4
	s_delay_alu instid0(VALU_DEP_1) | instskip(NEXT) | instid1(VALU_DEP_1)
	v_lshl_or_b32 v2, v2, 21, v4
                                        ; implicit-def: $vgpr4
	v_add_nc_u32_e32 v5, 0x38000000, v2
                                        ; implicit-def: $vgpr2
.LBB4_6940:                             ;   in Loop: Header=BB4_6688 Depth=4
	s_and_not1_saveexec_b32 s15, s15
; %bb.6941:                             ;   in Loop: Header=BB4_6688 Depth=4
	v_cmp_lt_i16_e32 vcc_lo, -1, v4
	v_cndmask_b32_e32 v4, 0xff800000, v48, vcc_lo
	v_cmp_eq_u32_e32 vcc_lo, 0, v2
	s_delay_alu instid0(VALU_DEP_2)
	v_cndmask_b32_e32 v5, 0x7f800001, v4, vcc_lo
; %bb.6942:                             ;   in Loop: Header=BB4_6688 Depth=4
	s_or_b32 exec_lo, exec_lo, s15
.LBB4_6943:                             ;   in Loop: Header=BB4_6688 Depth=4
	s_delay_alu instid0(SALU_CYCLE_1)
	s_or_b32 exec_lo, exec_lo, s14
.LBB4_6944:                             ;   in Loop: Header=BB4_6688 Depth=4
	s_delay_alu instid0(SALU_CYCLE_1) | instskip(NEXT) | instid1(VALU_DEP_1)
	s_or_b32 exec_lo, exec_lo, s13
	v_dual_mul_f32 v4, s75, v5 :: v_dual_mov_b32 v15, v3
                                        ; implicit-def: $vgpr72
	s_mov_b32 s13, exec_lo
	s_delay_alu instid0(VALU_DEP_1) | instskip(SKIP_1) | instid1(VALU_DEP_2)
	v_and_b32_e32 v14, 0x7f800000, v4
	v_and_b32_e32 v2, 0x7fffff, v4
	v_cmpx_ne_u64_e32 0x7f800000, v[14:15]
	s_xor_b32 s14, exec_lo, s13
	s_cbranch_execz .LBB4_6962
; %bb.6945:                             ;   in Loop: Header=BB4_6688 Depth=4
	v_dual_mov_b32 v15, v3 :: v_dual_lshrrev_b32 v5, 24, v4
	v_and_b32_e32 v14, 0x7fffffff, v4
                                        ; implicit-def: $vgpr72
	s_mov_b32 s13, exec_lo
	s_delay_alu instid0(VALU_DEP_2) | instskip(NEXT) | instid1(VALU_DEP_2)
	v_and_b32_e32 v16, 0x80, v5
	v_cmpx_gt_u64_e32 0x47600001, v[14:15]
	s_xor_b32 s15, exec_lo, s13
	s_cbranch_execz .LBB4_6959
; %bb.6946:                             ;   in Loop: Header=BB4_6688 Depth=4
	v_mov_b32_e32 v72, 0
	s_mov_b32 s76, exec_lo
	v_cmpx_ne_u32_e32 0, v4
	s_cbranch_execz .LBB4_6958
; %bb.6947:                             ;   in Loop: Header=BB4_6688 Depth=4
	v_bfe_u32 v17, v4, 23, 8
	v_or_b32_e32 v14, 0x800000, v2
	s_mov_b32 s77, exec_lo
	s_delay_alu instid0(VALU_DEP_2) | instskip(SKIP_1) | instid1(VALU_DEP_2)
	v_dual_mov_b32 v15, v3 :: v_dual_sub_nc_u32 v4, 0x71, v17
	v_cmp_gt_u32_e32 vcc_lo, 0x72, v17
	v_cndmask_b32_e32 v4, 0, v4, vcc_lo
	v_cmp_eq_u32_e32 vcc_lo, 0, v17
	s_delay_alu instid0(VALU_DEP_2) | instskip(SKIP_1) | instid1(VALU_DEP_2)
	v_cndmask_b32_e64 v18, v4, 0x70, vcc_lo
	v_cndmask_b32_e32 v14, v14, v2, vcc_lo
	v_dual_add_nc_u32 v4, 21, v18 :: v_dual_add_nc_u32 v19, 20, v18
	s_delay_alu instid0(VALU_DEP_1) | instskip(NEXT) | instid1(VALU_DEP_2)
	v_lshlrev_b64_e64 v[4:5], v4, -1
	v_lshlrev_b64_e64 v[20:21], v19, 1
	s_delay_alu instid0(VALU_DEP_2) | instskip(NEXT) | instid1(VALU_DEP_3)
	v_bfi_b32 v31, v5, 0, 0
	v_bfi_b32 v30, v4, 0, v14
	v_lshrrev_b64 v[4:5], v18, v[14:15]
	s_delay_alu instid0(VALU_DEP_1) | instskip(NEXT) | instid1(VALU_DEP_3)
	v_mov_b64_e32 v[14:15], v[4:5]
	v_cmpx_eq_u64_e64 v[30:31], v[20:21]
; %bb.6948:                             ;   in Loop: Header=BB4_6688 Depth=4
	v_bfe_u32 v14, v4, 21, 1
	v_mov_b32_e32 v15, v3
	s_delay_alu instid0(VALU_DEP_1) | instskip(NEXT) | instid1(VALU_DEP_1)
	v_add_nc_u64_e32 v[14:15], v[4:5], v[14:15]
	v_add_nc_u64_e32 v[14:15], -1, v[14:15]
; %bb.6949:                             ;   in Loop: Header=BB4_6688 Depth=4
	s_or_b32 exec_lo, exec_lo, s77
	v_add_nc_u32_e32 v2, 0xffffff81, v17
	s_delay_alu instid0(VALU_DEP_2) | instskip(SKIP_2) | instid1(VALU_DEP_3)
	v_and_b32_e32 v14, 0x1fffff, v14
	v_lshrrev_b32_e32 v5, 23, v4
	s_mov_b32 s13, exec_lo
	v_cndmask_b32_e64 v2, v2, 0xffffff82, vcc_lo
	s_delay_alu instid0(VALU_DEP_1) | instskip(SKIP_1) | instid1(VALU_DEP_2)
	v_add3_u32 v15, v18, v2, v5
	v_add_nc_u32_e32 v2, v14, v4
                                        ; implicit-def: $vgpr4_vgpr5
                                        ; implicit-def: $vgpr14
	v_add_nc_u32_e32 v17, 14, v15
	s_delay_alu instid0(VALU_DEP_1)
	v_cmpx_ne_u32_e32 0, v17
	s_xor_b32 s13, exec_lo, s13
; %bb.6950:                             ;   in Loop: Header=BB4_6688 Depth=4
	s_delay_alu instid0(VALU_DEP_3) | instskip(SKIP_1) | instid1(VALU_DEP_1)
	v_cmp_lt_u64_e32 vcc_lo, 0xffffff, v[2:3]
	v_add_nc_u32_e32 v4, 15, v15
	v_cndmask_b32_e32 v14, v17, v4, vcc_lo
	v_cndmask_b32_e64 v4, 0, 1, vcc_lo
	s_delay_alu instid0(VALU_DEP_1)
	v_lshrrev_b64 v[4:5], v4, v[2:3]
; %bb.6951:                             ;   in Loop: Header=BB4_6688 Depth=4
	s_and_not1_saveexec_b32 s13, s13
; %bb.6952:                             ;   in Loop: Header=BB4_6688 Depth=4
	v_mov_b64_e32 v[4:5], v[2:3]
	v_bfe_u32 v14, v2, 23, 1
; %bb.6953:                             ;   in Loop: Header=BB4_6688 Depth=4
	s_or_b32 exec_lo, exec_lo, s13
	s_delay_alu instid0(VALU_DEP_2) | instskip(NEXT) | instid1(VALU_DEP_2)
	v_lshrrev_b64 v[4:5], 21, v[4:5]
	v_cmp_gt_i32_e32 vcc_lo, 32, v14
	v_cmp_ne_u32_e64 s13, 0, v14
                                        ; implicit-def: $vgpr72
	s_delay_alu instid0(VALU_DEP_3) | instskip(NEXT) | instid1(VALU_DEP_1)
	v_dual_cndmask_b32 v5, 0, v5 :: v_dual_cndmask_b32 v4, 3, v4
	v_cmp_ne_u64_e32 vcc_lo, 0, v[4:5]
	s_or_b32 s13, s13, vcc_lo
	s_delay_alu instid0(SALU_CYCLE_1) | instskip(NEXT) | instid1(SALU_CYCLE_1)
	s_and_saveexec_b32 s77, s13
	s_xor_b32 s13, exec_lo, s77
; %bb.6954:                             ;   in Loop: Header=BB4_6688 Depth=4
	v_min_i32_e32 v2, 31, v14
	s_delay_alu instid0(VALU_DEP_1) | instskip(NEXT) | instid1(VALU_DEP_1)
	v_lshl_or_b32 v2, v2, 2, v16
                                        ; implicit-def: $vgpr16
	v_and_or_b32 v72, v4, 3, v2
; %bb.6955:                             ;   in Loop: Header=BB4_6688 Depth=4
	s_and_not1_saveexec_b32 s13, s13
; %bb.6956:                             ;   in Loop: Header=BB4_6688 Depth=4
	v_mov_b32_e32 v72, v16
; %bb.6957:                             ;   in Loop: Header=BB4_6688 Depth=4
	s_or_b32 exec_lo, exec_lo, s13
.LBB4_6958:                             ;   in Loop: Header=BB4_6688 Depth=4
	s_delay_alu instid0(SALU_CYCLE_1)
	s_or_b32 exec_lo, exec_lo, s76
                                        ; implicit-def: $vgpr16
.LBB4_6959:                             ;   in Loop: Header=BB4_6688 Depth=4
	s_and_not1_saveexec_b32 s13, s15
; %bb.6960:                             ;   in Loop: Header=BB4_6688 Depth=4
	v_or_b32_e32 v72, 0x7b, v16
; %bb.6961:                             ;   in Loop: Header=BB4_6688 Depth=4
	s_or_b32 exec_lo, exec_lo, s13
                                        ; implicit-def: $vgpr4
.LBB4_6962:                             ;   in Loop: Header=BB4_6688 Depth=4
	s_and_not1_saveexec_b32 s13, s14
	s_cbranch_execz .LBB4_6968
; %bb.6963:                             ;   in Loop: Header=BB4_6688 Depth=4
	s_mov_b32 s14, exec_lo
                                        ; implicit-def: $vgpr72
	v_cmpx_ne_u64_e32 0, v[2:3]
	s_xor_b32 s14, exec_lo, s14
; %bb.6964:                             ;   in Loop: Header=BB4_6688 Depth=4
	v_lshrrev_b32_e32 v2, 24, v4
                                        ; implicit-def: $vgpr4
	s_delay_alu instid0(VALU_DEP_1)
	v_or_b32_e32 v72, 0x7f, v2
; %bb.6965:                             ;   in Loop: Header=BB4_6688 Depth=4
	s_and_not1_saveexec_b32 s14, s14
; %bb.6966:                             ;   in Loop: Header=BB4_6688 Depth=4
	v_cmp_lt_i32_e32 vcc_lo, -1, v4
	v_cndmask_b32_e64 v72, -4, 0x7c, vcc_lo
; %bb.6967:                             ;   in Loop: Header=BB4_6688 Depth=4
	s_or_b32 exec_lo, exec_lo, s14
.LBB4_6968:                             ;   in Loop: Header=BB4_6688 Depth=4
	s_delay_alu instid0(SALU_CYCLE_1)
	s_or_b32 exec_lo, exec_lo, s13
	flat_load_i8 v4, v[8:9] offset:256 th:TH_LOAD_NT
	v_mov_b32_e32 v5, 0
	s_mov_b32 s13, exec_lo
	s_wait_loadcnt_dscnt 0x0
	v_cmpx_ne_u16_e32 0, v4
	s_cbranch_execz .LBB4_6978
; %bb.6969:                             ;   in Loop: Header=BB4_6688 Depth=4
	v_bfrev_b32_e32 v5, 1
	s_mov_b32 s14, exec_lo
	v_cmpx_ne_u16_e32 0xff80, v4
	s_cbranch_execz .LBB4_6977
; %bb.6970:                             ;   in Loop: Header=BB4_6688 Depth=4
	v_and_b32_e32 v5, 0x7c, v4
	v_and_b32_e32 v2, 3, v4
	s_delay_alu instid0(VALU_DEP_2) | instskip(SKIP_1) | instid1(SALU_CYCLE_1)
	v_cmp_ne_u32_e32 vcc_lo, 0x7c, v5
                                        ; implicit-def: $vgpr5
	s_and_saveexec_b32 s15, vcc_lo
	s_xor_b32 s15, exec_lo, s15
	s_cbranch_execz .LBB4_6974
; %bb.6971:                             ;   in Loop: Header=BB4_6688 Depth=4
	v_and_b32_e32 v5, 0xff, v4
	s_mov_b32 s76, exec_lo
	s_delay_alu instid0(VALU_DEP_1) | instskip(NEXT) | instid1(VALU_DEP_1)
	v_bfe_u32 v5, v5, 2, 5
	v_cmpx_eq_u32_e32 0, v5
	s_cbranch_execz .LBB4_6973
; %bb.6972:                             ;   in Loop: Header=BB4_6688 Depth=4
	v_clz_i32_u32_e32 v2, v2
	v_mov_b32_e32 v5, v3
	s_delay_alu instid0(VALU_DEP_2) | instskip(NEXT) | instid1(VALU_DEP_1)
	v_min_u32_e32 v2, 32, v2
	v_subrev_nc_u32_e32 v14, 29, v2
	s_delay_alu instid0(VALU_DEP_1) | instskip(SKIP_1) | instid1(VALU_DEP_2)
	v_lshlrev_b64_e32 v[14:15], v14, v[4:5]
	v_sub_nc_u32_e32 v5, 30, v2
	v_and_b32_e32 v2, 3, v14
.LBB4_6973:                             ;   in Loop: Header=BB4_6688 Depth=4
	s_or_b32 exec_lo, exec_lo, s76
	v_bfe_i32 v4, v4, 0, 16
	s_delay_alu instid0(VALU_DEP_1) | instskip(NEXT) | instid1(VALU_DEP_1)
	v_and_b32_e32 v4, 0x80000000, v4
	v_lshl_add_u32 v4, v5, 23, v4
	s_delay_alu instid0(VALU_DEP_1) | instskip(NEXT) | instid1(VALU_DEP_1)
	v_lshl_or_b32 v2, v2, 21, v4
                                        ; implicit-def: $vgpr4
	v_add_nc_u32_e32 v5, 0x38000000, v2
                                        ; implicit-def: $vgpr2
.LBB4_6974:                             ;   in Loop: Header=BB4_6688 Depth=4
	s_and_not1_saveexec_b32 s15, s15
; %bb.6975:                             ;   in Loop: Header=BB4_6688 Depth=4
	v_cmp_lt_i16_e32 vcc_lo, -1, v4
	v_cndmask_b32_e32 v4, 0xff800000, v48, vcc_lo
	v_cmp_eq_u32_e32 vcc_lo, 0, v2
	s_delay_alu instid0(VALU_DEP_2)
	v_cndmask_b32_e32 v5, 0x7f800001, v4, vcc_lo
; %bb.6976:                             ;   in Loop: Header=BB4_6688 Depth=4
	s_or_b32 exec_lo, exec_lo, s15
.LBB4_6977:                             ;   in Loop: Header=BB4_6688 Depth=4
	s_delay_alu instid0(SALU_CYCLE_1)
	s_or_b32 exec_lo, exec_lo, s14
.LBB4_6978:                             ;   in Loop: Header=BB4_6688 Depth=4
	s_delay_alu instid0(SALU_CYCLE_1) | instskip(NEXT) | instid1(VALU_DEP_1)
	s_or_b32 exec_lo, exec_lo, s13
	v_dual_mul_f32 v4, s75, v5 :: v_dual_mov_b32 v15, v3
                                        ; implicit-def: $vgpr62
	s_mov_b32 s13, exec_lo
	s_delay_alu instid0(VALU_DEP_1) | instskip(SKIP_1) | instid1(VALU_DEP_2)
	v_and_b32_e32 v14, 0x7f800000, v4
	v_and_b32_e32 v2, 0x7fffff, v4
	v_cmpx_ne_u64_e32 0x7f800000, v[14:15]
	s_xor_b32 s14, exec_lo, s13
	s_cbranch_execz .LBB4_6996
; %bb.6979:                             ;   in Loop: Header=BB4_6688 Depth=4
	v_dual_mov_b32 v15, v3 :: v_dual_lshrrev_b32 v5, 24, v4
	v_and_b32_e32 v14, 0x7fffffff, v4
                                        ; implicit-def: $vgpr62
	s_mov_b32 s13, exec_lo
	s_delay_alu instid0(VALU_DEP_2) | instskip(NEXT) | instid1(VALU_DEP_2)
	v_and_b32_e32 v16, 0x80, v5
	v_cmpx_gt_u64_e32 0x47600001, v[14:15]
	s_xor_b32 s15, exec_lo, s13
	s_cbranch_execz .LBB4_6993
; %bb.6980:                             ;   in Loop: Header=BB4_6688 Depth=4
	v_mov_b32_e32 v62, 0
	s_mov_b32 s76, exec_lo
	v_cmpx_ne_u32_e32 0, v4
	s_cbranch_execz .LBB4_6992
; %bb.6981:                             ;   in Loop: Header=BB4_6688 Depth=4
	v_bfe_u32 v17, v4, 23, 8
	v_or_b32_e32 v14, 0x800000, v2
	s_mov_b32 s77, exec_lo
	s_delay_alu instid0(VALU_DEP_2) | instskip(SKIP_1) | instid1(VALU_DEP_2)
	v_dual_mov_b32 v15, v3 :: v_dual_sub_nc_u32 v4, 0x71, v17
	v_cmp_gt_u32_e32 vcc_lo, 0x72, v17
	v_cndmask_b32_e32 v4, 0, v4, vcc_lo
	v_cmp_eq_u32_e32 vcc_lo, 0, v17
	s_delay_alu instid0(VALU_DEP_2) | instskip(SKIP_1) | instid1(VALU_DEP_2)
	v_cndmask_b32_e64 v18, v4, 0x70, vcc_lo
	v_cndmask_b32_e32 v14, v14, v2, vcc_lo
	v_dual_add_nc_u32 v4, 21, v18 :: v_dual_add_nc_u32 v19, 20, v18
	s_delay_alu instid0(VALU_DEP_1) | instskip(NEXT) | instid1(VALU_DEP_2)
	v_lshlrev_b64_e64 v[4:5], v4, -1
	v_lshlrev_b64_e64 v[20:21], v19, 1
	s_delay_alu instid0(VALU_DEP_2) | instskip(NEXT) | instid1(VALU_DEP_3)
	v_bfi_b32 v31, v5, 0, 0
	v_bfi_b32 v30, v4, 0, v14
	v_lshrrev_b64 v[4:5], v18, v[14:15]
	s_delay_alu instid0(VALU_DEP_1) | instskip(NEXT) | instid1(VALU_DEP_3)
	v_mov_b64_e32 v[14:15], v[4:5]
	v_cmpx_eq_u64_e64 v[30:31], v[20:21]
; %bb.6982:                             ;   in Loop: Header=BB4_6688 Depth=4
	v_bfe_u32 v14, v4, 21, 1
	v_mov_b32_e32 v15, v3
	s_delay_alu instid0(VALU_DEP_1) | instskip(NEXT) | instid1(VALU_DEP_1)
	v_add_nc_u64_e32 v[14:15], v[4:5], v[14:15]
	v_add_nc_u64_e32 v[14:15], -1, v[14:15]
; %bb.6983:                             ;   in Loop: Header=BB4_6688 Depth=4
	s_or_b32 exec_lo, exec_lo, s77
	v_add_nc_u32_e32 v2, 0xffffff81, v17
	s_delay_alu instid0(VALU_DEP_2) | instskip(SKIP_2) | instid1(VALU_DEP_3)
	v_and_b32_e32 v14, 0x1fffff, v14
	v_lshrrev_b32_e32 v5, 23, v4
	s_mov_b32 s13, exec_lo
	v_cndmask_b32_e64 v2, v2, 0xffffff82, vcc_lo
	s_delay_alu instid0(VALU_DEP_1) | instskip(SKIP_1) | instid1(VALU_DEP_2)
	v_add3_u32 v15, v18, v2, v5
	v_add_nc_u32_e32 v2, v14, v4
                                        ; implicit-def: $vgpr4_vgpr5
                                        ; implicit-def: $vgpr14
	v_add_nc_u32_e32 v17, 14, v15
	s_delay_alu instid0(VALU_DEP_1)
	v_cmpx_ne_u32_e32 0, v17
	s_xor_b32 s13, exec_lo, s13
; %bb.6984:                             ;   in Loop: Header=BB4_6688 Depth=4
	s_delay_alu instid0(VALU_DEP_3) | instskip(SKIP_1) | instid1(VALU_DEP_1)
	v_cmp_lt_u64_e32 vcc_lo, 0xffffff, v[2:3]
	v_add_nc_u32_e32 v4, 15, v15
	v_cndmask_b32_e32 v14, v17, v4, vcc_lo
	v_cndmask_b32_e64 v4, 0, 1, vcc_lo
	s_delay_alu instid0(VALU_DEP_1)
	v_lshrrev_b64 v[4:5], v4, v[2:3]
; %bb.6985:                             ;   in Loop: Header=BB4_6688 Depth=4
	s_and_not1_saveexec_b32 s13, s13
; %bb.6986:                             ;   in Loop: Header=BB4_6688 Depth=4
	v_mov_b64_e32 v[4:5], v[2:3]
	v_bfe_u32 v14, v2, 23, 1
; %bb.6987:                             ;   in Loop: Header=BB4_6688 Depth=4
	s_or_b32 exec_lo, exec_lo, s13
	s_delay_alu instid0(VALU_DEP_2) | instskip(NEXT) | instid1(VALU_DEP_2)
	v_lshrrev_b64 v[4:5], 21, v[4:5]
	v_cmp_gt_i32_e32 vcc_lo, 32, v14
	v_cmp_ne_u32_e64 s13, 0, v14
                                        ; implicit-def: $vgpr62
	s_delay_alu instid0(VALU_DEP_3) | instskip(NEXT) | instid1(VALU_DEP_1)
	v_dual_cndmask_b32 v5, 0, v5 :: v_dual_cndmask_b32 v4, 3, v4
	v_cmp_ne_u64_e32 vcc_lo, 0, v[4:5]
	s_or_b32 s13, s13, vcc_lo
	s_delay_alu instid0(SALU_CYCLE_1) | instskip(NEXT) | instid1(SALU_CYCLE_1)
	s_and_saveexec_b32 s77, s13
	s_xor_b32 s13, exec_lo, s77
; %bb.6988:                             ;   in Loop: Header=BB4_6688 Depth=4
	v_min_i32_e32 v2, 31, v14
	s_delay_alu instid0(VALU_DEP_1) | instskip(NEXT) | instid1(VALU_DEP_1)
	v_lshl_or_b32 v2, v2, 2, v16
                                        ; implicit-def: $vgpr16
	v_and_or_b32 v62, v4, 3, v2
; %bb.6989:                             ;   in Loop: Header=BB4_6688 Depth=4
	s_and_not1_saveexec_b32 s13, s13
; %bb.6990:                             ;   in Loop: Header=BB4_6688 Depth=4
	v_mov_b32_e32 v62, v16
; %bb.6991:                             ;   in Loop: Header=BB4_6688 Depth=4
	s_or_b32 exec_lo, exec_lo, s13
.LBB4_6992:                             ;   in Loop: Header=BB4_6688 Depth=4
	s_delay_alu instid0(SALU_CYCLE_1)
	s_or_b32 exec_lo, exec_lo, s76
                                        ; implicit-def: $vgpr16
.LBB4_6993:                             ;   in Loop: Header=BB4_6688 Depth=4
	s_and_not1_saveexec_b32 s13, s15
; %bb.6994:                             ;   in Loop: Header=BB4_6688 Depth=4
	v_or_b32_e32 v62, 0x7b, v16
; %bb.6995:                             ;   in Loop: Header=BB4_6688 Depth=4
	s_or_b32 exec_lo, exec_lo, s13
                                        ; implicit-def: $vgpr4
.LBB4_6996:                             ;   in Loop: Header=BB4_6688 Depth=4
	s_and_not1_saveexec_b32 s13, s14
	s_cbranch_execz .LBB4_7002
; %bb.6997:                             ;   in Loop: Header=BB4_6688 Depth=4
	s_mov_b32 s14, exec_lo
                                        ; implicit-def: $vgpr62
	v_cmpx_ne_u64_e32 0, v[2:3]
	s_xor_b32 s14, exec_lo, s14
; %bb.6998:                             ;   in Loop: Header=BB4_6688 Depth=4
	v_lshrrev_b32_e32 v2, 24, v4
                                        ; implicit-def: $vgpr4
	s_delay_alu instid0(VALU_DEP_1)
	v_or_b32_e32 v62, 0x7f, v2
; %bb.6999:                             ;   in Loop: Header=BB4_6688 Depth=4
	s_and_not1_saveexec_b32 s14, s14
; %bb.7000:                             ;   in Loop: Header=BB4_6688 Depth=4
	v_cmp_lt_i32_e32 vcc_lo, -1, v4
	v_cndmask_b32_e64 v62, -4, 0x7c, vcc_lo
; %bb.7001:                             ;   in Loop: Header=BB4_6688 Depth=4
	s_or_b32 exec_lo, exec_lo, s14
.LBB4_7002:                             ;   in Loop: Header=BB4_6688 Depth=4
	s_delay_alu instid0(SALU_CYCLE_1)
	s_or_b32 exec_lo, exec_lo, s13
	flat_load_i8 v4, v[8:9] offset:288 th:TH_LOAD_NT
	v_mov_b32_e32 v5, 0
	s_mov_b32 s13, exec_lo
	s_wait_loadcnt_dscnt 0x0
	v_cmpx_ne_u16_e32 0, v4
	s_cbranch_execz .LBB4_7012
; %bb.7003:                             ;   in Loop: Header=BB4_6688 Depth=4
	v_bfrev_b32_e32 v5, 1
	s_mov_b32 s14, exec_lo
	v_cmpx_ne_u16_e32 0xff80, v4
	s_cbranch_execz .LBB4_7011
; %bb.7004:                             ;   in Loop: Header=BB4_6688 Depth=4
	v_and_b32_e32 v5, 0x7c, v4
	v_and_b32_e32 v2, 3, v4
	s_delay_alu instid0(VALU_DEP_2) | instskip(SKIP_1) | instid1(SALU_CYCLE_1)
	v_cmp_ne_u32_e32 vcc_lo, 0x7c, v5
                                        ; implicit-def: $vgpr5
	s_and_saveexec_b32 s15, vcc_lo
	s_xor_b32 s15, exec_lo, s15
	s_cbranch_execz .LBB4_7008
; %bb.7005:                             ;   in Loop: Header=BB4_6688 Depth=4
	v_and_b32_e32 v5, 0xff, v4
	s_mov_b32 s76, exec_lo
	s_delay_alu instid0(VALU_DEP_1) | instskip(NEXT) | instid1(VALU_DEP_1)
	v_bfe_u32 v5, v5, 2, 5
	v_cmpx_eq_u32_e32 0, v5
	s_cbranch_execz .LBB4_7007
; %bb.7006:                             ;   in Loop: Header=BB4_6688 Depth=4
	v_clz_i32_u32_e32 v2, v2
	v_mov_b32_e32 v5, v3
	s_delay_alu instid0(VALU_DEP_2) | instskip(NEXT) | instid1(VALU_DEP_1)
	v_min_u32_e32 v2, 32, v2
	v_subrev_nc_u32_e32 v14, 29, v2
	s_delay_alu instid0(VALU_DEP_1) | instskip(SKIP_1) | instid1(VALU_DEP_2)
	v_lshlrev_b64_e32 v[14:15], v14, v[4:5]
	v_sub_nc_u32_e32 v5, 30, v2
	v_and_b32_e32 v2, 3, v14
.LBB4_7007:                             ;   in Loop: Header=BB4_6688 Depth=4
	s_or_b32 exec_lo, exec_lo, s76
	v_bfe_i32 v4, v4, 0, 16
	s_delay_alu instid0(VALU_DEP_1) | instskip(NEXT) | instid1(VALU_DEP_1)
	v_and_b32_e32 v4, 0x80000000, v4
	v_lshl_add_u32 v4, v5, 23, v4
	s_delay_alu instid0(VALU_DEP_1) | instskip(NEXT) | instid1(VALU_DEP_1)
	v_lshl_or_b32 v2, v2, 21, v4
                                        ; implicit-def: $vgpr4
	v_add_nc_u32_e32 v5, 0x38000000, v2
                                        ; implicit-def: $vgpr2
.LBB4_7008:                             ;   in Loop: Header=BB4_6688 Depth=4
	s_and_not1_saveexec_b32 s15, s15
; %bb.7009:                             ;   in Loop: Header=BB4_6688 Depth=4
	v_cmp_lt_i16_e32 vcc_lo, -1, v4
	v_cndmask_b32_e32 v4, 0xff800000, v48, vcc_lo
	v_cmp_eq_u32_e32 vcc_lo, 0, v2
	s_delay_alu instid0(VALU_DEP_2)
	v_cndmask_b32_e32 v5, 0x7f800001, v4, vcc_lo
; %bb.7010:                             ;   in Loop: Header=BB4_6688 Depth=4
	s_or_b32 exec_lo, exec_lo, s15
.LBB4_7011:                             ;   in Loop: Header=BB4_6688 Depth=4
	s_delay_alu instid0(SALU_CYCLE_1)
	s_or_b32 exec_lo, exec_lo, s14
.LBB4_7012:                             ;   in Loop: Header=BB4_6688 Depth=4
	s_delay_alu instid0(SALU_CYCLE_1) | instskip(NEXT) | instid1(VALU_DEP_1)
	s_or_b32 exec_lo, exec_lo, s13
	v_dual_mul_f32 v4, s75, v5 :: v_dual_mov_b32 v15, v3
                                        ; implicit-def: $vgpr60
	s_mov_b32 s13, exec_lo
	s_delay_alu instid0(VALU_DEP_1) | instskip(SKIP_1) | instid1(VALU_DEP_2)
	v_and_b32_e32 v14, 0x7f800000, v4
	v_and_b32_e32 v2, 0x7fffff, v4
	v_cmpx_ne_u64_e32 0x7f800000, v[14:15]
	s_xor_b32 s14, exec_lo, s13
	s_cbranch_execz .LBB4_7030
; %bb.7013:                             ;   in Loop: Header=BB4_6688 Depth=4
	v_dual_mov_b32 v15, v3 :: v_dual_lshrrev_b32 v5, 24, v4
	v_and_b32_e32 v14, 0x7fffffff, v4
                                        ; implicit-def: $vgpr60
	s_mov_b32 s13, exec_lo
	s_delay_alu instid0(VALU_DEP_2) | instskip(NEXT) | instid1(VALU_DEP_2)
	v_and_b32_e32 v16, 0x80, v5
	v_cmpx_gt_u64_e32 0x47600001, v[14:15]
	s_xor_b32 s15, exec_lo, s13
	s_cbranch_execz .LBB4_7027
; %bb.7014:                             ;   in Loop: Header=BB4_6688 Depth=4
	v_mov_b32_e32 v60, 0
	s_mov_b32 s76, exec_lo
	v_cmpx_ne_u32_e32 0, v4
	s_cbranch_execz .LBB4_7026
; %bb.7015:                             ;   in Loop: Header=BB4_6688 Depth=4
	v_bfe_u32 v17, v4, 23, 8
	v_or_b32_e32 v14, 0x800000, v2
	s_mov_b32 s77, exec_lo
	s_delay_alu instid0(VALU_DEP_2) | instskip(SKIP_1) | instid1(VALU_DEP_2)
	v_dual_mov_b32 v15, v3 :: v_dual_sub_nc_u32 v4, 0x71, v17
	v_cmp_gt_u32_e32 vcc_lo, 0x72, v17
	v_cndmask_b32_e32 v4, 0, v4, vcc_lo
	v_cmp_eq_u32_e32 vcc_lo, 0, v17
	s_delay_alu instid0(VALU_DEP_2) | instskip(SKIP_1) | instid1(VALU_DEP_2)
	v_cndmask_b32_e64 v18, v4, 0x70, vcc_lo
	v_cndmask_b32_e32 v14, v14, v2, vcc_lo
	v_dual_add_nc_u32 v4, 21, v18 :: v_dual_add_nc_u32 v19, 20, v18
	s_delay_alu instid0(VALU_DEP_1) | instskip(NEXT) | instid1(VALU_DEP_2)
	v_lshlrev_b64_e64 v[4:5], v4, -1
	v_lshlrev_b64_e64 v[20:21], v19, 1
	s_delay_alu instid0(VALU_DEP_2) | instskip(NEXT) | instid1(VALU_DEP_3)
	v_bfi_b32 v31, v5, 0, 0
	v_bfi_b32 v30, v4, 0, v14
	v_lshrrev_b64 v[4:5], v18, v[14:15]
	s_delay_alu instid0(VALU_DEP_1) | instskip(NEXT) | instid1(VALU_DEP_3)
	v_mov_b64_e32 v[14:15], v[4:5]
	v_cmpx_eq_u64_e64 v[30:31], v[20:21]
; %bb.7016:                             ;   in Loop: Header=BB4_6688 Depth=4
	v_bfe_u32 v14, v4, 21, 1
	v_mov_b32_e32 v15, v3
	s_delay_alu instid0(VALU_DEP_1) | instskip(NEXT) | instid1(VALU_DEP_1)
	v_add_nc_u64_e32 v[14:15], v[4:5], v[14:15]
	v_add_nc_u64_e32 v[14:15], -1, v[14:15]
; %bb.7017:                             ;   in Loop: Header=BB4_6688 Depth=4
	s_or_b32 exec_lo, exec_lo, s77
	v_add_nc_u32_e32 v2, 0xffffff81, v17
	s_delay_alu instid0(VALU_DEP_2) | instskip(SKIP_2) | instid1(VALU_DEP_3)
	v_and_b32_e32 v14, 0x1fffff, v14
	v_lshrrev_b32_e32 v5, 23, v4
	s_mov_b32 s13, exec_lo
	v_cndmask_b32_e64 v2, v2, 0xffffff82, vcc_lo
	s_delay_alu instid0(VALU_DEP_1) | instskip(SKIP_1) | instid1(VALU_DEP_2)
	v_add3_u32 v15, v18, v2, v5
	v_add_nc_u32_e32 v2, v14, v4
                                        ; implicit-def: $vgpr4_vgpr5
                                        ; implicit-def: $vgpr14
	v_add_nc_u32_e32 v17, 14, v15
	s_delay_alu instid0(VALU_DEP_1)
	v_cmpx_ne_u32_e32 0, v17
	s_xor_b32 s13, exec_lo, s13
; %bb.7018:                             ;   in Loop: Header=BB4_6688 Depth=4
	s_delay_alu instid0(VALU_DEP_3) | instskip(SKIP_1) | instid1(VALU_DEP_1)
	v_cmp_lt_u64_e32 vcc_lo, 0xffffff, v[2:3]
	v_add_nc_u32_e32 v4, 15, v15
	v_cndmask_b32_e32 v14, v17, v4, vcc_lo
	v_cndmask_b32_e64 v4, 0, 1, vcc_lo
	s_delay_alu instid0(VALU_DEP_1)
	v_lshrrev_b64 v[4:5], v4, v[2:3]
; %bb.7019:                             ;   in Loop: Header=BB4_6688 Depth=4
	s_and_not1_saveexec_b32 s13, s13
; %bb.7020:                             ;   in Loop: Header=BB4_6688 Depth=4
	v_mov_b64_e32 v[4:5], v[2:3]
	v_bfe_u32 v14, v2, 23, 1
; %bb.7021:                             ;   in Loop: Header=BB4_6688 Depth=4
	s_or_b32 exec_lo, exec_lo, s13
	s_delay_alu instid0(VALU_DEP_2) | instskip(NEXT) | instid1(VALU_DEP_2)
	v_lshrrev_b64 v[4:5], 21, v[4:5]
	v_cmp_gt_i32_e32 vcc_lo, 32, v14
	v_cmp_ne_u32_e64 s13, 0, v14
                                        ; implicit-def: $vgpr60
	s_delay_alu instid0(VALU_DEP_3) | instskip(NEXT) | instid1(VALU_DEP_1)
	v_dual_cndmask_b32 v5, 0, v5 :: v_dual_cndmask_b32 v4, 3, v4
	v_cmp_ne_u64_e32 vcc_lo, 0, v[4:5]
	s_or_b32 s13, s13, vcc_lo
	s_delay_alu instid0(SALU_CYCLE_1) | instskip(NEXT) | instid1(SALU_CYCLE_1)
	s_and_saveexec_b32 s77, s13
	s_xor_b32 s13, exec_lo, s77
; %bb.7022:                             ;   in Loop: Header=BB4_6688 Depth=4
	v_min_i32_e32 v2, 31, v14
	s_delay_alu instid0(VALU_DEP_1) | instskip(NEXT) | instid1(VALU_DEP_1)
	v_lshl_or_b32 v2, v2, 2, v16
                                        ; implicit-def: $vgpr16
	v_and_or_b32 v60, v4, 3, v2
; %bb.7023:                             ;   in Loop: Header=BB4_6688 Depth=4
	s_and_not1_saveexec_b32 s13, s13
; %bb.7024:                             ;   in Loop: Header=BB4_6688 Depth=4
	v_mov_b32_e32 v60, v16
; %bb.7025:                             ;   in Loop: Header=BB4_6688 Depth=4
	s_or_b32 exec_lo, exec_lo, s13
.LBB4_7026:                             ;   in Loop: Header=BB4_6688 Depth=4
	s_delay_alu instid0(SALU_CYCLE_1)
	s_or_b32 exec_lo, exec_lo, s76
                                        ; implicit-def: $vgpr16
.LBB4_7027:                             ;   in Loop: Header=BB4_6688 Depth=4
	s_and_not1_saveexec_b32 s13, s15
; %bb.7028:                             ;   in Loop: Header=BB4_6688 Depth=4
	v_or_b32_e32 v60, 0x7b, v16
; %bb.7029:                             ;   in Loop: Header=BB4_6688 Depth=4
	s_or_b32 exec_lo, exec_lo, s13
                                        ; implicit-def: $vgpr4
.LBB4_7030:                             ;   in Loop: Header=BB4_6688 Depth=4
	s_and_not1_saveexec_b32 s13, s14
	s_cbranch_execz .LBB4_7036
; %bb.7031:                             ;   in Loop: Header=BB4_6688 Depth=4
	s_mov_b32 s14, exec_lo
                                        ; implicit-def: $vgpr60
	v_cmpx_ne_u64_e32 0, v[2:3]
	s_xor_b32 s14, exec_lo, s14
; %bb.7032:                             ;   in Loop: Header=BB4_6688 Depth=4
	v_lshrrev_b32_e32 v2, 24, v4
                                        ; implicit-def: $vgpr4
	s_delay_alu instid0(VALU_DEP_1)
	v_or_b32_e32 v60, 0x7f, v2
; %bb.7033:                             ;   in Loop: Header=BB4_6688 Depth=4
	s_and_not1_saveexec_b32 s14, s14
; %bb.7034:                             ;   in Loop: Header=BB4_6688 Depth=4
	v_cmp_lt_i32_e32 vcc_lo, -1, v4
	v_cndmask_b32_e64 v60, -4, 0x7c, vcc_lo
; %bb.7035:                             ;   in Loop: Header=BB4_6688 Depth=4
	s_or_b32 exec_lo, exec_lo, s14
.LBB4_7036:                             ;   in Loop: Header=BB4_6688 Depth=4
	s_delay_alu instid0(SALU_CYCLE_1)
	s_or_b32 exec_lo, exec_lo, s13
	flat_load_i8 v4, v[8:9] offset:320 th:TH_LOAD_NT
	v_mov_b32_e32 v5, 0
	s_mov_b32 s13, exec_lo
	s_wait_loadcnt_dscnt 0x0
	v_cmpx_ne_u16_e32 0, v4
	s_cbranch_execz .LBB4_7046
; %bb.7037:                             ;   in Loop: Header=BB4_6688 Depth=4
	v_bfrev_b32_e32 v5, 1
	s_mov_b32 s14, exec_lo
	v_cmpx_ne_u16_e32 0xff80, v4
	s_cbranch_execz .LBB4_7045
; %bb.7038:                             ;   in Loop: Header=BB4_6688 Depth=4
	v_and_b32_e32 v5, 0x7c, v4
	v_and_b32_e32 v2, 3, v4
	s_delay_alu instid0(VALU_DEP_2) | instskip(SKIP_1) | instid1(SALU_CYCLE_1)
	v_cmp_ne_u32_e32 vcc_lo, 0x7c, v5
                                        ; implicit-def: $vgpr5
	s_and_saveexec_b32 s15, vcc_lo
	s_xor_b32 s15, exec_lo, s15
	s_cbranch_execz .LBB4_7042
; %bb.7039:                             ;   in Loop: Header=BB4_6688 Depth=4
	v_and_b32_e32 v5, 0xff, v4
	s_mov_b32 s76, exec_lo
	s_delay_alu instid0(VALU_DEP_1) | instskip(NEXT) | instid1(VALU_DEP_1)
	v_bfe_u32 v5, v5, 2, 5
	v_cmpx_eq_u32_e32 0, v5
	s_cbranch_execz .LBB4_7041
; %bb.7040:                             ;   in Loop: Header=BB4_6688 Depth=4
	v_clz_i32_u32_e32 v2, v2
	v_mov_b32_e32 v5, v3
	s_delay_alu instid0(VALU_DEP_2) | instskip(NEXT) | instid1(VALU_DEP_1)
	v_min_u32_e32 v2, 32, v2
	v_subrev_nc_u32_e32 v14, 29, v2
	s_delay_alu instid0(VALU_DEP_1) | instskip(SKIP_1) | instid1(VALU_DEP_2)
	v_lshlrev_b64_e32 v[14:15], v14, v[4:5]
	v_sub_nc_u32_e32 v5, 30, v2
	v_and_b32_e32 v2, 3, v14
.LBB4_7041:                             ;   in Loop: Header=BB4_6688 Depth=4
	s_or_b32 exec_lo, exec_lo, s76
	v_bfe_i32 v4, v4, 0, 16
	s_delay_alu instid0(VALU_DEP_1) | instskip(NEXT) | instid1(VALU_DEP_1)
	v_and_b32_e32 v4, 0x80000000, v4
	v_lshl_add_u32 v4, v5, 23, v4
	s_delay_alu instid0(VALU_DEP_1) | instskip(NEXT) | instid1(VALU_DEP_1)
	v_lshl_or_b32 v2, v2, 21, v4
                                        ; implicit-def: $vgpr4
	v_add_nc_u32_e32 v5, 0x38000000, v2
                                        ; implicit-def: $vgpr2
.LBB4_7042:                             ;   in Loop: Header=BB4_6688 Depth=4
	s_and_not1_saveexec_b32 s15, s15
; %bb.7043:                             ;   in Loop: Header=BB4_6688 Depth=4
	v_cmp_lt_i16_e32 vcc_lo, -1, v4
	v_cndmask_b32_e32 v4, 0xff800000, v48, vcc_lo
	v_cmp_eq_u32_e32 vcc_lo, 0, v2
	s_delay_alu instid0(VALU_DEP_2)
	v_cndmask_b32_e32 v5, 0x7f800001, v4, vcc_lo
; %bb.7044:                             ;   in Loop: Header=BB4_6688 Depth=4
	s_or_b32 exec_lo, exec_lo, s15
.LBB4_7045:                             ;   in Loop: Header=BB4_6688 Depth=4
	s_delay_alu instid0(SALU_CYCLE_1)
	s_or_b32 exec_lo, exec_lo, s14
.LBB4_7046:                             ;   in Loop: Header=BB4_6688 Depth=4
	s_delay_alu instid0(SALU_CYCLE_1) | instskip(NEXT) | instid1(VALU_DEP_1)
	s_or_b32 exec_lo, exec_lo, s13
	v_dual_mul_f32 v4, s75, v5 :: v_dual_mov_b32 v15, v3
                                        ; implicit-def: $vgpr56
	s_mov_b32 s13, exec_lo
	s_delay_alu instid0(VALU_DEP_1) | instskip(SKIP_1) | instid1(VALU_DEP_2)
	v_and_b32_e32 v14, 0x7f800000, v4
	v_and_b32_e32 v2, 0x7fffff, v4
	v_cmpx_ne_u64_e32 0x7f800000, v[14:15]
	s_xor_b32 s14, exec_lo, s13
	s_cbranch_execz .LBB4_7064
; %bb.7047:                             ;   in Loop: Header=BB4_6688 Depth=4
	v_dual_mov_b32 v15, v3 :: v_dual_lshrrev_b32 v5, 24, v4
	v_and_b32_e32 v14, 0x7fffffff, v4
                                        ; implicit-def: $vgpr56
	s_mov_b32 s13, exec_lo
	s_delay_alu instid0(VALU_DEP_2) | instskip(NEXT) | instid1(VALU_DEP_2)
	v_and_b32_e32 v16, 0x80, v5
	v_cmpx_gt_u64_e32 0x47600001, v[14:15]
	s_xor_b32 s15, exec_lo, s13
	s_cbranch_execz .LBB4_7061
; %bb.7048:                             ;   in Loop: Header=BB4_6688 Depth=4
	v_mov_b32_e32 v56, 0
	s_mov_b32 s76, exec_lo
	v_cmpx_ne_u32_e32 0, v4
	s_cbranch_execz .LBB4_7060
; %bb.7049:                             ;   in Loop: Header=BB4_6688 Depth=4
	v_bfe_u32 v17, v4, 23, 8
	v_or_b32_e32 v14, 0x800000, v2
	s_mov_b32 s77, exec_lo
	s_delay_alu instid0(VALU_DEP_2) | instskip(SKIP_1) | instid1(VALU_DEP_2)
	v_dual_mov_b32 v15, v3 :: v_dual_sub_nc_u32 v4, 0x71, v17
	v_cmp_gt_u32_e32 vcc_lo, 0x72, v17
	v_cndmask_b32_e32 v4, 0, v4, vcc_lo
	v_cmp_eq_u32_e32 vcc_lo, 0, v17
	s_delay_alu instid0(VALU_DEP_2) | instskip(SKIP_1) | instid1(VALU_DEP_2)
	v_cndmask_b32_e64 v18, v4, 0x70, vcc_lo
	v_cndmask_b32_e32 v14, v14, v2, vcc_lo
	v_dual_add_nc_u32 v4, 21, v18 :: v_dual_add_nc_u32 v19, 20, v18
	s_delay_alu instid0(VALU_DEP_1) | instskip(NEXT) | instid1(VALU_DEP_2)
	v_lshlrev_b64_e64 v[4:5], v4, -1
	v_lshlrev_b64_e64 v[20:21], v19, 1
	s_delay_alu instid0(VALU_DEP_2) | instskip(NEXT) | instid1(VALU_DEP_3)
	v_bfi_b32 v31, v5, 0, 0
	v_bfi_b32 v30, v4, 0, v14
	v_lshrrev_b64 v[4:5], v18, v[14:15]
	s_delay_alu instid0(VALU_DEP_1) | instskip(NEXT) | instid1(VALU_DEP_3)
	v_mov_b64_e32 v[14:15], v[4:5]
	v_cmpx_eq_u64_e64 v[30:31], v[20:21]
; %bb.7050:                             ;   in Loop: Header=BB4_6688 Depth=4
	v_bfe_u32 v14, v4, 21, 1
	v_mov_b32_e32 v15, v3
	s_delay_alu instid0(VALU_DEP_1) | instskip(NEXT) | instid1(VALU_DEP_1)
	v_add_nc_u64_e32 v[14:15], v[4:5], v[14:15]
	v_add_nc_u64_e32 v[14:15], -1, v[14:15]
; %bb.7051:                             ;   in Loop: Header=BB4_6688 Depth=4
	s_or_b32 exec_lo, exec_lo, s77
	v_add_nc_u32_e32 v2, 0xffffff81, v17
	s_delay_alu instid0(VALU_DEP_2) | instskip(SKIP_2) | instid1(VALU_DEP_3)
	v_and_b32_e32 v14, 0x1fffff, v14
	v_lshrrev_b32_e32 v5, 23, v4
	s_mov_b32 s13, exec_lo
	v_cndmask_b32_e64 v2, v2, 0xffffff82, vcc_lo
	s_delay_alu instid0(VALU_DEP_1) | instskip(SKIP_1) | instid1(VALU_DEP_2)
	v_add3_u32 v15, v18, v2, v5
	v_add_nc_u32_e32 v2, v14, v4
                                        ; implicit-def: $vgpr4_vgpr5
                                        ; implicit-def: $vgpr14
	v_add_nc_u32_e32 v17, 14, v15
	s_delay_alu instid0(VALU_DEP_1)
	v_cmpx_ne_u32_e32 0, v17
	s_xor_b32 s13, exec_lo, s13
; %bb.7052:                             ;   in Loop: Header=BB4_6688 Depth=4
	s_delay_alu instid0(VALU_DEP_3) | instskip(SKIP_1) | instid1(VALU_DEP_1)
	v_cmp_lt_u64_e32 vcc_lo, 0xffffff, v[2:3]
	v_add_nc_u32_e32 v4, 15, v15
	v_cndmask_b32_e32 v14, v17, v4, vcc_lo
	v_cndmask_b32_e64 v4, 0, 1, vcc_lo
	s_delay_alu instid0(VALU_DEP_1)
	v_lshrrev_b64 v[4:5], v4, v[2:3]
; %bb.7053:                             ;   in Loop: Header=BB4_6688 Depth=4
	s_and_not1_saveexec_b32 s13, s13
; %bb.7054:                             ;   in Loop: Header=BB4_6688 Depth=4
	v_mov_b64_e32 v[4:5], v[2:3]
	v_bfe_u32 v14, v2, 23, 1
; %bb.7055:                             ;   in Loop: Header=BB4_6688 Depth=4
	s_or_b32 exec_lo, exec_lo, s13
	s_delay_alu instid0(VALU_DEP_2) | instskip(NEXT) | instid1(VALU_DEP_2)
	v_lshrrev_b64 v[4:5], 21, v[4:5]
	v_cmp_gt_i32_e32 vcc_lo, 32, v14
	v_cmp_ne_u32_e64 s13, 0, v14
                                        ; implicit-def: $vgpr56
	s_delay_alu instid0(VALU_DEP_3) | instskip(NEXT) | instid1(VALU_DEP_1)
	v_dual_cndmask_b32 v5, 0, v5 :: v_dual_cndmask_b32 v4, 3, v4
	v_cmp_ne_u64_e32 vcc_lo, 0, v[4:5]
	s_or_b32 s13, s13, vcc_lo
	s_delay_alu instid0(SALU_CYCLE_1) | instskip(NEXT) | instid1(SALU_CYCLE_1)
	s_and_saveexec_b32 s77, s13
	s_xor_b32 s13, exec_lo, s77
; %bb.7056:                             ;   in Loop: Header=BB4_6688 Depth=4
	v_min_i32_e32 v2, 31, v14
	s_delay_alu instid0(VALU_DEP_1) | instskip(NEXT) | instid1(VALU_DEP_1)
	v_lshl_or_b32 v2, v2, 2, v16
                                        ; implicit-def: $vgpr16
	v_and_or_b32 v56, v4, 3, v2
; %bb.7057:                             ;   in Loop: Header=BB4_6688 Depth=4
	s_and_not1_saveexec_b32 s13, s13
; %bb.7058:                             ;   in Loop: Header=BB4_6688 Depth=4
	v_mov_b32_e32 v56, v16
; %bb.7059:                             ;   in Loop: Header=BB4_6688 Depth=4
	s_or_b32 exec_lo, exec_lo, s13
.LBB4_7060:                             ;   in Loop: Header=BB4_6688 Depth=4
	s_delay_alu instid0(SALU_CYCLE_1)
	s_or_b32 exec_lo, exec_lo, s76
                                        ; implicit-def: $vgpr16
.LBB4_7061:                             ;   in Loop: Header=BB4_6688 Depth=4
	s_and_not1_saveexec_b32 s13, s15
; %bb.7062:                             ;   in Loop: Header=BB4_6688 Depth=4
	v_or_b32_e32 v56, 0x7b, v16
; %bb.7063:                             ;   in Loop: Header=BB4_6688 Depth=4
	s_or_b32 exec_lo, exec_lo, s13
                                        ; implicit-def: $vgpr4
.LBB4_7064:                             ;   in Loop: Header=BB4_6688 Depth=4
	s_and_not1_saveexec_b32 s13, s14
	s_cbranch_execz .LBB4_7070
; %bb.7065:                             ;   in Loop: Header=BB4_6688 Depth=4
	s_mov_b32 s14, exec_lo
                                        ; implicit-def: $vgpr56
	v_cmpx_ne_u64_e32 0, v[2:3]
	s_xor_b32 s14, exec_lo, s14
; %bb.7066:                             ;   in Loop: Header=BB4_6688 Depth=4
	v_lshrrev_b32_e32 v2, 24, v4
                                        ; implicit-def: $vgpr4
	s_delay_alu instid0(VALU_DEP_1)
	v_or_b32_e32 v56, 0x7f, v2
; %bb.7067:                             ;   in Loop: Header=BB4_6688 Depth=4
	s_and_not1_saveexec_b32 s14, s14
; %bb.7068:                             ;   in Loop: Header=BB4_6688 Depth=4
	v_cmp_lt_i32_e32 vcc_lo, -1, v4
	v_cndmask_b32_e64 v56, -4, 0x7c, vcc_lo
; %bb.7069:                             ;   in Loop: Header=BB4_6688 Depth=4
	s_or_b32 exec_lo, exec_lo, s14
.LBB4_7070:                             ;   in Loop: Header=BB4_6688 Depth=4
	s_delay_alu instid0(SALU_CYCLE_1)
	s_or_b32 exec_lo, exec_lo, s13
	flat_load_i8 v4, v[8:9] offset:352 th:TH_LOAD_NT
	v_mov_b32_e32 v5, 0
	s_mov_b32 s13, exec_lo
	s_wait_loadcnt_dscnt 0x0
	v_cmpx_ne_u16_e32 0, v4
	s_cbranch_execz .LBB4_7080
; %bb.7071:                             ;   in Loop: Header=BB4_6688 Depth=4
	v_bfrev_b32_e32 v5, 1
	s_mov_b32 s14, exec_lo
	v_cmpx_ne_u16_e32 0xff80, v4
	s_cbranch_execz .LBB4_7079
; %bb.7072:                             ;   in Loop: Header=BB4_6688 Depth=4
	v_and_b32_e32 v5, 0x7c, v4
	v_and_b32_e32 v2, 3, v4
	s_delay_alu instid0(VALU_DEP_2) | instskip(SKIP_1) | instid1(SALU_CYCLE_1)
	v_cmp_ne_u32_e32 vcc_lo, 0x7c, v5
                                        ; implicit-def: $vgpr5
	s_and_saveexec_b32 s15, vcc_lo
	s_xor_b32 s15, exec_lo, s15
	s_cbranch_execz .LBB4_7076
; %bb.7073:                             ;   in Loop: Header=BB4_6688 Depth=4
	v_and_b32_e32 v5, 0xff, v4
	s_mov_b32 s76, exec_lo
	s_delay_alu instid0(VALU_DEP_1) | instskip(NEXT) | instid1(VALU_DEP_1)
	v_bfe_u32 v5, v5, 2, 5
	v_cmpx_eq_u32_e32 0, v5
	s_cbranch_execz .LBB4_7075
; %bb.7074:                             ;   in Loop: Header=BB4_6688 Depth=4
	v_clz_i32_u32_e32 v2, v2
	v_mov_b32_e32 v5, v3
	s_delay_alu instid0(VALU_DEP_2) | instskip(NEXT) | instid1(VALU_DEP_1)
	v_min_u32_e32 v2, 32, v2
	v_subrev_nc_u32_e32 v14, 29, v2
	s_delay_alu instid0(VALU_DEP_1) | instskip(SKIP_1) | instid1(VALU_DEP_2)
	v_lshlrev_b64_e32 v[14:15], v14, v[4:5]
	v_sub_nc_u32_e32 v5, 30, v2
	v_and_b32_e32 v2, 3, v14
.LBB4_7075:                             ;   in Loop: Header=BB4_6688 Depth=4
	s_or_b32 exec_lo, exec_lo, s76
	v_bfe_i32 v4, v4, 0, 16
	s_delay_alu instid0(VALU_DEP_1) | instskip(NEXT) | instid1(VALU_DEP_1)
	v_and_b32_e32 v4, 0x80000000, v4
	v_lshl_add_u32 v4, v5, 23, v4
	s_delay_alu instid0(VALU_DEP_1) | instskip(NEXT) | instid1(VALU_DEP_1)
	v_lshl_or_b32 v2, v2, 21, v4
                                        ; implicit-def: $vgpr4
	v_add_nc_u32_e32 v5, 0x38000000, v2
                                        ; implicit-def: $vgpr2
.LBB4_7076:                             ;   in Loop: Header=BB4_6688 Depth=4
	s_and_not1_saveexec_b32 s15, s15
; %bb.7077:                             ;   in Loop: Header=BB4_6688 Depth=4
	v_cmp_lt_i16_e32 vcc_lo, -1, v4
	v_cndmask_b32_e32 v4, 0xff800000, v48, vcc_lo
	v_cmp_eq_u32_e32 vcc_lo, 0, v2
	s_delay_alu instid0(VALU_DEP_2)
	v_cndmask_b32_e32 v5, 0x7f800001, v4, vcc_lo
; %bb.7078:                             ;   in Loop: Header=BB4_6688 Depth=4
	s_or_b32 exec_lo, exec_lo, s15
.LBB4_7079:                             ;   in Loop: Header=BB4_6688 Depth=4
	s_delay_alu instid0(SALU_CYCLE_1)
	s_or_b32 exec_lo, exec_lo, s14
.LBB4_7080:                             ;   in Loop: Header=BB4_6688 Depth=4
	s_delay_alu instid0(SALU_CYCLE_1) | instskip(NEXT) | instid1(VALU_DEP_1)
	s_or_b32 exec_lo, exec_lo, s13
	v_dual_mul_f32 v4, s75, v5 :: v_dual_mov_b32 v15, v3
                                        ; implicit-def: $vgpr46
	s_mov_b32 s13, exec_lo
	s_delay_alu instid0(VALU_DEP_1) | instskip(SKIP_1) | instid1(VALU_DEP_2)
	v_and_b32_e32 v14, 0x7f800000, v4
	v_and_b32_e32 v2, 0x7fffff, v4
	v_cmpx_ne_u64_e32 0x7f800000, v[14:15]
	s_xor_b32 s14, exec_lo, s13
	s_cbranch_execz .LBB4_7098
; %bb.7081:                             ;   in Loop: Header=BB4_6688 Depth=4
	v_dual_mov_b32 v15, v3 :: v_dual_lshrrev_b32 v5, 24, v4
	v_and_b32_e32 v14, 0x7fffffff, v4
                                        ; implicit-def: $vgpr46
	s_mov_b32 s13, exec_lo
	s_delay_alu instid0(VALU_DEP_2) | instskip(NEXT) | instid1(VALU_DEP_2)
	v_and_b32_e32 v16, 0x80, v5
	v_cmpx_gt_u64_e32 0x47600001, v[14:15]
	s_xor_b32 s15, exec_lo, s13
	s_cbranch_execz .LBB4_7095
; %bb.7082:                             ;   in Loop: Header=BB4_6688 Depth=4
	v_mov_b32_e32 v46, 0
	s_mov_b32 s76, exec_lo
	v_cmpx_ne_u32_e32 0, v4
	s_cbranch_execz .LBB4_7094
; %bb.7083:                             ;   in Loop: Header=BB4_6688 Depth=4
	v_bfe_u32 v17, v4, 23, 8
	v_or_b32_e32 v14, 0x800000, v2
	s_mov_b32 s77, exec_lo
	s_delay_alu instid0(VALU_DEP_2) | instskip(SKIP_1) | instid1(VALU_DEP_2)
	v_dual_mov_b32 v15, v3 :: v_dual_sub_nc_u32 v4, 0x71, v17
	v_cmp_gt_u32_e32 vcc_lo, 0x72, v17
	v_cndmask_b32_e32 v4, 0, v4, vcc_lo
	v_cmp_eq_u32_e32 vcc_lo, 0, v17
	s_delay_alu instid0(VALU_DEP_2) | instskip(SKIP_1) | instid1(VALU_DEP_2)
	v_cndmask_b32_e64 v18, v4, 0x70, vcc_lo
	v_cndmask_b32_e32 v14, v14, v2, vcc_lo
	v_dual_add_nc_u32 v4, 21, v18 :: v_dual_add_nc_u32 v19, 20, v18
	s_delay_alu instid0(VALU_DEP_1) | instskip(NEXT) | instid1(VALU_DEP_2)
	v_lshlrev_b64_e64 v[4:5], v4, -1
	v_lshlrev_b64_e64 v[20:21], v19, 1
	s_delay_alu instid0(VALU_DEP_2) | instskip(NEXT) | instid1(VALU_DEP_3)
	v_bfi_b32 v31, v5, 0, 0
	v_bfi_b32 v30, v4, 0, v14
	v_lshrrev_b64 v[4:5], v18, v[14:15]
	s_delay_alu instid0(VALU_DEP_1) | instskip(NEXT) | instid1(VALU_DEP_3)
	v_mov_b64_e32 v[14:15], v[4:5]
	v_cmpx_eq_u64_e64 v[30:31], v[20:21]
; %bb.7084:                             ;   in Loop: Header=BB4_6688 Depth=4
	v_bfe_u32 v14, v4, 21, 1
	v_mov_b32_e32 v15, v3
	s_delay_alu instid0(VALU_DEP_1) | instskip(NEXT) | instid1(VALU_DEP_1)
	v_add_nc_u64_e32 v[14:15], v[4:5], v[14:15]
	v_add_nc_u64_e32 v[14:15], -1, v[14:15]
; %bb.7085:                             ;   in Loop: Header=BB4_6688 Depth=4
	s_or_b32 exec_lo, exec_lo, s77
	v_add_nc_u32_e32 v2, 0xffffff81, v17
	s_delay_alu instid0(VALU_DEP_2) | instskip(SKIP_2) | instid1(VALU_DEP_3)
	v_and_b32_e32 v14, 0x1fffff, v14
	v_lshrrev_b32_e32 v5, 23, v4
	s_mov_b32 s13, exec_lo
	v_cndmask_b32_e64 v2, v2, 0xffffff82, vcc_lo
	s_delay_alu instid0(VALU_DEP_1) | instskip(SKIP_1) | instid1(VALU_DEP_2)
	v_add3_u32 v15, v18, v2, v5
	v_add_nc_u32_e32 v2, v14, v4
                                        ; implicit-def: $vgpr4_vgpr5
                                        ; implicit-def: $vgpr14
	v_add_nc_u32_e32 v17, 14, v15
	s_delay_alu instid0(VALU_DEP_1)
	v_cmpx_ne_u32_e32 0, v17
	s_xor_b32 s13, exec_lo, s13
; %bb.7086:                             ;   in Loop: Header=BB4_6688 Depth=4
	s_delay_alu instid0(VALU_DEP_3) | instskip(SKIP_1) | instid1(VALU_DEP_1)
	v_cmp_lt_u64_e32 vcc_lo, 0xffffff, v[2:3]
	v_add_nc_u32_e32 v4, 15, v15
	v_cndmask_b32_e32 v14, v17, v4, vcc_lo
	v_cndmask_b32_e64 v4, 0, 1, vcc_lo
	s_delay_alu instid0(VALU_DEP_1)
	v_lshrrev_b64 v[4:5], v4, v[2:3]
; %bb.7087:                             ;   in Loop: Header=BB4_6688 Depth=4
	s_and_not1_saveexec_b32 s13, s13
; %bb.7088:                             ;   in Loop: Header=BB4_6688 Depth=4
	v_mov_b64_e32 v[4:5], v[2:3]
	v_bfe_u32 v14, v2, 23, 1
; %bb.7089:                             ;   in Loop: Header=BB4_6688 Depth=4
	s_or_b32 exec_lo, exec_lo, s13
	s_delay_alu instid0(VALU_DEP_2) | instskip(NEXT) | instid1(VALU_DEP_2)
	v_lshrrev_b64 v[4:5], 21, v[4:5]
	v_cmp_gt_i32_e32 vcc_lo, 32, v14
	v_cmp_ne_u32_e64 s13, 0, v14
                                        ; implicit-def: $vgpr46
	s_delay_alu instid0(VALU_DEP_3) | instskip(NEXT) | instid1(VALU_DEP_1)
	v_dual_cndmask_b32 v5, 0, v5 :: v_dual_cndmask_b32 v4, 3, v4
	v_cmp_ne_u64_e32 vcc_lo, 0, v[4:5]
	s_or_b32 s13, s13, vcc_lo
	s_delay_alu instid0(SALU_CYCLE_1) | instskip(NEXT) | instid1(SALU_CYCLE_1)
	s_and_saveexec_b32 s77, s13
	s_xor_b32 s13, exec_lo, s77
; %bb.7090:                             ;   in Loop: Header=BB4_6688 Depth=4
	v_min_i32_e32 v2, 31, v14
	s_delay_alu instid0(VALU_DEP_1) | instskip(NEXT) | instid1(VALU_DEP_1)
	v_lshl_or_b32 v2, v2, 2, v16
                                        ; implicit-def: $vgpr16
	v_and_or_b32 v46, v4, 3, v2
; %bb.7091:                             ;   in Loop: Header=BB4_6688 Depth=4
	s_and_not1_saveexec_b32 s13, s13
; %bb.7092:                             ;   in Loop: Header=BB4_6688 Depth=4
	v_mov_b32_e32 v46, v16
; %bb.7093:                             ;   in Loop: Header=BB4_6688 Depth=4
	s_or_b32 exec_lo, exec_lo, s13
.LBB4_7094:                             ;   in Loop: Header=BB4_6688 Depth=4
	s_delay_alu instid0(SALU_CYCLE_1)
	s_or_b32 exec_lo, exec_lo, s76
                                        ; implicit-def: $vgpr16
.LBB4_7095:                             ;   in Loop: Header=BB4_6688 Depth=4
	s_and_not1_saveexec_b32 s13, s15
; %bb.7096:                             ;   in Loop: Header=BB4_6688 Depth=4
	v_or_b32_e32 v46, 0x7b, v16
; %bb.7097:                             ;   in Loop: Header=BB4_6688 Depth=4
	s_or_b32 exec_lo, exec_lo, s13
                                        ; implicit-def: $vgpr4
.LBB4_7098:                             ;   in Loop: Header=BB4_6688 Depth=4
	s_and_not1_saveexec_b32 s13, s14
	s_cbranch_execz .LBB4_7104
; %bb.7099:                             ;   in Loop: Header=BB4_6688 Depth=4
	s_mov_b32 s14, exec_lo
                                        ; implicit-def: $vgpr46
	v_cmpx_ne_u64_e32 0, v[2:3]
	s_xor_b32 s14, exec_lo, s14
; %bb.7100:                             ;   in Loop: Header=BB4_6688 Depth=4
	v_lshrrev_b32_e32 v2, 24, v4
                                        ; implicit-def: $vgpr4
	s_delay_alu instid0(VALU_DEP_1)
	v_or_b32_e32 v46, 0x7f, v2
; %bb.7101:                             ;   in Loop: Header=BB4_6688 Depth=4
	s_and_not1_saveexec_b32 s14, s14
; %bb.7102:                             ;   in Loop: Header=BB4_6688 Depth=4
	v_cmp_lt_i32_e32 vcc_lo, -1, v4
	v_cndmask_b32_e64 v46, -4, 0x7c, vcc_lo
; %bb.7103:                             ;   in Loop: Header=BB4_6688 Depth=4
	s_or_b32 exec_lo, exec_lo, s14
.LBB4_7104:                             ;   in Loop: Header=BB4_6688 Depth=4
	s_delay_alu instid0(SALU_CYCLE_1)
	s_or_b32 exec_lo, exec_lo, s13
	flat_load_i8 v4, v[8:9] offset:384 th:TH_LOAD_NT
	v_mov_b32_e32 v5, 0
	s_mov_b32 s13, exec_lo
	s_wait_loadcnt_dscnt 0x0
	v_cmpx_ne_u16_e32 0, v4
	s_cbranch_execz .LBB4_7114
; %bb.7105:                             ;   in Loop: Header=BB4_6688 Depth=4
	v_bfrev_b32_e32 v5, 1
	s_mov_b32 s14, exec_lo
	v_cmpx_ne_u16_e32 0xff80, v4
	s_cbranch_execz .LBB4_7113
; %bb.7106:                             ;   in Loop: Header=BB4_6688 Depth=4
	v_and_b32_e32 v5, 0x7c, v4
	v_and_b32_e32 v2, 3, v4
	s_delay_alu instid0(VALU_DEP_2) | instskip(SKIP_1) | instid1(SALU_CYCLE_1)
	v_cmp_ne_u32_e32 vcc_lo, 0x7c, v5
                                        ; implicit-def: $vgpr5
	s_and_saveexec_b32 s15, vcc_lo
	s_xor_b32 s15, exec_lo, s15
	s_cbranch_execz .LBB4_7110
; %bb.7107:                             ;   in Loop: Header=BB4_6688 Depth=4
	v_and_b32_e32 v5, 0xff, v4
	s_mov_b32 s76, exec_lo
	s_delay_alu instid0(VALU_DEP_1) | instskip(NEXT) | instid1(VALU_DEP_1)
	v_bfe_u32 v5, v5, 2, 5
	v_cmpx_eq_u32_e32 0, v5
	s_cbranch_execz .LBB4_7109
; %bb.7108:                             ;   in Loop: Header=BB4_6688 Depth=4
	v_clz_i32_u32_e32 v2, v2
	v_mov_b32_e32 v5, v3
	s_delay_alu instid0(VALU_DEP_2) | instskip(NEXT) | instid1(VALU_DEP_1)
	v_min_u32_e32 v2, 32, v2
	v_subrev_nc_u32_e32 v14, 29, v2
	s_delay_alu instid0(VALU_DEP_1) | instskip(SKIP_1) | instid1(VALU_DEP_2)
	v_lshlrev_b64_e32 v[14:15], v14, v[4:5]
	v_sub_nc_u32_e32 v5, 30, v2
	v_and_b32_e32 v2, 3, v14
.LBB4_7109:                             ;   in Loop: Header=BB4_6688 Depth=4
	s_or_b32 exec_lo, exec_lo, s76
	v_bfe_i32 v4, v4, 0, 16
	s_delay_alu instid0(VALU_DEP_1) | instskip(NEXT) | instid1(VALU_DEP_1)
	v_and_b32_e32 v4, 0x80000000, v4
	v_lshl_add_u32 v4, v5, 23, v4
	s_delay_alu instid0(VALU_DEP_1) | instskip(NEXT) | instid1(VALU_DEP_1)
	v_lshl_or_b32 v2, v2, 21, v4
                                        ; implicit-def: $vgpr4
	v_add_nc_u32_e32 v5, 0x38000000, v2
                                        ; implicit-def: $vgpr2
.LBB4_7110:                             ;   in Loop: Header=BB4_6688 Depth=4
	s_and_not1_saveexec_b32 s15, s15
; %bb.7111:                             ;   in Loop: Header=BB4_6688 Depth=4
	v_cmp_lt_i16_e32 vcc_lo, -1, v4
	v_cndmask_b32_e32 v4, 0xff800000, v48, vcc_lo
	v_cmp_eq_u32_e32 vcc_lo, 0, v2
	s_delay_alu instid0(VALU_DEP_2)
	v_cndmask_b32_e32 v5, 0x7f800001, v4, vcc_lo
; %bb.7112:                             ;   in Loop: Header=BB4_6688 Depth=4
	s_or_b32 exec_lo, exec_lo, s15
.LBB4_7113:                             ;   in Loop: Header=BB4_6688 Depth=4
	s_delay_alu instid0(SALU_CYCLE_1)
	s_or_b32 exec_lo, exec_lo, s14
.LBB4_7114:                             ;   in Loop: Header=BB4_6688 Depth=4
	s_delay_alu instid0(SALU_CYCLE_1) | instskip(NEXT) | instid1(VALU_DEP_1)
	s_or_b32 exec_lo, exec_lo, s13
	v_dual_mul_f32 v4, s75, v5 :: v_dual_mov_b32 v15, v3
                                        ; implicit-def: $vgpr44
	s_mov_b32 s13, exec_lo
	s_delay_alu instid0(VALU_DEP_1) | instskip(SKIP_1) | instid1(VALU_DEP_2)
	v_and_b32_e32 v14, 0x7f800000, v4
	v_and_b32_e32 v2, 0x7fffff, v4
	v_cmpx_ne_u64_e32 0x7f800000, v[14:15]
	s_xor_b32 s14, exec_lo, s13
	s_cbranch_execz .LBB4_7132
; %bb.7115:                             ;   in Loop: Header=BB4_6688 Depth=4
	v_dual_mov_b32 v15, v3 :: v_dual_lshrrev_b32 v5, 24, v4
	v_and_b32_e32 v14, 0x7fffffff, v4
                                        ; implicit-def: $vgpr44
	s_mov_b32 s13, exec_lo
	s_delay_alu instid0(VALU_DEP_2) | instskip(NEXT) | instid1(VALU_DEP_2)
	v_and_b32_e32 v16, 0x80, v5
	v_cmpx_gt_u64_e32 0x47600001, v[14:15]
	s_xor_b32 s15, exec_lo, s13
	s_cbranch_execz .LBB4_7129
; %bb.7116:                             ;   in Loop: Header=BB4_6688 Depth=4
	v_mov_b32_e32 v44, 0
	s_mov_b32 s76, exec_lo
	v_cmpx_ne_u32_e32 0, v4
	s_cbranch_execz .LBB4_7128
; %bb.7117:                             ;   in Loop: Header=BB4_6688 Depth=4
	v_bfe_u32 v17, v4, 23, 8
	v_or_b32_e32 v14, 0x800000, v2
	s_mov_b32 s77, exec_lo
	s_delay_alu instid0(VALU_DEP_2) | instskip(SKIP_1) | instid1(VALU_DEP_2)
	v_dual_mov_b32 v15, v3 :: v_dual_sub_nc_u32 v4, 0x71, v17
	v_cmp_gt_u32_e32 vcc_lo, 0x72, v17
	v_cndmask_b32_e32 v4, 0, v4, vcc_lo
	v_cmp_eq_u32_e32 vcc_lo, 0, v17
	s_delay_alu instid0(VALU_DEP_2) | instskip(SKIP_1) | instid1(VALU_DEP_2)
	v_cndmask_b32_e64 v18, v4, 0x70, vcc_lo
	v_cndmask_b32_e32 v14, v14, v2, vcc_lo
	v_dual_add_nc_u32 v4, 21, v18 :: v_dual_add_nc_u32 v19, 20, v18
	s_delay_alu instid0(VALU_DEP_1) | instskip(NEXT) | instid1(VALU_DEP_2)
	v_lshlrev_b64_e64 v[4:5], v4, -1
	v_lshlrev_b64_e64 v[20:21], v19, 1
	s_delay_alu instid0(VALU_DEP_2) | instskip(NEXT) | instid1(VALU_DEP_3)
	v_bfi_b32 v31, v5, 0, 0
	v_bfi_b32 v30, v4, 0, v14
	v_lshrrev_b64 v[4:5], v18, v[14:15]
	s_delay_alu instid0(VALU_DEP_1) | instskip(NEXT) | instid1(VALU_DEP_3)
	v_mov_b64_e32 v[14:15], v[4:5]
	v_cmpx_eq_u64_e64 v[30:31], v[20:21]
; %bb.7118:                             ;   in Loop: Header=BB4_6688 Depth=4
	v_bfe_u32 v14, v4, 21, 1
	v_mov_b32_e32 v15, v3
	s_delay_alu instid0(VALU_DEP_1) | instskip(NEXT) | instid1(VALU_DEP_1)
	v_add_nc_u64_e32 v[14:15], v[4:5], v[14:15]
	v_add_nc_u64_e32 v[14:15], -1, v[14:15]
; %bb.7119:                             ;   in Loop: Header=BB4_6688 Depth=4
	s_or_b32 exec_lo, exec_lo, s77
	v_add_nc_u32_e32 v2, 0xffffff81, v17
	s_delay_alu instid0(VALU_DEP_2) | instskip(SKIP_2) | instid1(VALU_DEP_3)
	v_and_b32_e32 v14, 0x1fffff, v14
	v_lshrrev_b32_e32 v5, 23, v4
	s_mov_b32 s13, exec_lo
	v_cndmask_b32_e64 v2, v2, 0xffffff82, vcc_lo
	s_delay_alu instid0(VALU_DEP_1) | instskip(SKIP_1) | instid1(VALU_DEP_2)
	v_add3_u32 v15, v18, v2, v5
	v_add_nc_u32_e32 v2, v14, v4
                                        ; implicit-def: $vgpr4_vgpr5
                                        ; implicit-def: $vgpr14
	v_add_nc_u32_e32 v17, 14, v15
	s_delay_alu instid0(VALU_DEP_1)
	v_cmpx_ne_u32_e32 0, v17
	s_xor_b32 s13, exec_lo, s13
; %bb.7120:                             ;   in Loop: Header=BB4_6688 Depth=4
	s_delay_alu instid0(VALU_DEP_3) | instskip(SKIP_1) | instid1(VALU_DEP_1)
	v_cmp_lt_u64_e32 vcc_lo, 0xffffff, v[2:3]
	v_add_nc_u32_e32 v4, 15, v15
	v_cndmask_b32_e32 v14, v17, v4, vcc_lo
	v_cndmask_b32_e64 v4, 0, 1, vcc_lo
	s_delay_alu instid0(VALU_DEP_1)
	v_lshrrev_b64 v[4:5], v4, v[2:3]
; %bb.7121:                             ;   in Loop: Header=BB4_6688 Depth=4
	s_and_not1_saveexec_b32 s13, s13
; %bb.7122:                             ;   in Loop: Header=BB4_6688 Depth=4
	v_mov_b64_e32 v[4:5], v[2:3]
	v_bfe_u32 v14, v2, 23, 1
; %bb.7123:                             ;   in Loop: Header=BB4_6688 Depth=4
	s_or_b32 exec_lo, exec_lo, s13
	s_delay_alu instid0(VALU_DEP_2) | instskip(NEXT) | instid1(VALU_DEP_2)
	v_lshrrev_b64 v[4:5], 21, v[4:5]
	v_cmp_gt_i32_e32 vcc_lo, 32, v14
	v_cmp_ne_u32_e64 s13, 0, v14
                                        ; implicit-def: $vgpr44
	s_delay_alu instid0(VALU_DEP_3) | instskip(NEXT) | instid1(VALU_DEP_1)
	v_dual_cndmask_b32 v5, 0, v5 :: v_dual_cndmask_b32 v4, 3, v4
	v_cmp_ne_u64_e32 vcc_lo, 0, v[4:5]
	s_or_b32 s13, s13, vcc_lo
	s_delay_alu instid0(SALU_CYCLE_1) | instskip(NEXT) | instid1(SALU_CYCLE_1)
	s_and_saveexec_b32 s77, s13
	s_xor_b32 s13, exec_lo, s77
; %bb.7124:                             ;   in Loop: Header=BB4_6688 Depth=4
	v_min_i32_e32 v2, 31, v14
	s_delay_alu instid0(VALU_DEP_1) | instskip(NEXT) | instid1(VALU_DEP_1)
	v_lshl_or_b32 v2, v2, 2, v16
                                        ; implicit-def: $vgpr16
	v_and_or_b32 v44, v4, 3, v2
; %bb.7125:                             ;   in Loop: Header=BB4_6688 Depth=4
	s_and_not1_saveexec_b32 s13, s13
; %bb.7126:                             ;   in Loop: Header=BB4_6688 Depth=4
	v_mov_b32_e32 v44, v16
; %bb.7127:                             ;   in Loop: Header=BB4_6688 Depth=4
	s_or_b32 exec_lo, exec_lo, s13
.LBB4_7128:                             ;   in Loop: Header=BB4_6688 Depth=4
	s_delay_alu instid0(SALU_CYCLE_1)
	s_or_b32 exec_lo, exec_lo, s76
                                        ; implicit-def: $vgpr16
.LBB4_7129:                             ;   in Loop: Header=BB4_6688 Depth=4
	s_and_not1_saveexec_b32 s13, s15
; %bb.7130:                             ;   in Loop: Header=BB4_6688 Depth=4
	v_or_b32_e32 v44, 0x7b, v16
; %bb.7131:                             ;   in Loop: Header=BB4_6688 Depth=4
	s_or_b32 exec_lo, exec_lo, s13
                                        ; implicit-def: $vgpr4
.LBB4_7132:                             ;   in Loop: Header=BB4_6688 Depth=4
	s_and_not1_saveexec_b32 s13, s14
	s_cbranch_execz .LBB4_7138
; %bb.7133:                             ;   in Loop: Header=BB4_6688 Depth=4
	s_mov_b32 s14, exec_lo
                                        ; implicit-def: $vgpr44
	v_cmpx_ne_u64_e32 0, v[2:3]
	s_xor_b32 s14, exec_lo, s14
; %bb.7134:                             ;   in Loop: Header=BB4_6688 Depth=4
	v_lshrrev_b32_e32 v2, 24, v4
                                        ; implicit-def: $vgpr4
	s_delay_alu instid0(VALU_DEP_1)
	v_or_b32_e32 v44, 0x7f, v2
; %bb.7135:                             ;   in Loop: Header=BB4_6688 Depth=4
	s_and_not1_saveexec_b32 s14, s14
; %bb.7136:                             ;   in Loop: Header=BB4_6688 Depth=4
	v_cmp_lt_i32_e32 vcc_lo, -1, v4
	v_cndmask_b32_e64 v44, -4, 0x7c, vcc_lo
; %bb.7137:                             ;   in Loop: Header=BB4_6688 Depth=4
	s_or_b32 exec_lo, exec_lo, s14
.LBB4_7138:                             ;   in Loop: Header=BB4_6688 Depth=4
	s_delay_alu instid0(SALU_CYCLE_1)
	s_or_b32 exec_lo, exec_lo, s13
	flat_load_i8 v4, v[8:9] offset:416 th:TH_LOAD_NT
	v_mov_b32_e32 v5, 0
	s_mov_b32 s13, exec_lo
	s_wait_loadcnt_dscnt 0x0
	v_cmpx_ne_u16_e32 0, v4
	s_cbranch_execz .LBB4_7148
; %bb.7139:                             ;   in Loop: Header=BB4_6688 Depth=4
	v_bfrev_b32_e32 v5, 1
	s_mov_b32 s14, exec_lo
	v_cmpx_ne_u16_e32 0xff80, v4
	s_cbranch_execz .LBB4_7147
; %bb.7140:                             ;   in Loop: Header=BB4_6688 Depth=4
	v_and_b32_e32 v5, 0x7c, v4
	v_and_b32_e32 v2, 3, v4
	s_delay_alu instid0(VALU_DEP_2) | instskip(SKIP_1) | instid1(SALU_CYCLE_1)
	v_cmp_ne_u32_e32 vcc_lo, 0x7c, v5
                                        ; implicit-def: $vgpr5
	s_and_saveexec_b32 s15, vcc_lo
	s_xor_b32 s15, exec_lo, s15
	s_cbranch_execz .LBB4_7144
; %bb.7141:                             ;   in Loop: Header=BB4_6688 Depth=4
	v_and_b32_e32 v5, 0xff, v4
	s_mov_b32 s76, exec_lo
	s_delay_alu instid0(VALU_DEP_1) | instskip(NEXT) | instid1(VALU_DEP_1)
	v_bfe_u32 v5, v5, 2, 5
	v_cmpx_eq_u32_e32 0, v5
	s_cbranch_execz .LBB4_7143
; %bb.7142:                             ;   in Loop: Header=BB4_6688 Depth=4
	v_clz_i32_u32_e32 v2, v2
	v_mov_b32_e32 v5, v3
	s_delay_alu instid0(VALU_DEP_2) | instskip(NEXT) | instid1(VALU_DEP_1)
	v_min_u32_e32 v2, 32, v2
	v_subrev_nc_u32_e32 v14, 29, v2
	s_delay_alu instid0(VALU_DEP_1) | instskip(SKIP_1) | instid1(VALU_DEP_2)
	v_lshlrev_b64_e32 v[14:15], v14, v[4:5]
	v_sub_nc_u32_e32 v5, 30, v2
	v_and_b32_e32 v2, 3, v14
.LBB4_7143:                             ;   in Loop: Header=BB4_6688 Depth=4
	s_or_b32 exec_lo, exec_lo, s76
	v_bfe_i32 v4, v4, 0, 16
	s_delay_alu instid0(VALU_DEP_1) | instskip(NEXT) | instid1(VALU_DEP_1)
	v_and_b32_e32 v4, 0x80000000, v4
	v_lshl_add_u32 v4, v5, 23, v4
	s_delay_alu instid0(VALU_DEP_1) | instskip(NEXT) | instid1(VALU_DEP_1)
	v_lshl_or_b32 v2, v2, 21, v4
                                        ; implicit-def: $vgpr4
	v_add_nc_u32_e32 v5, 0x38000000, v2
                                        ; implicit-def: $vgpr2
.LBB4_7144:                             ;   in Loop: Header=BB4_6688 Depth=4
	s_and_not1_saveexec_b32 s15, s15
; %bb.7145:                             ;   in Loop: Header=BB4_6688 Depth=4
	v_cmp_lt_i16_e32 vcc_lo, -1, v4
	v_cndmask_b32_e32 v4, 0xff800000, v48, vcc_lo
	v_cmp_eq_u32_e32 vcc_lo, 0, v2
	s_delay_alu instid0(VALU_DEP_2)
	v_cndmask_b32_e32 v5, 0x7f800001, v4, vcc_lo
; %bb.7146:                             ;   in Loop: Header=BB4_6688 Depth=4
	s_or_b32 exec_lo, exec_lo, s15
.LBB4_7147:                             ;   in Loop: Header=BB4_6688 Depth=4
	s_delay_alu instid0(SALU_CYCLE_1)
	s_or_b32 exec_lo, exec_lo, s14
.LBB4_7148:                             ;   in Loop: Header=BB4_6688 Depth=4
	s_delay_alu instid0(SALU_CYCLE_1) | instskip(NEXT) | instid1(VALU_DEP_1)
	s_or_b32 exec_lo, exec_lo, s13
	v_dual_mul_f32 v4, s75, v5 :: v_dual_mov_b32 v15, v3
                                        ; implicit-def: $vgpr42
	s_mov_b32 s13, exec_lo
	s_delay_alu instid0(VALU_DEP_1) | instskip(SKIP_1) | instid1(VALU_DEP_2)
	v_and_b32_e32 v14, 0x7f800000, v4
	v_and_b32_e32 v2, 0x7fffff, v4
	v_cmpx_ne_u64_e32 0x7f800000, v[14:15]
	s_xor_b32 s14, exec_lo, s13
	s_cbranch_execz .LBB4_7166
; %bb.7149:                             ;   in Loop: Header=BB4_6688 Depth=4
	v_dual_mov_b32 v15, v3 :: v_dual_lshrrev_b32 v5, 24, v4
	v_and_b32_e32 v14, 0x7fffffff, v4
                                        ; implicit-def: $vgpr42
	s_mov_b32 s13, exec_lo
	s_delay_alu instid0(VALU_DEP_2) | instskip(NEXT) | instid1(VALU_DEP_2)
	v_and_b32_e32 v16, 0x80, v5
	v_cmpx_gt_u64_e32 0x47600001, v[14:15]
	s_xor_b32 s15, exec_lo, s13
	s_cbranch_execz .LBB4_7163
; %bb.7150:                             ;   in Loop: Header=BB4_6688 Depth=4
	v_mov_b32_e32 v42, 0
	s_mov_b32 s76, exec_lo
	v_cmpx_ne_u32_e32 0, v4
	s_cbranch_execz .LBB4_7162
; %bb.7151:                             ;   in Loop: Header=BB4_6688 Depth=4
	v_bfe_u32 v17, v4, 23, 8
	v_or_b32_e32 v14, 0x800000, v2
	s_mov_b32 s77, exec_lo
	s_delay_alu instid0(VALU_DEP_2) | instskip(SKIP_1) | instid1(VALU_DEP_2)
	v_dual_mov_b32 v15, v3 :: v_dual_sub_nc_u32 v4, 0x71, v17
	v_cmp_gt_u32_e32 vcc_lo, 0x72, v17
	v_cndmask_b32_e32 v4, 0, v4, vcc_lo
	v_cmp_eq_u32_e32 vcc_lo, 0, v17
	s_delay_alu instid0(VALU_DEP_2) | instskip(SKIP_1) | instid1(VALU_DEP_2)
	v_cndmask_b32_e64 v18, v4, 0x70, vcc_lo
	v_cndmask_b32_e32 v14, v14, v2, vcc_lo
	v_dual_add_nc_u32 v4, 21, v18 :: v_dual_add_nc_u32 v19, 20, v18
	s_delay_alu instid0(VALU_DEP_1) | instskip(NEXT) | instid1(VALU_DEP_2)
	v_lshlrev_b64_e64 v[4:5], v4, -1
	v_lshlrev_b64_e64 v[20:21], v19, 1
	s_delay_alu instid0(VALU_DEP_2) | instskip(NEXT) | instid1(VALU_DEP_3)
	v_bfi_b32 v31, v5, 0, 0
	v_bfi_b32 v30, v4, 0, v14
	v_lshrrev_b64 v[4:5], v18, v[14:15]
	s_delay_alu instid0(VALU_DEP_1) | instskip(NEXT) | instid1(VALU_DEP_3)
	v_mov_b64_e32 v[14:15], v[4:5]
	v_cmpx_eq_u64_e64 v[30:31], v[20:21]
; %bb.7152:                             ;   in Loop: Header=BB4_6688 Depth=4
	v_bfe_u32 v14, v4, 21, 1
	v_mov_b32_e32 v15, v3
	s_delay_alu instid0(VALU_DEP_1) | instskip(NEXT) | instid1(VALU_DEP_1)
	v_add_nc_u64_e32 v[14:15], v[4:5], v[14:15]
	v_add_nc_u64_e32 v[14:15], -1, v[14:15]
; %bb.7153:                             ;   in Loop: Header=BB4_6688 Depth=4
	s_or_b32 exec_lo, exec_lo, s77
	v_add_nc_u32_e32 v2, 0xffffff81, v17
	s_delay_alu instid0(VALU_DEP_2) | instskip(SKIP_2) | instid1(VALU_DEP_3)
	v_and_b32_e32 v14, 0x1fffff, v14
	v_lshrrev_b32_e32 v5, 23, v4
	s_mov_b32 s13, exec_lo
	v_cndmask_b32_e64 v2, v2, 0xffffff82, vcc_lo
	s_delay_alu instid0(VALU_DEP_1) | instskip(SKIP_1) | instid1(VALU_DEP_2)
	v_add3_u32 v15, v18, v2, v5
	v_add_nc_u32_e32 v2, v14, v4
                                        ; implicit-def: $vgpr4_vgpr5
                                        ; implicit-def: $vgpr14
	v_add_nc_u32_e32 v17, 14, v15
	s_delay_alu instid0(VALU_DEP_1)
	v_cmpx_ne_u32_e32 0, v17
	s_xor_b32 s13, exec_lo, s13
; %bb.7154:                             ;   in Loop: Header=BB4_6688 Depth=4
	s_delay_alu instid0(VALU_DEP_3) | instskip(SKIP_1) | instid1(VALU_DEP_1)
	v_cmp_lt_u64_e32 vcc_lo, 0xffffff, v[2:3]
	v_add_nc_u32_e32 v4, 15, v15
	v_cndmask_b32_e32 v14, v17, v4, vcc_lo
	v_cndmask_b32_e64 v4, 0, 1, vcc_lo
	s_delay_alu instid0(VALU_DEP_1)
	v_lshrrev_b64 v[4:5], v4, v[2:3]
; %bb.7155:                             ;   in Loop: Header=BB4_6688 Depth=4
	s_and_not1_saveexec_b32 s13, s13
; %bb.7156:                             ;   in Loop: Header=BB4_6688 Depth=4
	v_mov_b64_e32 v[4:5], v[2:3]
	v_bfe_u32 v14, v2, 23, 1
; %bb.7157:                             ;   in Loop: Header=BB4_6688 Depth=4
	s_or_b32 exec_lo, exec_lo, s13
	s_delay_alu instid0(VALU_DEP_2) | instskip(NEXT) | instid1(VALU_DEP_2)
	v_lshrrev_b64 v[4:5], 21, v[4:5]
	v_cmp_gt_i32_e32 vcc_lo, 32, v14
	v_cmp_ne_u32_e64 s13, 0, v14
                                        ; implicit-def: $vgpr42
	s_delay_alu instid0(VALU_DEP_3) | instskip(NEXT) | instid1(VALU_DEP_1)
	v_dual_cndmask_b32 v5, 0, v5 :: v_dual_cndmask_b32 v4, 3, v4
	v_cmp_ne_u64_e32 vcc_lo, 0, v[4:5]
	s_or_b32 s13, s13, vcc_lo
	s_delay_alu instid0(SALU_CYCLE_1) | instskip(NEXT) | instid1(SALU_CYCLE_1)
	s_and_saveexec_b32 s77, s13
	s_xor_b32 s13, exec_lo, s77
; %bb.7158:                             ;   in Loop: Header=BB4_6688 Depth=4
	v_min_i32_e32 v2, 31, v14
	s_delay_alu instid0(VALU_DEP_1) | instskip(NEXT) | instid1(VALU_DEP_1)
	v_lshl_or_b32 v2, v2, 2, v16
                                        ; implicit-def: $vgpr16
	v_and_or_b32 v42, v4, 3, v2
; %bb.7159:                             ;   in Loop: Header=BB4_6688 Depth=4
	s_and_not1_saveexec_b32 s13, s13
; %bb.7160:                             ;   in Loop: Header=BB4_6688 Depth=4
	v_mov_b32_e32 v42, v16
; %bb.7161:                             ;   in Loop: Header=BB4_6688 Depth=4
	s_or_b32 exec_lo, exec_lo, s13
.LBB4_7162:                             ;   in Loop: Header=BB4_6688 Depth=4
	s_delay_alu instid0(SALU_CYCLE_1)
	s_or_b32 exec_lo, exec_lo, s76
                                        ; implicit-def: $vgpr16
.LBB4_7163:                             ;   in Loop: Header=BB4_6688 Depth=4
	s_and_not1_saveexec_b32 s13, s15
; %bb.7164:                             ;   in Loop: Header=BB4_6688 Depth=4
	v_or_b32_e32 v42, 0x7b, v16
; %bb.7165:                             ;   in Loop: Header=BB4_6688 Depth=4
	s_or_b32 exec_lo, exec_lo, s13
                                        ; implicit-def: $vgpr4
.LBB4_7166:                             ;   in Loop: Header=BB4_6688 Depth=4
	s_and_not1_saveexec_b32 s13, s14
	s_cbranch_execz .LBB4_7172
; %bb.7167:                             ;   in Loop: Header=BB4_6688 Depth=4
	s_mov_b32 s14, exec_lo
                                        ; implicit-def: $vgpr42
	v_cmpx_ne_u64_e32 0, v[2:3]
	s_xor_b32 s14, exec_lo, s14
; %bb.7168:                             ;   in Loop: Header=BB4_6688 Depth=4
	v_lshrrev_b32_e32 v2, 24, v4
                                        ; implicit-def: $vgpr4
	s_delay_alu instid0(VALU_DEP_1)
	v_or_b32_e32 v42, 0x7f, v2
; %bb.7169:                             ;   in Loop: Header=BB4_6688 Depth=4
	s_and_not1_saveexec_b32 s14, s14
; %bb.7170:                             ;   in Loop: Header=BB4_6688 Depth=4
	v_cmp_lt_i32_e32 vcc_lo, -1, v4
	v_cndmask_b32_e64 v42, -4, 0x7c, vcc_lo
; %bb.7171:                             ;   in Loop: Header=BB4_6688 Depth=4
	s_or_b32 exec_lo, exec_lo, s14
.LBB4_7172:                             ;   in Loop: Header=BB4_6688 Depth=4
	s_delay_alu instid0(SALU_CYCLE_1)
	s_or_b32 exec_lo, exec_lo, s13
	flat_load_i8 v4, v[8:9] offset:448 th:TH_LOAD_NT
	v_mov_b32_e32 v5, 0
	s_mov_b32 s13, exec_lo
	s_wait_loadcnt_dscnt 0x0
	v_cmpx_ne_u16_e32 0, v4
	s_cbranch_execz .LBB4_7182
; %bb.7173:                             ;   in Loop: Header=BB4_6688 Depth=4
	v_bfrev_b32_e32 v5, 1
	s_mov_b32 s14, exec_lo
	v_cmpx_ne_u16_e32 0xff80, v4
	s_cbranch_execz .LBB4_7181
; %bb.7174:                             ;   in Loop: Header=BB4_6688 Depth=4
	v_and_b32_e32 v5, 0x7c, v4
	v_and_b32_e32 v2, 3, v4
	s_delay_alu instid0(VALU_DEP_2) | instskip(SKIP_1) | instid1(SALU_CYCLE_1)
	v_cmp_ne_u32_e32 vcc_lo, 0x7c, v5
                                        ; implicit-def: $vgpr5
	s_and_saveexec_b32 s15, vcc_lo
	s_xor_b32 s15, exec_lo, s15
	s_cbranch_execz .LBB4_7178
; %bb.7175:                             ;   in Loop: Header=BB4_6688 Depth=4
	v_and_b32_e32 v5, 0xff, v4
	s_mov_b32 s76, exec_lo
	s_delay_alu instid0(VALU_DEP_1) | instskip(NEXT) | instid1(VALU_DEP_1)
	v_bfe_u32 v5, v5, 2, 5
	v_cmpx_eq_u32_e32 0, v5
	s_cbranch_execz .LBB4_7177
; %bb.7176:                             ;   in Loop: Header=BB4_6688 Depth=4
	v_clz_i32_u32_e32 v2, v2
	v_mov_b32_e32 v5, v3
	s_delay_alu instid0(VALU_DEP_2) | instskip(NEXT) | instid1(VALU_DEP_1)
	v_min_u32_e32 v2, 32, v2
	v_subrev_nc_u32_e32 v14, 29, v2
	s_delay_alu instid0(VALU_DEP_1) | instskip(SKIP_1) | instid1(VALU_DEP_2)
	v_lshlrev_b64_e32 v[14:15], v14, v[4:5]
	v_sub_nc_u32_e32 v5, 30, v2
	v_and_b32_e32 v2, 3, v14
.LBB4_7177:                             ;   in Loop: Header=BB4_6688 Depth=4
	s_or_b32 exec_lo, exec_lo, s76
	v_bfe_i32 v4, v4, 0, 16
	s_delay_alu instid0(VALU_DEP_1) | instskip(NEXT) | instid1(VALU_DEP_1)
	v_and_b32_e32 v4, 0x80000000, v4
	v_lshl_add_u32 v4, v5, 23, v4
	s_delay_alu instid0(VALU_DEP_1) | instskip(NEXT) | instid1(VALU_DEP_1)
	v_lshl_or_b32 v2, v2, 21, v4
                                        ; implicit-def: $vgpr4
	v_add_nc_u32_e32 v5, 0x38000000, v2
                                        ; implicit-def: $vgpr2
.LBB4_7178:                             ;   in Loop: Header=BB4_6688 Depth=4
	s_and_not1_saveexec_b32 s15, s15
; %bb.7179:                             ;   in Loop: Header=BB4_6688 Depth=4
	v_cmp_lt_i16_e32 vcc_lo, -1, v4
	v_cndmask_b32_e32 v4, 0xff800000, v48, vcc_lo
	v_cmp_eq_u32_e32 vcc_lo, 0, v2
	s_delay_alu instid0(VALU_DEP_2)
	v_cndmask_b32_e32 v5, 0x7f800001, v4, vcc_lo
; %bb.7180:                             ;   in Loop: Header=BB4_6688 Depth=4
	s_or_b32 exec_lo, exec_lo, s15
.LBB4_7181:                             ;   in Loop: Header=BB4_6688 Depth=4
	s_delay_alu instid0(SALU_CYCLE_1)
	s_or_b32 exec_lo, exec_lo, s14
.LBB4_7182:                             ;   in Loop: Header=BB4_6688 Depth=4
	s_delay_alu instid0(SALU_CYCLE_1) | instskip(NEXT) | instid1(VALU_DEP_1)
	s_or_b32 exec_lo, exec_lo, s13
	v_dual_mul_f32 v4, s75, v5 :: v_dual_mov_b32 v15, v3
                                        ; implicit-def: $vgpr40
	s_mov_b32 s13, exec_lo
	s_delay_alu instid0(VALU_DEP_1) | instskip(SKIP_1) | instid1(VALU_DEP_2)
	v_and_b32_e32 v14, 0x7f800000, v4
	v_and_b32_e32 v2, 0x7fffff, v4
	v_cmpx_ne_u64_e32 0x7f800000, v[14:15]
	s_xor_b32 s14, exec_lo, s13
	s_cbranch_execz .LBB4_7200
; %bb.7183:                             ;   in Loop: Header=BB4_6688 Depth=4
	v_dual_mov_b32 v15, v3 :: v_dual_lshrrev_b32 v5, 24, v4
	v_and_b32_e32 v14, 0x7fffffff, v4
                                        ; implicit-def: $vgpr40
	s_mov_b32 s13, exec_lo
	s_delay_alu instid0(VALU_DEP_2) | instskip(NEXT) | instid1(VALU_DEP_2)
	v_and_b32_e32 v16, 0x80, v5
	v_cmpx_gt_u64_e32 0x47600001, v[14:15]
	s_xor_b32 s15, exec_lo, s13
	s_cbranch_execz .LBB4_7197
; %bb.7184:                             ;   in Loop: Header=BB4_6688 Depth=4
	v_mov_b32_e32 v40, 0
	s_mov_b32 s76, exec_lo
	v_cmpx_ne_u32_e32 0, v4
	s_cbranch_execz .LBB4_7196
; %bb.7185:                             ;   in Loop: Header=BB4_6688 Depth=4
	v_bfe_u32 v17, v4, 23, 8
	v_or_b32_e32 v14, 0x800000, v2
	s_mov_b32 s77, exec_lo
	s_delay_alu instid0(VALU_DEP_2) | instskip(SKIP_1) | instid1(VALU_DEP_2)
	v_dual_mov_b32 v15, v3 :: v_dual_sub_nc_u32 v4, 0x71, v17
	v_cmp_gt_u32_e32 vcc_lo, 0x72, v17
	v_cndmask_b32_e32 v4, 0, v4, vcc_lo
	v_cmp_eq_u32_e32 vcc_lo, 0, v17
	s_delay_alu instid0(VALU_DEP_2) | instskip(SKIP_1) | instid1(VALU_DEP_2)
	v_cndmask_b32_e64 v18, v4, 0x70, vcc_lo
	v_cndmask_b32_e32 v14, v14, v2, vcc_lo
	v_dual_add_nc_u32 v4, 21, v18 :: v_dual_add_nc_u32 v19, 20, v18
	s_delay_alu instid0(VALU_DEP_1) | instskip(NEXT) | instid1(VALU_DEP_2)
	v_lshlrev_b64_e64 v[4:5], v4, -1
	v_lshlrev_b64_e64 v[20:21], v19, 1
	s_delay_alu instid0(VALU_DEP_2) | instskip(NEXT) | instid1(VALU_DEP_3)
	v_bfi_b32 v31, v5, 0, 0
	v_bfi_b32 v30, v4, 0, v14
	v_lshrrev_b64 v[4:5], v18, v[14:15]
	s_delay_alu instid0(VALU_DEP_1) | instskip(NEXT) | instid1(VALU_DEP_3)
	v_mov_b64_e32 v[14:15], v[4:5]
	v_cmpx_eq_u64_e64 v[30:31], v[20:21]
; %bb.7186:                             ;   in Loop: Header=BB4_6688 Depth=4
	v_bfe_u32 v14, v4, 21, 1
	v_mov_b32_e32 v15, v3
	s_delay_alu instid0(VALU_DEP_1) | instskip(NEXT) | instid1(VALU_DEP_1)
	v_add_nc_u64_e32 v[14:15], v[4:5], v[14:15]
	v_add_nc_u64_e32 v[14:15], -1, v[14:15]
; %bb.7187:                             ;   in Loop: Header=BB4_6688 Depth=4
	s_or_b32 exec_lo, exec_lo, s77
	v_add_nc_u32_e32 v2, 0xffffff81, v17
	s_delay_alu instid0(VALU_DEP_2) | instskip(SKIP_2) | instid1(VALU_DEP_3)
	v_and_b32_e32 v14, 0x1fffff, v14
	v_lshrrev_b32_e32 v5, 23, v4
	s_mov_b32 s13, exec_lo
	v_cndmask_b32_e64 v2, v2, 0xffffff82, vcc_lo
	s_delay_alu instid0(VALU_DEP_1) | instskip(SKIP_1) | instid1(VALU_DEP_2)
	v_add3_u32 v15, v18, v2, v5
	v_add_nc_u32_e32 v2, v14, v4
                                        ; implicit-def: $vgpr4_vgpr5
                                        ; implicit-def: $vgpr14
	v_add_nc_u32_e32 v17, 14, v15
	s_delay_alu instid0(VALU_DEP_1)
	v_cmpx_ne_u32_e32 0, v17
	s_xor_b32 s13, exec_lo, s13
; %bb.7188:                             ;   in Loop: Header=BB4_6688 Depth=4
	s_delay_alu instid0(VALU_DEP_3) | instskip(SKIP_1) | instid1(VALU_DEP_1)
	v_cmp_lt_u64_e32 vcc_lo, 0xffffff, v[2:3]
	v_add_nc_u32_e32 v4, 15, v15
	v_cndmask_b32_e32 v14, v17, v4, vcc_lo
	v_cndmask_b32_e64 v4, 0, 1, vcc_lo
	s_delay_alu instid0(VALU_DEP_1)
	v_lshrrev_b64 v[4:5], v4, v[2:3]
; %bb.7189:                             ;   in Loop: Header=BB4_6688 Depth=4
	s_and_not1_saveexec_b32 s13, s13
; %bb.7190:                             ;   in Loop: Header=BB4_6688 Depth=4
	v_mov_b64_e32 v[4:5], v[2:3]
	v_bfe_u32 v14, v2, 23, 1
; %bb.7191:                             ;   in Loop: Header=BB4_6688 Depth=4
	s_or_b32 exec_lo, exec_lo, s13
	s_delay_alu instid0(VALU_DEP_2) | instskip(NEXT) | instid1(VALU_DEP_2)
	v_lshrrev_b64 v[4:5], 21, v[4:5]
	v_cmp_gt_i32_e32 vcc_lo, 32, v14
	v_cmp_ne_u32_e64 s13, 0, v14
                                        ; implicit-def: $vgpr40
	s_delay_alu instid0(VALU_DEP_3) | instskip(NEXT) | instid1(VALU_DEP_1)
	v_dual_cndmask_b32 v5, 0, v5 :: v_dual_cndmask_b32 v4, 3, v4
	v_cmp_ne_u64_e32 vcc_lo, 0, v[4:5]
	s_or_b32 s13, s13, vcc_lo
	s_delay_alu instid0(SALU_CYCLE_1) | instskip(NEXT) | instid1(SALU_CYCLE_1)
	s_and_saveexec_b32 s77, s13
	s_xor_b32 s13, exec_lo, s77
; %bb.7192:                             ;   in Loop: Header=BB4_6688 Depth=4
	v_min_i32_e32 v2, 31, v14
	s_delay_alu instid0(VALU_DEP_1) | instskip(NEXT) | instid1(VALU_DEP_1)
	v_lshl_or_b32 v2, v2, 2, v16
                                        ; implicit-def: $vgpr16
	v_and_or_b32 v40, v4, 3, v2
; %bb.7193:                             ;   in Loop: Header=BB4_6688 Depth=4
	s_and_not1_saveexec_b32 s13, s13
; %bb.7194:                             ;   in Loop: Header=BB4_6688 Depth=4
	v_mov_b32_e32 v40, v16
; %bb.7195:                             ;   in Loop: Header=BB4_6688 Depth=4
	s_or_b32 exec_lo, exec_lo, s13
.LBB4_7196:                             ;   in Loop: Header=BB4_6688 Depth=4
	s_delay_alu instid0(SALU_CYCLE_1)
	s_or_b32 exec_lo, exec_lo, s76
                                        ; implicit-def: $vgpr16
.LBB4_7197:                             ;   in Loop: Header=BB4_6688 Depth=4
	s_and_not1_saveexec_b32 s13, s15
; %bb.7198:                             ;   in Loop: Header=BB4_6688 Depth=4
	v_or_b32_e32 v40, 0x7b, v16
; %bb.7199:                             ;   in Loop: Header=BB4_6688 Depth=4
	s_or_b32 exec_lo, exec_lo, s13
                                        ; implicit-def: $vgpr4
.LBB4_7200:                             ;   in Loop: Header=BB4_6688 Depth=4
	s_and_not1_saveexec_b32 s13, s14
	s_cbranch_execz .LBB4_7206
; %bb.7201:                             ;   in Loop: Header=BB4_6688 Depth=4
	s_mov_b32 s14, exec_lo
                                        ; implicit-def: $vgpr40
	v_cmpx_ne_u64_e32 0, v[2:3]
	s_xor_b32 s14, exec_lo, s14
; %bb.7202:                             ;   in Loop: Header=BB4_6688 Depth=4
	v_lshrrev_b32_e32 v2, 24, v4
                                        ; implicit-def: $vgpr4
	s_delay_alu instid0(VALU_DEP_1)
	v_or_b32_e32 v40, 0x7f, v2
; %bb.7203:                             ;   in Loop: Header=BB4_6688 Depth=4
	s_and_not1_saveexec_b32 s14, s14
; %bb.7204:                             ;   in Loop: Header=BB4_6688 Depth=4
	v_cmp_lt_i32_e32 vcc_lo, -1, v4
	v_cndmask_b32_e64 v40, -4, 0x7c, vcc_lo
; %bb.7205:                             ;   in Loop: Header=BB4_6688 Depth=4
	s_or_b32 exec_lo, exec_lo, s14
.LBB4_7206:                             ;   in Loop: Header=BB4_6688 Depth=4
	s_delay_alu instid0(SALU_CYCLE_1)
	s_or_b32 exec_lo, exec_lo, s13
	flat_load_i8 v4, v[8:9] offset:480 th:TH_LOAD_NT
	v_mov_b32_e32 v5, 0
	s_mov_b32 s13, exec_lo
	s_wait_loadcnt_dscnt 0x0
	v_cmpx_ne_u16_e32 0, v4
	s_cbranch_execz .LBB4_7216
; %bb.7207:                             ;   in Loop: Header=BB4_6688 Depth=4
	v_bfrev_b32_e32 v5, 1
	s_mov_b32 s14, exec_lo
	v_cmpx_ne_u16_e32 0xff80, v4
	s_cbranch_execz .LBB4_7215
; %bb.7208:                             ;   in Loop: Header=BB4_6688 Depth=4
	v_and_b32_e32 v5, 0x7c, v4
	v_and_b32_e32 v2, 3, v4
	s_delay_alu instid0(VALU_DEP_2) | instskip(SKIP_1) | instid1(SALU_CYCLE_1)
	v_cmp_ne_u32_e32 vcc_lo, 0x7c, v5
                                        ; implicit-def: $vgpr5
	s_and_saveexec_b32 s15, vcc_lo
	s_xor_b32 s15, exec_lo, s15
	s_cbranch_execz .LBB4_7212
; %bb.7209:                             ;   in Loop: Header=BB4_6688 Depth=4
	v_and_b32_e32 v5, 0xff, v4
	s_mov_b32 s76, exec_lo
	s_delay_alu instid0(VALU_DEP_1) | instskip(NEXT) | instid1(VALU_DEP_1)
	v_bfe_u32 v5, v5, 2, 5
	v_cmpx_eq_u32_e32 0, v5
	s_cbranch_execz .LBB4_7211
; %bb.7210:                             ;   in Loop: Header=BB4_6688 Depth=4
	v_clz_i32_u32_e32 v2, v2
	v_mov_b32_e32 v5, v3
	s_delay_alu instid0(VALU_DEP_2) | instskip(NEXT) | instid1(VALU_DEP_1)
	v_min_u32_e32 v2, 32, v2
	v_subrev_nc_u32_e32 v14, 29, v2
	s_delay_alu instid0(VALU_DEP_1) | instskip(SKIP_1) | instid1(VALU_DEP_2)
	v_lshlrev_b64_e32 v[14:15], v14, v[4:5]
	v_sub_nc_u32_e32 v5, 30, v2
	v_and_b32_e32 v2, 3, v14
.LBB4_7211:                             ;   in Loop: Header=BB4_6688 Depth=4
	s_or_b32 exec_lo, exec_lo, s76
	v_bfe_i32 v4, v4, 0, 16
	s_delay_alu instid0(VALU_DEP_1) | instskip(NEXT) | instid1(VALU_DEP_1)
	v_and_b32_e32 v4, 0x80000000, v4
	v_lshl_add_u32 v4, v5, 23, v4
	s_delay_alu instid0(VALU_DEP_1) | instskip(NEXT) | instid1(VALU_DEP_1)
	v_lshl_or_b32 v2, v2, 21, v4
                                        ; implicit-def: $vgpr4
	v_add_nc_u32_e32 v5, 0x38000000, v2
                                        ; implicit-def: $vgpr2
.LBB4_7212:                             ;   in Loop: Header=BB4_6688 Depth=4
	s_and_not1_saveexec_b32 s15, s15
; %bb.7213:                             ;   in Loop: Header=BB4_6688 Depth=4
	v_cmp_lt_i16_e32 vcc_lo, -1, v4
	v_cndmask_b32_e32 v4, 0xff800000, v48, vcc_lo
	v_cmp_eq_u32_e32 vcc_lo, 0, v2
	s_delay_alu instid0(VALU_DEP_2)
	v_cndmask_b32_e32 v5, 0x7f800001, v4, vcc_lo
; %bb.7214:                             ;   in Loop: Header=BB4_6688 Depth=4
	s_or_b32 exec_lo, exec_lo, s15
.LBB4_7215:                             ;   in Loop: Header=BB4_6688 Depth=4
	s_delay_alu instid0(SALU_CYCLE_1)
	s_or_b32 exec_lo, exec_lo, s14
.LBB4_7216:                             ;   in Loop: Header=BB4_6688 Depth=4
	s_delay_alu instid0(SALU_CYCLE_1) | instskip(NEXT) | instid1(VALU_DEP_1)
	s_or_b32 exec_lo, exec_lo, s13
	v_dual_mul_f32 v4, s75, v5 :: v_dual_mov_b32 v15, v3
	s_delay_alu instid0(VALU_DEP_1) | instskip(SKIP_1) | instid1(VALU_DEP_2)
	v_and_b32_e32 v14, 0x7f800000, v4
	v_and_b32_e32 v2, 0x7fffff, v4
	v_cmp_ne_u64_e32 vcc_lo, 0x7f800000, v[14:15]
                                        ; implicit-def: $vgpr14
	s_and_saveexec_b32 s13, vcc_lo
	s_delay_alu instid0(SALU_CYCLE_1)
	s_xor_b32 s14, exec_lo, s13
	s_cbranch_execz .LBB4_7234
; %bb.7217:                             ;   in Loop: Header=BB4_6688 Depth=4
	v_and_b32_e32 v14, 0x7fffffff, v4
	v_dual_mov_b32 v15, v3 :: v_dual_lshrrev_b32 v5, 24, v4
	s_delay_alu instid0(VALU_DEP_1) | instskip(NEXT) | instid1(VALU_DEP_2)
	v_cmp_gt_u64_e32 vcc_lo, 0x47600001, v[14:15]
	v_and_b32_e32 v16, 0x80, v5
                                        ; implicit-def: $vgpr14
	s_and_saveexec_b32 s13, vcc_lo
	s_delay_alu instid0(SALU_CYCLE_1)
	s_xor_b32 s15, exec_lo, s13
	s_cbranch_execz .LBB4_7231
; %bb.7218:                             ;   in Loop: Header=BB4_6688 Depth=4
	v_mov_b32_e32 v14, 0
	s_mov_b32 s75, exec_lo
	v_cmpx_ne_u32_e32 0, v4
	s_cbranch_execz .LBB4_7230
; %bb.7219:                             ;   in Loop: Header=BB4_6688 Depth=4
	v_bfe_u32 v17, v4, 23, 8
	v_or_b32_e32 v14, 0x800000, v2
	s_mov_b32 s76, exec_lo
	s_delay_alu instid0(VALU_DEP_2) | instskip(SKIP_1) | instid1(VALU_DEP_2)
	v_dual_mov_b32 v15, v3 :: v_dual_sub_nc_u32 v4, 0x71, v17
	v_cmp_gt_u32_e32 vcc_lo, 0x72, v17
	v_cndmask_b32_e32 v4, 0, v4, vcc_lo
	v_cmp_eq_u32_e32 vcc_lo, 0, v17
	s_delay_alu instid0(VALU_DEP_2) | instskip(SKIP_1) | instid1(VALU_DEP_2)
	v_cndmask_b32_e64 v18, v4, 0x70, vcc_lo
	v_cndmask_b32_e32 v14, v14, v2, vcc_lo
	v_dual_add_nc_u32 v4, 21, v18 :: v_dual_add_nc_u32 v19, 20, v18
	s_delay_alu instid0(VALU_DEP_1) | instskip(NEXT) | instid1(VALU_DEP_2)
	v_lshlrev_b64_e64 v[4:5], v4, -1
	v_lshlrev_b64_e64 v[20:21], v19, 1
	s_delay_alu instid0(VALU_DEP_2) | instskip(NEXT) | instid1(VALU_DEP_3)
	v_bfi_b32 v31, v5, 0, 0
	v_bfi_b32 v30, v4, 0, v14
	v_lshrrev_b64 v[4:5], v18, v[14:15]
	s_delay_alu instid0(VALU_DEP_1) | instskip(NEXT) | instid1(VALU_DEP_3)
	v_mov_b64_e32 v[14:15], v[4:5]
	v_cmpx_eq_u64_e64 v[30:31], v[20:21]
; %bb.7220:                             ;   in Loop: Header=BB4_6688 Depth=4
	v_bfe_u32 v14, v4, 21, 1
	v_mov_b32_e32 v15, v3
	s_delay_alu instid0(VALU_DEP_1) | instskip(NEXT) | instid1(VALU_DEP_1)
	v_add_nc_u64_e32 v[14:15], v[4:5], v[14:15]
	v_add_nc_u64_e32 v[14:15], -1, v[14:15]
; %bb.7221:                             ;   in Loop: Header=BB4_6688 Depth=4
	s_or_b32 exec_lo, exec_lo, s76
	v_add_nc_u32_e32 v2, 0xffffff81, v17
	s_delay_alu instid0(VALU_DEP_2) | instskip(SKIP_2) | instid1(VALU_DEP_3)
	v_and_b32_e32 v15, 0x1fffff, v14
	v_lshrrev_b32_e32 v5, 23, v4
	s_mov_b32 s13, exec_lo
	v_cndmask_b32_e64 v2, v2, 0xffffff82, vcc_lo
	s_delay_alu instid0(VALU_DEP_1) | instskip(SKIP_1) | instid1(VALU_DEP_2)
	v_add3_u32 v14, v18, v2, v5
	v_add_nc_u32_e32 v2, v15, v4
                                        ; implicit-def: $vgpr4_vgpr5
                                        ; implicit-def: $vgpr15
	v_add_nc_u32_e32 v17, 14, v14
	s_delay_alu instid0(VALU_DEP_1)
	v_cmpx_ne_u32_e32 0, v17
	s_xor_b32 s13, exec_lo, s13
; %bb.7222:                             ;   in Loop: Header=BB4_6688 Depth=4
	s_delay_alu instid0(VALU_DEP_3) | instskip(SKIP_1) | instid1(VALU_DEP_1)
	v_cmp_lt_u64_e32 vcc_lo, 0xffffff, v[2:3]
	v_add_nc_u32_e32 v4, 15, v14
	v_cndmask_b32_e32 v15, v17, v4, vcc_lo
	v_cndmask_b32_e64 v4, 0, 1, vcc_lo
	s_delay_alu instid0(VALU_DEP_1)
	v_lshrrev_b64 v[4:5], v4, v[2:3]
; %bb.7223:                             ;   in Loop: Header=BB4_6688 Depth=4
	s_and_not1_saveexec_b32 s13, s13
; %bb.7224:                             ;   in Loop: Header=BB4_6688 Depth=4
	v_mov_b64_e32 v[4:5], v[2:3]
	v_bfe_u32 v15, v2, 23, 1
; %bb.7225:                             ;   in Loop: Header=BB4_6688 Depth=4
	s_or_b32 exec_lo, exec_lo, s13
	s_delay_alu instid0(VALU_DEP_2) | instskip(NEXT) | instid1(VALU_DEP_2)
	v_lshrrev_b64 v[4:5], 21, v[4:5]
	v_cmp_gt_i32_e32 vcc_lo, 32, v15
	v_cmp_ne_u32_e64 s13, 0, v15
                                        ; implicit-def: $vgpr14
	s_delay_alu instid0(VALU_DEP_3) | instskip(NEXT) | instid1(VALU_DEP_1)
	v_dual_cndmask_b32 v5, 0, v5 :: v_dual_cndmask_b32 v4, 3, v4
	v_cmp_ne_u64_e32 vcc_lo, 0, v[4:5]
	s_or_b32 s13, s13, vcc_lo
	s_delay_alu instid0(SALU_CYCLE_1) | instskip(NEXT) | instid1(SALU_CYCLE_1)
	s_and_saveexec_b32 s76, s13
	s_xor_b32 s13, exec_lo, s76
; %bb.7226:                             ;   in Loop: Header=BB4_6688 Depth=4
	v_min_i32_e32 v2, 31, v15
	s_delay_alu instid0(VALU_DEP_1) | instskip(NEXT) | instid1(VALU_DEP_1)
	v_lshl_or_b32 v2, v2, 2, v16
                                        ; implicit-def: $vgpr16
	v_and_or_b32 v14, v4, 3, v2
; %bb.7227:                             ;   in Loop: Header=BB4_6688 Depth=4
	s_and_not1_saveexec_b32 s13, s13
; %bb.7228:                             ;   in Loop: Header=BB4_6688 Depth=4
	v_mov_b32_e32 v14, v16
; %bb.7229:                             ;   in Loop: Header=BB4_6688 Depth=4
	s_or_b32 exec_lo, exec_lo, s13
.LBB4_7230:                             ;   in Loop: Header=BB4_6688 Depth=4
	s_delay_alu instid0(SALU_CYCLE_1)
	s_or_b32 exec_lo, exec_lo, s75
                                        ; implicit-def: $vgpr16
.LBB4_7231:                             ;   in Loop: Header=BB4_6688 Depth=4
	s_and_not1_saveexec_b32 s13, s15
; %bb.7232:                             ;   in Loop: Header=BB4_6688 Depth=4
	v_or_b32_e32 v14, 0x7b, v16
; %bb.7233:                             ;   in Loop: Header=BB4_6688 Depth=4
	s_or_b32 exec_lo, exec_lo, s13
                                        ; implicit-def: $vgpr4
.LBB4_7234:                             ;   in Loop: Header=BB4_6688 Depth=4
	s_and_not1_saveexec_b32 s13, s14
	s_cbranch_execz .LBB4_7240
; %bb.7235:                             ;   in Loop: Header=BB4_6688 Depth=4
	s_mov_b32 s14, exec_lo
                                        ; implicit-def: $vgpr14
	v_cmpx_ne_u64_e32 0, v[2:3]
	s_xor_b32 s14, exec_lo, s14
; %bb.7236:                             ;   in Loop: Header=BB4_6688 Depth=4
	v_lshrrev_b32_e32 v2, 24, v4
                                        ; implicit-def: $vgpr4
	s_delay_alu instid0(VALU_DEP_1)
	v_or_b32_e32 v14, 0x7f, v2
; %bb.7237:                             ;   in Loop: Header=BB4_6688 Depth=4
	s_and_not1_saveexec_b32 s14, s14
; %bb.7238:                             ;   in Loop: Header=BB4_6688 Depth=4
	v_cmp_lt_i32_e32 vcc_lo, -1, v4
	v_cndmask_b32_e64 v14, -4, 0x7c, vcc_lo
; %bb.7239:                             ;   in Loop: Header=BB4_6688 Depth=4
	s_or_b32 exec_lo, exec_lo, s14
.LBB4_7240:                             ;   in Loop: Header=BB4_6688 Depth=4
	s_delay_alu instid0(SALU_CYCLE_1)
	s_or_b32 exec_lo, exec_lo, s13
	s_clause 0xf
	flat_load_i8 v122, v[10:11] th:TH_LOAD_NT
	flat_load_i8 v120, v[10:11] offset:32 th:TH_LOAD_NT
	flat_load_i8 v100, v[10:11] offset:64 th:TH_LOAD_NT
	;; [unrolled: 1-line block ×15, first 2 shown]
	v_and_b32_e32 v17, 0xff, v106
	v_dual_mov_b32 v2, 0 :: v_dual_mov_b32 v5, 0
	s_mov_b32 s13, exec_lo
	s_wait_xcnt 0x0
	s_delay_alu instid0(VALU_DEP_2)
	v_cmpx_ne_u16_e32 0, v17
	s_cbranch_execz .LBB4_7250
; %bb.7241:                             ;   in Loop: Header=BB4_6688 Depth=4
	v_bfrev_b32_e32 v5, 1
	s_mov_b32 s14, exec_lo
	v_cmpx_ne_u16_e32 0x80, v17
	s_cbranch_execz .LBB4_7249
; %bb.7242:                             ;   in Loop: Header=BB4_6688 Depth=4
	v_and_b32_e32 v5, 0x7c, v106
	v_and_b32_e32 v15, 3, v106
	s_delay_alu instid0(VALU_DEP_2) | instskip(SKIP_1) | instid1(SALU_CYCLE_1)
	v_cmp_ne_u32_e32 vcc_lo, 0x7c, v5
                                        ; implicit-def: $vgpr5
	s_and_saveexec_b32 s15, vcc_lo
	s_xor_b32 s15, exec_lo, s15
	s_cbranch_execz .LBB4_7246
; %bb.7243:                             ;   in Loop: Header=BB4_6688 Depth=4
	v_bfe_u32 v5, v17, 2, 5
	s_mov_b32 s75, exec_lo
	s_delay_alu instid0(VALU_DEP_1)
	v_cmpx_eq_u32_e32 0, v5
	s_cbranch_execz .LBB4_7245
; %bb.7244:                             ;   in Loop: Header=BB4_6688 Depth=4
	v_clz_i32_u32_e32 v5, v15
	s_delay_alu instid0(VALU_DEP_1) | instskip(SKIP_1) | instid1(VALU_DEP_2)
	v_min_u32_e32 v5, 32, v5
	v_mov_b32_e32 v107, v3
	v_subrev_nc_u32_e32 v15, 29, v5
	v_sub_nc_u32_e32 v5, 30, v5
	s_delay_alu instid0(VALU_DEP_2) | instskip(NEXT) | instid1(VALU_DEP_1)
	v_lshlrev_b64_e32 v[86:87], v15, v[106:107]
	v_and_b32_e32 v15, 3, v86
.LBB4_7245:                             ;   in Loop: Header=BB4_6688 Depth=4
	s_or_b32 exec_lo, exec_lo, s75
	v_lshlrev_b32_e32 v17, 24, v106
                                        ; implicit-def: $vgpr106
	s_delay_alu instid0(VALU_DEP_1) | instskip(NEXT) | instid1(VALU_DEP_1)
	v_and_b32_e32 v17, 0x80000000, v17
	v_lshl_add_u32 v5, v5, 23, v17
	s_delay_alu instid0(VALU_DEP_1) | instskip(NEXT) | instid1(VALU_DEP_1)
	v_lshl_or_b32 v5, v15, 21, v5
                                        ; implicit-def: $vgpr15
	v_add_nc_u32_e32 v5, 0x38000000, v5
.LBB4_7246:                             ;   in Loop: Header=BB4_6688 Depth=4
	s_and_not1_saveexec_b32 s15, s15
; %bb.7247:                             ;   in Loop: Header=BB4_6688 Depth=4
	v_bfe_i32 v5, v106, 0, 8
	s_delay_alu instid0(VALU_DEP_1) | instskip(SKIP_2) | instid1(VALU_DEP_2)
	v_cmp_lt_i16_e32 vcc_lo, -1, v5
	v_cndmask_b32_e32 v5, 0xff800000, v48, vcc_lo
	v_cmp_eq_u32_e32 vcc_lo, 0, v15
	v_cndmask_b32_e32 v5, 0x7f800001, v5, vcc_lo
; %bb.7248:                             ;   in Loop: Header=BB4_6688 Depth=4
	s_or_b32 exec_lo, exec_lo, s15
.LBB4_7249:                             ;   in Loop: Header=BB4_6688 Depth=4
	s_delay_alu instid0(SALU_CYCLE_1)
	s_or_b32 exec_lo, exec_lo, s14
.LBB4_7250:                             ;   in Loop: Header=BB4_6688 Depth=4
	s_delay_alu instid0(SALU_CYCLE_1) | instskip(NEXT) | instid1(SALU_CYCLE_1)
	s_or_b32 exec_lo, exec_lo, s13
	s_mov_b32 s13, exec_lo
	s_wait_loadcnt_dscnt 0xf0f
	v_cmpx_ne_u16_e32 0, v122
	s_cbranch_execz .LBB4_7260
; %bb.7251:                             ;   in Loop: Header=BB4_6688 Depth=4
	v_bfrev_b32_e32 v2, 1
	s_mov_b32 s14, exec_lo
	v_cmpx_ne_u16_e32 0xff80, v122
	s_cbranch_execz .LBB4_7259
; %bb.7252:                             ;   in Loop: Header=BB4_6688 Depth=4
	v_and_b32_e32 v2, 0x7c, v122
	v_and_b32_e32 v15, 3, v122
	s_delay_alu instid0(VALU_DEP_2) | instskip(SKIP_1) | instid1(SALU_CYCLE_1)
	v_cmp_ne_u32_e32 vcc_lo, 0x7c, v2
                                        ; implicit-def: $vgpr2
	s_and_saveexec_b32 s15, vcc_lo
	s_xor_b32 s15, exec_lo, s15
	s_cbranch_execz .LBB4_7256
; %bb.7253:                             ;   in Loop: Header=BB4_6688 Depth=4
	v_and_b32_e32 v2, 0xff, v122
	s_mov_b32 s75, exec_lo
	s_delay_alu instid0(VALU_DEP_1) | instskip(NEXT) | instid1(VALU_DEP_1)
	v_bfe_u32 v2, v2, 2, 5
	v_cmpx_eq_u32_e32 0, v2
	s_cbranch_execz .LBB4_7255
; %bb.7254:                             ;   in Loop: Header=BB4_6688 Depth=4
	v_clz_i32_u32_e32 v2, v15
	s_delay_alu instid0(VALU_DEP_1) | instskip(SKIP_1) | instid1(VALU_DEP_2)
	v_min_u32_e32 v2, 32, v2
	v_mov_b32_e32 v123, v3
	v_subrev_nc_u32_e32 v15, 29, v2
	v_sub_nc_u32_e32 v2, 30, v2
	s_delay_alu instid0(VALU_DEP_2) | instskip(NEXT) | instid1(VALU_DEP_1)
	v_lshlrev_b64_e32 v[86:87], v15, v[122:123]
	v_and_b32_e32 v15, 3, v86
.LBB4_7255:                             ;   in Loop: Header=BB4_6688 Depth=4
	s_or_b32 exec_lo, exec_lo, s75
	v_bfe_i32 v17, v122, 0, 16
                                        ; implicit-def: $vgpr122
	s_delay_alu instid0(VALU_DEP_1) | instskip(NEXT) | instid1(VALU_DEP_1)
	v_and_b32_e32 v17, 0x80000000, v17
	v_lshl_add_u32 v2, v2, 23, v17
	s_delay_alu instid0(VALU_DEP_1) | instskip(NEXT) | instid1(VALU_DEP_1)
	v_lshl_or_b32 v2, v15, 21, v2
                                        ; implicit-def: $vgpr15
	v_add_nc_u32_e32 v2, 0x38000000, v2
.LBB4_7256:                             ;   in Loop: Header=BB4_6688 Depth=4
	s_and_not1_saveexec_b32 s15, s15
; %bb.7257:                             ;   in Loop: Header=BB4_6688 Depth=4
	v_cmp_lt_i16_e32 vcc_lo, -1, v122
	v_cndmask_b32_e32 v2, 0xff800000, v48, vcc_lo
	v_cmp_eq_u32_e32 vcc_lo, 0, v15
	s_delay_alu instid0(VALU_DEP_2)
	v_cndmask_b32_e32 v2, 0x7f800001, v2, vcc_lo
; %bb.7258:                             ;   in Loop: Header=BB4_6688 Depth=4
	s_or_b32 exec_lo, exec_lo, s15
.LBB4_7259:                             ;   in Loop: Header=BB4_6688 Depth=4
	s_delay_alu instid0(SALU_CYCLE_1)
	s_or_b32 exec_lo, exec_lo, s14
.LBB4_7260:                             ;   in Loop: Header=BB4_6688 Depth=4
	s_delay_alu instid0(SALU_CYCLE_1) | instskip(NEXT) | instid1(VALU_DEP_1)
	s_or_b32 exec_lo, exec_lo, s13
	v_dual_add_f32 v15, v5, v2 :: v_dual_mov_b32 v87, v3
                                        ; implicit-def: $vgpr122
	s_mov_b32 s13, exec_lo
	s_delay_alu instid0(VALU_DEP_1) | instskip(SKIP_1) | instid1(VALU_DEP_2)
	v_and_b32_e32 v86, 0x7f800000, v15
	v_and_b32_e32 v2, 0x7fffff, v15
	v_cmpx_ne_u64_e32 0x7f800000, v[86:87]
	s_xor_b32 s14, exec_lo, s13
	s_cbranch_execz .LBB4_7278
; %bb.7261:                             ;   in Loop: Header=BB4_6688 Depth=4
	v_dual_mov_b32 v87, v3 :: v_dual_lshrrev_b32 v5, 24, v15
	v_and_b32_e32 v86, 0x7fffffff, v15
                                        ; implicit-def: $vgpr122
	s_mov_b32 s13, exec_lo
	s_delay_alu instid0(VALU_DEP_2) | instskip(NEXT) | instid1(VALU_DEP_2)
	v_and_b32_e32 v5, 0x80, v5
	v_cmpx_gt_u64_e32 0x47600001, v[86:87]
	s_xor_b32 s15, exec_lo, s13
	s_cbranch_execz .LBB4_7275
; %bb.7262:                             ;   in Loop: Header=BB4_6688 Depth=4
	v_mov_b32_e32 v122, 0
	s_mov_b32 s75, exec_lo
	v_cmpx_ne_u32_e32 0, v15
	s_cbranch_execz .LBB4_7274
; %bb.7263:                             ;   in Loop: Header=BB4_6688 Depth=4
	v_bfe_u32 v15, v15, 23, 8
	v_or_b32_e32 v19, 0x800000, v2
	v_mov_b32_e32 v87, v3
	s_delay_alu instid0(VALU_DEP_3) | instskip(SKIP_1) | instid1(VALU_DEP_4)
	v_cmp_eq_u32_e32 vcc_lo, 0, v15
	v_cmp_gt_u32_e64 s13, 0x72, v15
	v_dual_cndmask_b32 v86, v19, v2 :: v_dual_sub_nc_u32 v17, 0x71, v15
	s_delay_alu instid0(VALU_DEP_1) | instskip(NEXT) | instid1(VALU_DEP_1)
	v_cndmask_b32_e64 v17, 0, v17, s13
	v_cndmask_b32_e64 v17, v17, 0x70, vcc_lo
	s_delay_alu instid0(VALU_DEP_1) | instskip(NEXT) | instid1(VALU_DEP_1)
	v_add_nc_u32_e32 v2, 21, v17
	v_lshlrev_b64_e64 v[96:97], v2, -1
	v_add_nc_u32_e32 v2, 20, v17
	s_delay_alu instid0(VALU_DEP_1) | instskip(NEXT) | instid1(VALU_DEP_3)
	v_lshlrev_b64_e64 v[106:107], v2, 1
	v_bfi_b32 v97, v97, 0, 0
	s_delay_alu instid0(VALU_DEP_4) | instskip(NEXT) | instid1(VALU_DEP_1)
	v_bfi_b32 v96, v96, 0, v86
	v_cmp_eq_u64_e64 s13, v[96:97], v[106:107]
	v_lshrrev_b64 v[106:107], v17, v[86:87]
	s_delay_alu instid0(VALU_DEP_1)
	v_mov_b64_e32 v[122:123], v[106:107]
	s_and_saveexec_b32 s76, s13
; %bb.7264:                             ;   in Loop: Header=BB4_6688 Depth=4
	v_bfe_u32 v86, v106, 21, 1
	v_mov_b32_e32 v87, v3
	s_delay_alu instid0(VALU_DEP_1) | instskip(NEXT) | instid1(VALU_DEP_1)
	v_add_nc_u64_e32 v[86:87], v[106:107], v[86:87]
	v_add_nc_u64_e32 v[122:123], -1, v[86:87]
; %bb.7265:                             ;   in Loop: Header=BB4_6688 Depth=4
	s_or_b32 exec_lo, exec_lo, s76
	v_add_nc_u32_e32 v2, 0xffffff81, v15
	s_delay_alu instid0(VALU_DEP_2) | instskip(SKIP_2) | instid1(VALU_DEP_3)
	v_and_b32_e32 v19, 0x1fffff, v122
	v_lshrrev_b32_e32 v15, 23, v106
	s_mov_b32 s13, exec_lo
	v_cndmask_b32_e64 v2, v2, 0xffffff82, vcc_lo
	s_delay_alu instid0(VALU_DEP_1) | instskip(SKIP_1) | instid1(VALU_DEP_2)
	v_add3_u32 v17, v17, v2, v15
	v_add_nc_u32_e32 v2, v19, v106
                                        ; implicit-def: $vgpr106_vgpr107
                                        ; implicit-def: $vgpr15
	v_add_nc_u32_e32 v19, 14, v17
	s_delay_alu instid0(VALU_DEP_1)
	v_cmpx_ne_u32_e32 0, v19
	s_xor_b32 s13, exec_lo, s13
; %bb.7266:                             ;   in Loop: Header=BB4_6688 Depth=4
	s_delay_alu instid0(VALU_DEP_3) | instskip(SKIP_2) | instid1(VALU_DEP_2)
	v_cmp_lt_u64_e32 vcc_lo, 0xffffff, v[2:3]
	v_add_nc_u32_e32 v15, 15, v17
	v_cndmask_b32_e64 v17, 0, 1, vcc_lo
	v_cndmask_b32_e32 v15, v19, v15, vcc_lo
	s_delay_alu instid0(VALU_DEP_2)
	v_lshrrev_b64 v[106:107], v17, v[2:3]
; %bb.7267:                             ;   in Loop: Header=BB4_6688 Depth=4
	s_and_not1_saveexec_b32 s13, s13
; %bb.7268:                             ;   in Loop: Header=BB4_6688 Depth=4
	v_mov_b64_e32 v[106:107], v[2:3]
	v_bfe_u32 v15, v2, 23, 1
; %bb.7269:                             ;   in Loop: Header=BB4_6688 Depth=4
	s_or_b32 exec_lo, exec_lo, s13
	s_delay_alu instid0(VALU_DEP_2) | instskip(NEXT) | instid1(VALU_DEP_2)
	v_lshrrev_b64 v[86:87], 21, v[106:107]
	v_cmp_gt_i32_e32 vcc_lo, 32, v15
	v_cmp_ne_u32_e64 s13, 0, v15
                                        ; implicit-def: $vgpr122
	s_delay_alu instid0(VALU_DEP_3) | instskip(NEXT) | instid1(VALU_DEP_1)
	v_dual_cndmask_b32 v107, 0, v87 :: v_dual_cndmask_b32 v106, 3, v86
	v_cmp_ne_u64_e32 vcc_lo, 0, v[106:107]
	s_or_b32 s13, s13, vcc_lo
	s_delay_alu instid0(SALU_CYCLE_1) | instskip(NEXT) | instid1(SALU_CYCLE_1)
	s_and_saveexec_b32 s76, s13
	s_xor_b32 s13, exec_lo, s76
; %bb.7270:                             ;   in Loop: Header=BB4_6688 Depth=4
	v_min_i32_e32 v2, 31, v15
	s_delay_alu instid0(VALU_DEP_1) | instskip(NEXT) | instid1(VALU_DEP_1)
	v_lshl_or_b32 v2, v2, 2, v5
                                        ; implicit-def: $vgpr5
	v_and_or_b32 v122, v106, 3, v2
; %bb.7271:                             ;   in Loop: Header=BB4_6688 Depth=4
	s_and_not1_saveexec_b32 s13, s13
; %bb.7272:                             ;   in Loop: Header=BB4_6688 Depth=4
	v_mov_b32_e32 v122, v5
; %bb.7273:                             ;   in Loop: Header=BB4_6688 Depth=4
	s_or_b32 exec_lo, exec_lo, s13
.LBB4_7274:                             ;   in Loop: Header=BB4_6688 Depth=4
	s_delay_alu instid0(SALU_CYCLE_1)
	s_or_b32 exec_lo, exec_lo, s75
                                        ; implicit-def: $vgpr5
.LBB4_7275:                             ;   in Loop: Header=BB4_6688 Depth=4
	s_and_not1_saveexec_b32 s13, s15
; %bb.7276:                             ;   in Loop: Header=BB4_6688 Depth=4
	v_or_b32_e32 v122, 0x7b, v5
; %bb.7277:                             ;   in Loop: Header=BB4_6688 Depth=4
	s_or_b32 exec_lo, exec_lo, s13
                                        ; implicit-def: $vgpr15
.LBB4_7278:                             ;   in Loop: Header=BB4_6688 Depth=4
	s_and_not1_saveexec_b32 s13, s14
	s_cbranch_execz .LBB4_7284
; %bb.7279:                             ;   in Loop: Header=BB4_6688 Depth=4
	s_mov_b32 s14, exec_lo
                                        ; implicit-def: $vgpr122
	v_cmpx_ne_u64_e32 0, v[2:3]
	s_xor_b32 s14, exec_lo, s14
; %bb.7280:                             ;   in Loop: Header=BB4_6688 Depth=4
	v_lshrrev_b32_e32 v2, 24, v15
                                        ; implicit-def: $vgpr15
	s_delay_alu instid0(VALU_DEP_1)
	v_or_b32_e32 v122, 0x7f, v2
; %bb.7281:                             ;   in Loop: Header=BB4_6688 Depth=4
	s_and_not1_saveexec_b32 s14, s14
; %bb.7282:                             ;   in Loop: Header=BB4_6688 Depth=4
	v_cmp_lt_i32_e32 vcc_lo, -1, v15
	v_cndmask_b32_e64 v122, -4, 0x7c, vcc_lo
; %bb.7283:                             ;   in Loop: Header=BB4_6688 Depth=4
	s_or_b32 exec_lo, exec_lo, s14
.LBB4_7284:                             ;   in Loop: Header=BB4_6688 Depth=4
	s_delay_alu instid0(SALU_CYCLE_1) | instskip(SKIP_3) | instid1(VALU_DEP_2)
	s_or_b32 exec_lo, exec_lo, s13
	v_and_b32_e32 v17, 0xff, v104
	v_dual_mov_b32 v2, 0 :: v_dual_mov_b32 v5, 0
	s_mov_b32 s13, exec_lo
	v_cmpx_ne_u16_e32 0, v17
	s_cbranch_execz .LBB4_7294
; %bb.7285:                             ;   in Loop: Header=BB4_6688 Depth=4
	v_bfrev_b32_e32 v5, 1
	s_mov_b32 s14, exec_lo
	v_cmpx_ne_u16_e32 0x80, v17
	s_cbranch_execz .LBB4_7293
; %bb.7286:                             ;   in Loop: Header=BB4_6688 Depth=4
	v_and_b32_e32 v5, 0x7c, v104
	v_and_b32_e32 v15, 3, v104
	s_delay_alu instid0(VALU_DEP_2) | instskip(SKIP_1) | instid1(SALU_CYCLE_1)
	v_cmp_ne_u32_e32 vcc_lo, 0x7c, v5
                                        ; implicit-def: $vgpr5
	s_and_saveexec_b32 s15, vcc_lo
	s_xor_b32 s15, exec_lo, s15
	s_cbranch_execz .LBB4_7290
; %bb.7287:                             ;   in Loop: Header=BB4_6688 Depth=4
	v_bfe_u32 v5, v17, 2, 5
	s_mov_b32 s75, exec_lo
	s_delay_alu instid0(VALU_DEP_1)
	v_cmpx_eq_u32_e32 0, v5
	s_cbranch_execz .LBB4_7289
; %bb.7288:                             ;   in Loop: Header=BB4_6688 Depth=4
	v_clz_i32_u32_e32 v5, v15
	s_delay_alu instid0(VALU_DEP_1) | instskip(SKIP_1) | instid1(VALU_DEP_2)
	v_min_u32_e32 v5, 32, v5
	v_mov_b32_e32 v105, v3
	v_subrev_nc_u32_e32 v15, 29, v5
	v_sub_nc_u32_e32 v5, 30, v5
	s_delay_alu instid0(VALU_DEP_2) | instskip(NEXT) | instid1(VALU_DEP_1)
	v_lshlrev_b64_e32 v[86:87], v15, v[104:105]
	v_and_b32_e32 v15, 3, v86
.LBB4_7289:                             ;   in Loop: Header=BB4_6688 Depth=4
	s_or_b32 exec_lo, exec_lo, s75
	v_lshlrev_b32_e32 v17, 24, v104
                                        ; implicit-def: $vgpr104
	s_delay_alu instid0(VALU_DEP_1) | instskip(NEXT) | instid1(VALU_DEP_1)
	v_and_b32_e32 v17, 0x80000000, v17
	v_lshl_add_u32 v5, v5, 23, v17
	s_delay_alu instid0(VALU_DEP_1) | instskip(NEXT) | instid1(VALU_DEP_1)
	v_lshl_or_b32 v5, v15, 21, v5
                                        ; implicit-def: $vgpr15
	v_add_nc_u32_e32 v5, 0x38000000, v5
.LBB4_7290:                             ;   in Loop: Header=BB4_6688 Depth=4
	s_and_not1_saveexec_b32 s15, s15
; %bb.7291:                             ;   in Loop: Header=BB4_6688 Depth=4
	v_bfe_i32 v5, v104, 0, 8
	s_delay_alu instid0(VALU_DEP_1) | instskip(SKIP_2) | instid1(VALU_DEP_2)
	v_cmp_lt_i16_e32 vcc_lo, -1, v5
	v_cndmask_b32_e32 v5, 0xff800000, v48, vcc_lo
	v_cmp_eq_u32_e32 vcc_lo, 0, v15
	v_cndmask_b32_e32 v5, 0x7f800001, v5, vcc_lo
; %bb.7292:                             ;   in Loop: Header=BB4_6688 Depth=4
	s_or_b32 exec_lo, exec_lo, s15
.LBB4_7293:                             ;   in Loop: Header=BB4_6688 Depth=4
	s_delay_alu instid0(SALU_CYCLE_1)
	s_or_b32 exec_lo, exec_lo, s14
.LBB4_7294:                             ;   in Loop: Header=BB4_6688 Depth=4
	s_delay_alu instid0(SALU_CYCLE_1) | instskip(NEXT) | instid1(SALU_CYCLE_1)
	s_or_b32 exec_lo, exec_lo, s13
	s_mov_b32 s13, exec_lo
	s_wait_loadcnt_dscnt 0xe0e
	v_cmpx_ne_u16_e32 0, v120
	s_cbranch_execz .LBB4_7304
; %bb.7295:                             ;   in Loop: Header=BB4_6688 Depth=4
	v_bfrev_b32_e32 v2, 1
	s_mov_b32 s14, exec_lo
	v_cmpx_ne_u16_e32 0xff80, v120
	s_cbranch_execz .LBB4_7303
; %bb.7296:                             ;   in Loop: Header=BB4_6688 Depth=4
	v_and_b32_e32 v2, 0x7c, v120
	v_and_b32_e32 v15, 3, v120
	s_delay_alu instid0(VALU_DEP_2) | instskip(SKIP_1) | instid1(SALU_CYCLE_1)
	v_cmp_ne_u32_e32 vcc_lo, 0x7c, v2
                                        ; implicit-def: $vgpr2
	s_and_saveexec_b32 s15, vcc_lo
	s_xor_b32 s15, exec_lo, s15
	s_cbranch_execz .LBB4_7300
; %bb.7297:                             ;   in Loop: Header=BB4_6688 Depth=4
	v_and_b32_e32 v2, 0xff, v120
	s_mov_b32 s75, exec_lo
	s_delay_alu instid0(VALU_DEP_1) | instskip(NEXT) | instid1(VALU_DEP_1)
	v_bfe_u32 v2, v2, 2, 5
	v_cmpx_eq_u32_e32 0, v2
	s_cbranch_execz .LBB4_7299
; %bb.7298:                             ;   in Loop: Header=BB4_6688 Depth=4
	v_clz_i32_u32_e32 v2, v15
	s_delay_alu instid0(VALU_DEP_1) | instskip(SKIP_1) | instid1(VALU_DEP_2)
	v_min_u32_e32 v2, 32, v2
	v_mov_b32_e32 v121, v3
	v_subrev_nc_u32_e32 v15, 29, v2
	v_sub_nc_u32_e32 v2, 30, v2
	s_delay_alu instid0(VALU_DEP_2) | instskip(NEXT) | instid1(VALU_DEP_1)
	v_lshlrev_b64_e32 v[86:87], v15, v[120:121]
	v_and_b32_e32 v15, 3, v86
.LBB4_7299:                             ;   in Loop: Header=BB4_6688 Depth=4
	s_or_b32 exec_lo, exec_lo, s75
	v_bfe_i32 v17, v120, 0, 16
                                        ; implicit-def: $vgpr120
	s_delay_alu instid0(VALU_DEP_1) | instskip(NEXT) | instid1(VALU_DEP_1)
	v_and_b32_e32 v17, 0x80000000, v17
	v_lshl_add_u32 v2, v2, 23, v17
	s_delay_alu instid0(VALU_DEP_1) | instskip(NEXT) | instid1(VALU_DEP_1)
	v_lshl_or_b32 v2, v15, 21, v2
                                        ; implicit-def: $vgpr15
	v_add_nc_u32_e32 v2, 0x38000000, v2
.LBB4_7300:                             ;   in Loop: Header=BB4_6688 Depth=4
	s_and_not1_saveexec_b32 s15, s15
; %bb.7301:                             ;   in Loop: Header=BB4_6688 Depth=4
	v_cmp_lt_i16_e32 vcc_lo, -1, v120
	v_cndmask_b32_e32 v2, 0xff800000, v48, vcc_lo
	v_cmp_eq_u32_e32 vcc_lo, 0, v15
	s_delay_alu instid0(VALU_DEP_2)
	v_cndmask_b32_e32 v2, 0x7f800001, v2, vcc_lo
; %bb.7302:                             ;   in Loop: Header=BB4_6688 Depth=4
	s_or_b32 exec_lo, exec_lo, s15
.LBB4_7303:                             ;   in Loop: Header=BB4_6688 Depth=4
	s_delay_alu instid0(SALU_CYCLE_1)
	s_or_b32 exec_lo, exec_lo, s14
.LBB4_7304:                             ;   in Loop: Header=BB4_6688 Depth=4
	s_delay_alu instid0(SALU_CYCLE_1) | instskip(NEXT) | instid1(VALU_DEP_1)
	s_or_b32 exec_lo, exec_lo, s13
	v_dual_add_f32 v15, v5, v2 :: v_dual_mov_b32 v87, v3
                                        ; implicit-def: $vgpr105
	s_mov_b32 s13, exec_lo
	s_delay_alu instid0(VALU_DEP_1) | instskip(SKIP_1) | instid1(VALU_DEP_2)
	v_and_b32_e32 v86, 0x7f800000, v15
	v_and_b32_e32 v2, 0x7fffff, v15
	v_cmpx_ne_u64_e32 0x7f800000, v[86:87]
	s_xor_b32 s14, exec_lo, s13
	s_cbranch_execz .LBB4_7322
; %bb.7305:                             ;   in Loop: Header=BB4_6688 Depth=4
	v_dual_mov_b32 v87, v3 :: v_dual_lshrrev_b32 v5, 24, v15
	v_and_b32_e32 v86, 0x7fffffff, v15
                                        ; implicit-def: $vgpr105
	s_mov_b32 s13, exec_lo
	s_delay_alu instid0(VALU_DEP_2) | instskip(NEXT) | instid1(VALU_DEP_2)
	v_and_b32_e32 v5, 0x80, v5
	v_cmpx_gt_u64_e32 0x47600001, v[86:87]
	s_xor_b32 s15, exec_lo, s13
	s_cbranch_execz .LBB4_7319
; %bb.7306:                             ;   in Loop: Header=BB4_6688 Depth=4
	v_mov_b32_e32 v105, 0
	s_mov_b32 s75, exec_lo
	v_cmpx_ne_u32_e32 0, v15
	s_cbranch_execz .LBB4_7318
; %bb.7307:                             ;   in Loop: Header=BB4_6688 Depth=4
	v_bfe_u32 v15, v15, 23, 8
	v_or_b32_e32 v19, 0x800000, v2
	v_mov_b32_e32 v87, v3
	s_delay_alu instid0(VALU_DEP_3) | instskip(SKIP_1) | instid1(VALU_DEP_4)
	v_cmp_eq_u32_e32 vcc_lo, 0, v15
	v_cmp_gt_u32_e64 s13, 0x72, v15
	v_dual_cndmask_b32 v86, v19, v2 :: v_dual_sub_nc_u32 v17, 0x71, v15
	s_delay_alu instid0(VALU_DEP_1) | instskip(NEXT) | instid1(VALU_DEP_1)
	v_cndmask_b32_e64 v17, 0, v17, s13
	v_cndmask_b32_e64 v17, v17, 0x70, vcc_lo
	s_delay_alu instid0(VALU_DEP_1) | instskip(NEXT) | instid1(VALU_DEP_1)
	v_add_nc_u32_e32 v2, 21, v17
	v_lshlrev_b64_e64 v[96:97], v2, -1
	v_add_nc_u32_e32 v2, 20, v17
	s_delay_alu instid0(VALU_DEP_1) | instskip(NEXT) | instid1(VALU_DEP_3)
	v_lshlrev_b64_e64 v[104:105], v2, 1
	v_bfi_b32 v97, v97, 0, 0
	s_delay_alu instid0(VALU_DEP_4) | instskip(NEXT) | instid1(VALU_DEP_1)
	v_bfi_b32 v96, v96, 0, v86
	v_cmp_eq_u64_e64 s13, v[96:97], v[104:105]
	v_lshrrev_b64 v[104:105], v17, v[86:87]
	s_delay_alu instid0(VALU_DEP_1)
	v_mov_b64_e32 v[106:107], v[104:105]
	s_and_saveexec_b32 s76, s13
; %bb.7308:                             ;   in Loop: Header=BB4_6688 Depth=4
	v_bfe_u32 v86, v104, 21, 1
	v_mov_b32_e32 v87, v3
	s_delay_alu instid0(VALU_DEP_1) | instskip(NEXT) | instid1(VALU_DEP_1)
	v_add_nc_u64_e32 v[86:87], v[104:105], v[86:87]
	v_add_nc_u64_e32 v[106:107], -1, v[86:87]
; %bb.7309:                             ;   in Loop: Header=BB4_6688 Depth=4
	s_or_b32 exec_lo, exec_lo, s76
	v_add_nc_u32_e32 v2, 0xffffff81, v15
	s_delay_alu instid0(VALU_DEP_2) | instskip(SKIP_2) | instid1(VALU_DEP_3)
	v_and_b32_e32 v19, 0x1fffff, v106
	v_lshrrev_b32_e32 v15, 23, v104
	s_mov_b32 s13, exec_lo
	v_cndmask_b32_e64 v2, v2, 0xffffff82, vcc_lo
	s_delay_alu instid0(VALU_DEP_1) | instskip(SKIP_1) | instid1(VALU_DEP_2)
	v_add3_u32 v17, v17, v2, v15
	v_add_nc_u32_e32 v2, v19, v104
                                        ; implicit-def: $vgpr104_vgpr105
                                        ; implicit-def: $vgpr15
	v_add_nc_u32_e32 v19, 14, v17
	s_delay_alu instid0(VALU_DEP_1)
	v_cmpx_ne_u32_e32 0, v19
	s_xor_b32 s13, exec_lo, s13
; %bb.7310:                             ;   in Loop: Header=BB4_6688 Depth=4
	s_delay_alu instid0(VALU_DEP_3) | instskip(SKIP_2) | instid1(VALU_DEP_2)
	v_cmp_lt_u64_e32 vcc_lo, 0xffffff, v[2:3]
	v_add_nc_u32_e32 v15, 15, v17
	v_cndmask_b32_e64 v17, 0, 1, vcc_lo
	v_cndmask_b32_e32 v15, v19, v15, vcc_lo
	s_delay_alu instid0(VALU_DEP_2)
	v_lshrrev_b64 v[104:105], v17, v[2:3]
; %bb.7311:                             ;   in Loop: Header=BB4_6688 Depth=4
	s_and_not1_saveexec_b32 s13, s13
; %bb.7312:                             ;   in Loop: Header=BB4_6688 Depth=4
	v_mov_b64_e32 v[104:105], v[2:3]
	v_bfe_u32 v15, v2, 23, 1
; %bb.7313:                             ;   in Loop: Header=BB4_6688 Depth=4
	s_or_b32 exec_lo, exec_lo, s13
	s_delay_alu instid0(VALU_DEP_2) | instskip(NEXT) | instid1(VALU_DEP_2)
	v_lshrrev_b64 v[86:87], 21, v[104:105]
	v_cmp_gt_i32_e32 vcc_lo, 32, v15
	v_cmp_ne_u32_e64 s13, 0, v15
	s_delay_alu instid0(VALU_DEP_3) | instskip(NEXT) | instid1(VALU_DEP_1)
	v_dual_cndmask_b32 v105, 0, v87 :: v_dual_cndmask_b32 v104, 3, v86
	v_cmp_ne_u64_e32 vcc_lo, 0, v[104:105]
                                        ; implicit-def: $vgpr105
	s_or_b32 s13, s13, vcc_lo
	s_delay_alu instid0(SALU_CYCLE_1) | instskip(NEXT) | instid1(SALU_CYCLE_1)
	s_and_saveexec_b32 s76, s13
	s_xor_b32 s13, exec_lo, s76
; %bb.7314:                             ;   in Loop: Header=BB4_6688 Depth=4
	v_min_i32_e32 v2, 31, v15
	s_delay_alu instid0(VALU_DEP_1) | instskip(NEXT) | instid1(VALU_DEP_1)
	v_lshl_or_b32 v2, v2, 2, v5
                                        ; implicit-def: $vgpr5
	v_and_or_b32 v105, v104, 3, v2
; %bb.7315:                             ;   in Loop: Header=BB4_6688 Depth=4
	s_and_not1_saveexec_b32 s13, s13
; %bb.7316:                             ;   in Loop: Header=BB4_6688 Depth=4
	v_mov_b32_e32 v105, v5
; %bb.7317:                             ;   in Loop: Header=BB4_6688 Depth=4
	s_or_b32 exec_lo, exec_lo, s13
.LBB4_7318:                             ;   in Loop: Header=BB4_6688 Depth=4
	s_delay_alu instid0(SALU_CYCLE_1)
	s_or_b32 exec_lo, exec_lo, s75
                                        ; implicit-def: $vgpr5
.LBB4_7319:                             ;   in Loop: Header=BB4_6688 Depth=4
	s_and_not1_saveexec_b32 s13, s15
; %bb.7320:                             ;   in Loop: Header=BB4_6688 Depth=4
	v_or_b32_e32 v105, 0x7b, v5
; %bb.7321:                             ;   in Loop: Header=BB4_6688 Depth=4
	s_or_b32 exec_lo, exec_lo, s13
                                        ; implicit-def: $vgpr15
.LBB4_7322:                             ;   in Loop: Header=BB4_6688 Depth=4
	s_and_not1_saveexec_b32 s13, s14
	s_cbranch_execz .LBB4_7328
; %bb.7323:                             ;   in Loop: Header=BB4_6688 Depth=4
	s_mov_b32 s14, exec_lo
                                        ; implicit-def: $vgpr105
	v_cmpx_ne_u64_e32 0, v[2:3]
	s_xor_b32 s14, exec_lo, s14
; %bb.7324:                             ;   in Loop: Header=BB4_6688 Depth=4
	v_lshrrev_b32_e32 v2, 24, v15
                                        ; implicit-def: $vgpr15
	s_delay_alu instid0(VALU_DEP_1)
	v_or_b32_e32 v105, 0x7f, v2
; %bb.7325:                             ;   in Loop: Header=BB4_6688 Depth=4
	s_and_not1_saveexec_b32 s14, s14
; %bb.7326:                             ;   in Loop: Header=BB4_6688 Depth=4
	v_cmp_lt_i32_e32 vcc_lo, -1, v15
	v_cndmask_b32_e64 v105, -4, 0x7c, vcc_lo
; %bb.7327:                             ;   in Loop: Header=BB4_6688 Depth=4
	s_or_b32 exec_lo, exec_lo, s14
.LBB4_7328:                             ;   in Loop: Header=BB4_6688 Depth=4
	s_delay_alu instid0(SALU_CYCLE_1) | instskip(SKIP_3) | instid1(VALU_DEP_2)
	s_or_b32 exec_lo, exec_lo, s13
	v_and_b32_e32 v17, 0xff, v92
	v_dual_mov_b32 v2, 0 :: v_dual_mov_b32 v5, 0
	s_mov_b32 s13, exec_lo
	v_cmpx_ne_u16_e32 0, v17
	s_cbranch_execz .LBB4_7338
; %bb.7329:                             ;   in Loop: Header=BB4_6688 Depth=4
	v_bfrev_b32_e32 v5, 1
	s_mov_b32 s14, exec_lo
	v_cmpx_ne_u16_e32 0x80, v17
	s_cbranch_execz .LBB4_7337
; %bb.7330:                             ;   in Loop: Header=BB4_6688 Depth=4
	v_and_b32_e32 v5, 0x7c, v92
	v_and_b32_e32 v15, 3, v92
	s_delay_alu instid0(VALU_DEP_2) | instskip(SKIP_1) | instid1(SALU_CYCLE_1)
	v_cmp_ne_u32_e32 vcc_lo, 0x7c, v5
                                        ; implicit-def: $vgpr5
	s_and_saveexec_b32 s15, vcc_lo
	s_xor_b32 s15, exec_lo, s15
	s_cbranch_execz .LBB4_7334
; %bb.7331:                             ;   in Loop: Header=BB4_6688 Depth=4
	v_bfe_u32 v5, v17, 2, 5
	s_mov_b32 s75, exec_lo
	s_delay_alu instid0(VALU_DEP_1)
	v_cmpx_eq_u32_e32 0, v5
	s_cbranch_execz .LBB4_7333
; %bb.7332:                             ;   in Loop: Header=BB4_6688 Depth=4
	v_clz_i32_u32_e32 v5, v15
	s_delay_alu instid0(VALU_DEP_1) | instskip(SKIP_1) | instid1(VALU_DEP_2)
	v_min_u32_e32 v5, 32, v5
	v_mov_b32_e32 v93, v3
	v_subrev_nc_u32_e32 v15, 29, v5
	v_sub_nc_u32_e32 v5, 30, v5
	s_delay_alu instid0(VALU_DEP_2) | instskip(NEXT) | instid1(VALU_DEP_1)
	v_lshlrev_b64_e32 v[86:87], v15, v[92:93]
	v_and_b32_e32 v15, 3, v86
.LBB4_7333:                             ;   in Loop: Header=BB4_6688 Depth=4
	s_or_b32 exec_lo, exec_lo, s75
	v_lshlrev_b32_e32 v17, 24, v92
                                        ; implicit-def: $vgpr92
	s_delay_alu instid0(VALU_DEP_1) | instskip(NEXT) | instid1(VALU_DEP_1)
	v_and_b32_e32 v17, 0x80000000, v17
	v_lshl_add_u32 v5, v5, 23, v17
	s_delay_alu instid0(VALU_DEP_1) | instskip(NEXT) | instid1(VALU_DEP_1)
	v_lshl_or_b32 v5, v15, 21, v5
                                        ; implicit-def: $vgpr15
	v_add_nc_u32_e32 v5, 0x38000000, v5
.LBB4_7334:                             ;   in Loop: Header=BB4_6688 Depth=4
	s_and_not1_saveexec_b32 s15, s15
; %bb.7335:                             ;   in Loop: Header=BB4_6688 Depth=4
	v_bfe_i32 v5, v92, 0, 8
	s_delay_alu instid0(VALU_DEP_1) | instskip(SKIP_2) | instid1(VALU_DEP_2)
	v_cmp_lt_i16_e32 vcc_lo, -1, v5
	v_cndmask_b32_e32 v5, 0xff800000, v48, vcc_lo
	v_cmp_eq_u32_e32 vcc_lo, 0, v15
	v_cndmask_b32_e32 v5, 0x7f800001, v5, vcc_lo
; %bb.7336:                             ;   in Loop: Header=BB4_6688 Depth=4
	s_or_b32 exec_lo, exec_lo, s15
.LBB4_7337:                             ;   in Loop: Header=BB4_6688 Depth=4
	s_delay_alu instid0(SALU_CYCLE_1)
	s_or_b32 exec_lo, exec_lo, s14
.LBB4_7338:                             ;   in Loop: Header=BB4_6688 Depth=4
	s_delay_alu instid0(SALU_CYCLE_1) | instskip(NEXT) | instid1(SALU_CYCLE_1)
	s_or_b32 exec_lo, exec_lo, s13
	s_mov_b32 s13, exec_lo
	s_wait_loadcnt_dscnt 0xd0d
	v_cmpx_ne_u16_e32 0, v100
	s_cbranch_execz .LBB4_7348
; %bb.7339:                             ;   in Loop: Header=BB4_6688 Depth=4
	v_bfrev_b32_e32 v2, 1
	s_mov_b32 s14, exec_lo
	v_cmpx_ne_u16_e32 0xff80, v100
	s_cbranch_execz .LBB4_7347
; %bb.7340:                             ;   in Loop: Header=BB4_6688 Depth=4
	v_and_b32_e32 v2, 0x7c, v100
	v_and_b32_e32 v15, 3, v100
	s_delay_alu instid0(VALU_DEP_2) | instskip(SKIP_1) | instid1(SALU_CYCLE_1)
	v_cmp_ne_u32_e32 vcc_lo, 0x7c, v2
                                        ; implicit-def: $vgpr2
	s_and_saveexec_b32 s15, vcc_lo
	s_xor_b32 s15, exec_lo, s15
	s_cbranch_execz .LBB4_7344
; %bb.7341:                             ;   in Loop: Header=BB4_6688 Depth=4
	v_and_b32_e32 v2, 0xff, v100
	s_mov_b32 s75, exec_lo
	s_delay_alu instid0(VALU_DEP_1) | instskip(NEXT) | instid1(VALU_DEP_1)
	v_bfe_u32 v2, v2, 2, 5
	v_cmpx_eq_u32_e32 0, v2
	s_cbranch_execz .LBB4_7343
; %bb.7342:                             ;   in Loop: Header=BB4_6688 Depth=4
	v_clz_i32_u32_e32 v2, v15
	s_delay_alu instid0(VALU_DEP_1) | instskip(SKIP_1) | instid1(VALU_DEP_2)
	v_min_u32_e32 v2, 32, v2
	v_mov_b32_e32 v101, v3
	v_subrev_nc_u32_e32 v15, 29, v2
	v_sub_nc_u32_e32 v2, 30, v2
	s_delay_alu instid0(VALU_DEP_2) | instskip(NEXT) | instid1(VALU_DEP_1)
	v_lshlrev_b64_e32 v[86:87], v15, v[100:101]
	v_and_b32_e32 v15, 3, v86
.LBB4_7343:                             ;   in Loop: Header=BB4_6688 Depth=4
	s_or_b32 exec_lo, exec_lo, s75
	v_bfe_i32 v17, v100, 0, 16
                                        ; implicit-def: $vgpr100
	s_delay_alu instid0(VALU_DEP_1) | instskip(NEXT) | instid1(VALU_DEP_1)
	v_and_b32_e32 v17, 0x80000000, v17
	v_lshl_add_u32 v2, v2, 23, v17
	s_delay_alu instid0(VALU_DEP_1) | instskip(NEXT) | instid1(VALU_DEP_1)
	v_lshl_or_b32 v2, v15, 21, v2
                                        ; implicit-def: $vgpr15
	v_add_nc_u32_e32 v2, 0x38000000, v2
.LBB4_7344:                             ;   in Loop: Header=BB4_6688 Depth=4
	s_and_not1_saveexec_b32 s15, s15
; %bb.7345:                             ;   in Loop: Header=BB4_6688 Depth=4
	v_cmp_lt_i16_e32 vcc_lo, -1, v100
	v_cndmask_b32_e32 v2, 0xff800000, v48, vcc_lo
	v_cmp_eq_u32_e32 vcc_lo, 0, v15
	s_delay_alu instid0(VALU_DEP_2)
	v_cndmask_b32_e32 v2, 0x7f800001, v2, vcc_lo
; %bb.7346:                             ;   in Loop: Header=BB4_6688 Depth=4
	s_or_b32 exec_lo, exec_lo, s15
.LBB4_7347:                             ;   in Loop: Header=BB4_6688 Depth=4
	s_delay_alu instid0(SALU_CYCLE_1)
	s_or_b32 exec_lo, exec_lo, s14
.LBB4_7348:                             ;   in Loop: Header=BB4_6688 Depth=4
	s_delay_alu instid0(SALU_CYCLE_1) | instskip(NEXT) | instid1(VALU_DEP_1)
	s_or_b32 exec_lo, exec_lo, s13
	v_dual_add_f32 v15, v5, v2 :: v_dual_mov_b32 v87, v3
                                        ; implicit-def: $vgpr92
	s_mov_b32 s13, exec_lo
	s_delay_alu instid0(VALU_DEP_1) | instskip(SKIP_1) | instid1(VALU_DEP_2)
	v_and_b32_e32 v86, 0x7f800000, v15
	v_and_b32_e32 v2, 0x7fffff, v15
	v_cmpx_ne_u64_e32 0x7f800000, v[86:87]
	s_xor_b32 s14, exec_lo, s13
	s_cbranch_execz .LBB4_7366
; %bb.7349:                             ;   in Loop: Header=BB4_6688 Depth=4
	v_dual_mov_b32 v87, v3 :: v_dual_lshrrev_b32 v5, 24, v15
	v_and_b32_e32 v86, 0x7fffffff, v15
                                        ; implicit-def: $vgpr92
	s_mov_b32 s13, exec_lo
	s_delay_alu instid0(VALU_DEP_2) | instskip(NEXT) | instid1(VALU_DEP_2)
	v_and_b32_e32 v5, 0x80, v5
	v_cmpx_gt_u64_e32 0x47600001, v[86:87]
	s_xor_b32 s15, exec_lo, s13
	s_cbranch_execz .LBB4_7363
; %bb.7350:                             ;   in Loop: Header=BB4_6688 Depth=4
	v_mov_b32_e32 v92, 0
	s_mov_b32 s75, exec_lo
	v_cmpx_ne_u32_e32 0, v15
	s_cbranch_execz .LBB4_7362
; %bb.7351:                             ;   in Loop: Header=BB4_6688 Depth=4
	v_bfe_u32 v15, v15, 23, 8
	v_or_b32_e32 v19, 0x800000, v2
	v_mov_b32_e32 v87, v3
	s_delay_alu instid0(VALU_DEP_3) | instskip(SKIP_1) | instid1(VALU_DEP_4)
	v_cmp_eq_u32_e32 vcc_lo, 0, v15
	v_cmp_gt_u32_e64 s13, 0x72, v15
	v_dual_cndmask_b32 v86, v19, v2 :: v_dual_sub_nc_u32 v17, 0x71, v15
	s_delay_alu instid0(VALU_DEP_1) | instskip(NEXT) | instid1(VALU_DEP_1)
	v_cndmask_b32_e64 v17, 0, v17, s13
	v_cndmask_b32_e64 v17, v17, 0x70, vcc_lo
	s_delay_alu instid0(VALU_DEP_1) | instskip(NEXT) | instid1(VALU_DEP_1)
	v_add_nc_u32_e32 v2, 21, v17
	v_lshlrev_b64_e64 v[96:97], v2, -1
	v_add_nc_u32_e32 v2, 20, v17
	s_delay_alu instid0(VALU_DEP_1) | instskip(NEXT) | instid1(VALU_DEP_3)
	v_lshlrev_b64_e64 v[100:101], v2, 1
	v_bfi_b32 v97, v97, 0, 0
	s_delay_alu instid0(VALU_DEP_4) | instskip(NEXT) | instid1(VALU_DEP_1)
	v_bfi_b32 v96, v96, 0, v86
	v_cmp_eq_u64_e64 s13, v[96:97], v[100:101]
	v_lshrrev_b64 v[100:101], v17, v[86:87]
	s_delay_alu instid0(VALU_DEP_1)
	v_mov_b64_e32 v[92:93], v[100:101]
	s_and_saveexec_b32 s76, s13
; %bb.7352:                             ;   in Loop: Header=BB4_6688 Depth=4
	v_bfe_u32 v86, v100, 21, 1
	v_mov_b32_e32 v87, v3
	s_delay_alu instid0(VALU_DEP_1) | instskip(NEXT) | instid1(VALU_DEP_1)
	v_add_nc_u64_e32 v[86:87], v[100:101], v[86:87]
	v_add_nc_u64_e32 v[92:93], -1, v[86:87]
; %bb.7353:                             ;   in Loop: Header=BB4_6688 Depth=4
	s_or_b32 exec_lo, exec_lo, s76
	v_add_nc_u32_e32 v2, 0xffffff81, v15
	s_delay_alu instid0(VALU_DEP_2) | instskip(SKIP_2) | instid1(VALU_DEP_3)
	v_and_b32_e32 v19, 0x1fffff, v92
	v_lshrrev_b32_e32 v15, 23, v100
	s_mov_b32 s13, exec_lo
	v_cndmask_b32_e64 v2, v2, 0xffffff82, vcc_lo
	s_delay_alu instid0(VALU_DEP_1) | instskip(SKIP_1) | instid1(VALU_DEP_2)
	v_add3_u32 v17, v17, v2, v15
	v_add_nc_u32_e32 v2, v19, v100
                                        ; implicit-def: $vgpr100_vgpr101
                                        ; implicit-def: $vgpr15
	v_add_nc_u32_e32 v19, 14, v17
	s_delay_alu instid0(VALU_DEP_1)
	v_cmpx_ne_u32_e32 0, v19
	s_xor_b32 s13, exec_lo, s13
; %bb.7354:                             ;   in Loop: Header=BB4_6688 Depth=4
	s_delay_alu instid0(VALU_DEP_3) | instskip(SKIP_2) | instid1(VALU_DEP_2)
	v_cmp_lt_u64_e32 vcc_lo, 0xffffff, v[2:3]
	v_add_nc_u32_e32 v15, 15, v17
	v_cndmask_b32_e64 v17, 0, 1, vcc_lo
	v_cndmask_b32_e32 v15, v19, v15, vcc_lo
	s_delay_alu instid0(VALU_DEP_2)
	v_lshrrev_b64 v[100:101], v17, v[2:3]
; %bb.7355:                             ;   in Loop: Header=BB4_6688 Depth=4
	s_and_not1_saveexec_b32 s13, s13
; %bb.7356:                             ;   in Loop: Header=BB4_6688 Depth=4
	v_mov_b64_e32 v[100:101], v[2:3]
	v_bfe_u32 v15, v2, 23, 1
; %bb.7357:                             ;   in Loop: Header=BB4_6688 Depth=4
	s_or_b32 exec_lo, exec_lo, s13
	s_delay_alu instid0(VALU_DEP_2) | instskip(NEXT) | instid1(VALU_DEP_2)
	v_lshrrev_b64 v[86:87], 21, v[100:101]
	v_cmp_gt_i32_e32 vcc_lo, 32, v15
	v_cmp_ne_u32_e64 s13, 0, v15
                                        ; implicit-def: $vgpr92
	s_delay_alu instid0(VALU_DEP_3) | instskip(NEXT) | instid1(VALU_DEP_1)
	v_dual_cndmask_b32 v101, 0, v87 :: v_dual_cndmask_b32 v100, 3, v86
	v_cmp_ne_u64_e32 vcc_lo, 0, v[100:101]
	s_or_b32 s13, s13, vcc_lo
	s_delay_alu instid0(SALU_CYCLE_1) | instskip(NEXT) | instid1(SALU_CYCLE_1)
	s_and_saveexec_b32 s76, s13
	s_xor_b32 s13, exec_lo, s76
; %bb.7358:                             ;   in Loop: Header=BB4_6688 Depth=4
	v_min_i32_e32 v2, 31, v15
	s_delay_alu instid0(VALU_DEP_1) | instskip(NEXT) | instid1(VALU_DEP_1)
	v_lshl_or_b32 v2, v2, 2, v5
                                        ; implicit-def: $vgpr5
	v_and_or_b32 v92, v100, 3, v2
; %bb.7359:                             ;   in Loop: Header=BB4_6688 Depth=4
	s_and_not1_saveexec_b32 s13, s13
; %bb.7360:                             ;   in Loop: Header=BB4_6688 Depth=4
	v_mov_b32_e32 v92, v5
; %bb.7361:                             ;   in Loop: Header=BB4_6688 Depth=4
	s_or_b32 exec_lo, exec_lo, s13
.LBB4_7362:                             ;   in Loop: Header=BB4_6688 Depth=4
	s_delay_alu instid0(SALU_CYCLE_1)
	s_or_b32 exec_lo, exec_lo, s75
                                        ; implicit-def: $vgpr5
.LBB4_7363:                             ;   in Loop: Header=BB4_6688 Depth=4
	s_and_not1_saveexec_b32 s13, s15
; %bb.7364:                             ;   in Loop: Header=BB4_6688 Depth=4
	v_or_b32_e32 v92, 0x7b, v5
; %bb.7365:                             ;   in Loop: Header=BB4_6688 Depth=4
	s_or_b32 exec_lo, exec_lo, s13
                                        ; implicit-def: $vgpr15
.LBB4_7366:                             ;   in Loop: Header=BB4_6688 Depth=4
	s_and_not1_saveexec_b32 s13, s14
	s_cbranch_execz .LBB4_7372
; %bb.7367:                             ;   in Loop: Header=BB4_6688 Depth=4
	s_mov_b32 s14, exec_lo
                                        ; implicit-def: $vgpr92
	v_cmpx_ne_u64_e32 0, v[2:3]
	s_xor_b32 s14, exec_lo, s14
; %bb.7368:                             ;   in Loop: Header=BB4_6688 Depth=4
	v_lshrrev_b32_e32 v2, 24, v15
                                        ; implicit-def: $vgpr15
	s_delay_alu instid0(VALU_DEP_1)
	v_or_b32_e32 v92, 0x7f, v2
; %bb.7369:                             ;   in Loop: Header=BB4_6688 Depth=4
	s_and_not1_saveexec_b32 s14, s14
; %bb.7370:                             ;   in Loop: Header=BB4_6688 Depth=4
	v_cmp_lt_i32_e32 vcc_lo, -1, v15
	v_cndmask_b32_e64 v92, -4, 0x7c, vcc_lo
; %bb.7371:                             ;   in Loop: Header=BB4_6688 Depth=4
	s_or_b32 exec_lo, exec_lo, s14
.LBB4_7372:                             ;   in Loop: Header=BB4_6688 Depth=4
	s_delay_alu instid0(SALU_CYCLE_1) | instskip(SKIP_3) | instid1(VALU_DEP_2)
	s_or_b32 exec_lo, exec_lo, s13
	v_and_b32_e32 v17, 0xff, v90
	v_dual_mov_b32 v2, 0 :: v_dual_mov_b32 v5, 0
	s_mov_b32 s13, exec_lo
	v_cmpx_ne_u16_e32 0, v17
	s_cbranch_execz .LBB4_7382
; %bb.7373:                             ;   in Loop: Header=BB4_6688 Depth=4
	v_bfrev_b32_e32 v5, 1
	s_mov_b32 s14, exec_lo
	v_cmpx_ne_u16_e32 0x80, v17
	s_cbranch_execz .LBB4_7381
; %bb.7374:                             ;   in Loop: Header=BB4_6688 Depth=4
	v_and_b32_e32 v5, 0x7c, v90
	v_and_b32_e32 v15, 3, v90
	s_delay_alu instid0(VALU_DEP_2) | instskip(SKIP_1) | instid1(SALU_CYCLE_1)
	v_cmp_ne_u32_e32 vcc_lo, 0x7c, v5
                                        ; implicit-def: $vgpr5
	s_and_saveexec_b32 s15, vcc_lo
	s_xor_b32 s15, exec_lo, s15
	s_cbranch_execz .LBB4_7378
; %bb.7375:                             ;   in Loop: Header=BB4_6688 Depth=4
	v_bfe_u32 v5, v17, 2, 5
	s_mov_b32 s75, exec_lo
	s_delay_alu instid0(VALU_DEP_1)
	v_cmpx_eq_u32_e32 0, v5
	s_cbranch_execz .LBB4_7377
; %bb.7376:                             ;   in Loop: Header=BB4_6688 Depth=4
	v_clz_i32_u32_e32 v5, v15
	s_delay_alu instid0(VALU_DEP_1) | instskip(SKIP_1) | instid1(VALU_DEP_2)
	v_min_u32_e32 v5, 32, v5
	v_mov_b32_e32 v91, v3
	v_subrev_nc_u32_e32 v15, 29, v5
	v_sub_nc_u32_e32 v5, 30, v5
	s_delay_alu instid0(VALU_DEP_2) | instskip(NEXT) | instid1(VALU_DEP_1)
	v_lshlrev_b64_e32 v[86:87], v15, v[90:91]
	v_and_b32_e32 v15, 3, v86
.LBB4_7377:                             ;   in Loop: Header=BB4_6688 Depth=4
	s_or_b32 exec_lo, exec_lo, s75
	v_lshlrev_b32_e32 v17, 24, v90
                                        ; implicit-def: $vgpr90
	s_delay_alu instid0(VALU_DEP_1) | instskip(NEXT) | instid1(VALU_DEP_1)
	v_and_b32_e32 v17, 0x80000000, v17
	v_lshl_add_u32 v5, v5, 23, v17
	s_delay_alu instid0(VALU_DEP_1) | instskip(NEXT) | instid1(VALU_DEP_1)
	v_lshl_or_b32 v5, v15, 21, v5
                                        ; implicit-def: $vgpr15
	v_add_nc_u32_e32 v5, 0x38000000, v5
.LBB4_7378:                             ;   in Loop: Header=BB4_6688 Depth=4
	s_and_not1_saveexec_b32 s15, s15
; %bb.7379:                             ;   in Loop: Header=BB4_6688 Depth=4
	v_bfe_i32 v5, v90, 0, 8
	s_delay_alu instid0(VALU_DEP_1) | instskip(SKIP_2) | instid1(VALU_DEP_2)
	v_cmp_lt_i16_e32 vcc_lo, -1, v5
	v_cndmask_b32_e32 v5, 0xff800000, v48, vcc_lo
	v_cmp_eq_u32_e32 vcc_lo, 0, v15
	v_cndmask_b32_e32 v5, 0x7f800001, v5, vcc_lo
; %bb.7380:                             ;   in Loop: Header=BB4_6688 Depth=4
	s_or_b32 exec_lo, exec_lo, s15
.LBB4_7381:                             ;   in Loop: Header=BB4_6688 Depth=4
	s_delay_alu instid0(SALU_CYCLE_1)
	s_or_b32 exec_lo, exec_lo, s14
.LBB4_7382:                             ;   in Loop: Header=BB4_6688 Depth=4
	s_delay_alu instid0(SALU_CYCLE_1) | instskip(NEXT) | instid1(SALU_CYCLE_1)
	s_or_b32 exec_lo, exec_lo, s13
	s_mov_b32 s13, exec_lo
	s_wait_loadcnt_dscnt 0xc0c
	v_cmpx_ne_u16_e32 0, v50
	s_cbranch_execz .LBB4_7392
; %bb.7383:                             ;   in Loop: Header=BB4_6688 Depth=4
	v_bfrev_b32_e32 v2, 1
	s_mov_b32 s14, exec_lo
	v_cmpx_ne_u16_e32 0xff80, v50
	s_cbranch_execz .LBB4_7391
; %bb.7384:                             ;   in Loop: Header=BB4_6688 Depth=4
	v_and_b32_e32 v2, 0x7c, v50
	v_and_b32_e32 v15, 3, v50
	s_delay_alu instid0(VALU_DEP_2) | instskip(SKIP_1) | instid1(SALU_CYCLE_1)
	v_cmp_ne_u32_e32 vcc_lo, 0x7c, v2
                                        ; implicit-def: $vgpr2
	s_and_saveexec_b32 s15, vcc_lo
	s_xor_b32 s15, exec_lo, s15
	s_cbranch_execz .LBB4_7388
; %bb.7385:                             ;   in Loop: Header=BB4_6688 Depth=4
	v_and_b32_e32 v2, 0xff, v50
	s_mov_b32 s75, exec_lo
	s_delay_alu instid0(VALU_DEP_1) | instskip(NEXT) | instid1(VALU_DEP_1)
	v_bfe_u32 v2, v2, 2, 5
	v_cmpx_eq_u32_e32 0, v2
	s_cbranch_execz .LBB4_7387
; %bb.7386:                             ;   in Loop: Header=BB4_6688 Depth=4
	v_clz_i32_u32_e32 v2, v15
	s_delay_alu instid0(VALU_DEP_1) | instskip(SKIP_1) | instid1(VALU_DEP_2)
	v_min_u32_e32 v2, 32, v2
	v_mov_b32_e32 v51, v3
	v_subrev_nc_u32_e32 v15, 29, v2
	v_sub_nc_u32_e32 v2, 30, v2
	s_delay_alu instid0(VALU_DEP_2) | instskip(NEXT) | instid1(VALU_DEP_1)
	v_lshlrev_b64_e32 v[86:87], v15, v[50:51]
	v_and_b32_e32 v15, 3, v86
.LBB4_7387:                             ;   in Loop: Header=BB4_6688 Depth=4
	s_or_b32 exec_lo, exec_lo, s75
	v_bfe_i32 v17, v50, 0, 16
                                        ; implicit-def: $vgpr50
	s_delay_alu instid0(VALU_DEP_1) | instskip(NEXT) | instid1(VALU_DEP_1)
	v_and_b32_e32 v17, 0x80000000, v17
	v_lshl_add_u32 v2, v2, 23, v17
	s_delay_alu instid0(VALU_DEP_1) | instskip(NEXT) | instid1(VALU_DEP_1)
	v_lshl_or_b32 v2, v15, 21, v2
                                        ; implicit-def: $vgpr15
	v_add_nc_u32_e32 v2, 0x38000000, v2
.LBB4_7388:                             ;   in Loop: Header=BB4_6688 Depth=4
	s_and_not1_saveexec_b32 s15, s15
; %bb.7389:                             ;   in Loop: Header=BB4_6688 Depth=4
	v_cmp_lt_i16_e32 vcc_lo, -1, v50
	v_cndmask_b32_e32 v2, 0xff800000, v48, vcc_lo
	v_cmp_eq_u32_e32 vcc_lo, 0, v15
	s_delay_alu instid0(VALU_DEP_2)
	v_cndmask_b32_e32 v2, 0x7f800001, v2, vcc_lo
; %bb.7390:                             ;   in Loop: Header=BB4_6688 Depth=4
	s_or_b32 exec_lo, exec_lo, s15
.LBB4_7391:                             ;   in Loop: Header=BB4_6688 Depth=4
	s_delay_alu instid0(SALU_CYCLE_1)
	s_or_b32 exec_lo, exec_lo, s14
.LBB4_7392:                             ;   in Loop: Header=BB4_6688 Depth=4
	s_delay_alu instid0(SALU_CYCLE_1) | instskip(NEXT) | instid1(VALU_DEP_1)
	s_or_b32 exec_lo, exec_lo, s13
	v_dual_add_f32 v15, v5, v2 :: v_dual_mov_b32 v51, v3
                                        ; implicit-def: $vgpr100
	s_mov_b32 s13, exec_lo
	s_delay_alu instid0(VALU_DEP_1) | instskip(SKIP_1) | instid1(VALU_DEP_2)
	v_and_b32_e32 v50, 0x7f800000, v15
	v_and_b32_e32 v2, 0x7fffff, v15
	v_cmpx_ne_u64_e32 0x7f800000, v[50:51]
	s_xor_b32 s14, exec_lo, s13
	s_cbranch_execz .LBB4_7410
; %bb.7393:                             ;   in Loop: Header=BB4_6688 Depth=4
	v_dual_mov_b32 v51, v3 :: v_dual_lshrrev_b32 v5, 24, v15
	v_and_b32_e32 v50, 0x7fffffff, v15
                                        ; implicit-def: $vgpr100
	s_mov_b32 s13, exec_lo
	s_delay_alu instid0(VALU_DEP_2) | instskip(NEXT) | instid1(VALU_DEP_2)
	v_and_b32_e32 v5, 0x80, v5
	v_cmpx_gt_u64_e32 0x47600001, v[50:51]
	s_xor_b32 s15, exec_lo, s13
	s_cbranch_execz .LBB4_7407
; %bb.7394:                             ;   in Loop: Header=BB4_6688 Depth=4
	v_mov_b32_e32 v100, 0
	s_mov_b32 s75, exec_lo
	v_cmpx_ne_u32_e32 0, v15
	s_cbranch_execz .LBB4_7406
; %bb.7395:                             ;   in Loop: Header=BB4_6688 Depth=4
	v_bfe_u32 v15, v15, 23, 8
	v_or_b32_e32 v21, 0x800000, v2
	v_mov_b32_e32 v87, v3
	s_delay_alu instid0(VALU_DEP_3) | instskip(SKIP_1) | instid1(VALU_DEP_2)
	v_sub_nc_u32_e32 v17, 0x71, v15
	v_cmp_gt_u32_e32 vcc_lo, 0x72, v15
	v_cndmask_b32_e32 v17, 0, v17, vcc_lo
	v_cmp_eq_u32_e32 vcc_lo, 0, v15
	s_delay_alu instid0(VALU_DEP_2) | instskip(NEXT) | instid1(VALU_DEP_1)
	v_cndmask_b32_e64 v17, v17, 0x70, vcc_lo
	v_dual_cndmask_b32 v86, v21, v2 :: v_dual_add_nc_u32 v19, 21, v17
	s_delay_alu instid0(VALU_DEP_1) | instskip(SKIP_1) | instid1(VALU_DEP_1)
	v_lshlrev_b64_e64 v[50:51], v19, -1
	v_add_nc_u32_e32 v19, 20, v17
	v_lshlrev_b64_e64 v[96:97], v19, 1
	s_delay_alu instid0(VALU_DEP_3) | instskip(NEXT) | instid1(VALU_DEP_4)
	v_bfi_b32 v101, v51, 0, 0
	v_bfi_b32 v100, v50, 0, v86
	v_lshrrev_b64 v[50:51], v17, v[86:87]
	s_delay_alu instid0(VALU_DEP_2) | instskip(NEXT) | instid1(VALU_DEP_2)
	v_cmp_eq_u64_e64 s13, v[100:101], v[96:97]
	v_mov_b64_e32 v[100:101], v[50:51]
	s_and_saveexec_b32 s76, s13
; %bb.7396:                             ;   in Loop: Header=BB4_6688 Depth=4
	v_bfe_u32 v86, v50, 21, 1
	v_mov_b32_e32 v87, v3
	s_delay_alu instid0(VALU_DEP_1) | instskip(NEXT) | instid1(VALU_DEP_1)
	v_add_nc_u64_e32 v[86:87], v[50:51], v[86:87]
	v_add_nc_u64_e32 v[100:101], -1, v[86:87]
; %bb.7397:                             ;   in Loop: Header=BB4_6688 Depth=4
	s_or_b32 exec_lo, exec_lo, s76
	v_add_nc_u32_e32 v2, 0xffffff81, v15
	s_delay_alu instid0(VALU_DEP_2) | instskip(SKIP_2) | instid1(VALU_DEP_3)
	v_and_b32_e32 v19, 0x1fffff, v100
	v_lshrrev_b32_e32 v15, 23, v50
	s_mov_b32 s13, exec_lo
	v_cndmask_b32_e64 v2, v2, 0xffffff82, vcc_lo
	s_delay_alu instid0(VALU_DEP_1) | instskip(SKIP_1) | instid1(VALU_DEP_2)
	v_add3_u32 v17, v17, v2, v15
	v_add_nc_u32_e32 v2, v19, v50
                                        ; implicit-def: $vgpr50_vgpr51
                                        ; implicit-def: $vgpr15
	v_add_nc_u32_e32 v19, 14, v17
	s_delay_alu instid0(VALU_DEP_1)
	v_cmpx_ne_u32_e32 0, v19
	s_xor_b32 s13, exec_lo, s13
; %bb.7398:                             ;   in Loop: Header=BB4_6688 Depth=4
	s_delay_alu instid0(VALU_DEP_3) | instskip(SKIP_2) | instid1(VALU_DEP_2)
	v_cmp_lt_u64_e32 vcc_lo, 0xffffff, v[2:3]
	v_add_nc_u32_e32 v15, 15, v17
	v_cndmask_b32_e64 v17, 0, 1, vcc_lo
	v_cndmask_b32_e32 v15, v19, v15, vcc_lo
	s_delay_alu instid0(VALU_DEP_2)
	v_lshrrev_b64 v[50:51], v17, v[2:3]
; %bb.7399:                             ;   in Loop: Header=BB4_6688 Depth=4
	s_and_not1_saveexec_b32 s13, s13
; %bb.7400:                             ;   in Loop: Header=BB4_6688 Depth=4
	v_mov_b64_e32 v[50:51], v[2:3]
	v_bfe_u32 v15, v2, 23, 1
; %bb.7401:                             ;   in Loop: Header=BB4_6688 Depth=4
	s_or_b32 exec_lo, exec_lo, s13
	s_delay_alu instid0(VALU_DEP_2) | instskip(NEXT) | instid1(VALU_DEP_2)
	v_lshrrev_b64 v[50:51], 21, v[50:51]
	v_cmp_gt_i32_e32 vcc_lo, 32, v15
	v_cmp_ne_u32_e64 s13, 0, v15
                                        ; implicit-def: $vgpr100
	s_delay_alu instid0(VALU_DEP_3) | instskip(NEXT) | instid1(VALU_DEP_1)
	v_dual_cndmask_b32 v51, 0, v51 :: v_dual_cndmask_b32 v50, 3, v50
	v_cmp_ne_u64_e32 vcc_lo, 0, v[50:51]
	s_or_b32 s13, s13, vcc_lo
	s_delay_alu instid0(SALU_CYCLE_1) | instskip(NEXT) | instid1(SALU_CYCLE_1)
	s_and_saveexec_b32 s76, s13
	s_xor_b32 s13, exec_lo, s76
; %bb.7402:                             ;   in Loop: Header=BB4_6688 Depth=4
	v_min_i32_e32 v2, 31, v15
	s_delay_alu instid0(VALU_DEP_1) | instskip(NEXT) | instid1(VALU_DEP_1)
	v_lshl_or_b32 v2, v2, 2, v5
                                        ; implicit-def: $vgpr5
	v_and_or_b32 v100, v50, 3, v2
; %bb.7403:                             ;   in Loop: Header=BB4_6688 Depth=4
	s_and_not1_saveexec_b32 s13, s13
; %bb.7404:                             ;   in Loop: Header=BB4_6688 Depth=4
	v_mov_b32_e32 v100, v5
; %bb.7405:                             ;   in Loop: Header=BB4_6688 Depth=4
	s_or_b32 exec_lo, exec_lo, s13
.LBB4_7406:                             ;   in Loop: Header=BB4_6688 Depth=4
	s_delay_alu instid0(SALU_CYCLE_1)
	s_or_b32 exec_lo, exec_lo, s75
                                        ; implicit-def: $vgpr5
.LBB4_7407:                             ;   in Loop: Header=BB4_6688 Depth=4
	s_and_not1_saveexec_b32 s13, s15
; %bb.7408:                             ;   in Loop: Header=BB4_6688 Depth=4
	v_or_b32_e32 v100, 0x7b, v5
; %bb.7409:                             ;   in Loop: Header=BB4_6688 Depth=4
	s_or_b32 exec_lo, exec_lo, s13
                                        ; implicit-def: $vgpr15
.LBB4_7410:                             ;   in Loop: Header=BB4_6688 Depth=4
	s_and_not1_saveexec_b32 s13, s14
	s_cbranch_execz .LBB4_7416
; %bb.7411:                             ;   in Loop: Header=BB4_6688 Depth=4
	s_mov_b32 s14, exec_lo
                                        ; implicit-def: $vgpr100
	v_cmpx_ne_u64_e32 0, v[2:3]
	s_xor_b32 s14, exec_lo, s14
; %bb.7412:                             ;   in Loop: Header=BB4_6688 Depth=4
	v_lshrrev_b32_e32 v2, 24, v15
                                        ; implicit-def: $vgpr15
	s_delay_alu instid0(VALU_DEP_1)
	v_or_b32_e32 v100, 0x7f, v2
; %bb.7413:                             ;   in Loop: Header=BB4_6688 Depth=4
	s_and_not1_saveexec_b32 s14, s14
; %bb.7414:                             ;   in Loop: Header=BB4_6688 Depth=4
	v_cmp_lt_i32_e32 vcc_lo, -1, v15
	v_cndmask_b32_e64 v100, -4, 0x7c, vcc_lo
; %bb.7415:                             ;   in Loop: Header=BB4_6688 Depth=4
	s_or_b32 exec_lo, exec_lo, s14
.LBB4_7416:                             ;   in Loop: Header=BB4_6688 Depth=4
	s_delay_alu instid0(SALU_CYCLE_1) | instskip(SKIP_3) | instid1(VALU_DEP_2)
	s_or_b32 exec_lo, exec_lo, s13
	v_and_b32_e32 v17, 0xff, v88
	v_dual_mov_b32 v2, 0 :: v_dual_mov_b32 v15, 0
	s_mov_b32 s13, exec_lo
	v_cmpx_ne_u16_e32 0, v17
	s_cbranch_execz .LBB4_7426
; %bb.7417:                             ;   in Loop: Header=BB4_6688 Depth=4
	v_bfrev_b32_e32 v15, 1
	s_mov_b32 s14, exec_lo
	v_cmpx_ne_u16_e32 0x80, v17
	s_cbranch_execz .LBB4_7425
; %bb.7418:                             ;   in Loop: Header=BB4_6688 Depth=4
	v_and_b32_e32 v15, 0x7c, v88
	v_and_b32_e32 v5, 3, v88
	s_delay_alu instid0(VALU_DEP_2) | instskip(SKIP_1) | instid1(SALU_CYCLE_1)
	v_cmp_ne_u32_e32 vcc_lo, 0x7c, v15
                                        ; implicit-def: $vgpr15
	s_and_saveexec_b32 s15, vcc_lo
	s_xor_b32 s15, exec_lo, s15
	s_cbranch_execz .LBB4_7422
; %bb.7419:                             ;   in Loop: Header=BB4_6688 Depth=4
	v_bfe_u32 v15, v17, 2, 5
	s_mov_b32 s75, exec_lo
	s_delay_alu instid0(VALU_DEP_1)
	v_cmpx_eq_u32_e32 0, v15
; %bb.7420:                             ;   in Loop: Header=BB4_6688 Depth=4
	v_clz_i32_u32_e32 v5, v5
	s_delay_alu instid0(VALU_DEP_1) | instskip(SKIP_1) | instid1(VALU_DEP_2)
	v_min_u32_e32 v5, 32, v5
	v_mov_b32_e32 v89, v3
	v_subrev_nc_u32_e32 v15, 29, v5
	s_delay_alu instid0(VALU_DEP_1) | instskip(NEXT) | instid1(VALU_DEP_1)
	v_lshlrev_b64_e32 v[50:51], v15, v[88:89]
	v_dual_sub_nc_u32 v15, 30, v5 :: v_dual_bitop2_b32 v5, 3, v50 bitop3:0x40
; %bb.7421:                             ;   in Loop: Header=BB4_6688 Depth=4
	s_or_b32 exec_lo, exec_lo, s75
	v_lshlrev_b32_e32 v17, 24, v88
                                        ; implicit-def: $vgpr88
	s_delay_alu instid0(VALU_DEP_1) | instskip(NEXT) | instid1(VALU_DEP_1)
	v_and_b32_e32 v17, 0x80000000, v17
	v_lshl_add_u32 v15, v15, 23, v17
	s_delay_alu instid0(VALU_DEP_1) | instskip(NEXT) | instid1(VALU_DEP_1)
	v_lshl_or_b32 v5, v5, 21, v15
	v_add_nc_u32_e32 v15, 0x38000000, v5
                                        ; implicit-def: $vgpr5
.LBB4_7422:                             ;   in Loop: Header=BB4_6688 Depth=4
	s_and_not1_saveexec_b32 s15, s15
; %bb.7423:                             ;   in Loop: Header=BB4_6688 Depth=4
	v_bfe_i32 v15, v88, 0, 8
	s_delay_alu instid0(VALU_DEP_1) | instskip(SKIP_2) | instid1(VALU_DEP_2)
	v_cmp_lt_i16_e32 vcc_lo, -1, v15
	v_cndmask_b32_e32 v15, 0xff800000, v48, vcc_lo
	v_cmp_eq_u32_e32 vcc_lo, 0, v5
	v_cndmask_b32_e32 v15, 0x7f800001, v15, vcc_lo
; %bb.7424:                             ;   in Loop: Header=BB4_6688 Depth=4
	s_or_b32 exec_lo, exec_lo, s15
.LBB4_7425:                             ;   in Loop: Header=BB4_6688 Depth=4
	s_delay_alu instid0(SALU_CYCLE_1)
	s_or_b32 exec_lo, exec_lo, s14
.LBB4_7426:                             ;   in Loop: Header=BB4_6688 Depth=4
	s_delay_alu instid0(SALU_CYCLE_1) | instskip(NEXT) | instid1(SALU_CYCLE_1)
	s_or_b32 exec_lo, exec_lo, s13
	s_mov_b32 s13, exec_lo
	s_wait_loadcnt_dscnt 0xb0b
	v_cmpx_ne_u16_e32 0, v4
	s_cbranch_execz .LBB4_7436
; %bb.7427:                             ;   in Loop: Header=BB4_6688 Depth=4
	v_bfrev_b32_e32 v2, 1
	s_mov_b32 s14, exec_lo
	v_cmpx_ne_u16_e32 0xff80, v4
	s_cbranch_execz .LBB4_7435
; %bb.7428:                             ;   in Loop: Header=BB4_6688 Depth=4
	v_and_b32_e32 v2, 0x7c, v4
	v_and_b32_e32 v5, 3, v4
	s_delay_alu instid0(VALU_DEP_2) | instskip(SKIP_1) | instid1(SALU_CYCLE_1)
	v_cmp_ne_u32_e32 vcc_lo, 0x7c, v2
                                        ; implicit-def: $vgpr2
	s_and_saveexec_b32 s15, vcc_lo
	s_xor_b32 s15, exec_lo, s15
	s_cbranch_execz .LBB4_7432
; %bb.7429:                             ;   in Loop: Header=BB4_6688 Depth=4
	v_and_b32_e32 v2, 0xff, v4
	s_mov_b32 s75, exec_lo
	s_delay_alu instid0(VALU_DEP_1) | instskip(NEXT) | instid1(VALU_DEP_1)
	v_bfe_u32 v2, v2, 2, 5
	v_cmpx_eq_u32_e32 0, v2
	s_cbranch_execz .LBB4_7431
; %bb.7430:                             ;   in Loop: Header=BB4_6688 Depth=4
	v_clz_i32_u32_e32 v2, v5
	s_delay_alu instid0(VALU_DEP_1) | instskip(SKIP_1) | instid1(VALU_DEP_2)
	v_min_u32_e32 v2, 32, v2
	v_mov_b32_e32 v5, v3
	v_subrev_nc_u32_e32 v17, 29, v2
	v_sub_nc_u32_e32 v2, 30, v2
	s_delay_alu instid0(VALU_DEP_2) | instskip(NEXT) | instid1(VALU_DEP_1)
	v_lshlrev_b64_e32 v[50:51], v17, v[4:5]
	v_and_b32_e32 v5, 3, v50
.LBB4_7431:                             ;   in Loop: Header=BB4_6688 Depth=4
	s_or_b32 exec_lo, exec_lo, s75
	v_bfe_i32 v4, v4, 0, 16
	s_delay_alu instid0(VALU_DEP_1) | instskip(NEXT) | instid1(VALU_DEP_1)
	v_and_b32_e32 v4, 0x80000000, v4
	v_lshl_add_u32 v2, v2, 23, v4
                                        ; implicit-def: $vgpr4
	s_delay_alu instid0(VALU_DEP_1) | instskip(NEXT) | instid1(VALU_DEP_1)
	v_lshl_or_b32 v2, v5, 21, v2
                                        ; implicit-def: $vgpr5
	v_add_nc_u32_e32 v2, 0x38000000, v2
.LBB4_7432:                             ;   in Loop: Header=BB4_6688 Depth=4
	s_and_not1_saveexec_b32 s15, s15
; %bb.7433:                             ;   in Loop: Header=BB4_6688 Depth=4
	v_cmp_lt_i16_e32 vcc_lo, -1, v4
	v_cndmask_b32_e32 v2, 0xff800000, v48, vcc_lo
	v_cmp_eq_u32_e32 vcc_lo, 0, v5
	s_delay_alu instid0(VALU_DEP_2)
	v_cndmask_b32_e32 v2, 0x7f800001, v2, vcc_lo
; %bb.7434:                             ;   in Loop: Header=BB4_6688 Depth=4
	s_or_b32 exec_lo, exec_lo, s15
.LBB4_7435:                             ;   in Loop: Header=BB4_6688 Depth=4
	s_delay_alu instid0(SALU_CYCLE_1)
	s_or_b32 exec_lo, exec_lo, s14
.LBB4_7436:                             ;   in Loop: Header=BB4_6688 Depth=4
	s_delay_alu instid0(SALU_CYCLE_1) | instskip(NEXT) | instid1(VALU_DEP_1)
	s_or_b32 exec_lo, exec_lo, s13
	v_add_f32_e32 v4, v15, v2
	v_mov_b32_e32 v51, v3
                                        ; implicit-def: $vgpr101
	s_mov_b32 s13, exec_lo
	s_delay_alu instid0(VALU_DEP_2) | instskip(SKIP_1) | instid1(VALU_DEP_2)
	v_and_b32_e32 v50, 0x7f800000, v4
	v_and_b32_e32 v2, 0x7fffff, v4
	v_cmpx_ne_u64_e32 0x7f800000, v[50:51]
	s_xor_b32 s14, exec_lo, s13
	s_cbranch_execz .LBB4_7454
; %bb.7437:                             ;   in Loop: Header=BB4_6688 Depth=4
	v_dual_mov_b32 v51, v3 :: v_dual_lshrrev_b32 v5, 24, v4
	v_and_b32_e32 v50, 0x7fffffff, v4
                                        ; implicit-def: $vgpr101
	s_mov_b32 s13, exec_lo
	s_delay_alu instid0(VALU_DEP_2) | instskip(NEXT) | instid1(VALU_DEP_2)
	v_and_b32_e32 v15, 0x80, v5
	v_cmpx_gt_u64_e32 0x47600001, v[50:51]
	s_xor_b32 s15, exec_lo, s13
	s_cbranch_execz .LBB4_7451
; %bb.7438:                             ;   in Loop: Header=BB4_6688 Depth=4
	v_mov_b32_e32 v101, 0
	s_mov_b32 s75, exec_lo
	v_cmpx_ne_u32_e32 0, v4
	s_cbranch_execz .LBB4_7450
; %bb.7439:                             ;   in Loop: Header=BB4_6688 Depth=4
	v_bfe_u32 v17, v4, 23, 8
	v_or_b32_e32 v21, 0x800000, v2
	s_mov_b32 s76, exec_lo
	s_delay_alu instid0(VALU_DEP_2) | instskip(SKIP_1) | instid1(VALU_DEP_2)
	v_dual_mov_b32 v51, v3 :: v_dual_sub_nc_u32 v4, 0x71, v17
	v_cmp_gt_u32_e32 vcc_lo, 0x72, v17
	v_cndmask_b32_e32 v4, 0, v4, vcc_lo
	v_cmp_eq_u32_e32 vcc_lo, 0, v17
	s_delay_alu instid0(VALU_DEP_2) | instskip(NEXT) | instid1(VALU_DEP_1)
	v_cndmask_b32_e64 v19, v4, 0x70, vcc_lo
	v_dual_cndmask_b32 v50, v21, v2, vcc_lo :: v_dual_add_nc_u32 v4, 21, v19
	v_add_nc_u32_e32 v31, 20, v19
	s_delay_alu instid0(VALU_DEP_2) | instskip(NEXT) | instid1(VALU_DEP_2)
	v_lshlrev_b64_e64 v[4:5], v4, -1
	v_lshlrev_b64_e64 v[86:87], v31, 1
	s_delay_alu instid0(VALU_DEP_2) | instskip(NEXT) | instid1(VALU_DEP_3)
	v_bfi_b32 v97, v5, 0, 0
	v_bfi_b32 v96, v4, 0, v50
	v_lshrrev_b64 v[4:5], v19, v[50:51]
	s_delay_alu instid0(VALU_DEP_1) | instskip(NEXT) | instid1(VALU_DEP_3)
	v_mov_b64_e32 v[50:51], v[4:5]
	v_cmpx_eq_u64_e64 v[96:97], v[86:87]
; %bb.7440:                             ;   in Loop: Header=BB4_6688 Depth=4
	v_bfe_u32 v50, v4, 21, 1
	v_mov_b32_e32 v51, v3
	s_delay_alu instid0(VALU_DEP_1) | instskip(NEXT) | instid1(VALU_DEP_1)
	v_add_nc_u64_e32 v[50:51], v[4:5], v[50:51]
	v_add_nc_u64_e32 v[50:51], -1, v[50:51]
; %bb.7441:                             ;   in Loop: Header=BB4_6688 Depth=4
	s_or_b32 exec_lo, exec_lo, s76
	v_add_nc_u32_e32 v2, 0xffffff81, v17
	s_delay_alu instid0(VALU_DEP_2) | instskip(SKIP_2) | instid1(VALU_DEP_3)
	v_and_b32_e32 v17, 0x1fffff, v50
	v_lshrrev_b32_e32 v5, 23, v4
	s_mov_b32 s13, exec_lo
	v_cndmask_b32_e64 v2, v2, 0xffffff82, vcc_lo
	s_delay_alu instid0(VALU_DEP_1) | instskip(SKIP_1) | instid1(VALU_DEP_2)
	v_add3_u32 v19, v19, v2, v5
	v_add_nc_u32_e32 v2, v17, v4
                                        ; implicit-def: $vgpr4_vgpr5
                                        ; implicit-def: $vgpr17
	v_add_nc_u32_e32 v21, 14, v19
	s_delay_alu instid0(VALU_DEP_1)
	v_cmpx_ne_u32_e32 0, v21
	s_xor_b32 s13, exec_lo, s13
; %bb.7442:                             ;   in Loop: Header=BB4_6688 Depth=4
	s_delay_alu instid0(VALU_DEP_3) | instskip(SKIP_1) | instid1(VALU_DEP_1)
	v_cmp_lt_u64_e32 vcc_lo, 0xffffff, v[2:3]
	v_add_nc_u32_e32 v4, 15, v19
	v_cndmask_b32_e32 v17, v21, v4, vcc_lo
	v_cndmask_b32_e64 v4, 0, 1, vcc_lo
	s_delay_alu instid0(VALU_DEP_1)
	v_lshrrev_b64 v[4:5], v4, v[2:3]
; %bb.7443:                             ;   in Loop: Header=BB4_6688 Depth=4
	s_and_not1_saveexec_b32 s13, s13
; %bb.7444:                             ;   in Loop: Header=BB4_6688 Depth=4
	v_mov_b64_e32 v[4:5], v[2:3]
	v_bfe_u32 v17, v2, 23, 1
; %bb.7445:                             ;   in Loop: Header=BB4_6688 Depth=4
	s_or_b32 exec_lo, exec_lo, s13
	s_delay_alu instid0(VALU_DEP_2) | instskip(NEXT) | instid1(VALU_DEP_2)
	v_lshrrev_b64 v[4:5], 21, v[4:5]
	v_cmp_gt_i32_e32 vcc_lo, 32, v17
	v_cmp_ne_u32_e64 s13, 0, v17
                                        ; implicit-def: $vgpr101
	s_delay_alu instid0(VALU_DEP_3) | instskip(NEXT) | instid1(VALU_DEP_1)
	v_dual_cndmask_b32 v5, 0, v5 :: v_dual_cndmask_b32 v4, 3, v4
	v_cmp_ne_u64_e32 vcc_lo, 0, v[4:5]
	s_or_b32 s13, s13, vcc_lo
	s_delay_alu instid0(SALU_CYCLE_1) | instskip(NEXT) | instid1(SALU_CYCLE_1)
	s_and_saveexec_b32 s76, s13
	s_xor_b32 s13, exec_lo, s76
; %bb.7446:                             ;   in Loop: Header=BB4_6688 Depth=4
	v_min_i32_e32 v2, 31, v17
	s_delay_alu instid0(VALU_DEP_1) | instskip(NEXT) | instid1(VALU_DEP_1)
	v_lshl_or_b32 v2, v2, 2, v15
                                        ; implicit-def: $vgpr15
	v_and_or_b32 v101, v4, 3, v2
; %bb.7447:                             ;   in Loop: Header=BB4_6688 Depth=4
	s_and_not1_saveexec_b32 s13, s13
; %bb.7448:                             ;   in Loop: Header=BB4_6688 Depth=4
	v_mov_b32_e32 v101, v15
; %bb.7449:                             ;   in Loop: Header=BB4_6688 Depth=4
	s_or_b32 exec_lo, exec_lo, s13
.LBB4_7450:                             ;   in Loop: Header=BB4_6688 Depth=4
	s_delay_alu instid0(SALU_CYCLE_1)
	s_or_b32 exec_lo, exec_lo, s75
                                        ; implicit-def: $vgpr15
.LBB4_7451:                             ;   in Loop: Header=BB4_6688 Depth=4
	s_and_not1_saveexec_b32 s13, s15
; %bb.7452:                             ;   in Loop: Header=BB4_6688 Depth=4
	v_or_b32_e32 v101, 0x7b, v15
; %bb.7453:                             ;   in Loop: Header=BB4_6688 Depth=4
	s_or_b32 exec_lo, exec_lo, s13
                                        ; implicit-def: $vgpr4
.LBB4_7454:                             ;   in Loop: Header=BB4_6688 Depth=4
	s_and_not1_saveexec_b32 s13, s14
	s_cbranch_execz .LBB4_7460
; %bb.7455:                             ;   in Loop: Header=BB4_6688 Depth=4
	s_mov_b32 s14, exec_lo
                                        ; implicit-def: $vgpr101
	v_cmpx_ne_u64_e32 0, v[2:3]
	s_xor_b32 s14, exec_lo, s14
; %bb.7456:                             ;   in Loop: Header=BB4_6688 Depth=4
	v_lshrrev_b32_e32 v2, 24, v4
                                        ; implicit-def: $vgpr4
	s_delay_alu instid0(VALU_DEP_1)
	v_or_b32_e32 v101, 0x7f, v2
; %bb.7457:                             ;   in Loop: Header=BB4_6688 Depth=4
	s_and_not1_saveexec_b32 s14, s14
; %bb.7458:                             ;   in Loop: Header=BB4_6688 Depth=4
	v_cmp_lt_i32_e32 vcc_lo, -1, v4
	v_cndmask_b32_e64 v101, -4, 0x7c, vcc_lo
; %bb.7459:                             ;   in Loop: Header=BB4_6688 Depth=4
	s_or_b32 exec_lo, exec_lo, s14
.LBB4_7460:                             ;   in Loop: Header=BB4_6688 Depth=4
	s_delay_alu instid0(SALU_CYCLE_1) | instskip(SKIP_3) | instid1(VALU_DEP_2)
	s_or_b32 exec_lo, exec_lo, s13
	v_and_b32_e32 v15, 0xff, v78
	v_dual_mov_b32 v2, 0 :: v_dual_mov_b32 v4, 0
	s_mov_b32 s13, exec_lo
	v_cmpx_ne_u16_e32 0, v15
	s_cbranch_execz .LBB4_7470
; %bb.7461:                             ;   in Loop: Header=BB4_6688 Depth=4
	v_bfrev_b32_e32 v4, 1
	s_mov_b32 s14, exec_lo
	v_cmpx_ne_u16_e32 0x80, v15
	s_cbranch_execz .LBB4_7469
; %bb.7462:                             ;   in Loop: Header=BB4_6688 Depth=4
	v_and_b32_e32 v4, 0x7c, v78
	v_and_b32_e32 v5, 3, v78
	s_delay_alu instid0(VALU_DEP_2) | instskip(SKIP_1) | instid1(SALU_CYCLE_1)
	v_cmp_ne_u32_e32 vcc_lo, 0x7c, v4
                                        ; implicit-def: $vgpr4
	s_and_saveexec_b32 s15, vcc_lo
	s_xor_b32 s15, exec_lo, s15
	s_cbranch_execz .LBB4_7466
; %bb.7463:                             ;   in Loop: Header=BB4_6688 Depth=4
	v_bfe_u32 v4, v15, 2, 5
	s_mov_b32 s75, exec_lo
	s_delay_alu instid0(VALU_DEP_1)
	v_cmpx_eq_u32_e32 0, v4
	s_cbranch_execz .LBB4_7465
; %bb.7464:                             ;   in Loop: Header=BB4_6688 Depth=4
	v_clz_i32_u32_e32 v4, v5
	s_delay_alu instid0(VALU_DEP_1) | instskip(SKIP_1) | instid1(VALU_DEP_2)
	v_min_u32_e32 v4, 32, v4
	v_mov_b32_e32 v79, v3
	v_subrev_nc_u32_e32 v5, 29, v4
	v_sub_nc_u32_e32 v4, 30, v4
	s_delay_alu instid0(VALU_DEP_2) | instskip(NEXT) | instid1(VALU_DEP_1)
	v_lshlrev_b64_e32 v[50:51], v5, v[78:79]
	v_and_b32_e32 v5, 3, v50
.LBB4_7465:                             ;   in Loop: Header=BB4_6688 Depth=4
	s_or_b32 exec_lo, exec_lo, s75
	v_lshlrev_b32_e32 v15, 24, v78
                                        ; implicit-def: $vgpr78
	s_delay_alu instid0(VALU_DEP_1) | instskip(NEXT) | instid1(VALU_DEP_1)
	v_and_b32_e32 v15, 0x80000000, v15
	v_lshl_add_u32 v4, v4, 23, v15
	s_delay_alu instid0(VALU_DEP_1) | instskip(NEXT) | instid1(VALU_DEP_1)
	v_lshl_or_b32 v4, v5, 21, v4
                                        ; implicit-def: $vgpr5
	v_add_nc_u32_e32 v4, 0x38000000, v4
.LBB4_7466:                             ;   in Loop: Header=BB4_6688 Depth=4
	s_and_not1_saveexec_b32 s15, s15
; %bb.7467:                             ;   in Loop: Header=BB4_6688 Depth=4
	v_bfe_i32 v4, v78, 0, 8
	s_delay_alu instid0(VALU_DEP_1) | instskip(SKIP_2) | instid1(VALU_DEP_2)
	v_cmp_lt_i16_e32 vcc_lo, -1, v4
	v_cndmask_b32_e32 v4, 0xff800000, v48, vcc_lo
	v_cmp_eq_u32_e32 vcc_lo, 0, v5
	v_cndmask_b32_e32 v4, 0x7f800001, v4, vcc_lo
; %bb.7468:                             ;   in Loop: Header=BB4_6688 Depth=4
	s_or_b32 exec_lo, exec_lo, s15
.LBB4_7469:                             ;   in Loop: Header=BB4_6688 Depth=4
	s_delay_alu instid0(SALU_CYCLE_1)
	s_or_b32 exec_lo, exec_lo, s14
.LBB4_7470:                             ;   in Loop: Header=BB4_6688 Depth=4
	s_delay_alu instid0(SALU_CYCLE_1) | instskip(NEXT) | instid1(SALU_CYCLE_1)
	s_or_b32 exec_lo, exec_lo, s13
	s_mov_b32 s13, exec_lo
	s_wait_loadcnt_dscnt 0xa0a
	v_cmpx_ne_u16_e32 0, v64
	s_cbranch_execz .LBB4_7480
; %bb.7471:                             ;   in Loop: Header=BB4_6688 Depth=4
	v_bfrev_b32_e32 v2, 1
	s_mov_b32 s14, exec_lo
	v_cmpx_ne_u16_e32 0xff80, v64
	s_cbranch_execz .LBB4_7479
; %bb.7472:                             ;   in Loop: Header=BB4_6688 Depth=4
	v_and_b32_e32 v2, 0x7c, v64
	v_and_b32_e32 v5, 3, v64
	s_delay_alu instid0(VALU_DEP_2) | instskip(SKIP_1) | instid1(SALU_CYCLE_1)
	v_cmp_ne_u32_e32 vcc_lo, 0x7c, v2
                                        ; implicit-def: $vgpr2
	s_and_saveexec_b32 s15, vcc_lo
	s_xor_b32 s15, exec_lo, s15
	s_cbranch_execz .LBB4_7476
; %bb.7473:                             ;   in Loop: Header=BB4_6688 Depth=4
	v_and_b32_e32 v2, 0xff, v64
	s_mov_b32 s75, exec_lo
	s_delay_alu instid0(VALU_DEP_1) | instskip(NEXT) | instid1(VALU_DEP_1)
	v_bfe_u32 v2, v2, 2, 5
	v_cmpx_eq_u32_e32 0, v2
	s_cbranch_execz .LBB4_7475
; %bb.7474:                             ;   in Loop: Header=BB4_6688 Depth=4
	v_clz_i32_u32_e32 v2, v5
	s_delay_alu instid0(VALU_DEP_1) | instskip(SKIP_1) | instid1(VALU_DEP_2)
	v_min_u32_e32 v2, 32, v2
	v_mov_b32_e32 v65, v3
	v_subrev_nc_u32_e32 v5, 29, v2
	v_sub_nc_u32_e32 v2, 30, v2
	s_delay_alu instid0(VALU_DEP_2) | instskip(NEXT) | instid1(VALU_DEP_1)
	v_lshlrev_b64_e32 v[50:51], v5, v[64:65]
	v_and_b32_e32 v5, 3, v50
.LBB4_7475:                             ;   in Loop: Header=BB4_6688 Depth=4
	s_or_b32 exec_lo, exec_lo, s75
	v_bfe_i32 v15, v64, 0, 16
                                        ; implicit-def: $vgpr64
	s_delay_alu instid0(VALU_DEP_1) | instskip(NEXT) | instid1(VALU_DEP_1)
	v_and_b32_e32 v15, 0x80000000, v15
	v_lshl_add_u32 v2, v2, 23, v15
	s_delay_alu instid0(VALU_DEP_1) | instskip(NEXT) | instid1(VALU_DEP_1)
	v_lshl_or_b32 v2, v5, 21, v2
                                        ; implicit-def: $vgpr5
	v_add_nc_u32_e32 v2, 0x38000000, v2
.LBB4_7476:                             ;   in Loop: Header=BB4_6688 Depth=4
	s_and_not1_saveexec_b32 s15, s15
; %bb.7477:                             ;   in Loop: Header=BB4_6688 Depth=4
	v_cmp_lt_i16_e32 vcc_lo, -1, v64
	v_cndmask_b32_e32 v2, 0xff800000, v48, vcc_lo
	v_cmp_eq_u32_e32 vcc_lo, 0, v5
	s_delay_alu instid0(VALU_DEP_2)
	v_cndmask_b32_e32 v2, 0x7f800001, v2, vcc_lo
; %bb.7478:                             ;   in Loop: Header=BB4_6688 Depth=4
	s_or_b32 exec_lo, exec_lo, s15
.LBB4_7479:                             ;   in Loop: Header=BB4_6688 Depth=4
	s_delay_alu instid0(SALU_CYCLE_1)
	s_or_b32 exec_lo, exec_lo, s14
.LBB4_7480:                             ;   in Loop: Header=BB4_6688 Depth=4
	s_delay_alu instid0(SALU_CYCLE_1) | instskip(NEXT) | instid1(VALU_DEP_1)
	s_or_b32 exec_lo, exec_lo, s13
	v_dual_add_f32 v4, v4, v2 :: v_dual_mov_b32 v51, v3
	s_delay_alu instid0(VALU_DEP_1) | instskip(SKIP_1) | instid1(VALU_DEP_2)
	v_and_b32_e32 v50, 0x7f800000, v4
	v_and_b32_e32 v2, 0x7fffff, v4
	v_cmp_ne_u64_e32 vcc_lo, 0x7f800000, v[50:51]
                                        ; implicit-def: $vgpr50
	s_and_saveexec_b32 s13, vcc_lo
	s_delay_alu instid0(SALU_CYCLE_1)
	s_xor_b32 s14, exec_lo, s13
	s_cbranch_execz .LBB4_7498
; %bb.7481:                             ;   in Loop: Header=BB4_6688 Depth=4
	v_and_b32_e32 v50, 0x7fffffff, v4
	v_dual_mov_b32 v51, v3 :: v_dual_lshrrev_b32 v5, 24, v4
	s_delay_alu instid0(VALU_DEP_1) | instskip(NEXT) | instid1(VALU_DEP_2)
	v_cmp_gt_u64_e32 vcc_lo, 0x47600001, v[50:51]
	v_and_b32_e32 v15, 0x80, v5
                                        ; implicit-def: $vgpr50
	s_and_saveexec_b32 s13, vcc_lo
	s_delay_alu instid0(SALU_CYCLE_1)
	s_xor_b32 s15, exec_lo, s13
	s_cbranch_execz .LBB4_7495
; %bb.7482:                             ;   in Loop: Header=BB4_6688 Depth=4
	v_mov_b32_e32 v50, 0
	s_mov_b32 s75, exec_lo
	v_cmpx_ne_u32_e32 0, v4
	s_cbranch_execz .LBB4_7494
; %bb.7483:                             ;   in Loop: Header=BB4_6688 Depth=4
	v_bfe_u32 v17, v4, 23, 8
	v_or_b32_e32 v21, 0x800000, v2
	s_mov_b32 s76, exec_lo
	s_delay_alu instid0(VALU_DEP_2) | instskip(SKIP_1) | instid1(VALU_DEP_2)
	v_dual_mov_b32 v51, v3 :: v_dual_sub_nc_u32 v4, 0x71, v17
	v_cmp_gt_u32_e32 vcc_lo, 0x72, v17
	v_cndmask_b32_e32 v4, 0, v4, vcc_lo
	v_cmp_eq_u32_e32 vcc_lo, 0, v17
	s_delay_alu instid0(VALU_DEP_2) | instskip(NEXT) | instid1(VALU_DEP_1)
	v_cndmask_b32_e64 v19, v4, 0x70, vcc_lo
	v_dual_cndmask_b32 v50, v21, v2, vcc_lo :: v_dual_add_nc_u32 v4, 21, v19
	v_add_nc_u32_e32 v31, 20, v19
	s_delay_alu instid0(VALU_DEP_2) | instskip(NEXT) | instid1(VALU_DEP_2)
	v_lshlrev_b64_e64 v[4:5], v4, -1
	v_lshlrev_b64_e64 v[64:65], v31, 1
	s_delay_alu instid0(VALU_DEP_2) | instskip(NEXT) | instid1(VALU_DEP_3)
	v_bfi_b32 v87, v5, 0, 0
	v_bfi_b32 v86, v4, 0, v50
	v_lshrrev_b64 v[4:5], v19, v[50:51]
	s_delay_alu instid0(VALU_DEP_1) | instskip(NEXT) | instid1(VALU_DEP_3)
	v_mov_b64_e32 v[50:51], v[4:5]
	v_cmpx_eq_u64_e64 v[86:87], v[64:65]
; %bb.7484:                             ;   in Loop: Header=BB4_6688 Depth=4
	v_bfe_u32 v50, v4, 21, 1
	v_mov_b32_e32 v51, v3
	s_delay_alu instid0(VALU_DEP_1) | instskip(NEXT) | instid1(VALU_DEP_1)
	v_add_nc_u64_e32 v[50:51], v[4:5], v[50:51]
	v_add_nc_u64_e32 v[50:51], -1, v[50:51]
; %bb.7485:                             ;   in Loop: Header=BB4_6688 Depth=4
	s_or_b32 exec_lo, exec_lo, s76
	v_add_nc_u32_e32 v2, 0xffffff81, v17
	s_delay_alu instid0(VALU_DEP_2) | instskip(SKIP_2) | instid1(VALU_DEP_3)
	v_and_b32_e32 v17, 0x1fffff, v50
	v_lshrrev_b32_e32 v5, 23, v4
	s_mov_b32 s13, exec_lo
	v_cndmask_b32_e64 v2, v2, 0xffffff82, vcc_lo
	s_delay_alu instid0(VALU_DEP_1) | instskip(SKIP_1) | instid1(VALU_DEP_2)
	v_add3_u32 v19, v19, v2, v5
	v_add_nc_u32_e32 v2, v17, v4
                                        ; implicit-def: $vgpr4_vgpr5
                                        ; implicit-def: $vgpr17
	v_add_nc_u32_e32 v21, 14, v19
	s_delay_alu instid0(VALU_DEP_1)
	v_cmpx_ne_u32_e32 0, v21
	s_xor_b32 s13, exec_lo, s13
; %bb.7486:                             ;   in Loop: Header=BB4_6688 Depth=4
	s_delay_alu instid0(VALU_DEP_3) | instskip(SKIP_1) | instid1(VALU_DEP_1)
	v_cmp_lt_u64_e32 vcc_lo, 0xffffff, v[2:3]
	v_add_nc_u32_e32 v4, 15, v19
	v_cndmask_b32_e32 v17, v21, v4, vcc_lo
	v_cndmask_b32_e64 v4, 0, 1, vcc_lo
	s_delay_alu instid0(VALU_DEP_1)
	v_lshrrev_b64 v[4:5], v4, v[2:3]
; %bb.7487:                             ;   in Loop: Header=BB4_6688 Depth=4
	s_and_not1_saveexec_b32 s13, s13
; %bb.7488:                             ;   in Loop: Header=BB4_6688 Depth=4
	v_mov_b64_e32 v[4:5], v[2:3]
	v_bfe_u32 v17, v2, 23, 1
; %bb.7489:                             ;   in Loop: Header=BB4_6688 Depth=4
	s_or_b32 exec_lo, exec_lo, s13
	s_delay_alu instid0(VALU_DEP_2) | instskip(NEXT) | instid1(VALU_DEP_2)
	v_lshrrev_b64 v[4:5], 21, v[4:5]
	v_cmp_gt_i32_e32 vcc_lo, 32, v17
	v_cmp_ne_u32_e64 s13, 0, v17
                                        ; implicit-def: $vgpr50
	s_delay_alu instid0(VALU_DEP_3) | instskip(NEXT) | instid1(VALU_DEP_1)
	v_dual_cndmask_b32 v5, 0, v5 :: v_dual_cndmask_b32 v4, 3, v4
	v_cmp_ne_u64_e32 vcc_lo, 0, v[4:5]
	s_or_b32 s13, s13, vcc_lo
	s_delay_alu instid0(SALU_CYCLE_1) | instskip(NEXT) | instid1(SALU_CYCLE_1)
	s_and_saveexec_b32 s76, s13
	s_xor_b32 s13, exec_lo, s76
; %bb.7490:                             ;   in Loop: Header=BB4_6688 Depth=4
	v_min_i32_e32 v2, 31, v17
	s_delay_alu instid0(VALU_DEP_1) | instskip(NEXT) | instid1(VALU_DEP_1)
	v_lshl_or_b32 v2, v2, 2, v15
                                        ; implicit-def: $vgpr15
	v_and_or_b32 v50, v4, 3, v2
; %bb.7491:                             ;   in Loop: Header=BB4_6688 Depth=4
	s_and_not1_saveexec_b32 s13, s13
; %bb.7492:                             ;   in Loop: Header=BB4_6688 Depth=4
	v_mov_b32_e32 v50, v15
; %bb.7493:                             ;   in Loop: Header=BB4_6688 Depth=4
	s_or_b32 exec_lo, exec_lo, s13
.LBB4_7494:                             ;   in Loop: Header=BB4_6688 Depth=4
	s_delay_alu instid0(SALU_CYCLE_1)
	s_or_b32 exec_lo, exec_lo, s75
                                        ; implicit-def: $vgpr15
.LBB4_7495:                             ;   in Loop: Header=BB4_6688 Depth=4
	s_and_not1_saveexec_b32 s13, s15
; %bb.7496:                             ;   in Loop: Header=BB4_6688 Depth=4
	v_or_b32_e32 v50, 0x7b, v15
; %bb.7497:                             ;   in Loop: Header=BB4_6688 Depth=4
	s_or_b32 exec_lo, exec_lo, s13
                                        ; implicit-def: $vgpr4
.LBB4_7498:                             ;   in Loop: Header=BB4_6688 Depth=4
	s_and_not1_saveexec_b32 s13, s14
	s_cbranch_execz .LBB4_7504
; %bb.7499:                             ;   in Loop: Header=BB4_6688 Depth=4
	s_mov_b32 s14, exec_lo
                                        ; implicit-def: $vgpr50
	v_cmpx_ne_u64_e32 0, v[2:3]
	s_xor_b32 s14, exec_lo, s14
; %bb.7500:                             ;   in Loop: Header=BB4_6688 Depth=4
	v_lshrrev_b32_e32 v2, 24, v4
                                        ; implicit-def: $vgpr4
	s_delay_alu instid0(VALU_DEP_1)
	v_or_b32_e32 v50, 0x7f, v2
; %bb.7501:                             ;   in Loop: Header=BB4_6688 Depth=4
	s_and_not1_saveexec_b32 s14, s14
; %bb.7502:                             ;   in Loop: Header=BB4_6688 Depth=4
	v_cmp_lt_i32_e32 vcc_lo, -1, v4
	v_cndmask_b32_e64 v50, -4, 0x7c, vcc_lo
; %bb.7503:                             ;   in Loop: Header=BB4_6688 Depth=4
	s_or_b32 exec_lo, exec_lo, s14
.LBB4_7504:                             ;   in Loop: Header=BB4_6688 Depth=4
	s_delay_alu instid0(SALU_CYCLE_1) | instskip(SKIP_3) | instid1(VALU_DEP_2)
	s_or_b32 exec_lo, exec_lo, s13
	v_and_b32_e32 v15, 0xff, v74
	v_dual_mov_b32 v2, 0 :: v_dual_mov_b32 v4, 0
	s_mov_b32 s13, exec_lo
	v_cmpx_ne_u16_e32 0, v15
	s_cbranch_execz .LBB4_7514
; %bb.7505:                             ;   in Loop: Header=BB4_6688 Depth=4
	v_bfrev_b32_e32 v4, 1
	s_mov_b32 s14, exec_lo
	v_cmpx_ne_u16_e32 0x80, v15
	s_cbranch_execz .LBB4_7513
; %bb.7506:                             ;   in Loop: Header=BB4_6688 Depth=4
	v_and_b32_e32 v4, 0x7c, v74
	v_and_b32_e32 v5, 3, v74
	s_delay_alu instid0(VALU_DEP_2) | instskip(SKIP_1) | instid1(SALU_CYCLE_1)
	v_cmp_ne_u32_e32 vcc_lo, 0x7c, v4
                                        ; implicit-def: $vgpr4
	s_and_saveexec_b32 s15, vcc_lo
	s_xor_b32 s15, exec_lo, s15
	s_cbranch_execz .LBB4_7510
; %bb.7507:                             ;   in Loop: Header=BB4_6688 Depth=4
	v_bfe_u32 v4, v15, 2, 5
	s_mov_b32 s75, exec_lo
	s_delay_alu instid0(VALU_DEP_1)
	v_cmpx_eq_u32_e32 0, v4
	s_cbranch_execz .LBB4_7509
; %bb.7508:                             ;   in Loop: Header=BB4_6688 Depth=4
	v_clz_i32_u32_e32 v4, v5
	s_delay_alu instid0(VALU_DEP_1) | instskip(SKIP_1) | instid1(VALU_DEP_2)
	v_min_u32_e32 v4, 32, v4
	v_mov_b32_e32 v75, v3
	v_subrev_nc_u32_e32 v5, 29, v4
	v_sub_nc_u32_e32 v4, 30, v4
	s_delay_alu instid0(VALU_DEP_2) | instskip(NEXT) | instid1(VALU_DEP_1)
	v_lshlrev_b64_e32 v[64:65], v5, v[74:75]
	v_and_b32_e32 v5, 3, v64
.LBB4_7509:                             ;   in Loop: Header=BB4_6688 Depth=4
	s_or_b32 exec_lo, exec_lo, s75
	v_lshlrev_b32_e32 v15, 24, v74
                                        ; implicit-def: $vgpr74
	s_delay_alu instid0(VALU_DEP_1) | instskip(NEXT) | instid1(VALU_DEP_1)
	v_and_b32_e32 v15, 0x80000000, v15
	v_lshl_add_u32 v4, v4, 23, v15
	s_delay_alu instid0(VALU_DEP_1) | instskip(NEXT) | instid1(VALU_DEP_1)
	v_lshl_or_b32 v4, v5, 21, v4
                                        ; implicit-def: $vgpr5
	v_add_nc_u32_e32 v4, 0x38000000, v4
.LBB4_7510:                             ;   in Loop: Header=BB4_6688 Depth=4
	s_and_not1_saveexec_b32 s15, s15
; %bb.7511:                             ;   in Loop: Header=BB4_6688 Depth=4
	v_bfe_i32 v4, v74, 0, 8
	s_delay_alu instid0(VALU_DEP_1) | instskip(SKIP_2) | instid1(VALU_DEP_2)
	v_cmp_lt_i16_e32 vcc_lo, -1, v4
	v_cndmask_b32_e32 v4, 0xff800000, v48, vcc_lo
	v_cmp_eq_u32_e32 vcc_lo, 0, v5
	v_cndmask_b32_e32 v4, 0x7f800001, v4, vcc_lo
; %bb.7512:                             ;   in Loop: Header=BB4_6688 Depth=4
	s_or_b32 exec_lo, exec_lo, s15
.LBB4_7513:                             ;   in Loop: Header=BB4_6688 Depth=4
	s_delay_alu instid0(SALU_CYCLE_1)
	s_or_b32 exec_lo, exec_lo, s14
.LBB4_7514:                             ;   in Loop: Header=BB4_6688 Depth=4
	s_delay_alu instid0(SALU_CYCLE_1) | instskip(NEXT) | instid1(SALU_CYCLE_1)
	s_or_b32 exec_lo, exec_lo, s13
	s_mov_b32 s13, exec_lo
	s_wait_loadcnt_dscnt 0x909
	v_cmpx_ne_u16_e32 0, v16
	s_cbranch_execz .LBB4_7524
; %bb.7515:                             ;   in Loop: Header=BB4_6688 Depth=4
	v_bfrev_b32_e32 v2, 1
	s_mov_b32 s14, exec_lo
	v_cmpx_ne_u16_e32 0xff80, v16
	s_cbranch_execz .LBB4_7523
; %bb.7516:                             ;   in Loop: Header=BB4_6688 Depth=4
	v_and_b32_e32 v2, 0x7c, v16
	v_and_b32_e32 v5, 3, v16
	s_delay_alu instid0(VALU_DEP_2) | instskip(SKIP_1) | instid1(SALU_CYCLE_1)
	v_cmp_ne_u32_e32 vcc_lo, 0x7c, v2
                                        ; implicit-def: $vgpr2
	s_and_saveexec_b32 s15, vcc_lo
	s_xor_b32 s15, exec_lo, s15
	s_cbranch_execz .LBB4_7520
; %bb.7517:                             ;   in Loop: Header=BB4_6688 Depth=4
	v_and_b32_e32 v2, 0xff, v16
	s_mov_b32 s75, exec_lo
	s_delay_alu instid0(VALU_DEP_1) | instskip(NEXT) | instid1(VALU_DEP_1)
	v_bfe_u32 v2, v2, 2, 5
	v_cmpx_eq_u32_e32 0, v2
	s_cbranch_execz .LBB4_7519
; %bb.7518:                             ;   in Loop: Header=BB4_6688 Depth=4
	v_clz_i32_u32_e32 v2, v5
	s_delay_alu instid0(VALU_DEP_1) | instskip(SKIP_1) | instid1(VALU_DEP_2)
	v_min_u32_e32 v2, 32, v2
	v_mov_b32_e32 v17, v3
	v_subrev_nc_u32_e32 v5, 29, v2
	v_sub_nc_u32_e32 v2, 30, v2
	s_delay_alu instid0(VALU_DEP_2) | instskip(NEXT) | instid1(VALU_DEP_1)
	v_lshlrev_b64_e32 v[64:65], v5, v[16:17]
	v_and_b32_e32 v5, 3, v64
.LBB4_7519:                             ;   in Loop: Header=BB4_6688 Depth=4
	s_or_b32 exec_lo, exec_lo, s75
	v_bfe_i32 v15, v16, 0, 16
                                        ; implicit-def: $vgpr16
	s_delay_alu instid0(VALU_DEP_1) | instskip(NEXT) | instid1(VALU_DEP_1)
	v_and_b32_e32 v15, 0x80000000, v15
	v_lshl_add_u32 v2, v2, 23, v15
	s_delay_alu instid0(VALU_DEP_1) | instskip(NEXT) | instid1(VALU_DEP_1)
	v_lshl_or_b32 v2, v5, 21, v2
                                        ; implicit-def: $vgpr5
	v_add_nc_u32_e32 v2, 0x38000000, v2
.LBB4_7520:                             ;   in Loop: Header=BB4_6688 Depth=4
	s_and_not1_saveexec_b32 s15, s15
; %bb.7521:                             ;   in Loop: Header=BB4_6688 Depth=4
	v_cmp_lt_i16_e32 vcc_lo, -1, v16
	v_cndmask_b32_e32 v2, 0xff800000, v48, vcc_lo
	v_cmp_eq_u32_e32 vcc_lo, 0, v5
	s_delay_alu instid0(VALU_DEP_2)
	v_cndmask_b32_e32 v2, 0x7f800001, v2, vcc_lo
; %bb.7522:                             ;   in Loop: Header=BB4_6688 Depth=4
	s_or_b32 exec_lo, exec_lo, s15
.LBB4_7523:                             ;   in Loop: Header=BB4_6688 Depth=4
	s_delay_alu instid0(SALU_CYCLE_1)
	s_or_b32 exec_lo, exec_lo, s14
.LBB4_7524:                             ;   in Loop: Header=BB4_6688 Depth=4
	s_delay_alu instid0(SALU_CYCLE_1) | instskip(NEXT) | instid1(VALU_DEP_1)
	s_or_b32 exec_lo, exec_lo, s13
	v_dual_add_f32 v4, v4, v2 :: v_dual_mov_b32 v17, v3
                                        ; implicit-def: $vgpr51
	s_mov_b32 s13, exec_lo
	s_delay_alu instid0(VALU_DEP_1) | instskip(SKIP_1) | instid1(VALU_DEP_2)
	v_and_b32_e32 v16, 0x7f800000, v4
	v_and_b32_e32 v2, 0x7fffff, v4
	v_cmpx_ne_u64_e32 0x7f800000, v[16:17]
	s_xor_b32 s14, exec_lo, s13
	s_cbranch_execz .LBB4_7542
; %bb.7525:                             ;   in Loop: Header=BB4_6688 Depth=4
	v_dual_mov_b32 v17, v3 :: v_dual_lshrrev_b32 v5, 24, v4
	v_and_b32_e32 v16, 0x7fffffff, v4
                                        ; implicit-def: $vgpr51
	s_mov_b32 s13, exec_lo
	s_delay_alu instid0(VALU_DEP_2) | instskip(NEXT) | instid1(VALU_DEP_2)
	v_and_b32_e32 v15, 0x80, v5
	v_cmpx_gt_u64_e32 0x47600001, v[16:17]
	s_xor_b32 s15, exec_lo, s13
	s_cbranch_execz .LBB4_7539
; %bb.7526:                             ;   in Loop: Header=BB4_6688 Depth=4
	v_mov_b32_e32 v51, 0
	s_mov_b32 s75, exec_lo
	v_cmpx_ne_u32_e32 0, v4
	s_cbranch_execz .LBB4_7538
; %bb.7527:                             ;   in Loop: Header=BB4_6688 Depth=4
	v_bfe_u32 v19, v4, 23, 8
	v_or_b32_e32 v16, 0x800000, v2
	s_mov_b32 s76, exec_lo
	s_delay_alu instid0(VALU_DEP_2) | instskip(SKIP_1) | instid1(VALU_DEP_2)
	v_dual_mov_b32 v17, v3 :: v_dual_sub_nc_u32 v4, 0x71, v19
	v_cmp_gt_u32_e32 vcc_lo, 0x72, v19
	v_cndmask_b32_e32 v4, 0, v4, vcc_lo
	v_cmp_eq_u32_e32 vcc_lo, 0, v19
	s_delay_alu instid0(VALU_DEP_2) | instskip(NEXT) | instid1(VALU_DEP_1)
	v_cndmask_b32_e64 v21, v4, 0x70, vcc_lo
	v_dual_cndmask_b32 v16, v16, v2, vcc_lo :: v_dual_add_nc_u32 v4, 21, v21
	v_add_nc_u32_e32 v31, 20, v21
	s_delay_alu instid0(VALU_DEP_2) | instskip(NEXT) | instid1(VALU_DEP_2)
	v_lshlrev_b64_e64 v[4:5], v4, -1
	v_lshlrev_b64_e64 v[64:65], v31, 1
	s_delay_alu instid0(VALU_DEP_2) | instskip(NEXT) | instid1(VALU_DEP_3)
	v_bfi_b32 v87, v5, 0, 0
	v_bfi_b32 v86, v4, 0, v16
	v_lshrrev_b64 v[4:5], v21, v[16:17]
	s_delay_alu instid0(VALU_DEP_1) | instskip(NEXT) | instid1(VALU_DEP_3)
	v_mov_b64_e32 v[16:17], v[4:5]
	v_cmpx_eq_u64_e64 v[86:87], v[64:65]
; %bb.7528:                             ;   in Loop: Header=BB4_6688 Depth=4
	v_bfe_u32 v16, v4, 21, 1
	v_mov_b32_e32 v17, v3
	s_delay_alu instid0(VALU_DEP_1) | instskip(NEXT) | instid1(VALU_DEP_1)
	v_add_nc_u64_e32 v[16:17], v[4:5], v[16:17]
	v_add_nc_u64_e32 v[16:17], -1, v[16:17]
; %bb.7529:                             ;   in Loop: Header=BB4_6688 Depth=4
	s_or_b32 exec_lo, exec_lo, s76
	v_add_nc_u32_e32 v2, 0xffffff81, v19
	s_delay_alu instid0(VALU_DEP_2) | instskip(SKIP_2) | instid1(VALU_DEP_3)
	v_and_b32_e32 v16, 0x1fffff, v16
	v_lshrrev_b32_e32 v5, 23, v4
	s_mov_b32 s13, exec_lo
	v_cndmask_b32_e64 v2, v2, 0xffffff82, vcc_lo
	s_delay_alu instid0(VALU_DEP_1) | instskip(SKIP_1) | instid1(VALU_DEP_2)
	v_add3_u32 v17, v21, v2, v5
	v_add_nc_u32_e32 v2, v16, v4
                                        ; implicit-def: $vgpr4_vgpr5
                                        ; implicit-def: $vgpr16
	v_add_nc_u32_e32 v19, 14, v17
	s_delay_alu instid0(VALU_DEP_1)
	v_cmpx_ne_u32_e32 0, v19
	s_xor_b32 s13, exec_lo, s13
; %bb.7530:                             ;   in Loop: Header=BB4_6688 Depth=4
	s_delay_alu instid0(VALU_DEP_3) | instskip(SKIP_1) | instid1(VALU_DEP_1)
	v_cmp_lt_u64_e32 vcc_lo, 0xffffff, v[2:3]
	v_add_nc_u32_e32 v4, 15, v17
	v_cndmask_b32_e32 v16, v19, v4, vcc_lo
	v_cndmask_b32_e64 v4, 0, 1, vcc_lo
	s_delay_alu instid0(VALU_DEP_1)
	v_lshrrev_b64 v[4:5], v4, v[2:3]
; %bb.7531:                             ;   in Loop: Header=BB4_6688 Depth=4
	s_and_not1_saveexec_b32 s13, s13
; %bb.7532:                             ;   in Loop: Header=BB4_6688 Depth=4
	v_mov_b64_e32 v[4:5], v[2:3]
	v_bfe_u32 v16, v2, 23, 1
; %bb.7533:                             ;   in Loop: Header=BB4_6688 Depth=4
	s_or_b32 exec_lo, exec_lo, s13
	s_delay_alu instid0(VALU_DEP_2) | instskip(NEXT) | instid1(VALU_DEP_2)
	v_lshrrev_b64 v[4:5], 21, v[4:5]
	v_cmp_gt_i32_e32 vcc_lo, 32, v16
	v_cmp_ne_u32_e64 s13, 0, v16
                                        ; implicit-def: $vgpr51
	s_delay_alu instid0(VALU_DEP_3) | instskip(NEXT) | instid1(VALU_DEP_1)
	v_dual_cndmask_b32 v5, 0, v5 :: v_dual_cndmask_b32 v4, 3, v4
	v_cmp_ne_u64_e32 vcc_lo, 0, v[4:5]
	s_or_b32 s13, s13, vcc_lo
	s_delay_alu instid0(SALU_CYCLE_1) | instskip(NEXT) | instid1(SALU_CYCLE_1)
	s_and_saveexec_b32 s76, s13
	s_xor_b32 s13, exec_lo, s76
; %bb.7534:                             ;   in Loop: Header=BB4_6688 Depth=4
	v_min_i32_e32 v2, 31, v16
	s_delay_alu instid0(VALU_DEP_1) | instskip(NEXT) | instid1(VALU_DEP_1)
	v_lshl_or_b32 v2, v2, 2, v15
                                        ; implicit-def: $vgpr15
	v_and_or_b32 v51, v4, 3, v2
; %bb.7535:                             ;   in Loop: Header=BB4_6688 Depth=4
	s_and_not1_saveexec_b32 s13, s13
; %bb.7536:                             ;   in Loop: Header=BB4_6688 Depth=4
	v_mov_b32_e32 v51, v15
; %bb.7537:                             ;   in Loop: Header=BB4_6688 Depth=4
	s_or_b32 exec_lo, exec_lo, s13
.LBB4_7538:                             ;   in Loop: Header=BB4_6688 Depth=4
	s_delay_alu instid0(SALU_CYCLE_1)
	s_or_b32 exec_lo, exec_lo, s75
                                        ; implicit-def: $vgpr15
.LBB4_7539:                             ;   in Loop: Header=BB4_6688 Depth=4
	s_and_not1_saveexec_b32 s13, s15
; %bb.7540:                             ;   in Loop: Header=BB4_6688 Depth=4
	v_or_b32_e32 v51, 0x7b, v15
; %bb.7541:                             ;   in Loop: Header=BB4_6688 Depth=4
	s_or_b32 exec_lo, exec_lo, s13
                                        ; implicit-def: $vgpr4
.LBB4_7542:                             ;   in Loop: Header=BB4_6688 Depth=4
	s_and_not1_saveexec_b32 s13, s14
	s_cbranch_execz .LBB4_7548
; %bb.7543:                             ;   in Loop: Header=BB4_6688 Depth=4
	s_mov_b32 s14, exec_lo
                                        ; implicit-def: $vgpr51
	v_cmpx_ne_u64_e32 0, v[2:3]
	s_xor_b32 s14, exec_lo, s14
; %bb.7544:                             ;   in Loop: Header=BB4_6688 Depth=4
	v_lshrrev_b32_e32 v2, 24, v4
                                        ; implicit-def: $vgpr4
	s_delay_alu instid0(VALU_DEP_1)
	v_or_b32_e32 v51, 0x7f, v2
; %bb.7545:                             ;   in Loop: Header=BB4_6688 Depth=4
	s_and_not1_saveexec_b32 s14, s14
; %bb.7546:                             ;   in Loop: Header=BB4_6688 Depth=4
	v_cmp_lt_i32_e32 vcc_lo, -1, v4
	v_cndmask_b32_e64 v51, -4, 0x7c, vcc_lo
; %bb.7547:                             ;   in Loop: Header=BB4_6688 Depth=4
	s_or_b32 exec_lo, exec_lo, s14
.LBB4_7548:                             ;   in Loop: Header=BB4_6688 Depth=4
	s_delay_alu instid0(SALU_CYCLE_1) | instskip(SKIP_3) | instid1(VALU_DEP_2)
	s_or_b32 exec_lo, exec_lo, s13
	v_and_b32_e32 v15, 0xff, v72
	v_dual_mov_b32 v2, 0 :: v_dual_mov_b32 v4, 0
	s_mov_b32 s13, exec_lo
	v_cmpx_ne_u16_e32 0, v15
	s_cbranch_execz .LBB4_7558
; %bb.7549:                             ;   in Loop: Header=BB4_6688 Depth=4
	v_bfrev_b32_e32 v4, 1
	s_mov_b32 s14, exec_lo
	v_cmpx_ne_u16_e32 0x80, v15
	s_cbranch_execz .LBB4_7557
; %bb.7550:                             ;   in Loop: Header=BB4_6688 Depth=4
	v_and_b32_e32 v4, 0x7c, v72
	v_and_b32_e32 v5, 3, v72
	s_delay_alu instid0(VALU_DEP_2) | instskip(SKIP_1) | instid1(SALU_CYCLE_1)
	v_cmp_ne_u32_e32 vcc_lo, 0x7c, v4
                                        ; implicit-def: $vgpr4
	s_and_saveexec_b32 s15, vcc_lo
	s_xor_b32 s15, exec_lo, s15
	s_cbranch_execz .LBB4_7554
; %bb.7551:                             ;   in Loop: Header=BB4_6688 Depth=4
	v_bfe_u32 v4, v15, 2, 5
	s_mov_b32 s75, exec_lo
	s_delay_alu instid0(VALU_DEP_1)
	v_cmpx_eq_u32_e32 0, v4
	s_cbranch_execz .LBB4_7553
; %bb.7552:                             ;   in Loop: Header=BB4_6688 Depth=4
	v_clz_i32_u32_e32 v4, v5
	s_delay_alu instid0(VALU_DEP_1) | instskip(SKIP_1) | instid1(VALU_DEP_2)
	v_min_u32_e32 v4, 32, v4
	v_mov_b32_e32 v73, v3
	v_subrev_nc_u32_e32 v5, 29, v4
	v_sub_nc_u32_e32 v4, 30, v4
	s_delay_alu instid0(VALU_DEP_2) | instskip(NEXT) | instid1(VALU_DEP_1)
	v_lshlrev_b64_e32 v[16:17], v5, v[72:73]
	v_and_b32_e32 v5, 3, v16
.LBB4_7553:                             ;   in Loop: Header=BB4_6688 Depth=4
	s_or_b32 exec_lo, exec_lo, s75
	v_lshlrev_b32_e32 v15, 24, v72
                                        ; implicit-def: $vgpr72
	s_delay_alu instid0(VALU_DEP_1) | instskip(NEXT) | instid1(VALU_DEP_1)
	v_and_b32_e32 v15, 0x80000000, v15
	v_lshl_add_u32 v4, v4, 23, v15
	s_delay_alu instid0(VALU_DEP_1) | instskip(NEXT) | instid1(VALU_DEP_1)
	v_lshl_or_b32 v4, v5, 21, v4
                                        ; implicit-def: $vgpr5
	v_add_nc_u32_e32 v4, 0x38000000, v4
.LBB4_7554:                             ;   in Loop: Header=BB4_6688 Depth=4
	s_and_not1_saveexec_b32 s15, s15
; %bb.7555:                             ;   in Loop: Header=BB4_6688 Depth=4
	v_bfe_i32 v4, v72, 0, 8
	s_delay_alu instid0(VALU_DEP_1) | instskip(SKIP_2) | instid1(VALU_DEP_2)
	v_cmp_lt_i16_e32 vcc_lo, -1, v4
	v_cndmask_b32_e32 v4, 0xff800000, v48, vcc_lo
	v_cmp_eq_u32_e32 vcc_lo, 0, v5
	v_cndmask_b32_e32 v4, 0x7f800001, v4, vcc_lo
; %bb.7556:                             ;   in Loop: Header=BB4_6688 Depth=4
	s_or_b32 exec_lo, exec_lo, s15
.LBB4_7557:                             ;   in Loop: Header=BB4_6688 Depth=4
	s_delay_alu instid0(SALU_CYCLE_1)
	s_or_b32 exec_lo, exec_lo, s14
.LBB4_7558:                             ;   in Loop: Header=BB4_6688 Depth=4
	s_delay_alu instid0(SALU_CYCLE_1) | instskip(NEXT) | instid1(SALU_CYCLE_1)
	s_or_b32 exec_lo, exec_lo, s13
	s_mov_b32 s13, exec_lo
	s_wait_loadcnt_dscnt 0x808
	v_cmpx_ne_u16_e32 0, v30
	s_cbranch_execz .LBB4_7568
; %bb.7559:                             ;   in Loop: Header=BB4_6688 Depth=4
	v_bfrev_b32_e32 v2, 1
	s_mov_b32 s14, exec_lo
	v_cmpx_ne_u16_e32 0xff80, v30
	s_cbranch_execz .LBB4_7567
; %bb.7560:                             ;   in Loop: Header=BB4_6688 Depth=4
	v_and_b32_e32 v2, 0x7c, v30
	v_and_b32_e32 v5, 3, v30
	s_delay_alu instid0(VALU_DEP_2) | instskip(SKIP_1) | instid1(SALU_CYCLE_1)
	v_cmp_ne_u32_e32 vcc_lo, 0x7c, v2
                                        ; implicit-def: $vgpr2
	s_and_saveexec_b32 s15, vcc_lo
	s_xor_b32 s15, exec_lo, s15
	s_cbranch_execz .LBB4_7564
; %bb.7561:                             ;   in Loop: Header=BB4_6688 Depth=4
	v_and_b32_e32 v2, 0xff, v30
	s_mov_b32 s75, exec_lo
	s_delay_alu instid0(VALU_DEP_1) | instskip(NEXT) | instid1(VALU_DEP_1)
	v_bfe_u32 v2, v2, 2, 5
	v_cmpx_eq_u32_e32 0, v2
	s_cbranch_execz .LBB4_7563
; %bb.7562:                             ;   in Loop: Header=BB4_6688 Depth=4
	v_clz_i32_u32_e32 v2, v5
	s_delay_alu instid0(VALU_DEP_1) | instskip(SKIP_1) | instid1(VALU_DEP_2)
	v_min_u32_e32 v2, 32, v2
	v_mov_b32_e32 v31, v3
	v_subrev_nc_u32_e32 v5, 29, v2
	v_sub_nc_u32_e32 v2, 30, v2
	s_delay_alu instid0(VALU_DEP_2) | instskip(NEXT) | instid1(VALU_DEP_1)
	v_lshlrev_b64_e32 v[16:17], v5, v[30:31]
	v_and_b32_e32 v5, 3, v16
.LBB4_7563:                             ;   in Loop: Header=BB4_6688 Depth=4
	s_or_b32 exec_lo, exec_lo, s75
	v_bfe_i32 v15, v30, 0, 16
                                        ; implicit-def: $vgpr30
	s_delay_alu instid0(VALU_DEP_1) | instskip(NEXT) | instid1(VALU_DEP_1)
	v_and_b32_e32 v15, 0x80000000, v15
	v_lshl_add_u32 v2, v2, 23, v15
	s_delay_alu instid0(VALU_DEP_1) | instskip(NEXT) | instid1(VALU_DEP_1)
	v_lshl_or_b32 v2, v5, 21, v2
                                        ; implicit-def: $vgpr5
	v_add_nc_u32_e32 v2, 0x38000000, v2
.LBB4_7564:                             ;   in Loop: Header=BB4_6688 Depth=4
	s_and_not1_saveexec_b32 s15, s15
; %bb.7565:                             ;   in Loop: Header=BB4_6688 Depth=4
	v_cmp_lt_i16_e32 vcc_lo, -1, v30
	v_cndmask_b32_e32 v2, 0xff800000, v48, vcc_lo
	v_cmp_eq_u32_e32 vcc_lo, 0, v5
	s_delay_alu instid0(VALU_DEP_2)
	v_cndmask_b32_e32 v2, 0x7f800001, v2, vcc_lo
; %bb.7566:                             ;   in Loop: Header=BB4_6688 Depth=4
	s_or_b32 exec_lo, exec_lo, s15
.LBB4_7567:                             ;   in Loop: Header=BB4_6688 Depth=4
	s_delay_alu instid0(SALU_CYCLE_1)
	s_or_b32 exec_lo, exec_lo, s14
.LBB4_7568:                             ;   in Loop: Header=BB4_6688 Depth=4
	s_delay_alu instid0(SALU_CYCLE_1) | instskip(NEXT) | instid1(VALU_DEP_1)
	s_or_b32 exec_lo, exec_lo, s13
	v_dual_add_f32 v4, v4, v2 :: v_dual_mov_b32 v17, v3
                                        ; implicit-def: $vgpr30
	s_mov_b32 s13, exec_lo
	s_delay_alu instid0(VALU_DEP_1) | instskip(SKIP_1) | instid1(VALU_DEP_2)
	v_and_b32_e32 v16, 0x7f800000, v4
	v_and_b32_e32 v2, 0x7fffff, v4
	v_cmpx_ne_u64_e32 0x7f800000, v[16:17]
	s_xor_b32 s14, exec_lo, s13
	s_cbranch_execz .LBB4_7586
; %bb.7569:                             ;   in Loop: Header=BB4_6688 Depth=4
	v_dual_mov_b32 v17, v3 :: v_dual_lshrrev_b32 v5, 24, v4
	v_and_b32_e32 v16, 0x7fffffff, v4
                                        ; implicit-def: $vgpr30
	s_mov_b32 s13, exec_lo
	s_delay_alu instid0(VALU_DEP_2) | instskip(NEXT) | instid1(VALU_DEP_2)
	v_and_b32_e32 v15, 0x80, v5
	v_cmpx_gt_u64_e32 0x47600001, v[16:17]
	s_xor_b32 s15, exec_lo, s13
	s_cbranch_execz .LBB4_7583
; %bb.7570:                             ;   in Loop: Header=BB4_6688 Depth=4
	v_mov_b32_e32 v30, 0
	s_mov_b32 s75, exec_lo
	v_cmpx_ne_u32_e32 0, v4
	s_cbranch_execz .LBB4_7582
; %bb.7571:                             ;   in Loop: Header=BB4_6688 Depth=4
	v_bfe_u32 v19, v4, 23, 8
	v_or_b32_e32 v16, 0x800000, v2
	s_mov_b32 s76, exec_lo
	s_delay_alu instid0(VALU_DEP_2) | instskip(SKIP_1) | instid1(VALU_DEP_2)
	v_dual_mov_b32 v17, v3 :: v_dual_sub_nc_u32 v4, 0x71, v19
	v_cmp_gt_u32_e32 vcc_lo, 0x72, v19
	v_cndmask_b32_e32 v4, 0, v4, vcc_lo
	v_cmp_eq_u32_e32 vcc_lo, 0, v19
	s_delay_alu instid0(VALU_DEP_2) | instskip(NEXT) | instid1(VALU_DEP_1)
	v_cndmask_b32_e64 v21, v4, 0x70, vcc_lo
	v_dual_cndmask_b32 v16, v16, v2, vcc_lo :: v_dual_add_nc_u32 v4, 21, v21
	v_add_nc_u32_e32 v30, 20, v21
	s_delay_alu instid0(VALU_DEP_2) | instskip(NEXT) | instid1(VALU_DEP_2)
	v_lshlrev_b64_e64 v[4:5], v4, -1
	v_lshlrev_b64_e64 v[30:31], v30, 1
	s_delay_alu instid0(VALU_DEP_2) | instskip(NEXT) | instid1(VALU_DEP_3)
	v_bfi_b32 v65, v5, 0, 0
	v_bfi_b32 v64, v4, 0, v16
	v_lshrrev_b64 v[4:5], v21, v[16:17]
	s_delay_alu instid0(VALU_DEP_1) | instskip(NEXT) | instid1(VALU_DEP_3)
	v_mov_b64_e32 v[16:17], v[4:5]
	v_cmpx_eq_u64_e64 v[64:65], v[30:31]
; %bb.7572:                             ;   in Loop: Header=BB4_6688 Depth=4
	v_bfe_u32 v16, v4, 21, 1
	v_mov_b32_e32 v17, v3
	s_delay_alu instid0(VALU_DEP_1) | instskip(NEXT) | instid1(VALU_DEP_1)
	v_add_nc_u64_e32 v[16:17], v[4:5], v[16:17]
	v_add_nc_u64_e32 v[16:17], -1, v[16:17]
; %bb.7573:                             ;   in Loop: Header=BB4_6688 Depth=4
	s_or_b32 exec_lo, exec_lo, s76
	v_add_nc_u32_e32 v2, 0xffffff81, v19
	s_delay_alu instid0(VALU_DEP_2) | instskip(SKIP_2) | instid1(VALU_DEP_3)
	v_and_b32_e32 v16, 0x1fffff, v16
	v_lshrrev_b32_e32 v5, 23, v4
	s_mov_b32 s13, exec_lo
	v_cndmask_b32_e64 v2, v2, 0xffffff82, vcc_lo
	s_delay_alu instid0(VALU_DEP_1) | instskip(SKIP_1) | instid1(VALU_DEP_2)
	v_add3_u32 v17, v21, v2, v5
	v_add_nc_u32_e32 v2, v16, v4
                                        ; implicit-def: $vgpr4_vgpr5
                                        ; implicit-def: $vgpr16
	v_add_nc_u32_e32 v19, 14, v17
	s_delay_alu instid0(VALU_DEP_1)
	v_cmpx_ne_u32_e32 0, v19
	s_xor_b32 s13, exec_lo, s13
; %bb.7574:                             ;   in Loop: Header=BB4_6688 Depth=4
	s_delay_alu instid0(VALU_DEP_3) | instskip(SKIP_1) | instid1(VALU_DEP_1)
	v_cmp_lt_u64_e32 vcc_lo, 0xffffff, v[2:3]
	v_add_nc_u32_e32 v4, 15, v17
	v_cndmask_b32_e32 v16, v19, v4, vcc_lo
	v_cndmask_b32_e64 v4, 0, 1, vcc_lo
	s_delay_alu instid0(VALU_DEP_1)
	v_lshrrev_b64 v[4:5], v4, v[2:3]
; %bb.7575:                             ;   in Loop: Header=BB4_6688 Depth=4
	s_and_not1_saveexec_b32 s13, s13
; %bb.7576:                             ;   in Loop: Header=BB4_6688 Depth=4
	v_mov_b64_e32 v[4:5], v[2:3]
	v_bfe_u32 v16, v2, 23, 1
; %bb.7577:                             ;   in Loop: Header=BB4_6688 Depth=4
	s_or_b32 exec_lo, exec_lo, s13
	s_delay_alu instid0(VALU_DEP_2) | instskip(NEXT) | instid1(VALU_DEP_2)
	v_lshrrev_b64 v[4:5], 21, v[4:5]
	v_cmp_gt_i32_e32 vcc_lo, 32, v16
	v_cmp_ne_u32_e64 s13, 0, v16
                                        ; implicit-def: $vgpr30
	s_delay_alu instid0(VALU_DEP_3) | instskip(NEXT) | instid1(VALU_DEP_1)
	v_dual_cndmask_b32 v5, 0, v5 :: v_dual_cndmask_b32 v4, 3, v4
	v_cmp_ne_u64_e32 vcc_lo, 0, v[4:5]
	s_or_b32 s13, s13, vcc_lo
	s_delay_alu instid0(SALU_CYCLE_1) | instskip(NEXT) | instid1(SALU_CYCLE_1)
	s_and_saveexec_b32 s76, s13
	s_xor_b32 s13, exec_lo, s76
; %bb.7578:                             ;   in Loop: Header=BB4_6688 Depth=4
	v_min_i32_e32 v2, 31, v16
	s_delay_alu instid0(VALU_DEP_1) | instskip(NEXT) | instid1(VALU_DEP_1)
	v_lshl_or_b32 v2, v2, 2, v15
                                        ; implicit-def: $vgpr15
	v_and_or_b32 v30, v4, 3, v2
; %bb.7579:                             ;   in Loop: Header=BB4_6688 Depth=4
	s_and_not1_saveexec_b32 s13, s13
; %bb.7580:                             ;   in Loop: Header=BB4_6688 Depth=4
	v_mov_b32_e32 v30, v15
; %bb.7581:                             ;   in Loop: Header=BB4_6688 Depth=4
	s_or_b32 exec_lo, exec_lo, s13
.LBB4_7582:                             ;   in Loop: Header=BB4_6688 Depth=4
	s_delay_alu instid0(SALU_CYCLE_1)
	s_or_b32 exec_lo, exec_lo, s75
                                        ; implicit-def: $vgpr15
.LBB4_7583:                             ;   in Loop: Header=BB4_6688 Depth=4
	s_and_not1_saveexec_b32 s13, s15
; %bb.7584:                             ;   in Loop: Header=BB4_6688 Depth=4
	v_or_b32_e32 v30, 0x7b, v15
; %bb.7585:                             ;   in Loop: Header=BB4_6688 Depth=4
	s_or_b32 exec_lo, exec_lo, s13
                                        ; implicit-def: $vgpr4
.LBB4_7586:                             ;   in Loop: Header=BB4_6688 Depth=4
	s_and_not1_saveexec_b32 s13, s14
	s_cbranch_execz .LBB4_7592
; %bb.7587:                             ;   in Loop: Header=BB4_6688 Depth=4
	s_mov_b32 s14, exec_lo
                                        ; implicit-def: $vgpr30
	v_cmpx_ne_u64_e32 0, v[2:3]
	s_xor_b32 s14, exec_lo, s14
; %bb.7588:                             ;   in Loop: Header=BB4_6688 Depth=4
	v_lshrrev_b32_e32 v2, 24, v4
                                        ; implicit-def: $vgpr4
	s_delay_alu instid0(VALU_DEP_1)
	v_or_b32_e32 v30, 0x7f, v2
; %bb.7589:                             ;   in Loop: Header=BB4_6688 Depth=4
	s_and_not1_saveexec_b32 s14, s14
; %bb.7590:                             ;   in Loop: Header=BB4_6688 Depth=4
	v_cmp_lt_i32_e32 vcc_lo, -1, v4
	v_cndmask_b32_e64 v30, -4, 0x7c, vcc_lo
; %bb.7591:                             ;   in Loop: Header=BB4_6688 Depth=4
	s_or_b32 exec_lo, exec_lo, s14
.LBB4_7592:                             ;   in Loop: Header=BB4_6688 Depth=4
	s_delay_alu instid0(SALU_CYCLE_1) | instskip(SKIP_3) | instid1(VALU_DEP_2)
	s_or_b32 exec_lo, exec_lo, s13
	v_and_b32_e32 v15, 0xff, v62
	v_dual_mov_b32 v2, 0 :: v_dual_mov_b32 v4, 0
	s_mov_b32 s13, exec_lo
	v_cmpx_ne_u16_e32 0, v15
	s_cbranch_execz .LBB4_7602
; %bb.7593:                             ;   in Loop: Header=BB4_6688 Depth=4
	v_bfrev_b32_e32 v4, 1
	s_mov_b32 s14, exec_lo
	v_cmpx_ne_u16_e32 0x80, v15
	s_cbranch_execz .LBB4_7601
; %bb.7594:                             ;   in Loop: Header=BB4_6688 Depth=4
	v_and_b32_e32 v4, 0x7c, v62
	v_and_b32_e32 v5, 3, v62
	s_delay_alu instid0(VALU_DEP_2) | instskip(SKIP_1) | instid1(SALU_CYCLE_1)
	v_cmp_ne_u32_e32 vcc_lo, 0x7c, v4
                                        ; implicit-def: $vgpr4
	s_and_saveexec_b32 s15, vcc_lo
	s_xor_b32 s15, exec_lo, s15
	s_cbranch_execz .LBB4_7598
; %bb.7595:                             ;   in Loop: Header=BB4_6688 Depth=4
	v_bfe_u32 v4, v15, 2, 5
	s_mov_b32 s75, exec_lo
	s_delay_alu instid0(VALU_DEP_1)
	v_cmpx_eq_u32_e32 0, v4
	s_cbranch_execz .LBB4_7597
; %bb.7596:                             ;   in Loop: Header=BB4_6688 Depth=4
	v_clz_i32_u32_e32 v4, v5
	s_delay_alu instid0(VALU_DEP_1) | instskip(SKIP_1) | instid1(VALU_DEP_2)
	v_min_u32_e32 v4, 32, v4
	v_mov_b32_e32 v63, v3
	v_subrev_nc_u32_e32 v5, 29, v4
	v_sub_nc_u32_e32 v4, 30, v4
	s_delay_alu instid0(VALU_DEP_2) | instskip(NEXT) | instid1(VALU_DEP_1)
	v_lshlrev_b64_e32 v[16:17], v5, v[62:63]
	v_and_b32_e32 v5, 3, v16
.LBB4_7597:                             ;   in Loop: Header=BB4_6688 Depth=4
	s_or_b32 exec_lo, exec_lo, s75
	v_lshlrev_b32_e32 v15, 24, v62
                                        ; implicit-def: $vgpr62
	s_delay_alu instid0(VALU_DEP_1) | instskip(NEXT) | instid1(VALU_DEP_1)
	v_and_b32_e32 v15, 0x80000000, v15
	v_lshl_add_u32 v4, v4, 23, v15
	s_delay_alu instid0(VALU_DEP_1) | instskip(NEXT) | instid1(VALU_DEP_1)
	v_lshl_or_b32 v4, v5, 21, v4
                                        ; implicit-def: $vgpr5
	v_add_nc_u32_e32 v4, 0x38000000, v4
.LBB4_7598:                             ;   in Loop: Header=BB4_6688 Depth=4
	s_and_not1_saveexec_b32 s15, s15
; %bb.7599:                             ;   in Loop: Header=BB4_6688 Depth=4
	v_bfe_i32 v4, v62, 0, 8
	s_delay_alu instid0(VALU_DEP_1) | instskip(SKIP_2) | instid1(VALU_DEP_2)
	v_cmp_lt_i16_e32 vcc_lo, -1, v4
	v_cndmask_b32_e32 v4, 0xff800000, v48, vcc_lo
	v_cmp_eq_u32_e32 vcc_lo, 0, v5
	v_cndmask_b32_e32 v4, 0x7f800001, v4, vcc_lo
; %bb.7600:                             ;   in Loop: Header=BB4_6688 Depth=4
	s_or_b32 exec_lo, exec_lo, s15
.LBB4_7601:                             ;   in Loop: Header=BB4_6688 Depth=4
	s_delay_alu instid0(SALU_CYCLE_1)
	s_or_b32 exec_lo, exec_lo, s14
.LBB4_7602:                             ;   in Loop: Header=BB4_6688 Depth=4
	s_delay_alu instid0(SALU_CYCLE_1) | instskip(NEXT) | instid1(SALU_CYCLE_1)
	s_or_b32 exec_lo, exec_lo, s13
	s_mov_b32 s13, exec_lo
	s_wait_loadcnt_dscnt 0x707
	v_cmpx_ne_u16_e32 0, v20
	s_cbranch_execz .LBB4_7612
; %bb.7603:                             ;   in Loop: Header=BB4_6688 Depth=4
	v_bfrev_b32_e32 v2, 1
	s_mov_b32 s14, exec_lo
	v_cmpx_ne_u16_e32 0xff80, v20
	s_cbranch_execz .LBB4_7611
; %bb.7604:                             ;   in Loop: Header=BB4_6688 Depth=4
	v_and_b32_e32 v2, 0x7c, v20
	v_and_b32_e32 v5, 3, v20
	s_delay_alu instid0(VALU_DEP_2) | instskip(SKIP_1) | instid1(SALU_CYCLE_1)
	v_cmp_ne_u32_e32 vcc_lo, 0x7c, v2
                                        ; implicit-def: $vgpr2
	s_and_saveexec_b32 s15, vcc_lo
	s_xor_b32 s15, exec_lo, s15
	s_cbranch_execz .LBB4_7608
; %bb.7605:                             ;   in Loop: Header=BB4_6688 Depth=4
	v_and_b32_e32 v2, 0xff, v20
	s_mov_b32 s75, exec_lo
	s_delay_alu instid0(VALU_DEP_1) | instskip(NEXT) | instid1(VALU_DEP_1)
	v_bfe_u32 v2, v2, 2, 5
	v_cmpx_eq_u32_e32 0, v2
	s_cbranch_execz .LBB4_7607
; %bb.7606:                             ;   in Loop: Header=BB4_6688 Depth=4
	v_clz_i32_u32_e32 v2, v5
	s_delay_alu instid0(VALU_DEP_1) | instskip(SKIP_1) | instid1(VALU_DEP_2)
	v_min_u32_e32 v2, 32, v2
	v_mov_b32_e32 v21, v3
	v_subrev_nc_u32_e32 v5, 29, v2
	v_sub_nc_u32_e32 v2, 30, v2
	s_delay_alu instid0(VALU_DEP_2) | instskip(NEXT) | instid1(VALU_DEP_1)
	v_lshlrev_b64_e32 v[16:17], v5, v[20:21]
	v_and_b32_e32 v5, 3, v16
.LBB4_7607:                             ;   in Loop: Header=BB4_6688 Depth=4
	s_or_b32 exec_lo, exec_lo, s75
	v_bfe_i32 v15, v20, 0, 16
                                        ; implicit-def: $vgpr20
	s_delay_alu instid0(VALU_DEP_1) | instskip(NEXT) | instid1(VALU_DEP_1)
	v_and_b32_e32 v15, 0x80000000, v15
	v_lshl_add_u32 v2, v2, 23, v15
	s_delay_alu instid0(VALU_DEP_1) | instskip(NEXT) | instid1(VALU_DEP_1)
	v_lshl_or_b32 v2, v5, 21, v2
                                        ; implicit-def: $vgpr5
	v_add_nc_u32_e32 v2, 0x38000000, v2
.LBB4_7608:                             ;   in Loop: Header=BB4_6688 Depth=4
	s_and_not1_saveexec_b32 s15, s15
; %bb.7609:                             ;   in Loop: Header=BB4_6688 Depth=4
	v_cmp_lt_i16_e32 vcc_lo, -1, v20
	v_cndmask_b32_e32 v2, 0xff800000, v48, vcc_lo
	v_cmp_eq_u32_e32 vcc_lo, 0, v5
	s_delay_alu instid0(VALU_DEP_2)
	v_cndmask_b32_e32 v2, 0x7f800001, v2, vcc_lo
; %bb.7610:                             ;   in Loop: Header=BB4_6688 Depth=4
	s_or_b32 exec_lo, exec_lo, s15
.LBB4_7611:                             ;   in Loop: Header=BB4_6688 Depth=4
	s_delay_alu instid0(SALU_CYCLE_1)
	s_or_b32 exec_lo, exec_lo, s14
.LBB4_7612:                             ;   in Loop: Header=BB4_6688 Depth=4
	s_delay_alu instid0(SALU_CYCLE_1) | instskip(NEXT) | instid1(VALU_DEP_1)
	s_or_b32 exec_lo, exec_lo, s13
	v_dual_add_f32 v4, v4, v2 :: v_dual_mov_b32 v17, v3
                                        ; implicit-def: $vgpr20
	s_mov_b32 s13, exec_lo
	s_delay_alu instid0(VALU_DEP_1) | instskip(SKIP_1) | instid1(VALU_DEP_2)
	v_and_b32_e32 v16, 0x7f800000, v4
	v_and_b32_e32 v2, 0x7fffff, v4
	v_cmpx_ne_u64_e32 0x7f800000, v[16:17]
	s_xor_b32 s14, exec_lo, s13
	s_cbranch_execz .LBB4_7630
; %bb.7613:                             ;   in Loop: Header=BB4_6688 Depth=4
	v_dual_mov_b32 v17, v3 :: v_dual_lshrrev_b32 v5, 24, v4
	v_and_b32_e32 v16, 0x7fffffff, v4
                                        ; implicit-def: $vgpr20
	s_mov_b32 s13, exec_lo
	s_delay_alu instid0(VALU_DEP_2) | instskip(NEXT) | instid1(VALU_DEP_2)
	v_and_b32_e32 v15, 0x80, v5
	v_cmpx_gt_u64_e32 0x47600001, v[16:17]
	s_xor_b32 s15, exec_lo, s13
	s_cbranch_execz .LBB4_7627
; %bb.7614:                             ;   in Loop: Header=BB4_6688 Depth=4
	v_mov_b32_e32 v20, 0
	s_mov_b32 s75, exec_lo
	v_cmpx_ne_u32_e32 0, v4
	s_cbranch_execz .LBB4_7626
; %bb.7615:                             ;   in Loop: Header=BB4_6688 Depth=4
	v_bfe_u32 v19, v4, 23, 8
	v_or_b32_e32 v16, 0x800000, v2
	s_mov_b32 s76, exec_lo
	s_delay_alu instid0(VALU_DEP_2) | instskip(SKIP_1) | instid1(VALU_DEP_2)
	v_dual_mov_b32 v17, v3 :: v_dual_sub_nc_u32 v4, 0x71, v19
	v_cmp_gt_u32_e32 vcc_lo, 0x72, v19
	v_cndmask_b32_e32 v4, 0, v4, vcc_lo
	v_cmp_eq_u32_e32 vcc_lo, 0, v19
	v_cndmask_b32_e32 v16, v16, v2, vcc_lo
	s_delay_alu instid0(VALU_DEP_3) | instskip(NEXT) | instid1(VALU_DEP_1)
	v_cndmask_b32_e64 v20, v4, 0x70, vcc_lo
	v_dual_add_nc_u32 v4, 21, v20 :: v_dual_add_nc_u32 v21, 20, v20
	s_delay_alu instid0(VALU_DEP_1) | instskip(NEXT) | instid1(VALU_DEP_2)
	v_lshlrev_b64_e64 v[4:5], v4, -1
	v_lshlrev_b64_e64 v[64:65], v21, 1
	s_delay_alu instid0(VALU_DEP_2) | instskip(NEXT) | instid1(VALU_DEP_3)
	v_bfi_b32 v87, v5, 0, 0
	v_bfi_b32 v86, v4, 0, v16
	v_lshrrev_b64 v[4:5], v20, v[16:17]
	s_delay_alu instid0(VALU_DEP_1) | instskip(NEXT) | instid1(VALU_DEP_3)
	v_mov_b64_e32 v[16:17], v[4:5]
	v_cmpx_eq_u64_e64 v[86:87], v[64:65]
; %bb.7616:                             ;   in Loop: Header=BB4_6688 Depth=4
	v_bfe_u32 v16, v4, 21, 1
	v_mov_b32_e32 v17, v3
	s_delay_alu instid0(VALU_DEP_1) | instskip(NEXT) | instid1(VALU_DEP_1)
	v_add_nc_u64_e32 v[16:17], v[4:5], v[16:17]
	v_add_nc_u64_e32 v[16:17], -1, v[16:17]
; %bb.7617:                             ;   in Loop: Header=BB4_6688 Depth=4
	s_or_b32 exec_lo, exec_lo, s76
	v_add_nc_u32_e32 v2, 0xffffff81, v19
	s_delay_alu instid0(VALU_DEP_2) | instskip(SKIP_2) | instid1(VALU_DEP_3)
	v_and_b32_e32 v16, 0x1fffff, v16
	v_lshrrev_b32_e32 v5, 23, v4
	s_mov_b32 s13, exec_lo
	v_cndmask_b32_e64 v2, v2, 0xffffff82, vcc_lo
	s_delay_alu instid0(VALU_DEP_1) | instskip(SKIP_1) | instid1(VALU_DEP_2)
	v_add3_u32 v17, v20, v2, v5
	v_add_nc_u32_e32 v2, v16, v4
                                        ; implicit-def: $vgpr4_vgpr5
                                        ; implicit-def: $vgpr16
	v_add_nc_u32_e32 v19, 14, v17
	s_delay_alu instid0(VALU_DEP_1)
	v_cmpx_ne_u32_e32 0, v19
	s_xor_b32 s13, exec_lo, s13
; %bb.7618:                             ;   in Loop: Header=BB4_6688 Depth=4
	s_delay_alu instid0(VALU_DEP_3) | instskip(SKIP_1) | instid1(VALU_DEP_1)
	v_cmp_lt_u64_e32 vcc_lo, 0xffffff, v[2:3]
	v_add_nc_u32_e32 v4, 15, v17
	v_cndmask_b32_e32 v16, v19, v4, vcc_lo
	v_cndmask_b32_e64 v4, 0, 1, vcc_lo
	s_delay_alu instid0(VALU_DEP_1)
	v_lshrrev_b64 v[4:5], v4, v[2:3]
; %bb.7619:                             ;   in Loop: Header=BB4_6688 Depth=4
	s_and_not1_saveexec_b32 s13, s13
; %bb.7620:                             ;   in Loop: Header=BB4_6688 Depth=4
	v_mov_b64_e32 v[4:5], v[2:3]
	v_bfe_u32 v16, v2, 23, 1
; %bb.7621:                             ;   in Loop: Header=BB4_6688 Depth=4
	s_or_b32 exec_lo, exec_lo, s13
	s_delay_alu instid0(VALU_DEP_2) | instskip(NEXT) | instid1(VALU_DEP_2)
	v_lshrrev_b64 v[4:5], 21, v[4:5]
	v_cmp_gt_i32_e32 vcc_lo, 32, v16
	v_cmp_ne_u32_e64 s13, 0, v16
                                        ; implicit-def: $vgpr20
	s_delay_alu instid0(VALU_DEP_3) | instskip(NEXT) | instid1(VALU_DEP_1)
	v_dual_cndmask_b32 v5, 0, v5 :: v_dual_cndmask_b32 v4, 3, v4
	v_cmp_ne_u64_e32 vcc_lo, 0, v[4:5]
	s_or_b32 s13, s13, vcc_lo
	s_delay_alu instid0(SALU_CYCLE_1) | instskip(NEXT) | instid1(SALU_CYCLE_1)
	s_and_saveexec_b32 s76, s13
	s_xor_b32 s13, exec_lo, s76
; %bb.7622:                             ;   in Loop: Header=BB4_6688 Depth=4
	v_min_i32_e32 v2, 31, v16
	s_delay_alu instid0(VALU_DEP_1) | instskip(NEXT) | instid1(VALU_DEP_1)
	v_lshl_or_b32 v2, v2, 2, v15
                                        ; implicit-def: $vgpr15
	v_and_or_b32 v20, v4, 3, v2
; %bb.7623:                             ;   in Loop: Header=BB4_6688 Depth=4
	s_and_not1_saveexec_b32 s13, s13
; %bb.7624:                             ;   in Loop: Header=BB4_6688 Depth=4
	v_mov_b32_e32 v20, v15
; %bb.7625:                             ;   in Loop: Header=BB4_6688 Depth=4
	s_or_b32 exec_lo, exec_lo, s13
.LBB4_7626:                             ;   in Loop: Header=BB4_6688 Depth=4
	s_delay_alu instid0(SALU_CYCLE_1)
	s_or_b32 exec_lo, exec_lo, s75
                                        ; implicit-def: $vgpr15
.LBB4_7627:                             ;   in Loop: Header=BB4_6688 Depth=4
	s_and_not1_saveexec_b32 s13, s15
; %bb.7628:                             ;   in Loop: Header=BB4_6688 Depth=4
	v_or_b32_e32 v20, 0x7b, v15
; %bb.7629:                             ;   in Loop: Header=BB4_6688 Depth=4
	s_or_b32 exec_lo, exec_lo, s13
                                        ; implicit-def: $vgpr4
.LBB4_7630:                             ;   in Loop: Header=BB4_6688 Depth=4
	s_and_not1_saveexec_b32 s13, s14
	s_cbranch_execz .LBB4_7636
; %bb.7631:                             ;   in Loop: Header=BB4_6688 Depth=4
	s_mov_b32 s14, exec_lo
                                        ; implicit-def: $vgpr20
	v_cmpx_ne_u64_e32 0, v[2:3]
	s_xor_b32 s14, exec_lo, s14
; %bb.7632:                             ;   in Loop: Header=BB4_6688 Depth=4
	v_lshrrev_b32_e32 v2, 24, v4
                                        ; implicit-def: $vgpr4
	s_delay_alu instid0(VALU_DEP_1)
	v_or_b32_e32 v20, 0x7f, v2
; %bb.7633:                             ;   in Loop: Header=BB4_6688 Depth=4
	s_and_not1_saveexec_b32 s14, s14
; %bb.7634:                             ;   in Loop: Header=BB4_6688 Depth=4
	v_cmp_lt_i32_e32 vcc_lo, -1, v4
	v_cndmask_b32_e64 v20, -4, 0x7c, vcc_lo
; %bb.7635:                             ;   in Loop: Header=BB4_6688 Depth=4
	s_or_b32 exec_lo, exec_lo, s14
.LBB4_7636:                             ;   in Loop: Header=BB4_6688 Depth=4
	s_delay_alu instid0(SALU_CYCLE_1) | instskip(SKIP_3) | instid1(VALU_DEP_2)
	s_or_b32 exec_lo, exec_lo, s13
	v_and_b32_e32 v15, 0xff, v60
	v_dual_mov_b32 v2, 0 :: v_dual_mov_b32 v4, 0
	s_mov_b32 s13, exec_lo
	v_cmpx_ne_u16_e32 0, v15
	s_cbranch_execz .LBB4_7646
; %bb.7637:                             ;   in Loop: Header=BB4_6688 Depth=4
	v_bfrev_b32_e32 v4, 1
	s_mov_b32 s14, exec_lo
	v_cmpx_ne_u16_e32 0x80, v15
	s_cbranch_execz .LBB4_7645
; %bb.7638:                             ;   in Loop: Header=BB4_6688 Depth=4
	v_and_b32_e32 v4, 0x7c, v60
	v_and_b32_e32 v5, 3, v60
	s_delay_alu instid0(VALU_DEP_2) | instskip(SKIP_1) | instid1(SALU_CYCLE_1)
	v_cmp_ne_u32_e32 vcc_lo, 0x7c, v4
                                        ; implicit-def: $vgpr4
	s_and_saveexec_b32 s15, vcc_lo
	s_xor_b32 s15, exec_lo, s15
	s_cbranch_execz .LBB4_7642
; %bb.7639:                             ;   in Loop: Header=BB4_6688 Depth=4
	v_bfe_u32 v4, v15, 2, 5
	s_mov_b32 s75, exec_lo
	s_delay_alu instid0(VALU_DEP_1)
	v_cmpx_eq_u32_e32 0, v4
	s_cbranch_execz .LBB4_7641
; %bb.7640:                             ;   in Loop: Header=BB4_6688 Depth=4
	v_clz_i32_u32_e32 v4, v5
	s_delay_alu instid0(VALU_DEP_1) | instskip(SKIP_1) | instid1(VALU_DEP_2)
	v_min_u32_e32 v4, 32, v4
	v_mov_b32_e32 v61, v3
	v_subrev_nc_u32_e32 v5, 29, v4
	v_sub_nc_u32_e32 v4, 30, v4
	s_delay_alu instid0(VALU_DEP_2) | instskip(NEXT) | instid1(VALU_DEP_1)
	v_lshlrev_b64_e32 v[16:17], v5, v[60:61]
	v_and_b32_e32 v5, 3, v16
.LBB4_7641:                             ;   in Loop: Header=BB4_6688 Depth=4
	s_or_b32 exec_lo, exec_lo, s75
	v_lshlrev_b32_e32 v15, 24, v60
                                        ; implicit-def: $vgpr60
	s_delay_alu instid0(VALU_DEP_1) | instskip(NEXT) | instid1(VALU_DEP_1)
	v_and_b32_e32 v15, 0x80000000, v15
	v_lshl_add_u32 v4, v4, 23, v15
	s_delay_alu instid0(VALU_DEP_1) | instskip(NEXT) | instid1(VALU_DEP_1)
	v_lshl_or_b32 v4, v5, 21, v4
                                        ; implicit-def: $vgpr5
	v_add_nc_u32_e32 v4, 0x38000000, v4
.LBB4_7642:                             ;   in Loop: Header=BB4_6688 Depth=4
	s_and_not1_saveexec_b32 s15, s15
; %bb.7643:                             ;   in Loop: Header=BB4_6688 Depth=4
	v_bfe_i32 v4, v60, 0, 8
	s_delay_alu instid0(VALU_DEP_1) | instskip(SKIP_2) | instid1(VALU_DEP_2)
	v_cmp_lt_i16_e32 vcc_lo, -1, v4
	v_cndmask_b32_e32 v4, 0xff800000, v48, vcc_lo
	v_cmp_eq_u32_e32 vcc_lo, 0, v5
	v_cndmask_b32_e32 v4, 0x7f800001, v4, vcc_lo
; %bb.7644:                             ;   in Loop: Header=BB4_6688 Depth=4
	s_or_b32 exec_lo, exec_lo, s15
.LBB4_7645:                             ;   in Loop: Header=BB4_6688 Depth=4
	s_delay_alu instid0(SALU_CYCLE_1)
	s_or_b32 exec_lo, exec_lo, s14
.LBB4_7646:                             ;   in Loop: Header=BB4_6688 Depth=4
	s_delay_alu instid0(SALU_CYCLE_1) | instskip(NEXT) | instid1(SALU_CYCLE_1)
	s_or_b32 exec_lo, exec_lo, s13
	s_mov_b32 s13, exec_lo
	s_wait_loadcnt_dscnt 0x606
	v_cmpx_ne_u16_e32 0, v18
	s_cbranch_execz .LBB4_7656
; %bb.7647:                             ;   in Loop: Header=BB4_6688 Depth=4
	v_bfrev_b32_e32 v2, 1
	s_mov_b32 s14, exec_lo
	v_cmpx_ne_u16_e32 0xff80, v18
	s_cbranch_execz .LBB4_7655
; %bb.7648:                             ;   in Loop: Header=BB4_6688 Depth=4
	v_and_b32_e32 v2, 0x7c, v18
	v_and_b32_e32 v5, 3, v18
	s_delay_alu instid0(VALU_DEP_2) | instskip(SKIP_1) | instid1(SALU_CYCLE_1)
	v_cmp_ne_u32_e32 vcc_lo, 0x7c, v2
                                        ; implicit-def: $vgpr2
	s_and_saveexec_b32 s15, vcc_lo
	s_xor_b32 s15, exec_lo, s15
	s_cbranch_execz .LBB4_7652
; %bb.7649:                             ;   in Loop: Header=BB4_6688 Depth=4
	v_and_b32_e32 v2, 0xff, v18
	s_mov_b32 s75, exec_lo
	s_delay_alu instid0(VALU_DEP_1) | instskip(NEXT) | instid1(VALU_DEP_1)
	v_bfe_u32 v2, v2, 2, 5
	v_cmpx_eq_u32_e32 0, v2
	s_cbranch_execz .LBB4_7651
; %bb.7650:                             ;   in Loop: Header=BB4_6688 Depth=4
	v_clz_i32_u32_e32 v2, v5
	s_delay_alu instid0(VALU_DEP_1) | instskip(SKIP_1) | instid1(VALU_DEP_2)
	v_min_u32_e32 v2, 32, v2
	v_mov_b32_e32 v19, v3
	v_subrev_nc_u32_e32 v5, 29, v2
	v_sub_nc_u32_e32 v2, 30, v2
	s_delay_alu instid0(VALU_DEP_2) | instskip(NEXT) | instid1(VALU_DEP_1)
	v_lshlrev_b64_e32 v[16:17], v5, v[18:19]
	v_and_b32_e32 v5, 3, v16
.LBB4_7651:                             ;   in Loop: Header=BB4_6688 Depth=4
	s_or_b32 exec_lo, exec_lo, s75
	v_bfe_i32 v15, v18, 0, 16
                                        ; implicit-def: $vgpr18
	s_delay_alu instid0(VALU_DEP_1) | instskip(NEXT) | instid1(VALU_DEP_1)
	v_and_b32_e32 v15, 0x80000000, v15
	v_lshl_add_u32 v2, v2, 23, v15
	s_delay_alu instid0(VALU_DEP_1) | instskip(NEXT) | instid1(VALU_DEP_1)
	v_lshl_or_b32 v2, v5, 21, v2
                                        ; implicit-def: $vgpr5
	v_add_nc_u32_e32 v2, 0x38000000, v2
.LBB4_7652:                             ;   in Loop: Header=BB4_6688 Depth=4
	s_and_not1_saveexec_b32 s15, s15
; %bb.7653:                             ;   in Loop: Header=BB4_6688 Depth=4
	v_cmp_lt_i16_e32 vcc_lo, -1, v18
	v_cndmask_b32_e32 v2, 0xff800000, v48, vcc_lo
	v_cmp_eq_u32_e32 vcc_lo, 0, v5
	s_delay_alu instid0(VALU_DEP_2)
	v_cndmask_b32_e32 v2, 0x7f800001, v2, vcc_lo
; %bb.7654:                             ;   in Loop: Header=BB4_6688 Depth=4
	s_or_b32 exec_lo, exec_lo, s15
.LBB4_7655:                             ;   in Loop: Header=BB4_6688 Depth=4
	s_delay_alu instid0(SALU_CYCLE_1)
	s_or_b32 exec_lo, exec_lo, s14
.LBB4_7656:                             ;   in Loop: Header=BB4_6688 Depth=4
	s_delay_alu instid0(SALU_CYCLE_1) | instskip(NEXT) | instid1(VALU_DEP_1)
	s_or_b32 exec_lo, exec_lo, s13
	v_dual_add_f32 v4, v4, v2 :: v_dual_mov_b32 v17, v3
                                        ; implicit-def: $vgpr18
	s_mov_b32 s13, exec_lo
	s_delay_alu instid0(VALU_DEP_1) | instskip(SKIP_1) | instid1(VALU_DEP_2)
	v_and_b32_e32 v16, 0x7f800000, v4
	v_and_b32_e32 v2, 0x7fffff, v4
	v_cmpx_ne_u64_e32 0x7f800000, v[16:17]
	s_xor_b32 s14, exec_lo, s13
	s_cbranch_execz .LBB4_7674
; %bb.7657:                             ;   in Loop: Header=BB4_6688 Depth=4
	v_dual_mov_b32 v17, v3 :: v_dual_lshrrev_b32 v5, 24, v4
	v_and_b32_e32 v16, 0x7fffffff, v4
                                        ; implicit-def: $vgpr18
	s_mov_b32 s13, exec_lo
	s_delay_alu instid0(VALU_DEP_2) | instskip(NEXT) | instid1(VALU_DEP_2)
	v_and_b32_e32 v15, 0x80, v5
	v_cmpx_gt_u64_e32 0x47600001, v[16:17]
	s_xor_b32 s15, exec_lo, s13
	s_cbranch_execz .LBB4_7671
; %bb.7658:                             ;   in Loop: Header=BB4_6688 Depth=4
	v_mov_b32_e32 v18, 0
	s_mov_b32 s75, exec_lo
	v_cmpx_ne_u32_e32 0, v4
	s_cbranch_execz .LBB4_7670
; %bb.7659:                             ;   in Loop: Header=BB4_6688 Depth=4
	v_bfe_u32 v18, v4, 23, 8
	v_or_b32_e32 v16, 0x800000, v2
	s_mov_b32 s76, exec_lo
	s_delay_alu instid0(VALU_DEP_2) | instskip(SKIP_1) | instid1(VALU_DEP_2)
	v_dual_mov_b32 v17, v3 :: v_dual_sub_nc_u32 v4, 0x71, v18
	v_cmp_gt_u32_e32 vcc_lo, 0x72, v18
	v_cndmask_b32_e32 v4, 0, v4, vcc_lo
	v_cmp_eq_u32_e32 vcc_lo, 0, v18
	s_delay_alu instid0(VALU_DEP_2) | instskip(NEXT) | instid1(VALU_DEP_1)
	v_cndmask_b32_e64 v19, v4, 0x70, vcc_lo
	v_dual_cndmask_b32 v16, v16, v2, vcc_lo :: v_dual_add_nc_u32 v4, 21, v19
	v_add_nc_u32_e32 v21, 20, v19
	s_delay_alu instid0(VALU_DEP_2) | instskip(NEXT) | instid1(VALU_DEP_2)
	v_lshlrev_b64_e64 v[4:5], v4, -1
	v_lshlrev_b64_e64 v[64:65], v21, 1
	s_delay_alu instid0(VALU_DEP_2) | instskip(NEXT) | instid1(VALU_DEP_3)
	v_bfi_b32 v87, v5, 0, 0
	v_bfi_b32 v86, v4, 0, v16
	v_lshrrev_b64 v[4:5], v19, v[16:17]
	s_delay_alu instid0(VALU_DEP_1) | instskip(NEXT) | instid1(VALU_DEP_3)
	v_mov_b64_e32 v[16:17], v[4:5]
	v_cmpx_eq_u64_e64 v[86:87], v[64:65]
; %bb.7660:                             ;   in Loop: Header=BB4_6688 Depth=4
	v_bfe_u32 v16, v4, 21, 1
	v_mov_b32_e32 v17, v3
	s_delay_alu instid0(VALU_DEP_1) | instskip(NEXT) | instid1(VALU_DEP_1)
	v_add_nc_u64_e32 v[16:17], v[4:5], v[16:17]
	v_add_nc_u64_e32 v[16:17], -1, v[16:17]
; %bb.7661:                             ;   in Loop: Header=BB4_6688 Depth=4
	s_or_b32 exec_lo, exec_lo, s76
	v_add_nc_u32_e32 v2, 0xffffff81, v18
	s_delay_alu instid0(VALU_DEP_2) | instskip(SKIP_2) | instid1(VALU_DEP_3)
	v_and_b32_e32 v16, 0x1fffff, v16
	v_lshrrev_b32_e32 v5, 23, v4
	s_mov_b32 s13, exec_lo
	v_cndmask_b32_e64 v2, v2, 0xffffff82, vcc_lo
	s_delay_alu instid0(VALU_DEP_1) | instskip(SKIP_1) | instid1(VALU_DEP_2)
	v_add3_u32 v17, v19, v2, v5
	v_add_nc_u32_e32 v2, v16, v4
                                        ; implicit-def: $vgpr4_vgpr5
                                        ; implicit-def: $vgpr16
	v_add_nc_u32_e32 v18, 14, v17
	s_delay_alu instid0(VALU_DEP_1)
	v_cmpx_ne_u32_e32 0, v18
	s_xor_b32 s13, exec_lo, s13
; %bb.7662:                             ;   in Loop: Header=BB4_6688 Depth=4
	s_delay_alu instid0(VALU_DEP_3) | instskip(SKIP_1) | instid1(VALU_DEP_1)
	v_cmp_lt_u64_e32 vcc_lo, 0xffffff, v[2:3]
	v_add_nc_u32_e32 v4, 15, v17
	v_cndmask_b32_e32 v16, v18, v4, vcc_lo
	v_cndmask_b32_e64 v4, 0, 1, vcc_lo
	s_delay_alu instid0(VALU_DEP_1)
	v_lshrrev_b64 v[4:5], v4, v[2:3]
; %bb.7663:                             ;   in Loop: Header=BB4_6688 Depth=4
	s_and_not1_saveexec_b32 s13, s13
; %bb.7664:                             ;   in Loop: Header=BB4_6688 Depth=4
	v_mov_b64_e32 v[4:5], v[2:3]
	v_bfe_u32 v16, v2, 23, 1
; %bb.7665:                             ;   in Loop: Header=BB4_6688 Depth=4
	s_or_b32 exec_lo, exec_lo, s13
	s_delay_alu instid0(VALU_DEP_2) | instskip(NEXT) | instid1(VALU_DEP_2)
	v_lshrrev_b64 v[4:5], 21, v[4:5]
	v_cmp_gt_i32_e32 vcc_lo, 32, v16
	v_cmp_ne_u32_e64 s13, 0, v16
                                        ; implicit-def: $vgpr18
	s_delay_alu instid0(VALU_DEP_3) | instskip(NEXT) | instid1(VALU_DEP_1)
	v_dual_cndmask_b32 v5, 0, v5 :: v_dual_cndmask_b32 v4, 3, v4
	v_cmp_ne_u64_e32 vcc_lo, 0, v[4:5]
	s_or_b32 s13, s13, vcc_lo
	s_delay_alu instid0(SALU_CYCLE_1) | instskip(NEXT) | instid1(SALU_CYCLE_1)
	s_and_saveexec_b32 s76, s13
	s_xor_b32 s13, exec_lo, s76
; %bb.7666:                             ;   in Loop: Header=BB4_6688 Depth=4
	v_min_i32_e32 v2, 31, v16
	s_delay_alu instid0(VALU_DEP_1) | instskip(NEXT) | instid1(VALU_DEP_1)
	v_lshl_or_b32 v2, v2, 2, v15
                                        ; implicit-def: $vgpr15
	v_and_or_b32 v18, v4, 3, v2
; %bb.7667:                             ;   in Loop: Header=BB4_6688 Depth=4
	s_and_not1_saveexec_b32 s13, s13
; %bb.7668:                             ;   in Loop: Header=BB4_6688 Depth=4
	v_mov_b32_e32 v18, v15
; %bb.7669:                             ;   in Loop: Header=BB4_6688 Depth=4
	s_or_b32 exec_lo, exec_lo, s13
.LBB4_7670:                             ;   in Loop: Header=BB4_6688 Depth=4
	s_delay_alu instid0(SALU_CYCLE_1)
	s_or_b32 exec_lo, exec_lo, s75
                                        ; implicit-def: $vgpr15
.LBB4_7671:                             ;   in Loop: Header=BB4_6688 Depth=4
	s_and_not1_saveexec_b32 s13, s15
; %bb.7672:                             ;   in Loop: Header=BB4_6688 Depth=4
	v_or_b32_e32 v18, 0x7b, v15
; %bb.7673:                             ;   in Loop: Header=BB4_6688 Depth=4
	s_or_b32 exec_lo, exec_lo, s13
                                        ; implicit-def: $vgpr4
.LBB4_7674:                             ;   in Loop: Header=BB4_6688 Depth=4
	s_and_not1_saveexec_b32 s13, s14
	s_cbranch_execz .LBB4_7680
; %bb.7675:                             ;   in Loop: Header=BB4_6688 Depth=4
	s_mov_b32 s14, exec_lo
                                        ; implicit-def: $vgpr18
	v_cmpx_ne_u64_e32 0, v[2:3]
	s_xor_b32 s14, exec_lo, s14
; %bb.7676:                             ;   in Loop: Header=BB4_6688 Depth=4
	v_lshrrev_b32_e32 v2, 24, v4
                                        ; implicit-def: $vgpr4
	s_delay_alu instid0(VALU_DEP_1)
	v_or_b32_e32 v18, 0x7f, v2
; %bb.7677:                             ;   in Loop: Header=BB4_6688 Depth=4
	s_and_not1_saveexec_b32 s14, s14
; %bb.7678:                             ;   in Loop: Header=BB4_6688 Depth=4
	v_cmp_lt_i32_e32 vcc_lo, -1, v4
	v_cndmask_b32_e64 v18, -4, 0x7c, vcc_lo
; %bb.7679:                             ;   in Loop: Header=BB4_6688 Depth=4
	s_or_b32 exec_lo, exec_lo, s14
.LBB4_7680:                             ;   in Loop: Header=BB4_6688 Depth=4
	s_delay_alu instid0(SALU_CYCLE_1) | instskip(SKIP_3) | instid1(VALU_DEP_2)
	s_or_b32 exec_lo, exec_lo, s13
	v_and_b32_e32 v15, 0xff, v56
	v_dual_mov_b32 v2, 0 :: v_dual_mov_b32 v4, 0
	s_mov_b32 s13, exec_lo
	v_cmpx_ne_u16_e32 0, v15
	s_cbranch_execz .LBB4_7690
; %bb.7681:                             ;   in Loop: Header=BB4_6688 Depth=4
	v_bfrev_b32_e32 v4, 1
	s_mov_b32 s14, exec_lo
	v_cmpx_ne_u16_e32 0x80, v15
	s_cbranch_execz .LBB4_7689
; %bb.7682:                             ;   in Loop: Header=BB4_6688 Depth=4
	v_and_b32_e32 v4, 0x7c, v56
	v_and_b32_e32 v5, 3, v56
	s_delay_alu instid0(VALU_DEP_2) | instskip(SKIP_1) | instid1(SALU_CYCLE_1)
	v_cmp_ne_u32_e32 vcc_lo, 0x7c, v4
                                        ; implicit-def: $vgpr4
	s_and_saveexec_b32 s15, vcc_lo
	s_xor_b32 s15, exec_lo, s15
	s_cbranch_execz .LBB4_7686
; %bb.7683:                             ;   in Loop: Header=BB4_6688 Depth=4
	v_bfe_u32 v4, v15, 2, 5
	s_mov_b32 s75, exec_lo
	s_delay_alu instid0(VALU_DEP_1)
	v_cmpx_eq_u32_e32 0, v4
	s_cbranch_execz .LBB4_7685
; %bb.7684:                             ;   in Loop: Header=BB4_6688 Depth=4
	v_clz_i32_u32_e32 v4, v5
	s_delay_alu instid0(VALU_DEP_1) | instskip(SKIP_1) | instid1(VALU_DEP_2)
	v_min_u32_e32 v4, 32, v4
	v_mov_b32_e32 v57, v3
	v_subrev_nc_u32_e32 v5, 29, v4
	v_sub_nc_u32_e32 v4, 30, v4
	s_delay_alu instid0(VALU_DEP_2) | instskip(NEXT) | instid1(VALU_DEP_1)
	v_lshlrev_b64_e32 v[16:17], v5, v[56:57]
	v_and_b32_e32 v5, 3, v16
.LBB4_7685:                             ;   in Loop: Header=BB4_6688 Depth=4
	s_or_b32 exec_lo, exec_lo, s75
	v_lshlrev_b32_e32 v15, 24, v56
                                        ; implicit-def: $vgpr56
	s_delay_alu instid0(VALU_DEP_1) | instskip(NEXT) | instid1(VALU_DEP_1)
	v_and_b32_e32 v15, 0x80000000, v15
	v_lshl_add_u32 v4, v4, 23, v15
	s_delay_alu instid0(VALU_DEP_1) | instskip(NEXT) | instid1(VALU_DEP_1)
	v_lshl_or_b32 v4, v5, 21, v4
                                        ; implicit-def: $vgpr5
	v_add_nc_u32_e32 v4, 0x38000000, v4
.LBB4_7686:                             ;   in Loop: Header=BB4_6688 Depth=4
	s_and_not1_saveexec_b32 s15, s15
; %bb.7687:                             ;   in Loop: Header=BB4_6688 Depth=4
	v_bfe_i32 v4, v56, 0, 8
	s_delay_alu instid0(VALU_DEP_1) | instskip(SKIP_2) | instid1(VALU_DEP_2)
	v_cmp_lt_i16_e32 vcc_lo, -1, v4
	v_cndmask_b32_e32 v4, 0xff800000, v48, vcc_lo
	v_cmp_eq_u32_e32 vcc_lo, 0, v5
	v_cndmask_b32_e32 v4, 0x7f800001, v4, vcc_lo
; %bb.7688:                             ;   in Loop: Header=BB4_6688 Depth=4
	s_or_b32 exec_lo, exec_lo, s15
.LBB4_7689:                             ;   in Loop: Header=BB4_6688 Depth=4
	s_delay_alu instid0(SALU_CYCLE_1)
	s_or_b32 exec_lo, exec_lo, s14
.LBB4_7690:                             ;   in Loop: Header=BB4_6688 Depth=4
	s_delay_alu instid0(SALU_CYCLE_1) | instskip(NEXT) | instid1(SALU_CYCLE_1)
	s_or_b32 exec_lo, exec_lo, s13
	s_mov_b32 s13, exec_lo
	s_wait_loadcnt_dscnt 0x505
	v_cmpx_ne_u16_e32 0, v110
	s_cbranch_execz .LBB4_7700
; %bb.7691:                             ;   in Loop: Header=BB4_6688 Depth=4
	v_bfrev_b32_e32 v2, 1
	s_mov_b32 s14, exec_lo
	v_cmpx_ne_u16_e32 0xff80, v110
	s_cbranch_execz .LBB4_7699
; %bb.7692:                             ;   in Loop: Header=BB4_6688 Depth=4
	v_and_b32_e32 v2, 0x7c, v110
	v_and_b32_e32 v5, 3, v110
	s_delay_alu instid0(VALU_DEP_2) | instskip(SKIP_1) | instid1(SALU_CYCLE_1)
	v_cmp_ne_u32_e32 vcc_lo, 0x7c, v2
                                        ; implicit-def: $vgpr2
	s_and_saveexec_b32 s15, vcc_lo
	s_xor_b32 s15, exec_lo, s15
	s_cbranch_execz .LBB4_7696
; %bb.7693:                             ;   in Loop: Header=BB4_6688 Depth=4
	v_and_b32_e32 v2, 0xff, v110
	s_mov_b32 s75, exec_lo
	s_delay_alu instid0(VALU_DEP_1) | instskip(NEXT) | instid1(VALU_DEP_1)
	v_bfe_u32 v2, v2, 2, 5
	v_cmpx_eq_u32_e32 0, v2
	s_cbranch_execz .LBB4_7695
; %bb.7694:                             ;   in Loop: Header=BB4_6688 Depth=4
	v_clz_i32_u32_e32 v2, v5
	s_delay_alu instid0(VALU_DEP_1) | instskip(SKIP_1) | instid1(VALU_DEP_2)
	v_min_u32_e32 v2, 32, v2
	v_mov_b32_e32 v111, v3
	v_subrev_nc_u32_e32 v5, 29, v2
	v_sub_nc_u32_e32 v2, 30, v2
	s_delay_alu instid0(VALU_DEP_2) | instskip(NEXT) | instid1(VALU_DEP_1)
	v_lshlrev_b64_e32 v[16:17], v5, v[110:111]
	v_and_b32_e32 v5, 3, v16
.LBB4_7695:                             ;   in Loop: Header=BB4_6688 Depth=4
	s_or_b32 exec_lo, exec_lo, s75
	v_bfe_i32 v15, v110, 0, 16
                                        ; implicit-def: $vgpr110
	s_delay_alu instid0(VALU_DEP_1) | instskip(NEXT) | instid1(VALU_DEP_1)
	v_and_b32_e32 v15, 0x80000000, v15
	v_lshl_add_u32 v2, v2, 23, v15
	s_delay_alu instid0(VALU_DEP_1) | instskip(NEXT) | instid1(VALU_DEP_1)
	v_lshl_or_b32 v2, v5, 21, v2
                                        ; implicit-def: $vgpr5
	v_add_nc_u32_e32 v2, 0x38000000, v2
.LBB4_7696:                             ;   in Loop: Header=BB4_6688 Depth=4
	s_and_not1_saveexec_b32 s15, s15
; %bb.7697:                             ;   in Loop: Header=BB4_6688 Depth=4
	v_cmp_lt_i16_e32 vcc_lo, -1, v110
	v_cndmask_b32_e32 v2, 0xff800000, v48, vcc_lo
	v_cmp_eq_u32_e32 vcc_lo, 0, v5
	s_delay_alu instid0(VALU_DEP_2)
	v_cndmask_b32_e32 v2, 0x7f800001, v2, vcc_lo
; %bb.7698:                             ;   in Loop: Header=BB4_6688 Depth=4
	s_or_b32 exec_lo, exec_lo, s15
.LBB4_7699:                             ;   in Loop: Header=BB4_6688 Depth=4
	s_delay_alu instid0(SALU_CYCLE_1)
	s_or_b32 exec_lo, exec_lo, s14
.LBB4_7700:                             ;   in Loop: Header=BB4_6688 Depth=4
	s_delay_alu instid0(SALU_CYCLE_1) | instskip(NEXT) | instid1(VALU_DEP_1)
	s_or_b32 exec_lo, exec_lo, s13
	v_dual_add_f32 v4, v4, v2 :: v_dual_mov_b32 v17, v3
                                        ; implicit-def: $vgpr19
	s_mov_b32 s13, exec_lo
	s_delay_alu instid0(VALU_DEP_1) | instskip(SKIP_1) | instid1(VALU_DEP_2)
	v_and_b32_e32 v16, 0x7f800000, v4
	v_and_b32_e32 v2, 0x7fffff, v4
	v_cmpx_ne_u64_e32 0x7f800000, v[16:17]
	s_xor_b32 s14, exec_lo, s13
	s_cbranch_execz .LBB4_7718
; %bb.7701:                             ;   in Loop: Header=BB4_6688 Depth=4
	v_dual_mov_b32 v17, v3 :: v_dual_lshrrev_b32 v5, 24, v4
	v_and_b32_e32 v16, 0x7fffffff, v4
                                        ; implicit-def: $vgpr19
	s_mov_b32 s13, exec_lo
	s_delay_alu instid0(VALU_DEP_2) | instskip(NEXT) | instid1(VALU_DEP_2)
	v_and_b32_e32 v15, 0x80, v5
	v_cmpx_gt_u64_e32 0x47600001, v[16:17]
	s_xor_b32 s15, exec_lo, s13
	s_cbranch_execz .LBB4_7715
; %bb.7702:                             ;   in Loop: Header=BB4_6688 Depth=4
	v_mov_b32_e32 v19, 0
	s_mov_b32 s75, exec_lo
	v_cmpx_ne_u32_e32 0, v4
	s_cbranch_execz .LBB4_7714
; %bb.7703:                             ;   in Loop: Header=BB4_6688 Depth=4
	v_bfe_u32 v19, v4, 23, 8
	v_or_b32_e32 v16, 0x800000, v2
	s_mov_b32 s76, exec_lo
	s_delay_alu instid0(VALU_DEP_2) | instskip(SKIP_1) | instid1(VALU_DEP_2)
	v_dual_mov_b32 v17, v3 :: v_dual_sub_nc_u32 v4, 0x71, v19
	v_cmp_gt_u32_e32 vcc_lo, 0x72, v19
	v_cndmask_b32_e32 v4, 0, v4, vcc_lo
	v_cmp_eq_u32_e32 vcc_lo, 0, v19
	s_delay_alu instid0(VALU_DEP_2) | instskip(NEXT) | instid1(VALU_DEP_1)
	v_cndmask_b32_e64 v21, v4, 0x70, vcc_lo
	v_dual_cndmask_b32 v16, v16, v2, vcc_lo :: v_dual_add_nc_u32 v4, 21, v21
	v_add_nc_u32_e32 v31, 20, v21
	s_delay_alu instid0(VALU_DEP_2) | instskip(NEXT) | instid1(VALU_DEP_2)
	v_lshlrev_b64_e64 v[4:5], v4, -1
	v_lshlrev_b64_e64 v[64:65], v31, 1
	s_delay_alu instid0(VALU_DEP_2) | instskip(NEXT) | instid1(VALU_DEP_3)
	v_bfi_b32 v87, v5, 0, 0
	v_bfi_b32 v86, v4, 0, v16
	v_lshrrev_b64 v[4:5], v21, v[16:17]
	s_delay_alu instid0(VALU_DEP_1) | instskip(NEXT) | instid1(VALU_DEP_3)
	v_mov_b64_e32 v[16:17], v[4:5]
	v_cmpx_eq_u64_e64 v[86:87], v[64:65]
; %bb.7704:                             ;   in Loop: Header=BB4_6688 Depth=4
	v_bfe_u32 v16, v4, 21, 1
	v_mov_b32_e32 v17, v3
	s_delay_alu instid0(VALU_DEP_1) | instskip(NEXT) | instid1(VALU_DEP_1)
	v_add_nc_u64_e32 v[16:17], v[4:5], v[16:17]
	v_add_nc_u64_e32 v[16:17], -1, v[16:17]
; %bb.7705:                             ;   in Loop: Header=BB4_6688 Depth=4
	s_or_b32 exec_lo, exec_lo, s76
	v_add_nc_u32_e32 v2, 0xffffff81, v19
	s_delay_alu instid0(VALU_DEP_2) | instskip(SKIP_2) | instid1(VALU_DEP_3)
	v_and_b32_e32 v16, 0x1fffff, v16
	v_lshrrev_b32_e32 v5, 23, v4
	s_mov_b32 s13, exec_lo
	v_cndmask_b32_e64 v2, v2, 0xffffff82, vcc_lo
	s_delay_alu instid0(VALU_DEP_1) | instskip(SKIP_1) | instid1(VALU_DEP_2)
	v_add3_u32 v17, v21, v2, v5
	v_add_nc_u32_e32 v2, v16, v4
                                        ; implicit-def: $vgpr4_vgpr5
                                        ; implicit-def: $vgpr16
	v_add_nc_u32_e32 v19, 14, v17
	s_delay_alu instid0(VALU_DEP_1)
	v_cmpx_ne_u32_e32 0, v19
	s_xor_b32 s13, exec_lo, s13
; %bb.7706:                             ;   in Loop: Header=BB4_6688 Depth=4
	s_delay_alu instid0(VALU_DEP_3) | instskip(SKIP_1) | instid1(VALU_DEP_1)
	v_cmp_lt_u64_e32 vcc_lo, 0xffffff, v[2:3]
	v_add_nc_u32_e32 v4, 15, v17
	v_cndmask_b32_e32 v16, v19, v4, vcc_lo
	v_cndmask_b32_e64 v4, 0, 1, vcc_lo
	s_delay_alu instid0(VALU_DEP_1)
	v_lshrrev_b64 v[4:5], v4, v[2:3]
; %bb.7707:                             ;   in Loop: Header=BB4_6688 Depth=4
	s_and_not1_saveexec_b32 s13, s13
; %bb.7708:                             ;   in Loop: Header=BB4_6688 Depth=4
	v_mov_b64_e32 v[4:5], v[2:3]
	v_bfe_u32 v16, v2, 23, 1
; %bb.7709:                             ;   in Loop: Header=BB4_6688 Depth=4
	s_or_b32 exec_lo, exec_lo, s13
	s_delay_alu instid0(VALU_DEP_2) | instskip(NEXT) | instid1(VALU_DEP_2)
	v_lshrrev_b64 v[4:5], 21, v[4:5]
	v_cmp_gt_i32_e32 vcc_lo, 32, v16
	v_cmp_ne_u32_e64 s13, 0, v16
                                        ; implicit-def: $vgpr19
	s_delay_alu instid0(VALU_DEP_3) | instskip(NEXT) | instid1(VALU_DEP_1)
	v_dual_cndmask_b32 v5, 0, v5 :: v_dual_cndmask_b32 v4, 3, v4
	v_cmp_ne_u64_e32 vcc_lo, 0, v[4:5]
	s_or_b32 s13, s13, vcc_lo
	s_delay_alu instid0(SALU_CYCLE_1) | instskip(NEXT) | instid1(SALU_CYCLE_1)
	s_and_saveexec_b32 s76, s13
	s_xor_b32 s13, exec_lo, s76
; %bb.7710:                             ;   in Loop: Header=BB4_6688 Depth=4
	v_min_i32_e32 v2, 31, v16
	s_delay_alu instid0(VALU_DEP_1) | instskip(NEXT) | instid1(VALU_DEP_1)
	v_lshl_or_b32 v2, v2, 2, v15
                                        ; implicit-def: $vgpr15
	v_and_or_b32 v19, v4, 3, v2
; %bb.7711:                             ;   in Loop: Header=BB4_6688 Depth=4
	s_and_not1_saveexec_b32 s13, s13
; %bb.7712:                             ;   in Loop: Header=BB4_6688 Depth=4
	v_mov_b32_e32 v19, v15
; %bb.7713:                             ;   in Loop: Header=BB4_6688 Depth=4
	s_or_b32 exec_lo, exec_lo, s13
.LBB4_7714:                             ;   in Loop: Header=BB4_6688 Depth=4
	s_delay_alu instid0(SALU_CYCLE_1)
	s_or_b32 exec_lo, exec_lo, s75
                                        ; implicit-def: $vgpr15
.LBB4_7715:                             ;   in Loop: Header=BB4_6688 Depth=4
	s_and_not1_saveexec_b32 s13, s15
; %bb.7716:                             ;   in Loop: Header=BB4_6688 Depth=4
	v_or_b32_e32 v19, 0x7b, v15
; %bb.7717:                             ;   in Loop: Header=BB4_6688 Depth=4
	s_or_b32 exec_lo, exec_lo, s13
                                        ; implicit-def: $vgpr4
.LBB4_7718:                             ;   in Loop: Header=BB4_6688 Depth=4
	s_and_not1_saveexec_b32 s13, s14
	s_cbranch_execz .LBB4_7724
; %bb.7719:                             ;   in Loop: Header=BB4_6688 Depth=4
	s_mov_b32 s14, exec_lo
                                        ; implicit-def: $vgpr19
	v_cmpx_ne_u64_e32 0, v[2:3]
	s_xor_b32 s14, exec_lo, s14
; %bb.7720:                             ;   in Loop: Header=BB4_6688 Depth=4
	v_lshrrev_b32_e32 v2, 24, v4
                                        ; implicit-def: $vgpr4
	s_delay_alu instid0(VALU_DEP_1)
	v_or_b32_e32 v19, 0x7f, v2
; %bb.7721:                             ;   in Loop: Header=BB4_6688 Depth=4
	s_and_not1_saveexec_b32 s14, s14
; %bb.7722:                             ;   in Loop: Header=BB4_6688 Depth=4
	v_cmp_lt_i32_e32 vcc_lo, -1, v4
	v_cndmask_b32_e64 v19, -4, 0x7c, vcc_lo
; %bb.7723:                             ;   in Loop: Header=BB4_6688 Depth=4
	s_or_b32 exec_lo, exec_lo, s14
.LBB4_7724:                             ;   in Loop: Header=BB4_6688 Depth=4
	s_delay_alu instid0(SALU_CYCLE_1) | instskip(SKIP_3) | instid1(VALU_DEP_2)
	s_or_b32 exec_lo, exec_lo, s13
	v_and_b32_e32 v15, 0xff, v46
	v_dual_mov_b32 v2, 0 :: v_dual_mov_b32 v4, 0
	s_mov_b32 s13, exec_lo
	v_cmpx_ne_u16_e32 0, v15
	s_cbranch_execz .LBB4_7734
; %bb.7725:                             ;   in Loop: Header=BB4_6688 Depth=4
	v_bfrev_b32_e32 v4, 1
	s_mov_b32 s14, exec_lo
	v_cmpx_ne_u16_e32 0x80, v15
	s_cbranch_execz .LBB4_7733
; %bb.7726:                             ;   in Loop: Header=BB4_6688 Depth=4
	v_and_b32_e32 v4, 0x7c, v46
	v_and_b32_e32 v5, 3, v46
	s_delay_alu instid0(VALU_DEP_2) | instskip(SKIP_1) | instid1(SALU_CYCLE_1)
	v_cmp_ne_u32_e32 vcc_lo, 0x7c, v4
                                        ; implicit-def: $vgpr4
	s_and_saveexec_b32 s15, vcc_lo
	s_xor_b32 s15, exec_lo, s15
	s_cbranch_execz .LBB4_7730
; %bb.7727:                             ;   in Loop: Header=BB4_6688 Depth=4
	v_bfe_u32 v4, v15, 2, 5
	s_mov_b32 s75, exec_lo
	s_delay_alu instid0(VALU_DEP_1)
	v_cmpx_eq_u32_e32 0, v4
	s_cbranch_execz .LBB4_7729
; %bb.7728:                             ;   in Loop: Header=BB4_6688 Depth=4
	v_clz_i32_u32_e32 v4, v5
	s_delay_alu instid0(VALU_DEP_1) | instskip(SKIP_1) | instid1(VALU_DEP_2)
	v_min_u32_e32 v4, 32, v4
	v_mov_b32_e32 v47, v3
	v_subrev_nc_u32_e32 v5, 29, v4
	v_sub_nc_u32_e32 v4, 30, v4
	s_delay_alu instid0(VALU_DEP_2) | instskip(NEXT) | instid1(VALU_DEP_1)
	v_lshlrev_b64_e32 v[16:17], v5, v[46:47]
	v_and_b32_e32 v5, 3, v16
.LBB4_7729:                             ;   in Loop: Header=BB4_6688 Depth=4
	s_or_b32 exec_lo, exec_lo, s75
	v_lshlrev_b32_e32 v15, 24, v46
                                        ; implicit-def: $vgpr46
	s_delay_alu instid0(VALU_DEP_1) | instskip(NEXT) | instid1(VALU_DEP_1)
	v_and_b32_e32 v15, 0x80000000, v15
	v_lshl_add_u32 v4, v4, 23, v15
	s_delay_alu instid0(VALU_DEP_1) | instskip(NEXT) | instid1(VALU_DEP_1)
	v_lshl_or_b32 v4, v5, 21, v4
                                        ; implicit-def: $vgpr5
	v_add_nc_u32_e32 v4, 0x38000000, v4
.LBB4_7730:                             ;   in Loop: Header=BB4_6688 Depth=4
	s_and_not1_saveexec_b32 s15, s15
; %bb.7731:                             ;   in Loop: Header=BB4_6688 Depth=4
	v_bfe_i32 v4, v46, 0, 8
	s_delay_alu instid0(VALU_DEP_1) | instskip(SKIP_2) | instid1(VALU_DEP_2)
	v_cmp_lt_i16_e32 vcc_lo, -1, v4
	v_cndmask_b32_e32 v4, 0xff800000, v48, vcc_lo
	v_cmp_eq_u32_e32 vcc_lo, 0, v5
	v_cndmask_b32_e32 v4, 0x7f800001, v4, vcc_lo
; %bb.7732:                             ;   in Loop: Header=BB4_6688 Depth=4
	s_or_b32 exec_lo, exec_lo, s15
.LBB4_7733:                             ;   in Loop: Header=BB4_6688 Depth=4
	s_delay_alu instid0(SALU_CYCLE_1)
	s_or_b32 exec_lo, exec_lo, s14
.LBB4_7734:                             ;   in Loop: Header=BB4_6688 Depth=4
	s_delay_alu instid0(SALU_CYCLE_1) | instskip(NEXT) | instid1(SALU_CYCLE_1)
	s_or_b32 exec_lo, exec_lo, s13
	s_mov_b32 s13, exec_lo
	s_wait_loadcnt_dscnt 0x404
	v_cmpx_ne_u16_e32 0, v108
	s_cbranch_execz .LBB4_7744
; %bb.7735:                             ;   in Loop: Header=BB4_6688 Depth=4
	v_bfrev_b32_e32 v2, 1
	s_mov_b32 s14, exec_lo
	v_cmpx_ne_u16_e32 0xff80, v108
	s_cbranch_execz .LBB4_7743
; %bb.7736:                             ;   in Loop: Header=BB4_6688 Depth=4
	v_and_b32_e32 v2, 0x7c, v108
	v_and_b32_e32 v5, 3, v108
	s_delay_alu instid0(VALU_DEP_2) | instskip(SKIP_1) | instid1(SALU_CYCLE_1)
	v_cmp_ne_u32_e32 vcc_lo, 0x7c, v2
                                        ; implicit-def: $vgpr2
	s_and_saveexec_b32 s15, vcc_lo
	s_xor_b32 s15, exec_lo, s15
	s_cbranch_execz .LBB4_7740
; %bb.7737:                             ;   in Loop: Header=BB4_6688 Depth=4
	v_and_b32_e32 v2, 0xff, v108
	s_mov_b32 s75, exec_lo
	s_delay_alu instid0(VALU_DEP_1) | instskip(NEXT) | instid1(VALU_DEP_1)
	v_bfe_u32 v2, v2, 2, 5
	v_cmpx_eq_u32_e32 0, v2
	s_cbranch_execz .LBB4_7739
; %bb.7738:                             ;   in Loop: Header=BB4_6688 Depth=4
	v_clz_i32_u32_e32 v2, v5
	s_delay_alu instid0(VALU_DEP_1) | instskip(SKIP_1) | instid1(VALU_DEP_2)
	v_min_u32_e32 v2, 32, v2
	v_mov_b32_e32 v109, v3
	v_subrev_nc_u32_e32 v5, 29, v2
	v_sub_nc_u32_e32 v2, 30, v2
	s_delay_alu instid0(VALU_DEP_2) | instskip(NEXT) | instid1(VALU_DEP_1)
	v_lshlrev_b64_e32 v[16:17], v5, v[108:109]
	v_and_b32_e32 v5, 3, v16
.LBB4_7739:                             ;   in Loop: Header=BB4_6688 Depth=4
	s_or_b32 exec_lo, exec_lo, s75
	v_bfe_i32 v15, v108, 0, 16
                                        ; implicit-def: $vgpr108
	s_delay_alu instid0(VALU_DEP_1) | instskip(NEXT) | instid1(VALU_DEP_1)
	v_and_b32_e32 v15, 0x80000000, v15
	v_lshl_add_u32 v2, v2, 23, v15
	s_delay_alu instid0(VALU_DEP_1) | instskip(NEXT) | instid1(VALU_DEP_1)
	v_lshl_or_b32 v2, v5, 21, v2
                                        ; implicit-def: $vgpr5
	v_add_nc_u32_e32 v2, 0x38000000, v2
.LBB4_7740:                             ;   in Loop: Header=BB4_6688 Depth=4
	s_and_not1_saveexec_b32 s15, s15
; %bb.7741:                             ;   in Loop: Header=BB4_6688 Depth=4
	v_cmp_lt_i16_e32 vcc_lo, -1, v108
	v_cndmask_b32_e32 v2, 0xff800000, v48, vcc_lo
	v_cmp_eq_u32_e32 vcc_lo, 0, v5
	s_delay_alu instid0(VALU_DEP_2)
	v_cndmask_b32_e32 v2, 0x7f800001, v2, vcc_lo
; %bb.7742:                             ;   in Loop: Header=BB4_6688 Depth=4
	s_or_b32 exec_lo, exec_lo, s15
.LBB4_7743:                             ;   in Loop: Header=BB4_6688 Depth=4
	s_delay_alu instid0(SALU_CYCLE_1)
	s_or_b32 exec_lo, exec_lo, s14
.LBB4_7744:                             ;   in Loop: Header=BB4_6688 Depth=4
	s_delay_alu instid0(SALU_CYCLE_1) | instskip(NEXT) | instid1(VALU_DEP_1)
	s_or_b32 exec_lo, exec_lo, s13
	v_dual_add_f32 v4, v4, v2 :: v_dual_mov_b32 v17, v3
                                        ; implicit-def: $vgpr21
	s_mov_b32 s13, exec_lo
	s_delay_alu instid0(VALU_DEP_1) | instskip(SKIP_1) | instid1(VALU_DEP_2)
	v_and_b32_e32 v16, 0x7f800000, v4
	v_and_b32_e32 v2, 0x7fffff, v4
	v_cmpx_ne_u64_e32 0x7f800000, v[16:17]
	s_xor_b32 s14, exec_lo, s13
	s_cbranch_execz .LBB4_7762
; %bb.7745:                             ;   in Loop: Header=BB4_6688 Depth=4
	v_dual_mov_b32 v17, v3 :: v_dual_lshrrev_b32 v5, 24, v4
	v_and_b32_e32 v16, 0x7fffffff, v4
                                        ; implicit-def: $vgpr21
	s_mov_b32 s13, exec_lo
	s_delay_alu instid0(VALU_DEP_2) | instskip(NEXT) | instid1(VALU_DEP_2)
	v_and_b32_e32 v15, 0x80, v5
	v_cmpx_gt_u64_e32 0x47600001, v[16:17]
	s_xor_b32 s15, exec_lo, s13
	s_cbranch_execz .LBB4_7759
; %bb.7746:                             ;   in Loop: Header=BB4_6688 Depth=4
	v_mov_b32_e32 v21, 0
	s_mov_b32 s75, exec_lo
	v_cmpx_ne_u32_e32 0, v4
	s_cbranch_execz .LBB4_7758
; %bb.7747:                             ;   in Loop: Header=BB4_6688 Depth=4
	v_bfe_u32 v21, v4, 23, 8
	v_or_b32_e32 v16, 0x800000, v2
	s_mov_b32 s76, exec_lo
	s_delay_alu instid0(VALU_DEP_2) | instskip(SKIP_1) | instid1(VALU_DEP_2)
	v_dual_mov_b32 v17, v3 :: v_dual_sub_nc_u32 v4, 0x71, v21
	v_cmp_gt_u32_e32 vcc_lo, 0x72, v21
	v_cndmask_b32_e32 v4, 0, v4, vcc_lo
	v_cmp_eq_u32_e32 vcc_lo, 0, v21
	s_delay_alu instid0(VALU_DEP_2) | instskip(NEXT) | instid1(VALU_DEP_1)
	v_cndmask_b32_e64 v31, v4, 0x70, vcc_lo
	v_dual_cndmask_b32 v16, v16, v2, vcc_lo :: v_dual_add_nc_u32 v4, 21, v31
	v_add_nc_u32_e32 v64, 20, v31
	s_delay_alu instid0(VALU_DEP_2) | instskip(NEXT) | instid1(VALU_DEP_2)
	v_lshlrev_b64_e64 v[4:5], v4, -1
	v_lshlrev_b64_e64 v[64:65], v64, 1
	s_delay_alu instid0(VALU_DEP_2) | instskip(NEXT) | instid1(VALU_DEP_3)
	v_bfi_b32 v87, v5, 0, 0
	v_bfi_b32 v86, v4, 0, v16
	v_lshrrev_b64 v[4:5], v31, v[16:17]
	s_delay_alu instid0(VALU_DEP_1) | instskip(NEXT) | instid1(VALU_DEP_3)
	v_mov_b64_e32 v[16:17], v[4:5]
	v_cmpx_eq_u64_e64 v[86:87], v[64:65]
; %bb.7748:                             ;   in Loop: Header=BB4_6688 Depth=4
	v_bfe_u32 v16, v4, 21, 1
	v_mov_b32_e32 v17, v3
	s_delay_alu instid0(VALU_DEP_1) | instskip(NEXT) | instid1(VALU_DEP_1)
	v_add_nc_u64_e32 v[16:17], v[4:5], v[16:17]
	v_add_nc_u64_e32 v[16:17], -1, v[16:17]
; %bb.7749:                             ;   in Loop: Header=BB4_6688 Depth=4
	s_or_b32 exec_lo, exec_lo, s76
	v_add_nc_u32_e32 v2, 0xffffff81, v21
	s_delay_alu instid0(VALU_DEP_2) | instskip(SKIP_2) | instid1(VALU_DEP_3)
	v_and_b32_e32 v16, 0x1fffff, v16
	v_lshrrev_b32_e32 v5, 23, v4
	s_mov_b32 s13, exec_lo
	v_cndmask_b32_e64 v2, v2, 0xffffff82, vcc_lo
	s_delay_alu instid0(VALU_DEP_1) | instskip(SKIP_1) | instid1(VALU_DEP_2)
	v_add3_u32 v17, v31, v2, v5
	v_add_nc_u32_e32 v2, v16, v4
                                        ; implicit-def: $vgpr4_vgpr5
                                        ; implicit-def: $vgpr16
	v_add_nc_u32_e32 v21, 14, v17
	s_delay_alu instid0(VALU_DEP_1)
	v_cmpx_ne_u32_e32 0, v21
	s_xor_b32 s13, exec_lo, s13
; %bb.7750:                             ;   in Loop: Header=BB4_6688 Depth=4
	s_delay_alu instid0(VALU_DEP_3) | instskip(SKIP_1) | instid1(VALU_DEP_1)
	v_cmp_lt_u64_e32 vcc_lo, 0xffffff, v[2:3]
	v_add_nc_u32_e32 v4, 15, v17
	v_cndmask_b32_e32 v16, v21, v4, vcc_lo
	v_cndmask_b32_e64 v4, 0, 1, vcc_lo
	s_delay_alu instid0(VALU_DEP_1)
	v_lshrrev_b64 v[4:5], v4, v[2:3]
; %bb.7751:                             ;   in Loop: Header=BB4_6688 Depth=4
	s_and_not1_saveexec_b32 s13, s13
; %bb.7752:                             ;   in Loop: Header=BB4_6688 Depth=4
	v_mov_b64_e32 v[4:5], v[2:3]
	v_bfe_u32 v16, v2, 23, 1
; %bb.7753:                             ;   in Loop: Header=BB4_6688 Depth=4
	s_or_b32 exec_lo, exec_lo, s13
	s_delay_alu instid0(VALU_DEP_2) | instskip(NEXT) | instid1(VALU_DEP_2)
	v_lshrrev_b64 v[4:5], 21, v[4:5]
	v_cmp_gt_i32_e32 vcc_lo, 32, v16
	v_cmp_ne_u32_e64 s13, 0, v16
                                        ; implicit-def: $vgpr21
	s_delay_alu instid0(VALU_DEP_3) | instskip(NEXT) | instid1(VALU_DEP_1)
	v_dual_cndmask_b32 v5, 0, v5 :: v_dual_cndmask_b32 v4, 3, v4
	v_cmp_ne_u64_e32 vcc_lo, 0, v[4:5]
	s_or_b32 s13, s13, vcc_lo
	s_delay_alu instid0(SALU_CYCLE_1) | instskip(NEXT) | instid1(SALU_CYCLE_1)
	s_and_saveexec_b32 s76, s13
	s_xor_b32 s13, exec_lo, s76
; %bb.7754:                             ;   in Loop: Header=BB4_6688 Depth=4
	v_min_i32_e32 v2, 31, v16
	s_delay_alu instid0(VALU_DEP_1) | instskip(NEXT) | instid1(VALU_DEP_1)
	v_lshl_or_b32 v2, v2, 2, v15
                                        ; implicit-def: $vgpr15
	v_and_or_b32 v21, v4, 3, v2
; %bb.7755:                             ;   in Loop: Header=BB4_6688 Depth=4
	s_and_not1_saveexec_b32 s13, s13
; %bb.7756:                             ;   in Loop: Header=BB4_6688 Depth=4
	v_mov_b32_e32 v21, v15
; %bb.7757:                             ;   in Loop: Header=BB4_6688 Depth=4
	s_or_b32 exec_lo, exec_lo, s13
.LBB4_7758:                             ;   in Loop: Header=BB4_6688 Depth=4
	s_delay_alu instid0(SALU_CYCLE_1)
	s_or_b32 exec_lo, exec_lo, s75
                                        ; implicit-def: $vgpr15
.LBB4_7759:                             ;   in Loop: Header=BB4_6688 Depth=4
	s_and_not1_saveexec_b32 s13, s15
; %bb.7760:                             ;   in Loop: Header=BB4_6688 Depth=4
	v_or_b32_e32 v21, 0x7b, v15
; %bb.7761:                             ;   in Loop: Header=BB4_6688 Depth=4
	s_or_b32 exec_lo, exec_lo, s13
                                        ; implicit-def: $vgpr4
.LBB4_7762:                             ;   in Loop: Header=BB4_6688 Depth=4
	s_and_not1_saveexec_b32 s13, s14
	s_cbranch_execz .LBB4_7768
; %bb.7763:                             ;   in Loop: Header=BB4_6688 Depth=4
	s_mov_b32 s14, exec_lo
                                        ; implicit-def: $vgpr21
	v_cmpx_ne_u64_e32 0, v[2:3]
	s_xor_b32 s14, exec_lo, s14
; %bb.7764:                             ;   in Loop: Header=BB4_6688 Depth=4
	v_lshrrev_b32_e32 v2, 24, v4
                                        ; implicit-def: $vgpr4
	s_delay_alu instid0(VALU_DEP_1)
	v_or_b32_e32 v21, 0x7f, v2
; %bb.7765:                             ;   in Loop: Header=BB4_6688 Depth=4
	s_and_not1_saveexec_b32 s14, s14
; %bb.7766:                             ;   in Loop: Header=BB4_6688 Depth=4
	v_cmp_lt_i32_e32 vcc_lo, -1, v4
	v_cndmask_b32_e64 v21, -4, 0x7c, vcc_lo
; %bb.7767:                             ;   in Loop: Header=BB4_6688 Depth=4
	s_or_b32 exec_lo, exec_lo, s14
.LBB4_7768:                             ;   in Loop: Header=BB4_6688 Depth=4
	s_delay_alu instid0(SALU_CYCLE_1) | instskip(SKIP_3) | instid1(VALU_DEP_2)
	s_or_b32 exec_lo, exec_lo, s13
	v_and_b32_e32 v15, 0xff, v44
	v_dual_mov_b32 v2, 0 :: v_dual_mov_b32 v4, 0
	s_mov_b32 s13, exec_lo
	v_cmpx_ne_u16_e32 0, v15
	s_cbranch_execz .LBB4_7778
; %bb.7769:                             ;   in Loop: Header=BB4_6688 Depth=4
	v_bfrev_b32_e32 v4, 1
	s_mov_b32 s14, exec_lo
	v_cmpx_ne_u16_e32 0x80, v15
	s_cbranch_execz .LBB4_7777
; %bb.7770:                             ;   in Loop: Header=BB4_6688 Depth=4
	v_and_b32_e32 v4, 0x7c, v44
	v_and_b32_e32 v5, 3, v44
	s_delay_alu instid0(VALU_DEP_2) | instskip(SKIP_1) | instid1(SALU_CYCLE_1)
	v_cmp_ne_u32_e32 vcc_lo, 0x7c, v4
                                        ; implicit-def: $vgpr4
	s_and_saveexec_b32 s15, vcc_lo
	s_xor_b32 s15, exec_lo, s15
	s_cbranch_execz .LBB4_7774
; %bb.7771:                             ;   in Loop: Header=BB4_6688 Depth=4
	v_bfe_u32 v4, v15, 2, 5
	s_mov_b32 s75, exec_lo
	s_delay_alu instid0(VALU_DEP_1)
	v_cmpx_eq_u32_e32 0, v4
	s_cbranch_execz .LBB4_7773
; %bb.7772:                             ;   in Loop: Header=BB4_6688 Depth=4
	v_clz_i32_u32_e32 v4, v5
	s_delay_alu instid0(VALU_DEP_1) | instskip(SKIP_1) | instid1(VALU_DEP_2)
	v_min_u32_e32 v4, 32, v4
	v_mov_b32_e32 v45, v3
	v_subrev_nc_u32_e32 v5, 29, v4
	v_sub_nc_u32_e32 v4, 30, v4
	s_delay_alu instid0(VALU_DEP_2) | instskip(NEXT) | instid1(VALU_DEP_1)
	v_lshlrev_b64_e32 v[16:17], v5, v[44:45]
	v_and_b32_e32 v5, 3, v16
.LBB4_7773:                             ;   in Loop: Header=BB4_6688 Depth=4
	s_or_b32 exec_lo, exec_lo, s75
	v_lshlrev_b32_e32 v15, 24, v44
                                        ; implicit-def: $vgpr44
	s_delay_alu instid0(VALU_DEP_1) | instskip(NEXT) | instid1(VALU_DEP_1)
	v_and_b32_e32 v15, 0x80000000, v15
	v_lshl_add_u32 v4, v4, 23, v15
	s_delay_alu instid0(VALU_DEP_1) | instskip(NEXT) | instid1(VALU_DEP_1)
	v_lshl_or_b32 v4, v5, 21, v4
                                        ; implicit-def: $vgpr5
	v_add_nc_u32_e32 v4, 0x38000000, v4
.LBB4_7774:                             ;   in Loop: Header=BB4_6688 Depth=4
	s_and_not1_saveexec_b32 s15, s15
; %bb.7775:                             ;   in Loop: Header=BB4_6688 Depth=4
	v_bfe_i32 v4, v44, 0, 8
	s_delay_alu instid0(VALU_DEP_1) | instskip(SKIP_2) | instid1(VALU_DEP_2)
	v_cmp_lt_i16_e32 vcc_lo, -1, v4
	v_cndmask_b32_e32 v4, 0xff800000, v48, vcc_lo
	v_cmp_eq_u32_e32 vcc_lo, 0, v5
	v_cndmask_b32_e32 v4, 0x7f800001, v4, vcc_lo
; %bb.7776:                             ;   in Loop: Header=BB4_6688 Depth=4
	s_or_b32 exec_lo, exec_lo, s15
.LBB4_7777:                             ;   in Loop: Header=BB4_6688 Depth=4
	s_delay_alu instid0(SALU_CYCLE_1)
	s_or_b32 exec_lo, exec_lo, s14
.LBB4_7778:                             ;   in Loop: Header=BB4_6688 Depth=4
	s_delay_alu instid0(SALU_CYCLE_1) | instskip(NEXT) | instid1(SALU_CYCLE_1)
	s_or_b32 exec_lo, exec_lo, s13
	s_mov_b32 s13, exec_lo
	s_wait_loadcnt_dscnt 0x303
	v_cmpx_ne_u16_e32 0, v94
	s_cbranch_execz .LBB4_7788
; %bb.7779:                             ;   in Loop: Header=BB4_6688 Depth=4
	v_bfrev_b32_e32 v2, 1
	s_mov_b32 s14, exec_lo
	v_cmpx_ne_u16_e32 0xff80, v94
	s_cbranch_execz .LBB4_7787
; %bb.7780:                             ;   in Loop: Header=BB4_6688 Depth=4
	v_and_b32_e32 v2, 0x7c, v94
	v_and_b32_e32 v5, 3, v94
	s_delay_alu instid0(VALU_DEP_2) | instskip(SKIP_1) | instid1(SALU_CYCLE_1)
	v_cmp_ne_u32_e32 vcc_lo, 0x7c, v2
                                        ; implicit-def: $vgpr2
	s_and_saveexec_b32 s15, vcc_lo
	s_xor_b32 s15, exec_lo, s15
	s_cbranch_execz .LBB4_7784
; %bb.7781:                             ;   in Loop: Header=BB4_6688 Depth=4
	v_and_b32_e32 v2, 0xff, v94
	s_mov_b32 s75, exec_lo
	s_delay_alu instid0(VALU_DEP_1) | instskip(NEXT) | instid1(VALU_DEP_1)
	v_bfe_u32 v2, v2, 2, 5
	v_cmpx_eq_u32_e32 0, v2
	s_cbranch_execz .LBB4_7783
; %bb.7782:                             ;   in Loop: Header=BB4_6688 Depth=4
	v_clz_i32_u32_e32 v2, v5
	s_delay_alu instid0(VALU_DEP_1) | instskip(SKIP_1) | instid1(VALU_DEP_2)
	v_min_u32_e32 v2, 32, v2
	v_mov_b32_e32 v95, v3
	v_subrev_nc_u32_e32 v5, 29, v2
	v_sub_nc_u32_e32 v2, 30, v2
	s_delay_alu instid0(VALU_DEP_2) | instskip(NEXT) | instid1(VALU_DEP_1)
	v_lshlrev_b64_e32 v[16:17], v5, v[94:95]
	v_and_b32_e32 v5, 3, v16
.LBB4_7783:                             ;   in Loop: Header=BB4_6688 Depth=4
	s_or_b32 exec_lo, exec_lo, s75
	v_bfe_i32 v15, v94, 0, 16
                                        ; implicit-def: $vgpr94
	s_delay_alu instid0(VALU_DEP_1) | instskip(NEXT) | instid1(VALU_DEP_1)
	v_and_b32_e32 v15, 0x80000000, v15
	v_lshl_add_u32 v2, v2, 23, v15
	s_delay_alu instid0(VALU_DEP_1) | instskip(NEXT) | instid1(VALU_DEP_1)
	v_lshl_or_b32 v2, v5, 21, v2
                                        ; implicit-def: $vgpr5
	v_add_nc_u32_e32 v2, 0x38000000, v2
.LBB4_7784:                             ;   in Loop: Header=BB4_6688 Depth=4
	s_and_not1_saveexec_b32 s15, s15
; %bb.7785:                             ;   in Loop: Header=BB4_6688 Depth=4
	v_cmp_lt_i16_e32 vcc_lo, -1, v94
	v_cndmask_b32_e32 v2, 0xff800000, v48, vcc_lo
	v_cmp_eq_u32_e32 vcc_lo, 0, v5
	s_delay_alu instid0(VALU_DEP_2)
	v_cndmask_b32_e32 v2, 0x7f800001, v2, vcc_lo
; %bb.7786:                             ;   in Loop: Header=BB4_6688 Depth=4
	s_or_b32 exec_lo, exec_lo, s15
.LBB4_7787:                             ;   in Loop: Header=BB4_6688 Depth=4
	s_delay_alu instid0(SALU_CYCLE_1)
	s_or_b32 exec_lo, exec_lo, s14
.LBB4_7788:                             ;   in Loop: Header=BB4_6688 Depth=4
	s_delay_alu instid0(SALU_CYCLE_1) | instskip(NEXT) | instid1(VALU_DEP_1)
	s_or_b32 exec_lo, exec_lo, s13
	v_dual_add_f32 v4, v4, v2 :: v_dual_mov_b32 v17, v3
                                        ; implicit-def: $vgpr31
	s_mov_b32 s13, exec_lo
	s_delay_alu instid0(VALU_DEP_1) | instskip(SKIP_1) | instid1(VALU_DEP_2)
	v_and_b32_e32 v16, 0x7f800000, v4
	v_and_b32_e32 v2, 0x7fffff, v4
	v_cmpx_ne_u64_e32 0x7f800000, v[16:17]
	s_xor_b32 s14, exec_lo, s13
	s_cbranch_execz .LBB4_7806
; %bb.7789:                             ;   in Loop: Header=BB4_6688 Depth=4
	v_dual_mov_b32 v17, v3 :: v_dual_lshrrev_b32 v5, 24, v4
	v_and_b32_e32 v16, 0x7fffffff, v4
                                        ; implicit-def: $vgpr31
	s_mov_b32 s13, exec_lo
	s_delay_alu instid0(VALU_DEP_2) | instskip(NEXT) | instid1(VALU_DEP_2)
	v_and_b32_e32 v15, 0x80, v5
	v_cmpx_gt_u64_e32 0x47600001, v[16:17]
	s_xor_b32 s15, exec_lo, s13
	s_cbranch_execz .LBB4_7803
; %bb.7790:                             ;   in Loop: Header=BB4_6688 Depth=4
	v_mov_b32_e32 v31, 0
	s_mov_b32 s75, exec_lo
	v_cmpx_ne_u32_e32 0, v4
	s_cbranch_execz .LBB4_7802
; %bb.7791:                             ;   in Loop: Header=BB4_6688 Depth=4
	v_bfe_u32 v31, v4, 23, 8
	v_or_b32_e32 v16, 0x800000, v2
	s_mov_b32 s76, exec_lo
	s_delay_alu instid0(VALU_DEP_2) | instskip(SKIP_1) | instid1(VALU_DEP_2)
	v_dual_mov_b32 v17, v3 :: v_dual_sub_nc_u32 v4, 0x71, v31
	v_cmp_gt_u32_e32 vcc_lo, 0x72, v31
	v_cndmask_b32_e32 v4, 0, v4, vcc_lo
	v_cmp_eq_u32_e32 vcc_lo, 0, v31
	v_cndmask_b32_e32 v16, v16, v2, vcc_lo
	s_delay_alu instid0(VALU_DEP_3) | instskip(NEXT) | instid1(VALU_DEP_1)
	v_cndmask_b32_e64 v64, v4, 0x70, vcc_lo
	v_dual_add_nc_u32 v4, 21, v64 :: v_dual_add_nc_u32 v65, 20, v64
	s_delay_alu instid0(VALU_DEP_1) | instskip(NEXT) | instid1(VALU_DEP_2)
	v_lshlrev_b64_e64 v[4:5], v4, -1
	v_lshlrev_b64_e64 v[86:87], v65, 1
	s_delay_alu instid0(VALU_DEP_2) | instskip(NEXT) | instid1(VALU_DEP_3)
	v_bfi_b32 v97, v5, 0, 0
	v_bfi_b32 v96, v4, 0, v16
	v_lshrrev_b64 v[4:5], v64, v[16:17]
	s_delay_alu instid0(VALU_DEP_1) | instskip(NEXT) | instid1(VALU_DEP_3)
	v_mov_b64_e32 v[16:17], v[4:5]
	v_cmpx_eq_u64_e64 v[96:97], v[86:87]
; %bb.7792:                             ;   in Loop: Header=BB4_6688 Depth=4
	v_bfe_u32 v16, v4, 21, 1
	v_mov_b32_e32 v17, v3
	s_delay_alu instid0(VALU_DEP_1) | instskip(NEXT) | instid1(VALU_DEP_1)
	v_add_nc_u64_e32 v[16:17], v[4:5], v[16:17]
	v_add_nc_u64_e32 v[16:17], -1, v[16:17]
; %bb.7793:                             ;   in Loop: Header=BB4_6688 Depth=4
	s_or_b32 exec_lo, exec_lo, s76
	v_add_nc_u32_e32 v2, 0xffffff81, v31
	s_delay_alu instid0(VALU_DEP_2) | instskip(SKIP_2) | instid1(VALU_DEP_3)
	v_and_b32_e32 v16, 0x1fffff, v16
	v_lshrrev_b32_e32 v5, 23, v4
	s_mov_b32 s13, exec_lo
	v_cndmask_b32_e64 v2, v2, 0xffffff82, vcc_lo
	s_delay_alu instid0(VALU_DEP_1) | instskip(SKIP_1) | instid1(VALU_DEP_2)
	v_add3_u32 v17, v64, v2, v5
	v_add_nc_u32_e32 v2, v16, v4
                                        ; implicit-def: $vgpr4_vgpr5
                                        ; implicit-def: $vgpr16
	v_add_nc_u32_e32 v31, 14, v17
	s_delay_alu instid0(VALU_DEP_1)
	v_cmpx_ne_u32_e32 0, v31
	s_xor_b32 s13, exec_lo, s13
; %bb.7794:                             ;   in Loop: Header=BB4_6688 Depth=4
	s_delay_alu instid0(VALU_DEP_3) | instskip(SKIP_1) | instid1(VALU_DEP_1)
	v_cmp_lt_u64_e32 vcc_lo, 0xffffff, v[2:3]
	v_add_nc_u32_e32 v4, 15, v17
	v_cndmask_b32_e32 v16, v31, v4, vcc_lo
	v_cndmask_b32_e64 v4, 0, 1, vcc_lo
	s_delay_alu instid0(VALU_DEP_1)
	v_lshrrev_b64 v[4:5], v4, v[2:3]
; %bb.7795:                             ;   in Loop: Header=BB4_6688 Depth=4
	s_and_not1_saveexec_b32 s13, s13
; %bb.7796:                             ;   in Loop: Header=BB4_6688 Depth=4
	v_mov_b64_e32 v[4:5], v[2:3]
	v_bfe_u32 v16, v2, 23, 1
; %bb.7797:                             ;   in Loop: Header=BB4_6688 Depth=4
	s_or_b32 exec_lo, exec_lo, s13
	s_delay_alu instid0(VALU_DEP_2) | instskip(NEXT) | instid1(VALU_DEP_2)
	v_lshrrev_b64 v[4:5], 21, v[4:5]
	v_cmp_gt_i32_e32 vcc_lo, 32, v16
	v_cmp_ne_u32_e64 s13, 0, v16
                                        ; implicit-def: $vgpr31
	s_delay_alu instid0(VALU_DEP_3) | instskip(NEXT) | instid1(VALU_DEP_1)
	v_dual_cndmask_b32 v5, 0, v5 :: v_dual_cndmask_b32 v4, 3, v4
	v_cmp_ne_u64_e32 vcc_lo, 0, v[4:5]
	s_or_b32 s13, s13, vcc_lo
	s_delay_alu instid0(SALU_CYCLE_1) | instskip(NEXT) | instid1(SALU_CYCLE_1)
	s_and_saveexec_b32 s76, s13
	s_xor_b32 s13, exec_lo, s76
; %bb.7798:                             ;   in Loop: Header=BB4_6688 Depth=4
	v_min_i32_e32 v2, 31, v16
	s_delay_alu instid0(VALU_DEP_1) | instskip(NEXT) | instid1(VALU_DEP_1)
	v_lshl_or_b32 v2, v2, 2, v15
                                        ; implicit-def: $vgpr15
	v_and_or_b32 v31, v4, 3, v2
; %bb.7799:                             ;   in Loop: Header=BB4_6688 Depth=4
	s_and_not1_saveexec_b32 s13, s13
; %bb.7800:                             ;   in Loop: Header=BB4_6688 Depth=4
	v_mov_b32_e32 v31, v15
; %bb.7801:                             ;   in Loop: Header=BB4_6688 Depth=4
	s_or_b32 exec_lo, exec_lo, s13
.LBB4_7802:                             ;   in Loop: Header=BB4_6688 Depth=4
	s_delay_alu instid0(SALU_CYCLE_1)
	s_or_b32 exec_lo, exec_lo, s75
                                        ; implicit-def: $vgpr15
.LBB4_7803:                             ;   in Loop: Header=BB4_6688 Depth=4
	s_and_not1_saveexec_b32 s13, s15
; %bb.7804:                             ;   in Loop: Header=BB4_6688 Depth=4
	v_or_b32_e32 v31, 0x7b, v15
; %bb.7805:                             ;   in Loop: Header=BB4_6688 Depth=4
	s_or_b32 exec_lo, exec_lo, s13
                                        ; implicit-def: $vgpr4
.LBB4_7806:                             ;   in Loop: Header=BB4_6688 Depth=4
	s_and_not1_saveexec_b32 s13, s14
	s_cbranch_execz .LBB4_7812
; %bb.7807:                             ;   in Loop: Header=BB4_6688 Depth=4
	s_mov_b32 s14, exec_lo
                                        ; implicit-def: $vgpr31
	v_cmpx_ne_u64_e32 0, v[2:3]
	s_xor_b32 s14, exec_lo, s14
; %bb.7808:                             ;   in Loop: Header=BB4_6688 Depth=4
	v_lshrrev_b32_e32 v2, 24, v4
                                        ; implicit-def: $vgpr4
	s_delay_alu instid0(VALU_DEP_1)
	v_or_b32_e32 v31, 0x7f, v2
; %bb.7809:                             ;   in Loop: Header=BB4_6688 Depth=4
	s_and_not1_saveexec_b32 s14, s14
; %bb.7810:                             ;   in Loop: Header=BB4_6688 Depth=4
	v_cmp_lt_i32_e32 vcc_lo, -1, v4
	v_cndmask_b32_e64 v31, -4, 0x7c, vcc_lo
; %bb.7811:                             ;   in Loop: Header=BB4_6688 Depth=4
	s_or_b32 exec_lo, exec_lo, s14
.LBB4_7812:                             ;   in Loop: Header=BB4_6688 Depth=4
	s_delay_alu instid0(SALU_CYCLE_1) | instskip(SKIP_3) | instid1(VALU_DEP_2)
	s_or_b32 exec_lo, exec_lo, s13
	v_and_b32_e32 v15, 0xff, v42
	v_dual_mov_b32 v2, 0 :: v_dual_mov_b32 v4, 0
	s_mov_b32 s13, exec_lo
	v_cmpx_ne_u16_e32 0, v15
	s_cbranch_execz .LBB4_7822
; %bb.7813:                             ;   in Loop: Header=BB4_6688 Depth=4
	v_bfrev_b32_e32 v4, 1
	s_mov_b32 s14, exec_lo
	v_cmpx_ne_u16_e32 0x80, v15
	s_cbranch_execz .LBB4_7821
; %bb.7814:                             ;   in Loop: Header=BB4_6688 Depth=4
	v_and_b32_e32 v4, 0x7c, v42
	v_and_b32_e32 v5, 3, v42
	s_delay_alu instid0(VALU_DEP_2) | instskip(SKIP_1) | instid1(SALU_CYCLE_1)
	v_cmp_ne_u32_e32 vcc_lo, 0x7c, v4
                                        ; implicit-def: $vgpr4
	s_and_saveexec_b32 s15, vcc_lo
	s_xor_b32 s15, exec_lo, s15
	s_cbranch_execz .LBB4_7818
; %bb.7815:                             ;   in Loop: Header=BB4_6688 Depth=4
	v_bfe_u32 v4, v15, 2, 5
	s_mov_b32 s75, exec_lo
	s_delay_alu instid0(VALU_DEP_1)
	v_cmpx_eq_u32_e32 0, v4
	s_cbranch_execz .LBB4_7817
; %bb.7816:                             ;   in Loop: Header=BB4_6688 Depth=4
	v_clz_i32_u32_e32 v4, v5
	s_delay_alu instid0(VALU_DEP_1) | instskip(SKIP_1) | instid1(VALU_DEP_2)
	v_min_u32_e32 v4, 32, v4
	v_mov_b32_e32 v43, v3
	v_subrev_nc_u32_e32 v5, 29, v4
	v_sub_nc_u32_e32 v4, 30, v4
	s_delay_alu instid0(VALU_DEP_2) | instskip(NEXT) | instid1(VALU_DEP_1)
	v_lshlrev_b64_e32 v[16:17], v5, v[42:43]
	v_and_b32_e32 v5, 3, v16
.LBB4_7817:                             ;   in Loop: Header=BB4_6688 Depth=4
	s_or_b32 exec_lo, exec_lo, s75
	v_lshlrev_b32_e32 v15, 24, v42
                                        ; implicit-def: $vgpr42
	s_delay_alu instid0(VALU_DEP_1) | instskip(NEXT) | instid1(VALU_DEP_1)
	v_and_b32_e32 v15, 0x80000000, v15
	v_lshl_add_u32 v4, v4, 23, v15
	s_delay_alu instid0(VALU_DEP_1) | instskip(NEXT) | instid1(VALU_DEP_1)
	v_lshl_or_b32 v4, v5, 21, v4
                                        ; implicit-def: $vgpr5
	v_add_nc_u32_e32 v4, 0x38000000, v4
.LBB4_7818:                             ;   in Loop: Header=BB4_6688 Depth=4
	s_and_not1_saveexec_b32 s15, s15
; %bb.7819:                             ;   in Loop: Header=BB4_6688 Depth=4
	v_bfe_i32 v4, v42, 0, 8
	s_delay_alu instid0(VALU_DEP_1) | instskip(SKIP_2) | instid1(VALU_DEP_2)
	v_cmp_lt_i16_e32 vcc_lo, -1, v4
	v_cndmask_b32_e32 v4, 0xff800000, v48, vcc_lo
	v_cmp_eq_u32_e32 vcc_lo, 0, v5
	v_cndmask_b32_e32 v4, 0x7f800001, v4, vcc_lo
; %bb.7820:                             ;   in Loop: Header=BB4_6688 Depth=4
	s_or_b32 exec_lo, exec_lo, s15
.LBB4_7821:                             ;   in Loop: Header=BB4_6688 Depth=4
	s_delay_alu instid0(SALU_CYCLE_1)
	s_or_b32 exec_lo, exec_lo, s14
.LBB4_7822:                             ;   in Loop: Header=BB4_6688 Depth=4
	s_delay_alu instid0(SALU_CYCLE_1) | instskip(NEXT) | instid1(SALU_CYCLE_1)
	s_or_b32 exec_lo, exec_lo, s13
	s_mov_b32 s13, exec_lo
	s_wait_loadcnt_dscnt 0x202
	v_cmpx_ne_u16_e32 0, v76
	s_cbranch_execz .LBB4_7832
; %bb.7823:                             ;   in Loop: Header=BB4_6688 Depth=4
	v_bfrev_b32_e32 v2, 1
	s_mov_b32 s14, exec_lo
	v_cmpx_ne_u16_e32 0xff80, v76
	s_cbranch_execz .LBB4_7831
; %bb.7824:                             ;   in Loop: Header=BB4_6688 Depth=4
	v_and_b32_e32 v2, 0x7c, v76
	v_and_b32_e32 v5, 3, v76
	s_delay_alu instid0(VALU_DEP_2) | instskip(SKIP_1) | instid1(SALU_CYCLE_1)
	v_cmp_ne_u32_e32 vcc_lo, 0x7c, v2
                                        ; implicit-def: $vgpr2
	s_and_saveexec_b32 s15, vcc_lo
	s_xor_b32 s15, exec_lo, s15
	s_cbranch_execz .LBB4_7828
; %bb.7825:                             ;   in Loop: Header=BB4_6688 Depth=4
	v_and_b32_e32 v2, 0xff, v76
	s_mov_b32 s75, exec_lo
	s_delay_alu instid0(VALU_DEP_1) | instskip(NEXT) | instid1(VALU_DEP_1)
	v_bfe_u32 v2, v2, 2, 5
	v_cmpx_eq_u32_e32 0, v2
	s_cbranch_execz .LBB4_7827
; %bb.7826:                             ;   in Loop: Header=BB4_6688 Depth=4
	v_clz_i32_u32_e32 v2, v5
	s_delay_alu instid0(VALU_DEP_1) | instskip(SKIP_1) | instid1(VALU_DEP_2)
	v_min_u32_e32 v2, 32, v2
	v_mov_b32_e32 v77, v3
	v_subrev_nc_u32_e32 v5, 29, v2
	v_sub_nc_u32_e32 v2, 30, v2
	s_delay_alu instid0(VALU_DEP_2) | instskip(NEXT) | instid1(VALU_DEP_1)
	v_lshlrev_b64_e32 v[16:17], v5, v[76:77]
	v_and_b32_e32 v5, 3, v16
.LBB4_7827:                             ;   in Loop: Header=BB4_6688 Depth=4
	s_or_b32 exec_lo, exec_lo, s75
	v_bfe_i32 v15, v76, 0, 16
                                        ; implicit-def: $vgpr76
	s_delay_alu instid0(VALU_DEP_1) | instskip(NEXT) | instid1(VALU_DEP_1)
	v_and_b32_e32 v15, 0x80000000, v15
	v_lshl_add_u32 v2, v2, 23, v15
	s_delay_alu instid0(VALU_DEP_1) | instskip(NEXT) | instid1(VALU_DEP_1)
	v_lshl_or_b32 v2, v5, 21, v2
                                        ; implicit-def: $vgpr5
	v_add_nc_u32_e32 v2, 0x38000000, v2
.LBB4_7828:                             ;   in Loop: Header=BB4_6688 Depth=4
	s_and_not1_saveexec_b32 s15, s15
; %bb.7829:                             ;   in Loop: Header=BB4_6688 Depth=4
	v_cmp_lt_i16_e32 vcc_lo, -1, v76
	v_cndmask_b32_e32 v2, 0xff800000, v48, vcc_lo
	v_cmp_eq_u32_e32 vcc_lo, 0, v5
	s_delay_alu instid0(VALU_DEP_2)
	v_cndmask_b32_e32 v2, 0x7f800001, v2, vcc_lo
; %bb.7830:                             ;   in Loop: Header=BB4_6688 Depth=4
	s_or_b32 exec_lo, exec_lo, s15
.LBB4_7831:                             ;   in Loop: Header=BB4_6688 Depth=4
	s_delay_alu instid0(SALU_CYCLE_1)
	s_or_b32 exec_lo, exec_lo, s14
.LBB4_7832:                             ;   in Loop: Header=BB4_6688 Depth=4
	s_delay_alu instid0(SALU_CYCLE_1) | instskip(NEXT) | instid1(VALU_DEP_1)
	s_or_b32 exec_lo, exec_lo, s13
	v_dual_add_f32 v4, v4, v2 :: v_dual_mov_b32 v17, v3
                                        ; implicit-def: $vgpr64
	s_mov_b32 s13, exec_lo
	s_delay_alu instid0(VALU_DEP_1) | instskip(SKIP_1) | instid1(VALU_DEP_2)
	v_and_b32_e32 v16, 0x7f800000, v4
	v_and_b32_e32 v2, 0x7fffff, v4
	v_cmpx_ne_u64_e32 0x7f800000, v[16:17]
	s_xor_b32 s14, exec_lo, s13
	s_cbranch_execz .LBB4_7850
; %bb.7833:                             ;   in Loop: Header=BB4_6688 Depth=4
	v_dual_mov_b32 v17, v3 :: v_dual_lshrrev_b32 v5, 24, v4
	v_and_b32_e32 v16, 0x7fffffff, v4
                                        ; implicit-def: $vgpr64
	s_mov_b32 s13, exec_lo
	s_delay_alu instid0(VALU_DEP_2) | instskip(NEXT) | instid1(VALU_DEP_2)
	v_and_b32_e32 v15, 0x80, v5
	v_cmpx_gt_u64_e32 0x47600001, v[16:17]
	s_xor_b32 s15, exec_lo, s13
	s_cbranch_execz .LBB4_7847
; %bb.7834:                             ;   in Loop: Header=BB4_6688 Depth=4
	v_mov_b32_e32 v64, 0
	s_mov_b32 s75, exec_lo
	v_cmpx_ne_u32_e32 0, v4
	s_cbranch_execz .LBB4_7846
; %bb.7835:                             ;   in Loop: Header=BB4_6688 Depth=4
	v_bfe_u32 v64, v4, 23, 8
	v_or_b32_e32 v16, 0x800000, v2
	s_mov_b32 s76, exec_lo
	s_delay_alu instid0(VALU_DEP_2) | instskip(SKIP_1) | instid1(VALU_DEP_2)
	v_dual_mov_b32 v17, v3 :: v_dual_sub_nc_u32 v4, 0x71, v64
	v_cmp_gt_u32_e32 vcc_lo, 0x72, v64
	v_cndmask_b32_e32 v4, 0, v4, vcc_lo
	v_cmp_eq_u32_e32 vcc_lo, 0, v64
	s_delay_alu instid0(VALU_DEP_2) | instskip(NEXT) | instid1(VALU_DEP_1)
	v_cndmask_b32_e64 v65, v4, 0x70, vcc_lo
	v_dual_cndmask_b32 v16, v16, v2, vcc_lo :: v_dual_add_nc_u32 v4, 21, v65
	v_add_nc_u32_e32 v86, 20, v65
	s_delay_alu instid0(VALU_DEP_2) | instskip(NEXT) | instid1(VALU_DEP_2)
	v_lshlrev_b64_e64 v[4:5], v4, -1
	v_lshlrev_b64_e64 v[86:87], v86, 1
	s_delay_alu instid0(VALU_DEP_2) | instskip(NEXT) | instid1(VALU_DEP_3)
	v_bfi_b32 v97, v5, 0, 0
	v_bfi_b32 v96, v4, 0, v16
	v_lshrrev_b64 v[4:5], v65, v[16:17]
	s_delay_alu instid0(VALU_DEP_1) | instskip(NEXT) | instid1(VALU_DEP_3)
	v_mov_b64_e32 v[16:17], v[4:5]
	v_cmpx_eq_u64_e64 v[96:97], v[86:87]
; %bb.7836:                             ;   in Loop: Header=BB4_6688 Depth=4
	v_bfe_u32 v16, v4, 21, 1
	v_mov_b32_e32 v17, v3
	s_delay_alu instid0(VALU_DEP_1) | instskip(NEXT) | instid1(VALU_DEP_1)
	v_add_nc_u64_e32 v[16:17], v[4:5], v[16:17]
	v_add_nc_u64_e32 v[16:17], -1, v[16:17]
; %bb.7837:                             ;   in Loop: Header=BB4_6688 Depth=4
	s_or_b32 exec_lo, exec_lo, s76
	v_add_nc_u32_e32 v2, 0xffffff81, v64
	s_delay_alu instid0(VALU_DEP_2) | instskip(SKIP_2) | instid1(VALU_DEP_3)
	v_and_b32_e32 v16, 0x1fffff, v16
	v_lshrrev_b32_e32 v5, 23, v4
	s_mov_b32 s13, exec_lo
	v_cndmask_b32_e64 v2, v2, 0xffffff82, vcc_lo
	s_delay_alu instid0(VALU_DEP_1) | instskip(SKIP_1) | instid1(VALU_DEP_2)
	v_add3_u32 v17, v65, v2, v5
	v_add_nc_u32_e32 v2, v16, v4
                                        ; implicit-def: $vgpr4_vgpr5
                                        ; implicit-def: $vgpr16
	v_add_nc_u32_e32 v64, 14, v17
	s_delay_alu instid0(VALU_DEP_1)
	v_cmpx_ne_u32_e32 0, v64
	s_xor_b32 s13, exec_lo, s13
; %bb.7838:                             ;   in Loop: Header=BB4_6688 Depth=4
	s_delay_alu instid0(VALU_DEP_3) | instskip(SKIP_1) | instid1(VALU_DEP_1)
	v_cmp_lt_u64_e32 vcc_lo, 0xffffff, v[2:3]
	v_add_nc_u32_e32 v4, 15, v17
	v_cndmask_b32_e32 v16, v64, v4, vcc_lo
	v_cndmask_b32_e64 v4, 0, 1, vcc_lo
	s_delay_alu instid0(VALU_DEP_1)
	v_lshrrev_b64 v[4:5], v4, v[2:3]
; %bb.7839:                             ;   in Loop: Header=BB4_6688 Depth=4
	s_and_not1_saveexec_b32 s13, s13
; %bb.7840:                             ;   in Loop: Header=BB4_6688 Depth=4
	v_mov_b64_e32 v[4:5], v[2:3]
	v_bfe_u32 v16, v2, 23, 1
; %bb.7841:                             ;   in Loop: Header=BB4_6688 Depth=4
	s_or_b32 exec_lo, exec_lo, s13
	s_delay_alu instid0(VALU_DEP_2) | instskip(NEXT) | instid1(VALU_DEP_2)
	v_lshrrev_b64 v[4:5], 21, v[4:5]
	v_cmp_gt_i32_e32 vcc_lo, 32, v16
	v_cmp_ne_u32_e64 s13, 0, v16
                                        ; implicit-def: $vgpr64
	s_delay_alu instid0(VALU_DEP_3) | instskip(NEXT) | instid1(VALU_DEP_1)
	v_dual_cndmask_b32 v5, 0, v5 :: v_dual_cndmask_b32 v4, 3, v4
	v_cmp_ne_u64_e32 vcc_lo, 0, v[4:5]
	s_or_b32 s13, s13, vcc_lo
	s_delay_alu instid0(SALU_CYCLE_1) | instskip(NEXT) | instid1(SALU_CYCLE_1)
	s_and_saveexec_b32 s76, s13
	s_xor_b32 s13, exec_lo, s76
; %bb.7842:                             ;   in Loop: Header=BB4_6688 Depth=4
	v_min_i32_e32 v2, 31, v16
	s_delay_alu instid0(VALU_DEP_1) | instskip(NEXT) | instid1(VALU_DEP_1)
	v_lshl_or_b32 v2, v2, 2, v15
                                        ; implicit-def: $vgpr15
	v_and_or_b32 v64, v4, 3, v2
; %bb.7843:                             ;   in Loop: Header=BB4_6688 Depth=4
	s_and_not1_saveexec_b32 s13, s13
; %bb.7844:                             ;   in Loop: Header=BB4_6688 Depth=4
	v_mov_b32_e32 v64, v15
; %bb.7845:                             ;   in Loop: Header=BB4_6688 Depth=4
	s_or_b32 exec_lo, exec_lo, s13
.LBB4_7846:                             ;   in Loop: Header=BB4_6688 Depth=4
	s_delay_alu instid0(SALU_CYCLE_1)
	s_or_b32 exec_lo, exec_lo, s75
                                        ; implicit-def: $vgpr15
.LBB4_7847:                             ;   in Loop: Header=BB4_6688 Depth=4
	s_and_not1_saveexec_b32 s13, s15
; %bb.7848:                             ;   in Loop: Header=BB4_6688 Depth=4
	v_or_b32_e32 v64, 0x7b, v15
; %bb.7849:                             ;   in Loop: Header=BB4_6688 Depth=4
	s_or_b32 exec_lo, exec_lo, s13
                                        ; implicit-def: $vgpr4
.LBB4_7850:                             ;   in Loop: Header=BB4_6688 Depth=4
	s_and_not1_saveexec_b32 s13, s14
	s_cbranch_execz .LBB4_7856
; %bb.7851:                             ;   in Loop: Header=BB4_6688 Depth=4
	s_mov_b32 s14, exec_lo
                                        ; implicit-def: $vgpr64
	v_cmpx_ne_u64_e32 0, v[2:3]
	s_xor_b32 s14, exec_lo, s14
; %bb.7852:                             ;   in Loop: Header=BB4_6688 Depth=4
	v_lshrrev_b32_e32 v2, 24, v4
                                        ; implicit-def: $vgpr4
	s_delay_alu instid0(VALU_DEP_1)
	v_or_b32_e32 v64, 0x7f, v2
; %bb.7853:                             ;   in Loop: Header=BB4_6688 Depth=4
	s_and_not1_saveexec_b32 s14, s14
; %bb.7854:                             ;   in Loop: Header=BB4_6688 Depth=4
	v_cmp_lt_i32_e32 vcc_lo, -1, v4
	v_cndmask_b32_e64 v64, -4, 0x7c, vcc_lo
; %bb.7855:                             ;   in Loop: Header=BB4_6688 Depth=4
	s_or_b32 exec_lo, exec_lo, s14
.LBB4_7856:                             ;   in Loop: Header=BB4_6688 Depth=4
	s_delay_alu instid0(SALU_CYCLE_1) | instskip(SKIP_3) | instid1(VALU_DEP_2)
	s_or_b32 exec_lo, exec_lo, s13
	v_and_b32_e32 v15, 0xff, v40
	v_dual_mov_b32 v2, 0 :: v_dual_mov_b32 v4, 0
	s_mov_b32 s13, exec_lo
	v_cmpx_ne_u16_e32 0, v15
	s_cbranch_execz .LBB4_7866
; %bb.7857:                             ;   in Loop: Header=BB4_6688 Depth=4
	v_bfrev_b32_e32 v4, 1
	s_mov_b32 s14, exec_lo
	v_cmpx_ne_u16_e32 0x80, v15
	s_cbranch_execz .LBB4_7865
; %bb.7858:                             ;   in Loop: Header=BB4_6688 Depth=4
	v_and_b32_e32 v4, 0x7c, v40
	v_and_b32_e32 v5, 3, v40
	s_delay_alu instid0(VALU_DEP_2) | instskip(SKIP_1) | instid1(SALU_CYCLE_1)
	v_cmp_ne_u32_e32 vcc_lo, 0x7c, v4
                                        ; implicit-def: $vgpr4
	s_and_saveexec_b32 s15, vcc_lo
	s_xor_b32 s15, exec_lo, s15
	s_cbranch_execz .LBB4_7862
; %bb.7859:                             ;   in Loop: Header=BB4_6688 Depth=4
	v_bfe_u32 v4, v15, 2, 5
	s_mov_b32 s75, exec_lo
	s_delay_alu instid0(VALU_DEP_1)
	v_cmpx_eq_u32_e32 0, v4
	s_cbranch_execz .LBB4_7861
; %bb.7860:                             ;   in Loop: Header=BB4_6688 Depth=4
	v_clz_i32_u32_e32 v4, v5
	s_delay_alu instid0(VALU_DEP_1) | instskip(SKIP_1) | instid1(VALU_DEP_2)
	v_min_u32_e32 v4, 32, v4
	v_mov_b32_e32 v41, v3
	v_subrev_nc_u32_e32 v5, 29, v4
	v_sub_nc_u32_e32 v4, 30, v4
	s_delay_alu instid0(VALU_DEP_2) | instskip(NEXT) | instid1(VALU_DEP_1)
	v_lshlrev_b64_e32 v[16:17], v5, v[40:41]
	v_and_b32_e32 v5, 3, v16
.LBB4_7861:                             ;   in Loop: Header=BB4_6688 Depth=4
	s_or_b32 exec_lo, exec_lo, s75
	v_lshlrev_b32_e32 v15, 24, v40
                                        ; implicit-def: $vgpr40
	s_delay_alu instid0(VALU_DEP_1) | instskip(NEXT) | instid1(VALU_DEP_1)
	v_and_b32_e32 v15, 0x80000000, v15
	v_lshl_add_u32 v4, v4, 23, v15
	s_delay_alu instid0(VALU_DEP_1) | instskip(NEXT) | instid1(VALU_DEP_1)
	v_lshl_or_b32 v4, v5, 21, v4
                                        ; implicit-def: $vgpr5
	v_add_nc_u32_e32 v4, 0x38000000, v4
.LBB4_7862:                             ;   in Loop: Header=BB4_6688 Depth=4
	s_and_not1_saveexec_b32 s15, s15
; %bb.7863:                             ;   in Loop: Header=BB4_6688 Depth=4
	v_bfe_i32 v4, v40, 0, 8
	s_delay_alu instid0(VALU_DEP_1) | instskip(SKIP_2) | instid1(VALU_DEP_2)
	v_cmp_lt_i16_e32 vcc_lo, -1, v4
	v_cndmask_b32_e32 v4, 0xff800000, v48, vcc_lo
	v_cmp_eq_u32_e32 vcc_lo, 0, v5
	v_cndmask_b32_e32 v4, 0x7f800001, v4, vcc_lo
; %bb.7864:                             ;   in Loop: Header=BB4_6688 Depth=4
	s_or_b32 exec_lo, exec_lo, s15
.LBB4_7865:                             ;   in Loop: Header=BB4_6688 Depth=4
	s_delay_alu instid0(SALU_CYCLE_1)
	s_or_b32 exec_lo, exec_lo, s14
.LBB4_7866:                             ;   in Loop: Header=BB4_6688 Depth=4
	s_delay_alu instid0(SALU_CYCLE_1) | instskip(NEXT) | instid1(SALU_CYCLE_1)
	s_or_b32 exec_lo, exec_lo, s13
	s_mov_b32 s13, exec_lo
	s_wait_loadcnt_dscnt 0x101
	v_cmpx_ne_u16_e32 0, v58
	s_cbranch_execz .LBB4_7876
; %bb.7867:                             ;   in Loop: Header=BB4_6688 Depth=4
	v_bfrev_b32_e32 v2, 1
	s_mov_b32 s14, exec_lo
	v_cmpx_ne_u16_e32 0xff80, v58
	s_cbranch_execz .LBB4_7875
; %bb.7868:                             ;   in Loop: Header=BB4_6688 Depth=4
	v_and_b32_e32 v2, 0x7c, v58
	v_and_b32_e32 v5, 3, v58
	s_delay_alu instid0(VALU_DEP_2) | instskip(SKIP_1) | instid1(SALU_CYCLE_1)
	v_cmp_ne_u32_e32 vcc_lo, 0x7c, v2
                                        ; implicit-def: $vgpr2
	s_and_saveexec_b32 s15, vcc_lo
	s_xor_b32 s15, exec_lo, s15
	s_cbranch_execz .LBB4_7872
; %bb.7869:                             ;   in Loop: Header=BB4_6688 Depth=4
	v_and_b32_e32 v2, 0xff, v58
	s_mov_b32 s75, exec_lo
	s_delay_alu instid0(VALU_DEP_1) | instskip(NEXT) | instid1(VALU_DEP_1)
	v_bfe_u32 v2, v2, 2, 5
	v_cmpx_eq_u32_e32 0, v2
	s_cbranch_execz .LBB4_7871
; %bb.7870:                             ;   in Loop: Header=BB4_6688 Depth=4
	v_clz_i32_u32_e32 v2, v5
	s_delay_alu instid0(VALU_DEP_1) | instskip(SKIP_1) | instid1(VALU_DEP_2)
	v_min_u32_e32 v2, 32, v2
	v_mov_b32_e32 v59, v3
	v_subrev_nc_u32_e32 v5, 29, v2
	v_sub_nc_u32_e32 v2, 30, v2
	s_delay_alu instid0(VALU_DEP_2) | instskip(NEXT) | instid1(VALU_DEP_1)
	v_lshlrev_b64_e32 v[16:17], v5, v[58:59]
	v_and_b32_e32 v5, 3, v16
.LBB4_7871:                             ;   in Loop: Header=BB4_6688 Depth=4
	s_or_b32 exec_lo, exec_lo, s75
	v_bfe_i32 v15, v58, 0, 16
                                        ; implicit-def: $vgpr58
	s_delay_alu instid0(VALU_DEP_1) | instskip(NEXT) | instid1(VALU_DEP_1)
	v_and_b32_e32 v15, 0x80000000, v15
	v_lshl_add_u32 v2, v2, 23, v15
	s_delay_alu instid0(VALU_DEP_1) | instskip(NEXT) | instid1(VALU_DEP_1)
	v_lshl_or_b32 v2, v5, 21, v2
                                        ; implicit-def: $vgpr5
	v_add_nc_u32_e32 v2, 0x38000000, v2
.LBB4_7872:                             ;   in Loop: Header=BB4_6688 Depth=4
	s_and_not1_saveexec_b32 s15, s15
; %bb.7873:                             ;   in Loop: Header=BB4_6688 Depth=4
	v_cmp_lt_i16_e32 vcc_lo, -1, v58
	v_cndmask_b32_e32 v2, 0xff800000, v48, vcc_lo
	v_cmp_eq_u32_e32 vcc_lo, 0, v5
	s_delay_alu instid0(VALU_DEP_2)
	v_cndmask_b32_e32 v2, 0x7f800001, v2, vcc_lo
; %bb.7874:                             ;   in Loop: Header=BB4_6688 Depth=4
	s_or_b32 exec_lo, exec_lo, s15
.LBB4_7875:                             ;   in Loop: Header=BB4_6688 Depth=4
	s_delay_alu instid0(SALU_CYCLE_1)
	s_or_b32 exec_lo, exec_lo, s14
.LBB4_7876:                             ;   in Loop: Header=BB4_6688 Depth=4
	s_delay_alu instid0(SALU_CYCLE_1) | instskip(NEXT) | instid1(VALU_DEP_1)
	s_or_b32 exec_lo, exec_lo, s13
	v_dual_add_f32 v4, v4, v2 :: v_dual_mov_b32 v17, v3
	s_delay_alu instid0(VALU_DEP_1) | instskip(SKIP_1) | instid1(VALU_DEP_2)
	v_and_b32_e32 v16, 0x7f800000, v4
	v_and_b32_e32 v2, 0x7fffff, v4
	v_cmp_ne_u64_e32 vcc_lo, 0x7f800000, v[16:17]
                                        ; implicit-def: $vgpr16
	s_and_saveexec_b32 s13, vcc_lo
	s_delay_alu instid0(SALU_CYCLE_1)
	s_xor_b32 s14, exec_lo, s13
	s_cbranch_execz .LBB4_7894
; %bb.7877:                             ;   in Loop: Header=BB4_6688 Depth=4
	v_and_b32_e32 v16, 0x7fffffff, v4
	v_dual_mov_b32 v17, v3 :: v_dual_lshrrev_b32 v5, 24, v4
	s_delay_alu instid0(VALU_DEP_1) | instskip(NEXT) | instid1(VALU_DEP_2)
	v_cmp_gt_u64_e32 vcc_lo, 0x47600001, v[16:17]
	v_and_b32_e32 v15, 0x80, v5
                                        ; implicit-def: $vgpr16
	s_and_saveexec_b32 s13, vcc_lo
	s_delay_alu instid0(SALU_CYCLE_1)
	s_xor_b32 s15, exec_lo, s13
	s_cbranch_execz .LBB4_7891
; %bb.7878:                             ;   in Loop: Header=BB4_6688 Depth=4
	v_mov_b32_e32 v16, 0
	s_mov_b32 s75, exec_lo
	v_cmpx_ne_u32_e32 0, v4
	s_cbranch_execz .LBB4_7890
; %bb.7879:                             ;   in Loop: Header=BB4_6688 Depth=4
	v_bfe_u32 v65, v4, 23, 8
	v_or_b32_e32 v16, 0x800000, v2
	s_mov_b32 s76, exec_lo
	s_delay_alu instid0(VALU_DEP_2) | instskip(SKIP_1) | instid1(VALU_DEP_2)
	v_dual_mov_b32 v17, v3 :: v_dual_sub_nc_u32 v4, 0x71, v65
	v_cmp_gt_u32_e32 vcc_lo, 0x72, v65
	v_cndmask_b32_e32 v4, 0, v4, vcc_lo
	v_cmp_eq_u32_e32 vcc_lo, 0, v65
	s_delay_alu instid0(VALU_DEP_2) | instskip(SKIP_1) | instid1(VALU_DEP_2)
	v_cndmask_b32_e64 v86, v4, 0x70, vcc_lo
	v_cndmask_b32_e32 v16, v16, v2, vcc_lo
	v_dual_add_nc_u32 v4, 21, v86 :: v_dual_add_nc_u32 v87, 20, v86
	s_delay_alu instid0(VALU_DEP_1) | instskip(NEXT) | instid1(VALU_DEP_2)
	v_lshlrev_b64_e64 v[4:5], v4, -1
	v_lshlrev_b64_e64 v[96:97], v87, 1
	s_delay_alu instid0(VALU_DEP_2) | instskip(NEXT) | instid1(VALU_DEP_3)
	v_bfi_b32 v41, v5, 0, 0
	v_bfi_b32 v40, v4, 0, v16
	v_lshrrev_b64 v[4:5], v86, v[16:17]
	s_delay_alu instid0(VALU_DEP_1) | instskip(NEXT) | instid1(VALU_DEP_3)
	v_mov_b64_e32 v[16:17], v[4:5]
	v_cmpx_eq_u64_e64 v[40:41], v[96:97]
; %bb.7880:                             ;   in Loop: Header=BB4_6688 Depth=4
	v_bfe_u32 v16, v4, 21, 1
	v_mov_b32_e32 v17, v3
	s_delay_alu instid0(VALU_DEP_1) | instskip(NEXT) | instid1(VALU_DEP_1)
	v_add_nc_u64_e32 v[16:17], v[4:5], v[16:17]
	v_add_nc_u64_e32 v[16:17], -1, v[16:17]
; %bb.7881:                             ;   in Loop: Header=BB4_6688 Depth=4
	s_or_b32 exec_lo, exec_lo, s76
	v_add_nc_u32_e32 v2, 0xffffff81, v65
	s_delay_alu instid0(VALU_DEP_2) | instskip(SKIP_2) | instid1(VALU_DEP_3)
	v_and_b32_e32 v17, 0x1fffff, v16
	v_lshrrev_b32_e32 v5, 23, v4
	s_mov_b32 s13, exec_lo
	v_cndmask_b32_e64 v2, v2, 0xffffff82, vcc_lo
	s_delay_alu instid0(VALU_DEP_1) | instskip(SKIP_1) | instid1(VALU_DEP_2)
	v_add3_u32 v16, v86, v2, v5
	v_add_nc_u32_e32 v2, v17, v4
                                        ; implicit-def: $vgpr4_vgpr5
                                        ; implicit-def: $vgpr17
	v_add_nc_u32_e32 v65, 14, v16
	s_delay_alu instid0(VALU_DEP_1)
	v_cmpx_ne_u32_e32 0, v65
	s_xor_b32 s13, exec_lo, s13
; %bb.7882:                             ;   in Loop: Header=BB4_6688 Depth=4
	s_delay_alu instid0(VALU_DEP_3) | instskip(SKIP_1) | instid1(VALU_DEP_1)
	v_cmp_lt_u64_e32 vcc_lo, 0xffffff, v[2:3]
	v_add_nc_u32_e32 v4, 15, v16
	v_cndmask_b32_e32 v17, v65, v4, vcc_lo
	v_cndmask_b32_e64 v4, 0, 1, vcc_lo
	s_delay_alu instid0(VALU_DEP_1)
	v_lshrrev_b64 v[4:5], v4, v[2:3]
; %bb.7883:                             ;   in Loop: Header=BB4_6688 Depth=4
	s_and_not1_saveexec_b32 s13, s13
; %bb.7884:                             ;   in Loop: Header=BB4_6688 Depth=4
	v_mov_b64_e32 v[4:5], v[2:3]
	v_bfe_u32 v17, v2, 23, 1
; %bb.7885:                             ;   in Loop: Header=BB4_6688 Depth=4
	s_or_b32 exec_lo, exec_lo, s13
	s_delay_alu instid0(VALU_DEP_2) | instskip(NEXT) | instid1(VALU_DEP_2)
	v_lshrrev_b64 v[4:5], 21, v[4:5]
	v_cmp_gt_i32_e32 vcc_lo, 32, v17
	v_cmp_ne_u32_e64 s13, 0, v17
                                        ; implicit-def: $vgpr16
	s_delay_alu instid0(VALU_DEP_3) | instskip(NEXT) | instid1(VALU_DEP_1)
	v_dual_cndmask_b32 v5, 0, v5 :: v_dual_cndmask_b32 v4, 3, v4
	v_cmp_ne_u64_e32 vcc_lo, 0, v[4:5]
	s_or_b32 s13, s13, vcc_lo
	s_delay_alu instid0(SALU_CYCLE_1) | instskip(NEXT) | instid1(SALU_CYCLE_1)
	s_and_saveexec_b32 s76, s13
	s_xor_b32 s13, exec_lo, s76
; %bb.7886:                             ;   in Loop: Header=BB4_6688 Depth=4
	v_min_i32_e32 v2, 31, v17
	s_delay_alu instid0(VALU_DEP_1) | instskip(NEXT) | instid1(VALU_DEP_1)
	v_lshl_or_b32 v2, v2, 2, v15
                                        ; implicit-def: $vgpr15
	v_and_or_b32 v16, v4, 3, v2
; %bb.7887:                             ;   in Loop: Header=BB4_6688 Depth=4
	s_and_not1_saveexec_b32 s13, s13
; %bb.7888:                             ;   in Loop: Header=BB4_6688 Depth=4
	v_mov_b32_e32 v16, v15
; %bb.7889:                             ;   in Loop: Header=BB4_6688 Depth=4
	s_or_b32 exec_lo, exec_lo, s13
.LBB4_7890:                             ;   in Loop: Header=BB4_6688 Depth=4
	s_delay_alu instid0(SALU_CYCLE_1)
	s_or_b32 exec_lo, exec_lo, s75
                                        ; implicit-def: $vgpr15
.LBB4_7891:                             ;   in Loop: Header=BB4_6688 Depth=4
	s_and_not1_saveexec_b32 s13, s15
; %bb.7892:                             ;   in Loop: Header=BB4_6688 Depth=4
	v_or_b32_e32 v16, 0x7b, v15
; %bb.7893:                             ;   in Loop: Header=BB4_6688 Depth=4
	s_or_b32 exec_lo, exec_lo, s13
                                        ; implicit-def: $vgpr4
.LBB4_7894:                             ;   in Loop: Header=BB4_6688 Depth=4
	s_and_not1_saveexec_b32 s13, s14
	s_cbranch_execz .LBB4_7900
; %bb.7895:                             ;   in Loop: Header=BB4_6688 Depth=4
	s_mov_b32 s14, exec_lo
                                        ; implicit-def: $vgpr16
	v_cmpx_ne_u64_e32 0, v[2:3]
	s_xor_b32 s14, exec_lo, s14
; %bb.7896:                             ;   in Loop: Header=BB4_6688 Depth=4
	v_lshrrev_b32_e32 v2, 24, v4
                                        ; implicit-def: $vgpr4
	s_delay_alu instid0(VALU_DEP_1)
	v_or_b32_e32 v16, 0x7f, v2
; %bb.7897:                             ;   in Loop: Header=BB4_6688 Depth=4
	s_and_not1_saveexec_b32 s14, s14
; %bb.7898:                             ;   in Loop: Header=BB4_6688 Depth=4
	v_cmp_lt_i32_e32 vcc_lo, -1, v4
	v_cndmask_b32_e64 v16, -4, 0x7c, vcc_lo
; %bb.7899:                             ;   in Loop: Header=BB4_6688 Depth=4
	s_or_b32 exec_lo, exec_lo, s14
.LBB4_7900:                             ;   in Loop: Header=BB4_6688 Depth=4
	s_delay_alu instid0(SALU_CYCLE_1) | instskip(SKIP_3) | instid1(VALU_DEP_2)
	s_or_b32 exec_lo, exec_lo, s13
	v_and_b32_e32 v15, 0xff, v14
	v_dual_mov_b32 v2, 0 :: v_dual_mov_b32 v4, 0
	s_mov_b32 s13, exec_lo
	v_cmpx_ne_u16_e32 0, v15
	s_cbranch_execz .LBB4_7910
; %bb.7901:                             ;   in Loop: Header=BB4_6688 Depth=4
	v_bfrev_b32_e32 v4, 1
	s_mov_b32 s14, exec_lo
	v_cmpx_ne_u16_e32 0x80, v15
	s_cbranch_execz .LBB4_7909
; %bb.7902:                             ;   in Loop: Header=BB4_6688 Depth=4
	v_and_b32_e32 v4, 0x7c, v14
	v_and_b32_e32 v5, 3, v14
	s_delay_alu instid0(VALU_DEP_2) | instskip(SKIP_1) | instid1(SALU_CYCLE_1)
	v_cmp_ne_u32_e32 vcc_lo, 0x7c, v4
                                        ; implicit-def: $vgpr4
	s_and_saveexec_b32 s15, vcc_lo
	s_xor_b32 s15, exec_lo, s15
	s_cbranch_execz .LBB4_7906
; %bb.7903:                             ;   in Loop: Header=BB4_6688 Depth=4
	v_bfe_u32 v4, v15, 2, 5
	s_mov_b32 s75, exec_lo
	s_delay_alu instid0(VALU_DEP_1)
	v_cmpx_eq_u32_e32 0, v4
	s_cbranch_execz .LBB4_7905
; %bb.7904:                             ;   in Loop: Header=BB4_6688 Depth=4
	v_clz_i32_u32_e32 v4, v5
	s_delay_alu instid0(VALU_DEP_1) | instskip(SKIP_1) | instid1(VALU_DEP_2)
	v_min_u32_e32 v4, 32, v4
	v_mov_b32_e32 v15, v3
	v_subrev_nc_u32_e32 v5, 29, v4
	v_sub_nc_u32_e32 v4, 30, v4
	s_delay_alu instid0(VALU_DEP_2) | instskip(NEXT) | instid1(VALU_DEP_1)
	v_lshlrev_b64_e32 v[86:87], v5, v[14:15]
	v_and_b32_e32 v5, 3, v86
.LBB4_7905:                             ;   in Loop: Header=BB4_6688 Depth=4
	s_or_b32 exec_lo, exec_lo, s75
	v_lshlrev_b32_e32 v14, 24, v14
	s_delay_alu instid0(VALU_DEP_1) | instskip(NEXT) | instid1(VALU_DEP_1)
	v_and_b32_e32 v14, 0x80000000, v14
	v_lshl_add_u32 v4, v4, 23, v14
                                        ; implicit-def: $vgpr14
	s_delay_alu instid0(VALU_DEP_1) | instskip(NEXT) | instid1(VALU_DEP_1)
	v_lshl_or_b32 v4, v5, 21, v4
                                        ; implicit-def: $vgpr5
	v_add_nc_u32_e32 v4, 0x38000000, v4
.LBB4_7906:                             ;   in Loop: Header=BB4_6688 Depth=4
	s_and_not1_saveexec_b32 s15, s15
; %bb.7907:                             ;   in Loop: Header=BB4_6688 Depth=4
	v_bfe_i32 v4, v14, 0, 8
	s_delay_alu instid0(VALU_DEP_1) | instskip(SKIP_2) | instid1(VALU_DEP_2)
	v_cmp_lt_i16_e32 vcc_lo, -1, v4
	v_cndmask_b32_e32 v4, 0xff800000, v48, vcc_lo
	v_cmp_eq_u32_e32 vcc_lo, 0, v5
	v_cndmask_b32_e32 v4, 0x7f800001, v4, vcc_lo
; %bb.7908:                             ;   in Loop: Header=BB4_6688 Depth=4
	s_or_b32 exec_lo, exec_lo, s15
.LBB4_7909:                             ;   in Loop: Header=BB4_6688 Depth=4
	s_delay_alu instid0(SALU_CYCLE_1)
	s_or_b32 exec_lo, exec_lo, s14
.LBB4_7910:                             ;   in Loop: Header=BB4_6688 Depth=4
	s_delay_alu instid0(SALU_CYCLE_1) | instskip(NEXT) | instid1(SALU_CYCLE_1)
	s_or_b32 exec_lo, exec_lo, s13
	s_mov_b32 s13, exec_lo
	s_wait_loadcnt_dscnt 0x0
	v_cmpx_ne_u16_e32 0, v118
	s_cbranch_execz .LBB4_7920
; %bb.7911:                             ;   in Loop: Header=BB4_6688 Depth=4
	v_bfrev_b32_e32 v2, 1
	s_mov_b32 s14, exec_lo
	v_cmpx_ne_u16_e32 0xff80, v118
	s_cbranch_execz .LBB4_7919
; %bb.7912:                             ;   in Loop: Header=BB4_6688 Depth=4
	v_and_b32_e32 v2, 0x7c, v118
	v_and_b32_e32 v5, 3, v118
	s_delay_alu instid0(VALU_DEP_2) | instskip(SKIP_1) | instid1(SALU_CYCLE_1)
	v_cmp_ne_u32_e32 vcc_lo, 0x7c, v2
                                        ; implicit-def: $vgpr2
	s_and_saveexec_b32 s15, vcc_lo
	s_xor_b32 s15, exec_lo, s15
	s_cbranch_execz .LBB4_7916
; %bb.7913:                             ;   in Loop: Header=BB4_6688 Depth=4
	v_and_b32_e32 v2, 0xff, v118
	s_mov_b32 s75, exec_lo
	s_delay_alu instid0(VALU_DEP_1) | instskip(NEXT) | instid1(VALU_DEP_1)
	v_bfe_u32 v2, v2, 2, 5
	v_cmpx_eq_u32_e32 0, v2
	s_cbranch_execz .LBB4_7915
; %bb.7914:                             ;   in Loop: Header=BB4_6688 Depth=4
	v_clz_i32_u32_e32 v2, v5
	s_delay_alu instid0(VALU_DEP_1) | instskip(SKIP_1) | instid1(VALU_DEP_2)
	v_min_u32_e32 v2, 32, v2
	v_mov_b32_e32 v119, v3
	v_subrev_nc_u32_e32 v5, 29, v2
	v_sub_nc_u32_e32 v2, 30, v2
	s_delay_alu instid0(VALU_DEP_2) | instskip(NEXT) | instid1(VALU_DEP_1)
	v_lshlrev_b64_e32 v[14:15], v5, v[118:119]
	v_and_b32_e32 v5, 3, v14
.LBB4_7915:                             ;   in Loop: Header=BB4_6688 Depth=4
	s_or_b32 exec_lo, exec_lo, s75
	v_bfe_i32 v14, v118, 0, 16
                                        ; implicit-def: $vgpr118
	s_delay_alu instid0(VALU_DEP_1) | instskip(NEXT) | instid1(VALU_DEP_1)
	v_and_b32_e32 v14, 0x80000000, v14
	v_lshl_add_u32 v2, v2, 23, v14
	s_delay_alu instid0(VALU_DEP_1) | instskip(NEXT) | instid1(VALU_DEP_1)
	v_lshl_or_b32 v2, v5, 21, v2
                                        ; implicit-def: $vgpr5
	v_add_nc_u32_e32 v2, 0x38000000, v2
.LBB4_7916:                             ;   in Loop: Header=BB4_6688 Depth=4
	s_and_not1_saveexec_b32 s15, s15
; %bb.7917:                             ;   in Loop: Header=BB4_6688 Depth=4
	v_cmp_lt_i16_e32 vcc_lo, -1, v118
	v_cndmask_b32_e32 v2, 0xff800000, v48, vcc_lo
	v_cmp_eq_u32_e32 vcc_lo, 0, v5
	s_delay_alu instid0(VALU_DEP_2)
	v_cndmask_b32_e32 v2, 0x7f800001, v2, vcc_lo
; %bb.7918:                             ;   in Loop: Header=BB4_6688 Depth=4
	s_or_b32 exec_lo, exec_lo, s15
.LBB4_7919:                             ;   in Loop: Header=BB4_6688 Depth=4
	s_delay_alu instid0(SALU_CYCLE_1)
	s_or_b32 exec_lo, exec_lo, s14
.LBB4_7920:                             ;   in Loop: Header=BB4_6688 Depth=4
	s_delay_alu instid0(SALU_CYCLE_1) | instskip(NEXT) | instid1(VALU_DEP_1)
	s_or_b32 exec_lo, exec_lo, s13
	v_dual_add_f32 v4, v4, v2 :: v_dual_mov_b32 v15, v3
                                        ; implicit-def: $vgpr5
	s_mov_b32 s13, exec_lo
	s_delay_alu instid0(VALU_DEP_1) | instskip(SKIP_1) | instid1(VALU_DEP_2)
	v_and_b32_e32 v14, 0x7f800000, v4
	v_and_b32_e32 v2, 0x7fffff, v4
	v_cmpx_ne_u64_e32 0x7f800000, v[14:15]
	s_xor_b32 s14, exec_lo, s13
	s_cbranch_execz .LBB4_7938
; %bb.7921:                             ;   in Loop: Header=BB4_6688 Depth=4
	v_dual_mov_b32 v15, v3 :: v_dual_lshrrev_b32 v5, 24, v4
	v_and_b32_e32 v14, 0x7fffffff, v4
	s_mov_b32 s13, exec_lo
	s_delay_alu instid0(VALU_DEP_2) | instskip(NEXT) | instid1(VALU_DEP_2)
	v_and_b32_e32 v17, 0x80, v5
                                        ; implicit-def: $vgpr5
	v_cmpx_gt_u64_e32 0x47600001, v[14:15]
	s_xor_b32 s15, exec_lo, s13
	s_cbranch_execz .LBB4_7935
; %bb.7922:                             ;   in Loop: Header=BB4_6688 Depth=4
	v_mov_b32_e32 v5, 0
	s_mov_b32 s75, exec_lo
	v_cmpx_ne_u32_e32 0, v4
	s_cbranch_execz .LBB4_7934
; %bb.7923:                             ;   in Loop: Header=BB4_6688 Depth=4
	v_bfe_u32 v65, v4, 23, 8
	v_or_b32_e32 v14, 0x800000, v2
	s_mov_b32 s76, exec_lo
	s_delay_alu instid0(VALU_DEP_2) | instskip(SKIP_1) | instid1(VALU_DEP_2)
	v_dual_mov_b32 v15, v3 :: v_dual_sub_nc_u32 v4, 0x71, v65
	v_cmp_gt_u32_e32 vcc_lo, 0x72, v65
	v_cndmask_b32_e32 v4, 0, v4, vcc_lo
	v_cmp_eq_u32_e32 vcc_lo, 0, v65
	s_delay_alu instid0(VALU_DEP_2) | instskip(SKIP_1) | instid1(VALU_DEP_2)
	v_cndmask_b32_e64 v86, v4, 0x70, vcc_lo
	v_cndmask_b32_e32 v14, v14, v2, vcc_lo
	v_dual_add_nc_u32 v4, 21, v86 :: v_dual_add_nc_u32 v87, 20, v86
	s_delay_alu instid0(VALU_DEP_1) | instskip(NEXT) | instid1(VALU_DEP_2)
	v_lshlrev_b64_e64 v[4:5], v4, -1
	v_lshlrev_b64_e64 v[96:97], v87, 1
	s_delay_alu instid0(VALU_DEP_2) | instskip(NEXT) | instid1(VALU_DEP_3)
	v_bfi_b32 v119, v5, 0, 0
	v_bfi_b32 v118, v4, 0, v14
	v_lshrrev_b64 v[4:5], v86, v[14:15]
	s_delay_alu instid0(VALU_DEP_1) | instskip(NEXT) | instid1(VALU_DEP_3)
	v_mov_b64_e32 v[14:15], v[4:5]
	v_cmpx_eq_u64_e64 v[118:119], v[96:97]
; %bb.7924:                             ;   in Loop: Header=BB4_6688 Depth=4
	v_bfe_u32 v14, v4, 21, 1
	v_mov_b32_e32 v15, v3
	s_delay_alu instid0(VALU_DEP_1) | instskip(NEXT) | instid1(VALU_DEP_1)
	v_add_nc_u64_e32 v[14:15], v[4:5], v[14:15]
	v_add_nc_u64_e32 v[14:15], -1, v[14:15]
; %bb.7925:                             ;   in Loop: Header=BB4_6688 Depth=4
	s_or_b32 exec_lo, exec_lo, s76
	v_add_nc_u32_e32 v2, 0xffffff81, v65
	s_delay_alu instid0(VALU_DEP_2) | instskip(SKIP_2) | instid1(VALU_DEP_3)
	v_and_b32_e32 v14, 0x1fffff, v14
	v_lshrrev_b32_e32 v5, 23, v4
	s_mov_b32 s13, exec_lo
	v_cndmask_b32_e64 v2, v2, 0xffffff82, vcc_lo
	s_delay_alu instid0(VALU_DEP_1) | instskip(SKIP_1) | instid1(VALU_DEP_2)
	v_add3_u32 v15, v86, v2, v5
	v_add_nc_u32_e32 v2, v14, v4
                                        ; implicit-def: $vgpr4_vgpr5
                                        ; implicit-def: $vgpr14
	v_add_nc_u32_e32 v65, 14, v15
	s_delay_alu instid0(VALU_DEP_1)
	v_cmpx_ne_u32_e32 0, v65
	s_xor_b32 s13, exec_lo, s13
; %bb.7926:                             ;   in Loop: Header=BB4_6688 Depth=4
	s_delay_alu instid0(VALU_DEP_3) | instskip(SKIP_1) | instid1(VALU_DEP_1)
	v_cmp_lt_u64_e32 vcc_lo, 0xffffff, v[2:3]
	v_add_nc_u32_e32 v4, 15, v15
	v_cndmask_b32_e32 v14, v65, v4, vcc_lo
	v_cndmask_b32_e64 v4, 0, 1, vcc_lo
	s_delay_alu instid0(VALU_DEP_1)
	v_lshrrev_b64 v[4:5], v4, v[2:3]
; %bb.7927:                             ;   in Loop: Header=BB4_6688 Depth=4
	s_and_not1_saveexec_b32 s13, s13
; %bb.7928:                             ;   in Loop: Header=BB4_6688 Depth=4
	v_mov_b64_e32 v[4:5], v[2:3]
	v_bfe_u32 v14, v2, 23, 1
; %bb.7929:                             ;   in Loop: Header=BB4_6688 Depth=4
	s_or_b32 exec_lo, exec_lo, s13
	s_delay_alu instid0(VALU_DEP_2) | instskip(NEXT) | instid1(VALU_DEP_2)
	v_lshrrev_b64 v[4:5], 21, v[4:5]
	v_cmp_gt_i32_e32 vcc_lo, 32, v14
	v_cmp_ne_u32_e64 s13, 0, v14
	s_delay_alu instid0(VALU_DEP_3) | instskip(NEXT) | instid1(VALU_DEP_1)
	v_dual_cndmask_b32 v5, 0, v5 :: v_dual_cndmask_b32 v4, 3, v4
	v_cmp_ne_u64_e32 vcc_lo, 0, v[4:5]
                                        ; implicit-def: $vgpr5
	s_or_b32 s13, s13, vcc_lo
	s_delay_alu instid0(SALU_CYCLE_1) | instskip(NEXT) | instid1(SALU_CYCLE_1)
	s_and_saveexec_b32 s76, s13
	s_xor_b32 s13, exec_lo, s76
; %bb.7930:                             ;   in Loop: Header=BB4_6688 Depth=4
	v_min_i32_e32 v2, 31, v14
	s_delay_alu instid0(VALU_DEP_1) | instskip(NEXT) | instid1(VALU_DEP_1)
	v_lshl_or_b32 v2, v2, 2, v17
                                        ; implicit-def: $vgpr17
	v_and_or_b32 v5, v4, 3, v2
; %bb.7931:                             ;   in Loop: Header=BB4_6688 Depth=4
	s_and_not1_saveexec_b32 s13, s13
; %bb.7932:                             ;   in Loop: Header=BB4_6688 Depth=4
	v_mov_b32_e32 v5, v17
; %bb.7933:                             ;   in Loop: Header=BB4_6688 Depth=4
	s_or_b32 exec_lo, exec_lo, s13
.LBB4_7934:                             ;   in Loop: Header=BB4_6688 Depth=4
	s_delay_alu instid0(SALU_CYCLE_1)
	s_or_b32 exec_lo, exec_lo, s75
                                        ; implicit-def: $vgpr17
.LBB4_7935:                             ;   in Loop: Header=BB4_6688 Depth=4
	s_and_not1_saveexec_b32 s13, s15
; %bb.7936:                             ;   in Loop: Header=BB4_6688 Depth=4
	v_or_b32_e32 v5, 0x7b, v17
; %bb.7937:                             ;   in Loop: Header=BB4_6688 Depth=4
	s_or_b32 exec_lo, exec_lo, s13
                                        ; implicit-def: $vgpr4
.LBB4_7938:                             ;   in Loop: Header=BB4_6688 Depth=4
	s_and_not1_saveexec_b32 s13, s14
	s_cbranch_execz .LBB4_6687
; %bb.7939:                             ;   in Loop: Header=BB4_6688 Depth=4
	s_mov_b32 s14, exec_lo
                                        ; implicit-def: $vgpr5
	v_cmpx_ne_u64_e32 0, v[2:3]
	s_xor_b32 s14, exec_lo, s14
; %bb.7940:                             ;   in Loop: Header=BB4_6688 Depth=4
	v_lshrrev_b32_e32 v2, 24, v4
                                        ; implicit-def: $vgpr4
	s_delay_alu instid0(VALU_DEP_1)
	v_or_b32_e32 v5, 0x7f, v2
; %bb.7941:                             ;   in Loop: Header=BB4_6688 Depth=4
	s_and_not1_saveexec_b32 s14, s14
	s_cbranch_execz .LBB4_6686
; %bb.7942:                             ;   in Loop: Header=BB4_6688 Depth=4
	v_cmp_lt_i32_e32 vcc_lo, -1, v4
	v_cndmask_b32_e64 v5, -4, 0x7c, vcc_lo
	s_branch .LBB4_6686
.LBB4_7943:                             ;   in Loop: Header=BB4_3282 Depth=3
	s_or_b32 exec_lo, exec_lo, s74
.LBB4_7944:                             ;   in Loop: Header=BB4_3282 Depth=3
	s_delay_alu instid0(SALU_CYCLE_1) | instskip(SKIP_1) | instid1(VALU_DEP_1)
	s_or_b32 exec_lo, exec_lo, s73
	v_lshlrev_b32_e32 v2, 9, v67
	v_cmp_ne_u32_e32 vcc_lo, v115, v2
	s_and_b32 exec_lo, exec_lo, vcc_lo
	s_cbranch_execz .LBB4_8034
; %bb.7945:                             ;   in Loop: Header=BB4_3282 Depth=3
	v_dual_lshlrev_b32 v4, 5, v125 :: v_dual_lshlrev_b32 v5, 5, v66
	s_delay_alu instid0(VALU_DEP_1) | instskip(NEXT) | instid1(VALU_DEP_1)
	v_sub_nc_u32_e32 v4, v124, v4
	v_sub_nc_u32_e32 v4, v4, v5
	s_delay_alu instid0(VALU_DEP_1) | instskip(NEXT) | instid1(VALU_DEP_1)
	v_add_nc_u32_e32 v2, v2, v4
	v_sub_nc_u32_e32 v16, v115, v2
	s_delay_alu instid0(VALU_DEP_1)
	v_cmp_lt_i32_e32 vcc_lo, 0, v16
	s_and_b32 exec_lo, exec_lo, vcc_lo
	s_cbranch_execz .LBB4_8034
; %bb.7946:                             ;   in Loop: Header=BB4_3282 Depth=3
	s_trap 2
	ds_load_b128 v[8:11], v0
	ds_load_b64 v[12:13], v0
	v_add_nc_u32_e32 v14, v2, v113
	s_mov_b32 s73, 0
	s_delay_alu instid0(VALU_DEP_1) | instskip(SKIP_1) | instid1(VALU_DEP_1)
	v_ashrrev_i32_e32 v15, 31, v14
	s_wait_dscnt 0x1
	v_add_nc_u64_e32 v[4:5], v[8:9], v[14:15]
	v_add_nc_u64_e32 v[8:9], v[10:11], v[14:15]
	s_wait_dscnt 0x0
	v_add_nc_u64_e32 v[10:11], v[12:13], v[14:15]
	s_branch .LBB4_7949
.LBB4_7947:                             ;   in Loop: Header=BB4_7949 Depth=4
	s_or_b32 exec_lo, exec_lo, s14
.LBB4_7948:                             ;   in Loop: Header=BB4_7949 Depth=4
	s_delay_alu instid0(SALU_CYCLE_1)
	s_or_b32 exec_lo, exec_lo, s13
	v_sub_nc_u32_e32 v16, v16, v38
	flat_store_b8 v[10:11], v13 th:TH_STORE_NT
	v_add_nc_u64_e32 v[4:5], v[4:5], v[38:39]
	v_add_nc_u64_e32 v[8:9], v[8:9], v[38:39]
	s_wait_xcnt 0x0
	v_add_nc_u64_e32 v[10:11], v[10:11], v[38:39]
	v_cmp_gt_i32_e32 vcc_lo, 1, v16
	s_or_b32 s73, vcc_lo, s73
	s_delay_alu instid0(SALU_CYCLE_1)
	s_and_not1_b32 exec_lo, exec_lo, s73
	s_cbranch_execz .LBB4_8034
.LBB4_7949:                             ;   Parent Loop BB4_47 Depth=1
                                        ;     Parent Loop BB4_3279 Depth=2
                                        ;       Parent Loop BB4_3282 Depth=3
                                        ; =>      This Inner Loop Header: Depth=4
	s_trap 2
	ds_load_b64 v[12:13], v0
	s_mov_b32 s13, 0
	s_wait_dscnt 0x0
	v_and_b32_e32 v2, 0xff, v12
	v_readfirstlane_b32 s14, v12
	v_readfirstlane_b32 s15, v13
	s_delay_alu instid0(VALU_DEP_3)
	v_cmp_eq_u32_e32 vcc_lo, 0, v2
	s_cbranch_vccnz .LBB4_7957
; %bb.7950:                             ;   in Loop: Header=BB4_7949 Depth=4
	s_bfe_i32 s75, s14, 0x80000
	s_delay_alu instid0(SALU_CYCLE_1) | instskip(NEXT) | instid1(SALU_CYCLE_1)
	s_and_b32 s13, 0xffff, s75
	s_cmp_eq_u32 s13, 0xff80
	s_brev_b32 s13, 1
	s_cbranch_scc1 .LBB4_7957
; %bb.7951:                             ;   in Loop: Header=BB4_7949 Depth=4
	s_and_b32 s13, s14, 0x7c
	s_and_b32 s74, s14, 3
	s_mov_b32 s76, -1
	s_cmp_lg_u32 s13, 0x7c
	s_sext_i32_i16 s75, s75
                                        ; implicit-def: $sgpr13
	s_cbranch_scc0 .LBB4_7955
; %bb.7952:                             ;   in Loop: Header=BB4_7949 Depth=4
	s_bfe_u32 s13, s14, 0x50002
	s_mov_b32 s76, s74
	s_cmp_lg_u32 s13, 0
	s_cbranch_scc1 .LBB4_7954
; %bb.7953:                             ;   in Loop: Header=BB4_7949 Depth=4
	s_clz_i32_u32 s13, s74
	s_delay_alu instid0(SALU_CYCLE_1) | instskip(NEXT) | instid1(SALU_CYCLE_1)
	s_min_u32 s13, s13, 32
	s_sub_co_i32 s76, s13, 29
	s_sub_co_i32 s13, 30, s13
	s_lshl_b64 s[14:15], s[14:15], s76
	s_delay_alu instid0(SALU_CYCLE_1)
	s_and_b32 s76, s14, 3
.LBB4_7954:                             ;   in Loop: Header=BB4_7949 Depth=4
	s_and_b32 s14, s75, 0x80000000
	s_lshl_b32 s13, s13, 23
	s_lshl_b32 s15, s76, 21
	s_add_co_i32 s13, s13, s14
	s_mov_b32 s76, 0
	s_or_b32 s13, s13, s15
	s_delay_alu instid0(SALU_CYCLE_1)
	s_add_co_i32 s13, s13, 0x38000000
.LBB4_7955:                             ;   in Loop: Header=BB4_7949 Depth=4
	s_and_b32 vcc_lo, exec_lo, s76
	s_cbranch_vccz .LBB4_7957
; %bb.7956:                             ;   in Loop: Header=BB4_7949 Depth=4
	s_cmp_gt_i32 s75, -1
	s_cselect_b32 s13, s47, 0xff800000
	s_cmp_eq_u32 s74, 0
	s_cselect_b32 s13, s13, 0x7f800001
.LBB4_7957:                             ;   in Loop: Header=BB4_7949 Depth=4
	flat_load_i8 v12, v[4:5] th:TH_LOAD_NT
	v_mov_b32_e32 v13, 0
	s_mov_b32 s14, exec_lo
	s_wait_loadcnt_dscnt 0x0
	v_cmpx_ne_u16_e32 0, v12
	s_cbranch_execz .LBB4_7967
; %bb.7958:                             ;   in Loop: Header=BB4_7949 Depth=4
	v_bfrev_b32_e32 v13, 1
	s_mov_b32 s15, exec_lo
	v_cmpx_ne_u16_e32 0xff80, v12
	s_cbranch_execz .LBB4_7966
; %bb.7959:                             ;   in Loop: Header=BB4_7949 Depth=4
	v_and_b32_e32 v13, 0x7c, v12
	v_and_b32_e32 v2, 3, v12
	s_delay_alu instid0(VALU_DEP_2) | instskip(SKIP_1) | instid1(SALU_CYCLE_1)
	v_cmp_ne_u32_e32 vcc_lo, 0x7c, v13
                                        ; implicit-def: $vgpr13
	s_and_saveexec_b32 s74, vcc_lo
	s_xor_b32 s74, exec_lo, s74
	s_cbranch_execz .LBB4_7963
; %bb.7960:                             ;   in Loop: Header=BB4_7949 Depth=4
	v_and_b32_e32 v13, 0xff, v12
	s_mov_b32 s75, exec_lo
	s_delay_alu instid0(VALU_DEP_1) | instskip(NEXT) | instid1(VALU_DEP_1)
	v_bfe_u32 v13, v13, 2, 5
	v_cmpx_eq_u32_e32 0, v13
	s_cbranch_execz .LBB4_7962
; %bb.7961:                             ;   in Loop: Header=BB4_7949 Depth=4
	v_clz_i32_u32_e32 v2, v2
	v_mov_b32_e32 v13, v3
	s_delay_alu instid0(VALU_DEP_2) | instskip(NEXT) | instid1(VALU_DEP_1)
	v_min_u32_e32 v2, 32, v2
	v_subrev_nc_u32_e32 v14, 29, v2
	s_delay_alu instid0(VALU_DEP_1) | instskip(SKIP_1) | instid1(VALU_DEP_2)
	v_lshlrev_b64_e32 v[14:15], v14, v[12:13]
	v_sub_nc_u32_e32 v13, 30, v2
	v_and_b32_e32 v2, 3, v14
.LBB4_7962:                             ;   in Loop: Header=BB4_7949 Depth=4
	s_or_b32 exec_lo, exec_lo, s75
	v_bfe_i32 v12, v12, 0, 16
	s_delay_alu instid0(VALU_DEP_1) | instskip(NEXT) | instid1(VALU_DEP_1)
	v_and_b32_e32 v12, 0x80000000, v12
	v_lshl_add_u32 v12, v13, 23, v12
	s_delay_alu instid0(VALU_DEP_1) | instskip(NEXT) | instid1(VALU_DEP_1)
	v_lshl_or_b32 v2, v2, 21, v12
                                        ; implicit-def: $vgpr12
	v_add_nc_u32_e32 v13, 0x38000000, v2
                                        ; implicit-def: $vgpr2
.LBB4_7963:                             ;   in Loop: Header=BB4_7949 Depth=4
	s_and_not1_saveexec_b32 s74, s74
; %bb.7964:                             ;   in Loop: Header=BB4_7949 Depth=4
	v_cmp_lt_i16_e32 vcc_lo, -1, v12
	v_cndmask_b32_e32 v12, 0xff800000, v48, vcc_lo
	v_cmp_eq_u32_e32 vcc_lo, 0, v2
	s_delay_alu instid0(VALU_DEP_2)
	v_cndmask_b32_e32 v13, 0x7f800001, v12, vcc_lo
; %bb.7965:                             ;   in Loop: Header=BB4_7949 Depth=4
	s_or_b32 exec_lo, exec_lo, s74
.LBB4_7966:                             ;   in Loop: Header=BB4_7949 Depth=4
	s_delay_alu instid0(SALU_CYCLE_1)
	s_or_b32 exec_lo, exec_lo, s15
.LBB4_7967:                             ;   in Loop: Header=BB4_7949 Depth=4
	s_delay_alu instid0(SALU_CYCLE_1) | instskip(NEXT) | instid1(VALU_DEP_1)
	s_or_b32 exec_lo, exec_lo, s14
	v_dual_mul_f32 v13, s13, v13 :: v_dual_mov_b32 v15, v3
                                        ; implicit-def: $vgpr12
	s_mov_b32 s13, exec_lo
	s_delay_alu instid0(VALU_DEP_1) | instskip(SKIP_1) | instid1(VALU_DEP_2)
	v_and_b32_e32 v14, 0x7f800000, v13
	v_and_b32_e32 v2, 0x7fffff, v13
	v_cmpx_ne_u64_e32 0x7f800000, v[14:15]
	s_xor_b32 s14, exec_lo, s13
	s_cbranch_execz .LBB4_7985
; %bb.7968:                             ;   in Loop: Header=BB4_7949 Depth=4
	v_dual_mov_b32 v15, v3 :: v_dual_lshrrev_b32 v12, 24, v13
	v_and_b32_e32 v14, 0x7fffffff, v13
	s_mov_b32 s13, exec_lo
	s_delay_alu instid0(VALU_DEP_2) | instskip(NEXT) | instid1(VALU_DEP_2)
	v_and_b32_e32 v17, 0x80, v12
                                        ; implicit-def: $vgpr12
	v_cmpx_gt_u64_e32 0x47600001, v[14:15]
	s_xor_b32 s15, exec_lo, s13
	s_cbranch_execz .LBB4_7982
; %bb.7969:                             ;   in Loop: Header=BB4_7949 Depth=4
	v_mov_b32_e32 v12, 0
	s_mov_b32 s74, exec_lo
	v_cmpx_ne_u32_e32 0, v13
	s_cbranch_execz .LBB4_7981
; %bb.7970:                             ;   in Loop: Header=BB4_7949 Depth=4
	v_bfe_u32 v18, v13, 23, 8
	v_or_b32_e32 v14, 0x800000, v2
	s_mov_b32 s75, exec_lo
	s_delay_alu instid0(VALU_DEP_2) | instskip(SKIP_1) | instid1(VALU_DEP_2)
	v_dual_mov_b32 v15, v3 :: v_dual_sub_nc_u32 v12, 0x71, v18
	v_cmp_gt_u32_e32 vcc_lo, 0x72, v18
	v_cndmask_b32_e32 v12, 0, v12, vcc_lo
	v_cmp_eq_u32_e32 vcc_lo, 0, v18
	s_delay_alu instid0(VALU_DEP_2) | instskip(NEXT) | instid1(VALU_DEP_1)
	v_cndmask_b32_e64 v19, v12, 0x70, vcc_lo
	v_dual_cndmask_b32 v14, v14, v2, vcc_lo :: v_dual_add_nc_u32 v12, 21, v19
	v_add_nc_u32_e32 v20, 20, v19
	s_delay_alu instid0(VALU_DEP_2) | instskip(NEXT) | instid1(VALU_DEP_2)
	v_lshlrev_b64_e64 v[12:13], v12, -1
	v_lshlrev_b64_e64 v[20:21], v20, 1
	s_delay_alu instid0(VALU_DEP_2) | instskip(NEXT) | instid1(VALU_DEP_3)
	v_bfi_b32 v31, v13, 0, 0
	v_bfi_b32 v30, v12, 0, v14
	v_lshrrev_b64 v[12:13], v19, v[14:15]
	s_delay_alu instid0(VALU_DEP_1) | instskip(NEXT) | instid1(VALU_DEP_3)
	v_mov_b64_e32 v[14:15], v[12:13]
	v_cmpx_eq_u64_e64 v[30:31], v[20:21]
; %bb.7971:                             ;   in Loop: Header=BB4_7949 Depth=4
	v_bfe_u32 v14, v12, 21, 1
	v_mov_b32_e32 v15, v3
	s_delay_alu instid0(VALU_DEP_1) | instskip(NEXT) | instid1(VALU_DEP_1)
	v_add_nc_u64_e32 v[14:15], v[12:13], v[14:15]
	v_add_nc_u64_e32 v[14:15], -1, v[14:15]
; %bb.7972:                             ;   in Loop: Header=BB4_7949 Depth=4
	s_or_b32 exec_lo, exec_lo, s75
	v_add_nc_u32_e32 v2, 0xffffff81, v18
	s_delay_alu instid0(VALU_DEP_2) | instskip(SKIP_2) | instid1(VALU_DEP_3)
	v_and_b32_e32 v15, 0x1fffff, v14
	v_lshrrev_b32_e32 v13, 23, v12
	s_mov_b32 s13, exec_lo
                                        ; implicit-def: $vgpr18
	v_cndmask_b32_e64 v2, v2, 0xffffff82, vcc_lo
	s_delay_alu instid0(VALU_DEP_1) | instskip(SKIP_1) | instid1(VALU_DEP_2)
	v_add3_u32 v14, v19, v2, v13
	v_add_nc_u32_e32 v2, v15, v12
                                        ; implicit-def: $vgpr12_vgpr13
	v_add_nc_u32_e32 v15, 14, v14
	s_delay_alu instid0(VALU_DEP_1)
	v_cmpx_ne_u32_e32 0, v15
	s_xor_b32 s13, exec_lo, s13
; %bb.7973:                             ;   in Loop: Header=BB4_7949 Depth=4
	s_delay_alu instid0(VALU_DEP_3) | instskip(SKIP_1) | instid1(VALU_DEP_1)
	v_cmp_lt_u64_e32 vcc_lo, 0xffffff, v[2:3]
	v_add_nc_u32_e32 v12, 15, v14
	v_cndmask_b32_e32 v18, v15, v12, vcc_lo
	v_cndmask_b32_e64 v12, 0, 1, vcc_lo
	s_delay_alu instid0(VALU_DEP_1)
	v_lshrrev_b64 v[12:13], v12, v[2:3]
; %bb.7974:                             ;   in Loop: Header=BB4_7949 Depth=4
	s_and_not1_saveexec_b32 s13, s13
; %bb.7975:                             ;   in Loop: Header=BB4_7949 Depth=4
	v_mov_b64_e32 v[12:13], v[2:3]
	v_bfe_u32 v18, v2, 23, 1
; %bb.7976:                             ;   in Loop: Header=BB4_7949 Depth=4
	s_or_b32 exec_lo, exec_lo, s13
	s_delay_alu instid0(VALU_DEP_2) | instskip(NEXT) | instid1(VALU_DEP_2)
	v_lshrrev_b64 v[12:13], 21, v[12:13]
	v_cmp_gt_i32_e32 vcc_lo, 32, v18
	v_cmp_ne_u32_e64 s13, 0, v18
	s_delay_alu instid0(VALU_DEP_3) | instskip(NEXT) | instid1(VALU_DEP_1)
	v_dual_cndmask_b32 v15, 0, v13 :: v_dual_cndmask_b32 v14, 3, v12
                                        ; implicit-def: $vgpr12
	v_cmp_ne_u64_e32 vcc_lo, 0, v[14:15]
	s_or_b32 s13, s13, vcc_lo
	s_delay_alu instid0(SALU_CYCLE_1) | instskip(NEXT) | instid1(SALU_CYCLE_1)
	s_and_saveexec_b32 s75, s13
	s_xor_b32 s13, exec_lo, s75
; %bb.7977:                             ;   in Loop: Header=BB4_7949 Depth=4
	v_min_i32_e32 v2, 31, v18
	s_delay_alu instid0(VALU_DEP_1) | instskip(NEXT) | instid1(VALU_DEP_1)
	v_lshl_or_b32 v2, v2, 2, v17
                                        ; implicit-def: $vgpr17
	v_and_or_b32 v12, v14, 3, v2
; %bb.7978:                             ;   in Loop: Header=BB4_7949 Depth=4
	s_and_not1_saveexec_b32 s13, s13
; %bb.7979:                             ;   in Loop: Header=BB4_7949 Depth=4
	v_mov_b32_e32 v12, v17
; %bb.7980:                             ;   in Loop: Header=BB4_7949 Depth=4
	s_or_b32 exec_lo, exec_lo, s13
.LBB4_7981:                             ;   in Loop: Header=BB4_7949 Depth=4
	s_delay_alu instid0(SALU_CYCLE_1)
	s_or_b32 exec_lo, exec_lo, s74
                                        ; implicit-def: $vgpr17
.LBB4_7982:                             ;   in Loop: Header=BB4_7949 Depth=4
	s_and_not1_saveexec_b32 s13, s15
; %bb.7983:                             ;   in Loop: Header=BB4_7949 Depth=4
	v_or_b32_e32 v12, 0x7b, v17
; %bb.7984:                             ;   in Loop: Header=BB4_7949 Depth=4
	s_or_b32 exec_lo, exec_lo, s13
                                        ; implicit-def: $vgpr13
.LBB4_7985:                             ;   in Loop: Header=BB4_7949 Depth=4
	s_and_not1_saveexec_b32 s13, s14
	s_cbranch_execz .LBB4_7991
; %bb.7986:                             ;   in Loop: Header=BB4_7949 Depth=4
	s_mov_b32 s14, exec_lo
                                        ; implicit-def: $vgpr12
	v_cmpx_ne_u64_e32 0, v[2:3]
	s_xor_b32 s14, exec_lo, s14
; %bb.7987:                             ;   in Loop: Header=BB4_7949 Depth=4
	v_lshrrev_b32_e32 v2, 24, v13
                                        ; implicit-def: $vgpr13
	s_delay_alu instid0(VALU_DEP_1)
	v_or_b32_e32 v12, 0x7f, v2
; %bb.7988:                             ;   in Loop: Header=BB4_7949 Depth=4
	s_and_not1_saveexec_b32 s14, s14
; %bb.7989:                             ;   in Loop: Header=BB4_7949 Depth=4
	v_cmp_lt_i32_e32 vcc_lo, -1, v13
	v_cndmask_b32_e64 v12, -4, 0x7c, vcc_lo
; %bb.7990:                             ;   in Loop: Header=BB4_7949 Depth=4
	s_or_b32 exec_lo, exec_lo, s14
.LBB4_7991:                             ;   in Loop: Header=BB4_7949 Depth=4
	s_delay_alu instid0(SALU_CYCLE_1)
	s_or_b32 exec_lo, exec_lo, s13
	flat_load_i8 v14, v[8:9] th:TH_LOAD_NT
	v_and_b32_e32 v17, 0xff, v12
	v_dual_mov_b32 v2, 0 :: v_dual_mov_b32 v13, 0
	s_mov_b32 s13, exec_lo
	s_wait_xcnt 0x0
	s_delay_alu instid0(VALU_DEP_2)
	v_cmpx_ne_u16_e32 0, v17
	s_cbranch_execz .LBB4_8001
; %bb.7992:                             ;   in Loop: Header=BB4_7949 Depth=4
	v_bfrev_b32_e32 v13, 1
	s_mov_b32 s14, exec_lo
	v_cmpx_ne_u16_e32 0x80, v17
	s_cbranch_execz .LBB4_8000
; %bb.7993:                             ;   in Loop: Header=BB4_7949 Depth=4
	v_and_b32_e32 v13, 0x7c, v12
	v_and_b32_e32 v15, 3, v12
	s_delay_alu instid0(VALU_DEP_2) | instskip(SKIP_1) | instid1(SALU_CYCLE_1)
	v_cmp_ne_u32_e32 vcc_lo, 0x7c, v13
                                        ; implicit-def: $vgpr13
	s_and_saveexec_b32 s15, vcc_lo
	s_xor_b32 s15, exec_lo, s15
	s_cbranch_execz .LBB4_7997
; %bb.7994:                             ;   in Loop: Header=BB4_7949 Depth=4
	v_bfe_u32 v13, v17, 2, 5
	s_mov_b32 s74, exec_lo
	s_delay_alu instid0(VALU_DEP_1)
	v_cmpx_eq_u32_e32 0, v13
; %bb.7995:                             ;   in Loop: Header=BB4_7949 Depth=4
	v_clz_i32_u32_e32 v13, v15
	s_delay_alu instid0(VALU_DEP_1) | instskip(SKIP_1) | instid1(VALU_DEP_2)
	v_min_u32_e32 v15, 32, v13
	v_mov_b32_e32 v13, v3
	v_subrev_nc_u32_e32 v17, 29, v15
	s_delay_alu instid0(VALU_DEP_1) | instskip(NEXT) | instid1(VALU_DEP_1)
	v_lshlrev_b64_e32 v[18:19], v17, v[12:13]
	v_dual_sub_nc_u32 v13, 30, v15 :: v_dual_bitop2_b32 v15, 3, v18 bitop3:0x40
; %bb.7996:                             ;   in Loop: Header=BB4_7949 Depth=4
	s_or_b32 exec_lo, exec_lo, s74
	v_lshlrev_b32_e32 v12, 24, v12
	s_delay_alu instid0(VALU_DEP_1) | instskip(NEXT) | instid1(VALU_DEP_1)
	v_and_b32_e32 v12, 0x80000000, v12
	v_lshl_add_u32 v12, v13, 23, v12
	s_delay_alu instid0(VALU_DEP_1) | instskip(NEXT) | instid1(VALU_DEP_1)
	v_lshl_or_b32 v12, v15, 21, v12
                                        ; implicit-def: $vgpr15
	v_add_nc_u32_e32 v13, 0x38000000, v12
                                        ; implicit-def: $vgpr12
.LBB4_7997:                             ;   in Loop: Header=BB4_7949 Depth=4
	s_and_not1_saveexec_b32 s15, s15
; %bb.7998:                             ;   in Loop: Header=BB4_7949 Depth=4
	v_bfe_i32 v12, v12, 0, 8
	s_delay_alu instid0(VALU_DEP_1) | instskip(SKIP_2) | instid1(VALU_DEP_2)
	v_cmp_lt_i16_e32 vcc_lo, -1, v12
	v_cndmask_b32_e32 v12, 0xff800000, v48, vcc_lo
	v_cmp_eq_u32_e32 vcc_lo, 0, v15
	v_cndmask_b32_e32 v13, 0x7f800001, v12, vcc_lo
; %bb.7999:                             ;   in Loop: Header=BB4_7949 Depth=4
	s_or_b32 exec_lo, exec_lo, s15
.LBB4_8000:                             ;   in Loop: Header=BB4_7949 Depth=4
	s_delay_alu instid0(SALU_CYCLE_1)
	s_or_b32 exec_lo, exec_lo, s14
.LBB4_8001:                             ;   in Loop: Header=BB4_7949 Depth=4
	s_delay_alu instid0(SALU_CYCLE_1) | instskip(NEXT) | instid1(SALU_CYCLE_1)
	s_or_b32 exec_lo, exec_lo, s13
	s_mov_b32 s13, exec_lo
	s_wait_loadcnt_dscnt 0x0
	v_cmpx_ne_u16_e32 0, v14
	s_cbranch_execz .LBB4_8011
; %bb.8002:                             ;   in Loop: Header=BB4_7949 Depth=4
	v_bfrev_b32_e32 v2, 1
	s_mov_b32 s14, exec_lo
	v_cmpx_ne_u16_e32 0xff80, v14
	s_cbranch_execz .LBB4_8010
; %bb.8003:                             ;   in Loop: Header=BB4_7949 Depth=4
	v_and_b32_e32 v2, 0x7c, v14
	v_and_b32_e32 v12, 3, v14
	s_delay_alu instid0(VALU_DEP_2) | instskip(SKIP_1) | instid1(SALU_CYCLE_1)
	v_cmp_ne_u32_e32 vcc_lo, 0x7c, v2
                                        ; implicit-def: $vgpr2
	s_and_saveexec_b32 s15, vcc_lo
	s_xor_b32 s15, exec_lo, s15
	s_cbranch_execz .LBB4_8007
; %bb.8004:                             ;   in Loop: Header=BB4_7949 Depth=4
	v_and_b32_e32 v2, 0xff, v14
	s_mov_b32 s74, exec_lo
	s_delay_alu instid0(VALU_DEP_1) | instskip(NEXT) | instid1(VALU_DEP_1)
	v_bfe_u32 v2, v2, 2, 5
	v_cmpx_eq_u32_e32 0, v2
	s_cbranch_execz .LBB4_8006
; %bb.8005:                             ;   in Loop: Header=BB4_7949 Depth=4
	v_clz_i32_u32_e32 v2, v12
	s_delay_alu instid0(VALU_DEP_1) | instskip(SKIP_1) | instid1(VALU_DEP_2)
	v_min_u32_e32 v2, 32, v2
	v_mov_b32_e32 v15, v3
	v_subrev_nc_u32_e32 v12, 29, v2
	v_sub_nc_u32_e32 v2, 30, v2
	s_delay_alu instid0(VALU_DEP_2) | instskip(NEXT) | instid1(VALU_DEP_1)
	v_lshlrev_b64_e32 v[18:19], v12, v[14:15]
	v_and_b32_e32 v12, 3, v18
.LBB4_8006:                             ;   in Loop: Header=BB4_7949 Depth=4
	s_or_b32 exec_lo, exec_lo, s74
	v_bfe_i32 v14, v14, 0, 16
	s_delay_alu instid0(VALU_DEP_1) | instskip(NEXT) | instid1(VALU_DEP_1)
	v_and_b32_e32 v14, 0x80000000, v14
	v_lshl_add_u32 v2, v2, 23, v14
                                        ; implicit-def: $vgpr14
	s_delay_alu instid0(VALU_DEP_1) | instskip(NEXT) | instid1(VALU_DEP_1)
	v_lshl_or_b32 v2, v12, 21, v2
                                        ; implicit-def: $vgpr12
	v_add_nc_u32_e32 v2, 0x38000000, v2
.LBB4_8007:                             ;   in Loop: Header=BB4_7949 Depth=4
	s_and_not1_saveexec_b32 s15, s15
; %bb.8008:                             ;   in Loop: Header=BB4_7949 Depth=4
	v_cmp_lt_i16_e32 vcc_lo, -1, v14
	v_cndmask_b32_e32 v2, 0xff800000, v48, vcc_lo
	v_cmp_eq_u32_e32 vcc_lo, 0, v12
	s_delay_alu instid0(VALU_DEP_2)
	v_cndmask_b32_e32 v2, 0x7f800001, v2, vcc_lo
; %bb.8009:                             ;   in Loop: Header=BB4_7949 Depth=4
	s_or_b32 exec_lo, exec_lo, s15
.LBB4_8010:                             ;   in Loop: Header=BB4_7949 Depth=4
	s_delay_alu instid0(SALU_CYCLE_1)
	s_or_b32 exec_lo, exec_lo, s14
.LBB4_8011:                             ;   in Loop: Header=BB4_7949 Depth=4
	s_delay_alu instid0(SALU_CYCLE_1) | instskip(NEXT) | instid1(VALU_DEP_1)
	s_or_b32 exec_lo, exec_lo, s13
	v_dual_add_f32 v12, v13, v2 :: v_dual_mov_b32 v15, v3
                                        ; implicit-def: $vgpr13
	s_mov_b32 s13, exec_lo
	s_delay_alu instid0(VALU_DEP_1) | instskip(SKIP_1) | instid1(VALU_DEP_2)
	v_and_b32_e32 v14, 0x7f800000, v12
	v_and_b32_e32 v2, 0x7fffff, v12
	v_cmpx_ne_u64_e32 0x7f800000, v[14:15]
	s_xor_b32 s14, exec_lo, s13
	s_cbranch_execz .LBB4_8029
; %bb.8012:                             ;   in Loop: Header=BB4_7949 Depth=4
	v_dual_mov_b32 v15, v3 :: v_dual_lshrrev_b32 v13, 24, v12
	v_and_b32_e32 v14, 0x7fffffff, v12
	s_mov_b32 s13, exec_lo
	s_delay_alu instid0(VALU_DEP_2) | instskip(NEXT) | instid1(VALU_DEP_2)
	v_and_b32_e32 v17, 0x80, v13
                                        ; implicit-def: $vgpr13
	v_cmpx_gt_u64_e32 0x47600001, v[14:15]
	s_xor_b32 s15, exec_lo, s13
	s_cbranch_execz .LBB4_8026
; %bb.8013:                             ;   in Loop: Header=BB4_7949 Depth=4
	v_mov_b32_e32 v13, 0
	s_mov_b32 s74, exec_lo
	v_cmpx_ne_u32_e32 0, v12
	s_cbranch_execz .LBB4_8025
; %bb.8014:                             ;   in Loop: Header=BB4_7949 Depth=4
	v_bfe_u32 v18, v12, 23, 8
	v_or_b32_e32 v14, 0x800000, v2
	s_mov_b32 s75, exec_lo
	s_delay_alu instid0(VALU_DEP_2) | instskip(SKIP_1) | instid1(VALU_DEP_2)
	v_dual_mov_b32 v15, v3 :: v_dual_sub_nc_u32 v12, 0x71, v18
	v_cmp_gt_u32_e32 vcc_lo, 0x72, v18
	v_cndmask_b32_e32 v12, 0, v12, vcc_lo
	v_cmp_eq_u32_e32 vcc_lo, 0, v18
	s_delay_alu instid0(VALU_DEP_2) | instskip(NEXT) | instid1(VALU_DEP_1)
	v_cndmask_b32_e64 v19, v12, 0x70, vcc_lo
	v_dual_cndmask_b32 v14, v14, v2, vcc_lo :: v_dual_add_nc_u32 v12, 21, v19
	v_add_nc_u32_e32 v20, 20, v19
	s_delay_alu instid0(VALU_DEP_2) | instskip(NEXT) | instid1(VALU_DEP_2)
	v_lshlrev_b64_e64 v[12:13], v12, -1
	v_lshlrev_b64_e64 v[20:21], v20, 1
	s_delay_alu instid0(VALU_DEP_2) | instskip(NEXT) | instid1(VALU_DEP_3)
	v_bfi_b32 v31, v13, 0, 0
	v_bfi_b32 v30, v12, 0, v14
	v_lshrrev_b64 v[12:13], v19, v[14:15]
	s_delay_alu instid0(VALU_DEP_1) | instskip(NEXT) | instid1(VALU_DEP_3)
	v_mov_b64_e32 v[14:15], v[12:13]
	v_cmpx_eq_u64_e64 v[30:31], v[20:21]
; %bb.8015:                             ;   in Loop: Header=BB4_7949 Depth=4
	v_bfe_u32 v14, v12, 21, 1
	v_mov_b32_e32 v15, v3
	s_delay_alu instid0(VALU_DEP_1) | instskip(NEXT) | instid1(VALU_DEP_1)
	v_add_nc_u64_e32 v[14:15], v[12:13], v[14:15]
	v_add_nc_u64_e32 v[14:15], -1, v[14:15]
; %bb.8016:                             ;   in Loop: Header=BB4_7949 Depth=4
	s_or_b32 exec_lo, exec_lo, s75
	v_add_nc_u32_e32 v2, 0xffffff81, v18
	s_delay_alu instid0(VALU_DEP_2) | instskip(SKIP_2) | instid1(VALU_DEP_3)
	v_and_b32_e32 v14, 0x1fffff, v14
	v_lshrrev_b32_e32 v13, 23, v12
	s_mov_b32 s13, exec_lo
	v_cndmask_b32_e64 v2, v2, 0xffffff82, vcc_lo
	s_delay_alu instid0(VALU_DEP_1) | instskip(SKIP_1) | instid1(VALU_DEP_2)
	v_add3_u32 v15, v19, v2, v13
	v_add_nc_u32_e32 v2, v14, v12
                                        ; implicit-def: $vgpr12_vgpr13
                                        ; implicit-def: $vgpr14
	v_add_nc_u32_e32 v18, 14, v15
	s_delay_alu instid0(VALU_DEP_1)
	v_cmpx_ne_u32_e32 0, v18
	s_xor_b32 s13, exec_lo, s13
; %bb.8017:                             ;   in Loop: Header=BB4_7949 Depth=4
	s_delay_alu instid0(VALU_DEP_3) | instskip(SKIP_1) | instid1(VALU_DEP_1)
	v_cmp_lt_u64_e32 vcc_lo, 0xffffff, v[2:3]
	v_add_nc_u32_e32 v12, 15, v15
	v_cndmask_b32_e32 v14, v18, v12, vcc_lo
	v_cndmask_b32_e64 v12, 0, 1, vcc_lo
	s_delay_alu instid0(VALU_DEP_1)
	v_lshrrev_b64 v[12:13], v12, v[2:3]
; %bb.8018:                             ;   in Loop: Header=BB4_7949 Depth=4
	s_and_not1_saveexec_b32 s13, s13
; %bb.8019:                             ;   in Loop: Header=BB4_7949 Depth=4
	v_mov_b64_e32 v[12:13], v[2:3]
	v_bfe_u32 v14, v2, 23, 1
; %bb.8020:                             ;   in Loop: Header=BB4_7949 Depth=4
	s_or_b32 exec_lo, exec_lo, s13
	s_delay_alu instid0(VALU_DEP_2) | instskip(NEXT) | instid1(VALU_DEP_2)
	v_lshrrev_b64 v[12:13], 21, v[12:13]
	v_cmp_gt_i32_e32 vcc_lo, 32, v14
	v_cmp_ne_u32_e64 s13, 0, v14
	s_delay_alu instid0(VALU_DEP_3) | instskip(NEXT) | instid1(VALU_DEP_1)
	v_dual_cndmask_b32 v13, 0, v13 :: v_dual_cndmask_b32 v12, 3, v12
	v_cmp_ne_u64_e32 vcc_lo, 0, v[12:13]
                                        ; implicit-def: $vgpr13
	s_or_b32 s13, s13, vcc_lo
	s_delay_alu instid0(SALU_CYCLE_1) | instskip(NEXT) | instid1(SALU_CYCLE_1)
	s_and_saveexec_b32 s75, s13
	s_xor_b32 s13, exec_lo, s75
; %bb.8021:                             ;   in Loop: Header=BB4_7949 Depth=4
	v_min_i32_e32 v2, 31, v14
	s_delay_alu instid0(VALU_DEP_1) | instskip(NEXT) | instid1(VALU_DEP_1)
	v_lshl_or_b32 v2, v2, 2, v17
                                        ; implicit-def: $vgpr17
	v_and_or_b32 v13, v12, 3, v2
; %bb.8022:                             ;   in Loop: Header=BB4_7949 Depth=4
	s_and_not1_saveexec_b32 s13, s13
; %bb.8023:                             ;   in Loop: Header=BB4_7949 Depth=4
	v_mov_b32_e32 v13, v17
; %bb.8024:                             ;   in Loop: Header=BB4_7949 Depth=4
	s_or_b32 exec_lo, exec_lo, s13
.LBB4_8025:                             ;   in Loop: Header=BB4_7949 Depth=4
	s_delay_alu instid0(SALU_CYCLE_1)
	s_or_b32 exec_lo, exec_lo, s74
                                        ; implicit-def: $vgpr17
.LBB4_8026:                             ;   in Loop: Header=BB4_7949 Depth=4
	s_and_not1_saveexec_b32 s13, s15
; %bb.8027:                             ;   in Loop: Header=BB4_7949 Depth=4
	v_or_b32_e32 v13, 0x7b, v17
; %bb.8028:                             ;   in Loop: Header=BB4_7949 Depth=4
	s_or_b32 exec_lo, exec_lo, s13
                                        ; implicit-def: $vgpr12
.LBB4_8029:                             ;   in Loop: Header=BB4_7949 Depth=4
	s_and_not1_saveexec_b32 s13, s14
	s_cbranch_execz .LBB4_7948
; %bb.8030:                             ;   in Loop: Header=BB4_7949 Depth=4
	s_mov_b32 s14, exec_lo
                                        ; implicit-def: $vgpr13
	v_cmpx_ne_u64_e32 0, v[2:3]
	s_xor_b32 s14, exec_lo, s14
; %bb.8031:                             ;   in Loop: Header=BB4_7949 Depth=4
	v_lshrrev_b32_e32 v2, 24, v12
                                        ; implicit-def: $vgpr12
	s_delay_alu instid0(VALU_DEP_1)
	v_or_b32_e32 v13, 0x7f, v2
; %bb.8032:                             ;   in Loop: Header=BB4_7949 Depth=4
	s_and_not1_saveexec_b32 s14, s14
	s_cbranch_execz .LBB4_7947
; %bb.8033:                             ;   in Loop: Header=BB4_7949 Depth=4
	v_cmp_lt_i32_e32 vcc_lo, -1, v12
	v_cndmask_b32_e64 v13, -4, 0x7c, vcc_lo
	s_branch .LBB4_7947
.LBB4_8034:                             ;   in Loop: Header=BB4_3282 Depth=3
	s_or_b32 exec_lo, exec_lo, s72
	v_cmp_lt_i32_e64 s13, 0, v103
	s_and_saveexec_b32 s14, s2
	s_cbranch_execz .LBB4_3357
.LBB4_8035:                             ;   in Loop: Header=BB4_3282 Depth=3
	s_and_saveexec_b32 s15, s3
	s_delay_alu instid0(SALU_CYCLE_1)
	s_xor_b32 s15, exec_lo, s15
	s_cbranch_execz .LBB4_8050
; %bb.8036:                             ;   in Loop: Header=BB4_3282 Depth=3
	s_and_saveexec_b32 s72, s6
	s_cbranch_execz .LBB4_8049
; %bb.8037:                             ;   in Loop: Header=BB4_3282 Depth=3
	s_mov_b32 s74, exec_lo
	s_mov_b32 s73, exec_lo
	v_mbcnt_lo_u32_b32 v2, s74, 0
	global_wb scope:SCOPE_DEV
	s_wait_storecnt 0x0
	s_wait_loadcnt_dscnt 0x0
	global_inv scope:SCOPE_DEV
	v_cmpx_eq_u32_e32 0, v2
	s_cbranch_execz .LBB4_8039
; %bb.8038:                             ;   in Loop: Header=BB4_3282 Depth=3
	s_bcnt1_i32_b32 s74, s74
	s_delay_alu instid0(SALU_CYCLE_1)
	v_dual_mov_b32 v5, v3 :: v_dual_mov_b32 v4, s74
	s_wait_loadcnt 0x0
	ds_add_u64 v0, v[4:5]
	s_trap 2
.LBB4_8039:                             ;   in Loop: Header=BB4_3282 Depth=3
	s_or_b32 exec_lo, exec_lo, s73
	s_trap 2
	ds_load_b64 v[4:5], v0
	s_wait_dscnt 0x0
	v_add_nc_u64_e32 v[32:33], v[32:33], v[36:37]
	s_mov_b32 s73, exec_lo
	s_delay_alu instid0(VALU_DEP_1)
	v_cmpx_lt_u64_e64 v[4:5], v[32:33]
	s_cbranch_execz .LBB4_8048
; %bb.8040:                             ;   in Loop: Header=BB4_3282 Depth=3
	s_mov_b32 s74, 0
	s_mov_b32 s77, 0
                                        ; implicit-def: $sgpr75
                                        ; implicit-def: $sgpr76
	s_branch .LBB4_8042
.LBB4_8041:                             ;   in Loop: Header=BB4_8042 Depth=4
	s_or_b32 exec_lo, exec_lo, s79
	s_delay_alu instid0(SALU_CYCLE_1) | instskip(NEXT) | instid1(SALU_CYCLE_1)
	s_and_b32 s78, exec_lo, s88
	s_or_b32 s74, s78, s74
	s_and_not1_b32 s75, s75, exec_lo
	s_and_b32 s78, s76, exec_lo
	s_delay_alu instid0(SALU_CYCLE_1)
	s_or_b32 s75, s75, s78
	s_and_not1_b32 exec_lo, exec_lo, s74
	s_cbranch_execz .LBB4_8046
.LBB4_8042:                             ;   Parent Loop BB4_47 Depth=1
                                        ;     Parent Loop BB4_3279 Depth=2
                                        ;       Parent Loop BB4_3282 Depth=3
                                        ; =>      This Inner Loop Header: Depth=4
	s_add_co_i32 s77, s77, 1
	s_delay_alu instid0(SALU_CYCLE_1) | instskip(SKIP_1) | instid1(SALU_CYCLE_1)
	s_cmp_lg_u32 s77, 0x2710
	s_cselect_b32 s78, -1, 0
	s_and_b32 vcc_lo, exec_lo, s78
	s_cbranch_vccz .LBB4_8044
; %bb.8043:                             ;   in Loop: Header=BB4_8042 Depth=4
	s_mov_b32 s88, -1
	s_or_b32 s76, s76, exec_lo
	s_and_saveexec_b32 s79, s78
	s_cbranch_execz .LBB4_8041
	s_branch .LBB4_8045
.LBB4_8044:                             ;   in Loop: Header=BB4_8042 Depth=4
	s_trap 2
	ds_load_b64 v[4:5], v0
	s_and_not1_b32 s78, s78, exec_lo
	s_mov_b32 s77, 0
	s_wait_loadcnt_dscnt 0x0
	flat_load_b32 v2, v[4:5] scope:SCOPE_SYS
	s_wait_loadcnt_dscnt 0x0
	global_inv scope:SCOPE_SYS
	v_cmp_eq_u32_e32 vcc_lo, 0, v2
	s_and_b32 s79, vcc_lo, exec_lo
	s_delay_alu instid0(SALU_CYCLE_1)
	s_or_b32 s78, s78, s79
	s_mov_b32 s88, -1
	s_or_b32 s76, s76, exec_lo
	s_and_saveexec_b32 s79, s78
	s_cbranch_execz .LBB4_8041
.LBB4_8045:                             ;   in Loop: Header=BB4_8042 Depth=4
	s_sleep 1
	s_trap 2
	ds_load_b64 v[4:5], v0
	s_wait_dscnt 0x0
	s_and_not1_b32 s76, s76, exec_lo
	v_cmp_ge_u64_e32 vcc_lo, v[4:5], v[32:33]
	s_or_not1_b32 s88, vcc_lo, exec_lo
	s_branch .LBB4_8041
.LBB4_8046:                             ;   in Loop: Header=BB4_3282 Depth=3
	s_or_b32 exec_lo, exec_lo, s74
	s_and_saveexec_b32 s74, s75
	s_delay_alu instid0(SALU_CYCLE_1)
	s_xor_b32 s74, exec_lo, s74
	s_cbranch_execz .LBB4_8048
; %bb.8047:                             ;   in Loop: Header=BB4_3282 Depth=3
	ds_store_b32 v0, v1
	s_trap 2
.LBB4_8048:                             ;   in Loop: Header=BB4_3282 Depth=3
	s_or_b32 exec_lo, exec_lo, s73
	;;#ASMSTART
	s_wakeup
	;;#ASMEND
.LBB4_8049:                             ;   in Loop: Header=BB4_3282 Depth=3
	s_or_b32 exec_lo, exec_lo, s72
.LBB4_8050:                             ;   in Loop: Header=BB4_3282 Depth=3
	s_and_not1_saveexec_b32 s15, s15
	s_cbranch_execz .LBB4_8052
; %bb.8051:                             ;   in Loop: Header=BB4_3282 Depth=3
	global_wb scope:SCOPE_DEV
	s_wait_storecnt 0x0
	s_wait_loadcnt_dscnt 0x0
	global_inv scope:SCOPE_DEV
	s_barrier_signal -1
	s_barrier_wait -1
.LBB4_8052:                             ;   in Loop: Header=BB4_3282 Depth=3
	s_or_b32 exec_lo, exec_lo, s15
	s_delay_alu instid0(SALU_CYCLE_1) | instskip(SKIP_1) | instid1(SALU_CYCLE_1)
	s_or_b32 exec_lo, exec_lo, s14
                                        ; implicit-def: $vgpr2
	s_and_saveexec_b32 s14, s12
	s_xor_b32 s14, exec_lo, s14
	s_cbranch_execz .LBB4_8053
; %bb.18243:                            ;   in Loop: Header=BB4_3282 Depth=3
	s_add_pc_i64 .LBB4_3358-.Lpost_addpc25
.Lpost_addpc25:
.LBB4_8053:                             ;   in Loop: Header=BB4_3282 Depth=3
	s_and_not1_saveexec_b32 s13, s14
	s_cbranch_execz .LBB4_8072
.LBB4_8054:                             ;   in Loop: Header=BB4_3282 Depth=3
	s_and_saveexec_b32 s14, s3
	s_delay_alu instid0(SALU_CYCLE_1)
	s_xor_b32 s14, exec_lo, s14
	s_cbranch_execz .LBB4_8069
; %bb.8055:                             ;   in Loop: Header=BB4_3282 Depth=3
	s_and_saveexec_b32 s15, s6
	s_cbranch_execz .LBB4_8068
; %bb.8056:                             ;   in Loop: Header=BB4_3282 Depth=3
	s_mov_b32 s73, exec_lo
	s_mov_b32 s72, exec_lo
	v_mbcnt_lo_u32_b32 v2, s73, 0
	;;#ASMSTART
	s_waitcnt lgkmcnt(0) vmcnt(0)
	;;#ASMEND
	s_delay_alu instid0(VALU_DEP_1)
	v_cmpx_eq_u32_e32 0, v2
	s_cbranch_execz .LBB4_8058
; %bb.8057:                             ;   in Loop: Header=BB4_3282 Depth=3
	s_bcnt1_i32_b32 s73, s73
	s_delay_alu instid0(SALU_CYCLE_1)
	v_dual_mov_b32 v5, v3 :: v_dual_mov_b32 v4, s73
	s_wait_storecnt 0x0
	s_wait_loadcnt_dscnt 0x0
	ds_add_u64 v0, v[4:5]
	s_trap 2
.LBB4_8058:                             ;   in Loop: Header=BB4_3282 Depth=3
	s_or_b32 exec_lo, exec_lo, s72
	s_trap 2
	ds_load_b64 v[4:5], v0
	s_wait_dscnt 0x0
	v_add_nc_u64_e32 v[32:33], v[32:33], v[36:37]
	s_mov_b32 s72, exec_lo
	s_delay_alu instid0(VALU_DEP_1)
	v_cmpx_lt_u64_e64 v[4:5], v[32:33]
	s_cbranch_execz .LBB4_8067
; %bb.8059:                             ;   in Loop: Header=BB4_3282 Depth=3
	s_mov_b32 s73, 0
	s_mov_b32 s76, 0
                                        ; implicit-def: $sgpr74
                                        ; implicit-def: $sgpr75
	s_branch .LBB4_8061
.LBB4_8060:                             ;   in Loop: Header=BB4_8061 Depth=4
	s_or_b32 exec_lo, exec_lo, s78
	s_delay_alu instid0(SALU_CYCLE_1) | instskip(NEXT) | instid1(SALU_CYCLE_1)
	s_and_b32 s77, exec_lo, s79
	s_or_b32 s73, s77, s73
	s_and_not1_b32 s74, s74, exec_lo
	s_and_b32 s77, s75, exec_lo
	s_delay_alu instid0(SALU_CYCLE_1)
	s_or_b32 s74, s74, s77
	s_and_not1_b32 exec_lo, exec_lo, s73
	s_cbranch_execz .LBB4_8065
.LBB4_8061:                             ;   Parent Loop BB4_47 Depth=1
                                        ;     Parent Loop BB4_3279 Depth=2
                                        ;       Parent Loop BB4_3282 Depth=3
                                        ; =>      This Inner Loop Header: Depth=4
	s_add_co_i32 s76, s76, 1
	s_delay_alu instid0(SALU_CYCLE_1) | instskip(SKIP_1) | instid1(SALU_CYCLE_1)
	s_cmp_lg_u32 s76, 0x2710
	s_cselect_b32 s77, -1, 0
	s_and_b32 vcc_lo, exec_lo, s77
	s_cbranch_vccz .LBB4_8063
; %bb.8062:                             ;   in Loop: Header=BB4_8061 Depth=4
	s_mov_b32 s79, -1
	s_or_b32 s75, s75, exec_lo
	s_and_saveexec_b32 s78, s77
	s_cbranch_execz .LBB4_8060
	s_branch .LBB4_8064
.LBB4_8063:                             ;   in Loop: Header=BB4_8061 Depth=4
	s_trap 2
	ds_load_b64 v[4:5], v0
	s_and_not1_b32 s77, s77, exec_lo
	s_mov_b32 s76, 0
	s_wait_storecnt 0x0
	s_wait_loadcnt_dscnt 0x0
	flat_load_b32 v2, v[4:5] scope:SCOPE_SYS
	s_wait_loadcnt_dscnt 0x0
	global_inv scope:SCOPE_SYS
	v_cmp_eq_u32_e32 vcc_lo, 0, v2
	s_and_b32 s78, vcc_lo, exec_lo
	s_delay_alu instid0(SALU_CYCLE_1)
	s_or_b32 s77, s77, s78
	s_mov_b32 s79, -1
	s_or_b32 s75, s75, exec_lo
	s_and_saveexec_b32 s78, s77
	s_cbranch_execz .LBB4_8060
.LBB4_8064:                             ;   in Loop: Header=BB4_8061 Depth=4
	s_sleep 1
	s_trap 2
	ds_load_b64 v[4:5], v0
	s_wait_dscnt 0x0
	s_and_not1_b32 s75, s75, exec_lo
	v_cmp_ge_u64_e32 vcc_lo, v[4:5], v[32:33]
	s_or_not1_b32 s79, vcc_lo, exec_lo
	s_branch .LBB4_8060
.LBB4_8065:                             ;   in Loop: Header=BB4_3282 Depth=3
	s_or_b32 exec_lo, exec_lo, s73
	s_and_saveexec_b32 s73, s74
	s_delay_alu instid0(SALU_CYCLE_1)
	s_xor_b32 s73, exec_lo, s73
	s_cbranch_execz .LBB4_8067
; %bb.8066:                             ;   in Loop: Header=BB4_3282 Depth=3
	ds_store_b32 v0, v1
	s_trap 2
.LBB4_8067:                             ;   in Loop: Header=BB4_3282 Depth=3
	s_or_b32 exec_lo, exec_lo, s72
	;;#ASMSTART
	s_wakeup
	;;#ASMEND
.LBB4_8068:                             ;   in Loop: Header=BB4_3282 Depth=3
	s_or_b32 exec_lo, exec_lo, s15
.LBB4_8069:                             ;   in Loop: Header=BB4_3282 Depth=3
	s_and_not1_saveexec_b32 s14, s14
	s_cbranch_execz .LBB4_8071
; %bb.8070:                             ;   in Loop: Header=BB4_3282 Depth=3
	;;#ASMSTART
	s_waitcnt lgkmcnt(0) vmcnt(0)
	;;#ASMEND
	s_barrier_signal -1
	s_barrier_wait -1
.LBB4_8071:                             ;   in Loop: Header=BB4_3282 Depth=3
	s_or_b32 exec_lo, exec_lo, s14
	v_and_b32_e32 v2, 16, v126
.LBB4_8072:                             ;   in Loop: Header=BB4_3282 Depth=3
	s_or_b32 exec_lo, exec_lo, s13
	s_delay_alu instid0(VALU_DEP_1) | instskip(SKIP_1) | instid1(SALU_CYCLE_1)
	v_cmp_ne_u32_e32 vcc_lo, 0, v2
	s_xor_b32 s13, s4, -1
	s_and_b32 s14, vcc_lo, s13
	s_delay_alu instid0(SALU_CYCLE_1)
	s_and_saveexec_b32 s13, s14
	s_cbranch_execz .LBB4_8074
; %bb.8073:                             ;   in Loop: Header=BB4_3282 Depth=3
	global_wb scope:SCOPE_SYS
	s_wait_storecnt 0x0
	s_wait_loadcnt_dscnt 0x0
	flat_store_b32 v[28:29], v1 scope:SCOPE_SYS
.LBB4_8074:                             ;   in Loop: Header=BB4_3282 Depth=3
	s_wait_xcnt 0x0
	s_or_b32 exec_lo, exec_lo, s13
	v_and_b32_e32 v2, 48, v126
	s_mov_b32 s13, exec_lo
	s_delay_alu instid0(VALU_DEP_1)
	v_cmpx_ne_u32_e32 0, v2
	s_cbranch_execnz .LBB4_8075
; %bb.18245:                            ;   in Loop: Header=BB4_3282 Depth=3
	s_add_pc_i64 .LBB4_3281-.Lpost_addpc26
.Lpost_addpc26:
.LBB4_8075:                             ;   in Loop: Header=BB4_3282 Depth=3
	v_add_nc_u64_e32 v[98:99], 2, v[98:99]
	global_wb scope:SCOPE_SYS
	s_wait_storecnt 0x0
	s_wait_loadcnt_dscnt 0x0
	flat_store_b64 v[22:23], v[98:99] scope:SCOPE_SYS
; %bb.18217:                            ;   in Loop: Header=BB4_3282 Depth=3
	s_add_pc_i64 .LBB4_3281-.Lpost_addpc12
.Lpost_addpc12:
.LBB4_8076:                             ;   in Loop: Header=BB4_3279 Depth=2
	s_or_b32 exec_lo, exec_lo, s42
.LBB4_8077:                             ;   in Loop: Header=BB4_3279 Depth=2
	s_delay_alu instid0(SALU_CYCLE_1) | instskip(NEXT) | instid1(SALU_CYCLE_1)
	s_or_b32 exec_lo, exec_lo, s29
	s_mov_b32 s14, exec_lo
	v_cmpx_gt_i32_e32 2, v2
	s_cbranch_execnz .LBB4_8078
; %bb.18247:                            ;   in Loop: Header=BB4_3279 Depth=2
	s_add_pc_i64 .LBB4_3278-.Lpost_addpc27
.Lpost_addpc27:
.LBB4_8078:                             ;   in Loop: Header=BB4_3279 Depth=2
	v_cmp_eq_u32_e64 s29, 0, v2
	s_mov_b32 s15, 0
	s_branch .LBB4_8080
.LBB4_8079:                             ;   in Loop: Header=BB4_8080 Depth=3
	s_wait_xcnt 0x0
	s_or_b32 exec_lo, exec_lo, s13
	v_add_nc_u32_e32 v114, v112, v114
	s_mov_b32 s29, 0
	s_and_not1_b32 exec_lo, exec_lo, s15
	s_cbranch_execnz .LBB4_8080
; %bb.18249:                            ;   in Loop: Header=BB4_3279 Depth=2
	s_add_pc_i64 .LBB4_3277-.Lpost_addpc28
.Lpost_addpc28:
.LBB4_8080:                             ;   Parent Loop BB4_47 Depth=1
                                        ;     Parent Loop BB4_3279 Depth=2
                                        ; =>    This Loop Header: Depth=3
                                        ;         Child Loop BB4_8086 Depth 4
                                        ;         Child Loop BB4_8114 Depth 4
	;; [unrolled: 1-line block ×3, first 2 shown]
	s_delay_alu instid0(VALU_DEP_1) | instskip(SKIP_2) | instid1(VALU_DEP_2)
	v_sub_nc_u32_e32 v2, v102, v114
	v_and_b32_e32 v4, 12, v126
	s_mov_b32 s42, exec_lo
	v_min_i32_e32 v112, v112, v2
	s_delay_alu instid0(VALU_DEP_2)
	v_cmpx_ne_u32_e32 0, v4
	s_cbranch_execz .LBB4_8106
; %bb.8081:                             ;   in Loop: Header=BB4_8080 Depth=3
	v_dual_mov_b32 v9, v3 :: v_dual_bitop2_b32 v8, 8, v126 bitop3:0x40
	v_add_nc_u64_e32 v[4:5], 2, v[98:99]
	s_mov_b32 s43, exec_lo
	s_wait_loadcnt_dscnt 0x1
	s_delay_alu instid0(VALU_DEP_2) | instskip(NEXT) | instid1(VALU_DEP_1)
	v_add_nc_u64_e32 v[10:11], v[34:35], v[8:9]
	v_cmpx_lt_u64_e64 v[10:11], v[4:5]
	s_cbranch_execz .LBB4_8093
; %bb.8082:                             ;   in Loop: Header=BB4_8080 Depth=3
	v_and_b32_e32 v2, 64, v126
	s_mov_b32 s63, 0
	s_mov_b32 s75, 0
                                        ; implicit-def: $sgpr72
                                        ; implicit-def: $sgpr73
                                        ; implicit-def: $sgpr74
	s_delay_alu instid0(VALU_DEP_1)
	v_cmp_eq_u32_e32 vcc_lo, 0, v2
	s_branch .LBB4_8086
.LBB4_8083:                             ;   in Loop: Header=BB4_8086 Depth=4
	s_wait_loadcnt_dscnt 0x0
	v_add_nc_u64_e32 v[10:11], v[34:35], v[8:9]
	s_or_b32 s78, s78, exec_lo
	s_delay_alu instid0(VALU_DEP_1)
	v_cmp_ge_u64_e64 s13, v[10:11], v[4:5]
	s_or_not1_b32 s77, s13, exec_lo
.LBB4_8084:                             ;   in Loop: Header=BB4_8086 Depth=4
	s_or_b32 exec_lo, exec_lo, s88
	s_delay_alu instid0(SALU_CYCLE_1)
	s_and_not1_b32 s13, s74, exec_lo
	s_and_b32 s74, s78, exec_lo
	s_and_not1_b32 s73, s73, exec_lo
	s_and_b32 s77, s77, exec_lo
	s_or_b32 s74, s13, s74
	s_or_b32 s73, s73, s77
.LBB4_8085:                             ;   in Loop: Header=BB4_8086 Depth=4
	s_or_b32 exec_lo, exec_lo, s76
	s_delay_alu instid0(SALU_CYCLE_1) | instskip(NEXT) | instid1(SALU_CYCLE_1)
	s_and_b32 s13, exec_lo, s73
	s_or_b32 s63, s13, s63
	s_and_not1_b32 s13, s72, exec_lo
	s_and_b32 s72, s74, exec_lo
	s_delay_alu instid0(SALU_CYCLE_1)
	s_or_b32 s72, s13, s72
	s_and_not1_b32 exec_lo, exec_lo, s63
	s_cbranch_execz .LBB4_8090
.LBB4_8086:                             ;   Parent Loop BB4_47 Depth=1
                                        ;     Parent Loop BB4_3279 Depth=2
                                        ;       Parent Loop BB4_8080 Depth=3
                                        ; =>      This Inner Loop Header: Depth=4
	s_sleep 1
	s_wait_loadcnt_dscnt 0x0
	flat_load_b64 v[34:35], v[22:23] scope:SCOPE_SYS
	s_or_b32 s74, s74, exec_lo
	s_or_b32 s73, s73, exec_lo
                                        ; implicit-def: $vgpr2
	s_wait_xcnt 0x0
	s_and_saveexec_b32 s76, vcc_lo
	s_cbranch_execz .LBB4_8085
; %bb.8087:                             ;   in Loop: Header=BB4_8086 Depth=4
	s_cmp_lt_i32 s75, 0x270f
	s_mov_b32 s77, -1
	s_cselect_b32 s79, -1, 0
	s_cmp_gt_i32 s75, 0x270e
	s_cbranch_scc0 .LBB4_8089
; %bb.8088:                             ;   in Loop: Header=BB4_8086 Depth=4
	s_trap 2
	ds_load_b64 v[10:11], v0
	s_and_not1_b32 s75, s79, exec_lo
	s_mov_b32 s78, 0
	s_wait_storecnt 0x0
	s_wait_loadcnt_dscnt 0x0
	flat_load_b32 v2, v[10:11] scope:SCOPE_SYS
	s_wait_loadcnt_dscnt 0x0
	global_inv scope:SCOPE_SYS
	v_cmp_eq_u32_e64 s13, 0, v2
	s_and_b32 s13, s13, exec_lo
	s_delay_alu instid0(SALU_CYCLE_1)
	s_or_b32 s79, s75, s13
	s_mov_b32 s75, 0
	s_and_saveexec_b32 s88, s79
	s_cbranch_execz .LBB4_8084
	s_branch .LBB4_8083
.LBB4_8089:                             ;   in Loop: Header=BB4_8086 Depth=4
	s_add_co_i32 s75, s75, 1
	s_mov_b32 s78, -1
                                        ; implicit-def: $vgpr2
	s_and_saveexec_b32 s88, s79
	s_cbranch_execz .LBB4_8084
	s_branch .LBB4_8083
.LBB4_8090:                             ;   in Loop: Header=BB4_8080 Depth=3
	s_or_b32 exec_lo, exec_lo, s63
	s_xor_b32 s13, s72, -1
	s_delay_alu instid0(SALU_CYCLE_1) | instskip(NEXT) | instid1(SALU_CYCLE_1)
	s_and_saveexec_b32 s63, s13
	s_xor_b32 s13, exec_lo, s63
	s_cbranch_execz .LBB4_8092
; %bb.8091:                             ;   in Loop: Header=BB4_8080 Depth=3
	v_or_b32_e32 v126, 64, v126
	s_wait_storecnt 0x0
	s_wait_loadcnt_dscnt 0x0
	ds_store_b32 v0, v2
	s_trap 2
.LBB4_8092:                             ;   in Loop: Header=BB4_8080 Depth=3
	s_or_b32 exec_lo, exec_lo, s13
.LBB4_8093:                             ;   in Loop: Header=BB4_8080 Depth=3
	s_delay_alu instid0(SALU_CYCLE_1) | instskip(SKIP_3) | instid1(VALU_DEP_1)
	s_or_b32 exec_lo, exec_lo, s43
	v_and_b32_e32 v2, 0x108, v126
	s_mov_b32 s13, exec_lo
	;;#ASMSTART
	s_wakeup
	;;#ASMEND
                                        ; implicit-def: $vgpr10_vgpr11
	v_cmpx_ne_u32_e32 0x108, v2
	s_xor_b32 s13, exec_lo, s13
; %bb.8094:                             ;   in Loop: Header=BB4_8080 Depth=3
	v_dual_mov_b32 v11, v3 :: v_dual_bitop2_b32 v10, 7, v98 bitop3:0x40
                                        ; implicit-def: $vgpr98_vgpr99
; %bb.8095:                             ;   in Loop: Header=BB4_8080 Depth=3
	s_and_not1_saveexec_b32 s13, s13
	s_cbranch_execz .LBB4_8097
; %bb.8096:                             ;   in Loop: Header=BB4_8080 Depth=3
	v_dual_ashrrev_i32 v113, 31, v112 :: v_dual_bitop2_b32 v10, 7, v98 bitop3:0x40
	v_mov_b32_e32 v11, v3
	s_delay_alu instid0(VALU_DEP_2)
	v_mad_nc_u64_u32 v[12:13], v10, 24, v[6:7]
	flat_store_b64 v[12:13], v[112:113] offset:8
.LBB4_8097:                             ;   in Loop: Header=BB4_8080 Depth=3
	s_wait_xcnt 0x0
	s_or_b32 exec_lo, exec_lo, s13
	v_and_b32_e32 v2, 0x100, v126
	s_mov_b32 s13, -1
	s_mov_b32 s43, exec_lo
                                        ; implicit-def: $vgpr12_vgpr13
	s_delay_alu instid0(VALU_DEP_1)
	v_cmpx_ne_u32_e32 0, v2
	s_cbranch_execz .LBB4_8101
; %bb.8098:                             ;   in Loop: Header=BB4_8080 Depth=3
	v_mad_nc_u64_u32 v[14:15], v10, 24, v[6:7]
	s_mov_b32 s63, exec_lo
                                        ; implicit-def: $vgpr12_vgpr13
	s_delay_alu instid0(VALU_DEP_1)
	v_mad_u32 v15, v11, 24, v15
	flat_load_b32 v2, v[14:15]
	s_wait_loadcnt_dscnt 0x0
	v_cmp_ne_u32_e32 vcc_lo, 1, v2
	s_wait_xcnt 0x0
	v_cmpx_eq_u32_e32 1, v2
	s_cbranch_execz .LBB4_8100
; %bb.8099:                             ;   in Loop: Header=BB4_8080 Depth=3
	flat_load_b32 v12, v[14:15] offset:4 scope:SCOPE_SYS
	s_wait_loadcnt_dscnt 0x0
	v_ashrrev_i32_e32 v13, 31, v12
.LBB4_8100:                             ;   in Loop: Header=BB4_8080 Depth=3
	s_wait_xcnt 0x0
	s_or_b32 exec_lo, exec_lo, s63
	s_delay_alu instid0(SALU_CYCLE_1)
	s_or_not1_b32 s13, vcc_lo, exec_lo
.LBB4_8101:                             ;   in Loop: Header=BB4_8080 Depth=3
	s_or_b32 exec_lo, exec_lo, s43
	s_and_saveexec_b32 s43, s13
; %bb.8102:                             ;   in Loop: Header=BB4_8080 Depth=3
	v_mul_u64_e32 v[12:13], v[10:11], v[24:25]
; %bb.8103:                             ;   in Loop: Header=BB4_8080 Depth=3
	s_or_b32 exec_lo, exec_lo, s43
	v_cmp_eq_u32_e32 vcc_lo, 0, v8
	v_mov_b32_e32 v2, 0x90
	s_delay_alu instid0(VALU_DEP_3) | instskip(SKIP_2) | instid1(VALU_DEP_3)
	v_add_nc_u64_e32 v[8:9], v[26:27], v[12:13]
	v_and_b32_e32 v10, 0x2000, v126
	s_mov_b32 s13, exec_lo
	v_cndmask_b32_e32 v2, 0xc8, v2, vcc_lo
	s_delay_alu instid0(VALU_DEP_1)
	v_add_nc_u32_e32 v2, v0, v2
	ds_store_b64 v2, v[8:9] offset:584
	v_cmpx_ne_u32_e32 0, v10
	s_cbranch_execz .LBB4_8105
; %bb.8104:                             ;   in Loop: Header=BB4_8080 Depth=3
	ds_load_b64 v[8:9], v0 offset:872
	s_wait_dscnt 0x0
	v_add_nc_u64_e32 v[8:9], 1, v[8:9]
	ds_store_b64 v0, v[8:9] offset:872
.LBB4_8105:                             ;   in Loop: Header=BB4_8080 Depth=3
	s_or_b32 exec_lo, exec_lo, s13
	v_mov_b64_e32 v[98:99], v[4:5]
.LBB4_8106:                             ;   in Loop: Header=BB4_8080 Depth=3
	s_or_b32 exec_lo, exec_lo, s42
	s_xor_b32 s13, s29, -1
	s_delay_alu instid0(SALU_CYCLE_1) | instskip(NEXT) | instid1(SALU_CYCLE_1)
	s_and_b32 s13, exec_lo, s13
	s_or_b32 s15, s13, s15
	s_and_saveexec_b32 s13, s2
	s_cbranch_execz .LBB4_8125
; %bb.8107:                             ;   in Loop: Header=BB4_8080 Depth=3
	s_and_saveexec_b32 s29, s3
	s_delay_alu instid0(SALU_CYCLE_1)
	s_xor_b32 s29, exec_lo, s29
	s_cbranch_execz .LBB4_8122
; %bb.8108:                             ;   in Loop: Header=BB4_8080 Depth=3
	s_and_saveexec_b32 s42, s6
	s_cbranch_execz .LBB4_8121
; %bb.8109:                             ;   in Loop: Header=BB4_8080 Depth=3
	s_mov_b32 s63, exec_lo
	s_mov_b32 s43, exec_lo
	v_mbcnt_lo_u32_b32 v2, s63, 0
	global_wb scope:SCOPE_DEV
	s_wait_storecnt 0x0
	s_wait_loadcnt_dscnt 0x0
	global_inv scope:SCOPE_DEV
	v_cmpx_eq_u32_e32 0, v2
	s_cbranch_execz .LBB4_8111
; %bb.8110:                             ;   in Loop: Header=BB4_8080 Depth=3
	s_bcnt1_i32_b32 s63, s63
	s_delay_alu instid0(SALU_CYCLE_1)
	v_dual_mov_b32 v5, v3 :: v_dual_mov_b32 v4, s63
	s_wait_loadcnt 0x0
	ds_add_u64 v0, v[4:5]
	s_trap 2
.LBB4_8111:                             ;   in Loop: Header=BB4_8080 Depth=3
	s_or_b32 exec_lo, exec_lo, s43
	s_trap 2
	ds_load_b64 v[4:5], v0
	s_wait_dscnt 0x0
	v_add_nc_u64_e32 v[32:33], v[32:33], v[36:37]
	s_mov_b32 s43, exec_lo
	s_delay_alu instid0(VALU_DEP_1)
	v_cmpx_lt_u64_e64 v[4:5], v[32:33]
	s_cbranch_execz .LBB4_8120
; %bb.8112:                             ;   in Loop: Header=BB4_8080 Depth=3
	s_mov_b32 s63, 0
	s_mov_b32 s74, 0
                                        ; implicit-def: $sgpr72
                                        ; implicit-def: $sgpr73
	s_branch .LBB4_8114
.LBB4_8113:                             ;   in Loop: Header=BB4_8114 Depth=4
	s_or_b32 exec_lo, exec_lo, s76
	s_delay_alu instid0(SALU_CYCLE_1) | instskip(NEXT) | instid1(SALU_CYCLE_1)
	s_and_b32 s75, exec_lo, s77
	s_or_b32 s63, s75, s63
	s_and_not1_b32 s72, s72, exec_lo
	s_and_b32 s75, s73, exec_lo
	s_delay_alu instid0(SALU_CYCLE_1)
	s_or_b32 s72, s72, s75
	s_and_not1_b32 exec_lo, exec_lo, s63
	s_cbranch_execz .LBB4_8118
.LBB4_8114:                             ;   Parent Loop BB4_47 Depth=1
                                        ;     Parent Loop BB4_3279 Depth=2
                                        ;       Parent Loop BB4_8080 Depth=3
                                        ; =>      This Inner Loop Header: Depth=4
	s_add_co_i32 s74, s74, 1
	s_delay_alu instid0(SALU_CYCLE_1) | instskip(SKIP_1) | instid1(SALU_CYCLE_1)
	s_cmp_lg_u32 s74, 0x2710
	s_cselect_b32 s75, -1, 0
	s_and_b32 vcc_lo, exec_lo, s75
	s_cbranch_vccz .LBB4_8116
; %bb.8115:                             ;   in Loop: Header=BB4_8114 Depth=4
	s_mov_b32 s77, -1
	s_or_b32 s73, s73, exec_lo
	s_and_saveexec_b32 s76, s75
	s_cbranch_execz .LBB4_8113
	s_branch .LBB4_8117
.LBB4_8116:                             ;   in Loop: Header=BB4_8114 Depth=4
	s_trap 2
	ds_load_b64 v[4:5], v0
	s_and_not1_b32 s75, s75, exec_lo
	s_mov_b32 s74, 0
	s_wait_loadcnt_dscnt 0x0
	flat_load_b32 v2, v[4:5] scope:SCOPE_SYS
	s_wait_loadcnt_dscnt 0x0
	global_inv scope:SCOPE_SYS
	v_cmp_eq_u32_e32 vcc_lo, 0, v2
	s_and_b32 s76, vcc_lo, exec_lo
	s_delay_alu instid0(SALU_CYCLE_1)
	s_or_b32 s75, s75, s76
	s_mov_b32 s77, -1
	s_or_b32 s73, s73, exec_lo
	s_and_saveexec_b32 s76, s75
	s_cbranch_execz .LBB4_8113
.LBB4_8117:                             ;   in Loop: Header=BB4_8114 Depth=4
	s_sleep 1
	s_trap 2
	ds_load_b64 v[4:5], v0
	s_wait_dscnt 0x0
	s_and_not1_b32 s73, s73, exec_lo
	v_cmp_ge_u64_e32 vcc_lo, v[4:5], v[32:33]
	s_or_not1_b32 s77, vcc_lo, exec_lo
	s_branch .LBB4_8113
.LBB4_8118:                             ;   in Loop: Header=BB4_8080 Depth=3
	s_or_b32 exec_lo, exec_lo, s63
	s_and_saveexec_b32 s63, s72
	s_delay_alu instid0(SALU_CYCLE_1)
	s_xor_b32 s63, exec_lo, s63
	s_cbranch_execz .LBB4_8120
; %bb.8119:                             ;   in Loop: Header=BB4_8080 Depth=3
	ds_store_b32 v0, v1
	s_trap 2
.LBB4_8120:                             ;   in Loop: Header=BB4_8080 Depth=3
	s_or_b32 exec_lo, exec_lo, s43
	;;#ASMSTART
	s_wakeup
	;;#ASMEND
.LBB4_8121:                             ;   in Loop: Header=BB4_8080 Depth=3
	s_or_b32 exec_lo, exec_lo, s42
.LBB4_8122:                             ;   in Loop: Header=BB4_8080 Depth=3
	s_and_not1_saveexec_b32 s29, s29
	s_cbranch_execz .LBB4_8124
; %bb.8123:                             ;   in Loop: Header=BB4_8080 Depth=3
	global_wb scope:SCOPE_DEV
	s_wait_storecnt 0x0
	s_wait_loadcnt_dscnt 0x0
	global_inv scope:SCOPE_DEV
	s_barrier_signal -1
	s_barrier_wait -1
.LBB4_8124:                             ;   in Loop: Header=BB4_8080 Depth=3
	s_or_b32 exec_lo, exec_lo, s29
.LBB4_8125:                             ;   in Loop: Header=BB4_8080 Depth=3
	s_delay_alu instid0(SALU_CYCLE_1) | instskip(SKIP_1) | instid1(SALU_CYCLE_1)
	s_or_b32 exec_lo, exec_lo, s13
                                        ; implicit-def: $vgpr2
	s_and_saveexec_b32 s13, s58
	s_xor_b32 s13, exec_lo, s13
	s_cbranch_execz .LBB4_8137
; %bb.8126:                             ;   in Loop: Header=BB4_8080 Depth=3
	s_and_saveexec_b32 s29, s3
	s_delay_alu instid0(SALU_CYCLE_1)
	s_xor_b32 s29, exec_lo, s29
	s_cbranch_execz .LBB4_8142
; %bb.8127:                             ;   in Loop: Header=BB4_8080 Depth=3
	s_and_saveexec_b32 s42, s6
	s_cbranch_execz .LBB4_8141
; %bb.8128:                             ;   in Loop: Header=BB4_8080 Depth=3
	s_mov_b32 s63, exec_lo
	s_mov_b32 s43, exec_lo
	v_mbcnt_lo_u32_b32 v2, s63, 0
	;;#ASMSTART
	s_waitcnt lgkmcnt(0) vmcnt(0)
	;;#ASMEND
	s_delay_alu instid0(VALU_DEP_1)
	v_cmpx_eq_u32_e32 0, v2
	s_cbranch_execz .LBB4_8130
; %bb.8129:                             ;   in Loop: Header=BB4_8080 Depth=3
	s_bcnt1_i32_b32 s63, s63
	s_delay_alu instid0(SALU_CYCLE_1)
	v_dual_mov_b32 v5, v3 :: v_dual_mov_b32 v4, s63
	s_wait_storecnt 0x0
	s_wait_loadcnt_dscnt 0x0
	ds_add_u64 v0, v[4:5]
	s_trap 2
.LBB4_8130:                             ;   in Loop: Header=BB4_8080 Depth=3
	s_or_b32 exec_lo, exec_lo, s43
	s_trap 2
	ds_load_b64 v[4:5], v0
	s_wait_dscnt 0x0
	v_add_nc_u64_e32 v[32:33], v[32:33], v[36:37]
	s_mov_b32 s43, exec_lo
	s_delay_alu instid0(VALU_DEP_1)
	v_cmpx_lt_u64_e64 v[4:5], v[32:33]
	s_cbranch_execz .LBB4_8140
; %bb.8131:                             ;   in Loop: Header=BB4_8080 Depth=3
	s_mov_b32 s63, 0
	s_mov_b32 s74, 0
                                        ; implicit-def: $sgpr72
                                        ; implicit-def: $sgpr73
	s_branch .LBB4_8133
.LBB4_8132:                             ;   in Loop: Header=BB4_8133 Depth=4
	s_or_b32 exec_lo, exec_lo, s76
	s_delay_alu instid0(SALU_CYCLE_1) | instskip(NEXT) | instid1(SALU_CYCLE_1)
	s_and_b32 s75, exec_lo, s77
	s_or_b32 s63, s75, s63
	s_and_not1_b32 s72, s72, exec_lo
	s_and_b32 s75, s73, exec_lo
	s_delay_alu instid0(SALU_CYCLE_1)
	s_or_b32 s72, s72, s75
	s_and_not1_b32 exec_lo, exec_lo, s63
	s_cbranch_execz .LBB4_8138
.LBB4_8133:                             ;   Parent Loop BB4_47 Depth=1
                                        ;     Parent Loop BB4_3279 Depth=2
                                        ;       Parent Loop BB4_8080 Depth=3
                                        ; =>      This Inner Loop Header: Depth=4
	s_add_co_i32 s74, s74, 1
	s_delay_alu instid0(SALU_CYCLE_1) | instskip(SKIP_1) | instid1(SALU_CYCLE_1)
	s_cmp_lg_u32 s74, 0x2710
	s_cselect_b32 s75, -1, 0
	s_and_b32 vcc_lo, exec_lo, s75
	s_cbranch_vccz .LBB4_8135
; %bb.8134:                             ;   in Loop: Header=BB4_8133 Depth=4
	s_mov_b32 s77, -1
	s_or_b32 s73, s73, exec_lo
	s_and_saveexec_b32 s76, s75
	s_cbranch_execz .LBB4_8132
	s_branch .LBB4_8136
.LBB4_8135:                             ;   in Loop: Header=BB4_8133 Depth=4
	s_trap 2
	ds_load_b64 v[4:5], v0
	s_and_not1_b32 s75, s75, exec_lo
	s_mov_b32 s74, 0
	s_wait_storecnt 0x0
	s_wait_loadcnt_dscnt 0x0
	flat_load_b32 v2, v[4:5] scope:SCOPE_SYS
	s_wait_loadcnt_dscnt 0x0
	global_inv scope:SCOPE_SYS
	v_cmp_eq_u32_e32 vcc_lo, 0, v2
	s_and_b32 s76, vcc_lo, exec_lo
	s_delay_alu instid0(SALU_CYCLE_1)
	s_or_b32 s75, s75, s76
	s_mov_b32 s77, -1
	s_or_b32 s73, s73, exec_lo
	s_and_saveexec_b32 s76, s75
	s_cbranch_execz .LBB4_8132
.LBB4_8136:                             ;   in Loop: Header=BB4_8133 Depth=4
	s_sleep 1
	s_trap 2
	ds_load_b64 v[4:5], v0
	s_wait_dscnt 0x0
	s_and_not1_b32 s73, s73, exec_lo
	v_cmp_ge_u64_e32 vcc_lo, v[4:5], v[32:33]
	s_or_not1_b32 s77, vcc_lo, exec_lo
	s_branch .LBB4_8132
.LBB4_8137:                             ;   in Loop: Header=BB4_8080 Depth=3
	s_and_not1_saveexec_b32 s29, s13
	s_cbranch_execnz .LBB4_8145
	s_branch .LBB4_8148
.LBB4_8138:                             ;   in Loop: Header=BB4_8080 Depth=3
	s_or_b32 exec_lo, exec_lo, s63
	s_and_saveexec_b32 s63, s72
	s_delay_alu instid0(SALU_CYCLE_1)
	s_xor_b32 s63, exec_lo, s63
	s_cbranch_execz .LBB4_8140
; %bb.8139:                             ;   in Loop: Header=BB4_8080 Depth=3
	ds_store_b32 v0, v1
	s_trap 2
.LBB4_8140:                             ;   in Loop: Header=BB4_8080 Depth=3
	s_or_b32 exec_lo, exec_lo, s43
	;;#ASMSTART
	s_wakeup
	;;#ASMEND
.LBB4_8141:                             ;   in Loop: Header=BB4_8080 Depth=3
	s_or_b32 exec_lo, exec_lo, s42
.LBB4_8142:                             ;   in Loop: Header=BB4_8080 Depth=3
	s_and_not1_saveexec_b32 s29, s29
	s_cbranch_execz .LBB4_8144
; %bb.8143:                             ;   in Loop: Header=BB4_8080 Depth=3
	;;#ASMSTART
	s_waitcnt lgkmcnt(0) vmcnt(0)
	;;#ASMEND
	s_barrier_signal -1
	s_barrier_wait -1
.LBB4_8144:                             ;   in Loop: Header=BB4_8080 Depth=3
	s_or_b32 exec_lo, exec_lo, s29
	v_and_b32_e32 v2, 16, v126
	s_and_not1_saveexec_b32 s29, s13
	s_cbranch_execz .LBB4_8148
.LBB4_8145:                             ;   in Loop: Header=BB4_8080 Depth=3
	s_trap 2
	ds_load_b32 v2, v0
	v_cmp_lt_i32_e32 vcc_lo, 0, v112
	s_wait_dscnt 0x0
	v_readfirstlane_b32 s13, v2
	v_and_b32_e32 v2, 16, v126
	s_cmp_eq_u32 s13, 0
	s_delay_alu instid0(VALU_DEP_1) | instskip(SKIP_3) | instid1(SALU_CYCLE_1)
	v_cmp_ne_u32_e64 s13, 0, v2
	s_cselect_b32 s42, -1, 0
	v_and_b32_e32 v2, 16, v126
	s_and_b32 s42, vcc_lo, s42
	s_and_b32 s42, s13, s42
	s_delay_alu instid0(SALU_CYCLE_1)
	s_and_saveexec_b32 s13, s42
	s_cbranch_execz .LBB4_8147
; %bb.8146:                             ;   in Loop: Header=BB4_8080 Depth=3
	v_mov_b32_e32 v2, 1
	global_wb scope:SCOPE_SYS
	s_wait_loadcnt 0x0
	s_wait_storecnt 0x0
	global_inv scope:SCOPE_SYS
.LBB4_8147:                             ;   in Loop: Header=BB4_8080 Depth=3
	s_or_b32 exec_lo, exec_lo, s13
.LBB4_8148:                             ;   in Loop: Header=BB4_8080 Depth=3
	s_delay_alu instid0(SALU_CYCLE_1) | instskip(NEXT) | instid1(VALU_DEP_1)
	s_or_b32 exec_lo, exec_lo, s29
	v_cmp_ne_u32_e32 vcc_lo, 0, v2
	s_xor_b32 s13, s4, -1
	s_delay_alu instid0(SALU_CYCLE_1) | instskip(NEXT) | instid1(SALU_CYCLE_1)
	s_and_b32 s29, vcc_lo, s13
	s_and_saveexec_b32 s13, s29
	s_cbranch_execz .LBB4_8150
; %bb.8149:                             ;   in Loop: Header=BB4_8080 Depth=3
	global_wb scope:SCOPE_SYS
	s_wait_storecnt 0x0
	s_wait_loadcnt_dscnt 0x0
	flat_store_b32 v[28:29], v1 scope:SCOPE_SYS
.LBB4_8150:                             ;   in Loop: Header=BB4_8080 Depth=3
	s_wait_xcnt 0x0
	s_or_b32 exec_lo, exec_lo, s13
	v_and_b32_e32 v2, 48, v126
	s_mov_b32 s13, exec_lo
	s_delay_alu instid0(VALU_DEP_1)
	v_cmpx_ne_u32_e32 0, v2
	s_cbranch_execz .LBB4_8079
; %bb.8151:                             ;   in Loop: Header=BB4_8080 Depth=3
	v_add_nc_u64_e32 v[98:99], 2, v[98:99]
	global_wb scope:SCOPE_SYS
	s_wait_storecnt 0x0
	s_wait_loadcnt_dscnt 0x0
	flat_store_b64 v[22:23], v[98:99] scope:SCOPE_SYS
	s_branch .LBB4_8079
.LBB4_8152:                             ;   in Loop: Header=BB4_47 Depth=1
	s_clause 0x1
	scratch_load_b64 v[10:11], off, s33 offset:204
	scratch_load_b64 v[8:9], off, s33 offset:196
	v_mov_b32_e32 v114, 0
	s_wait_loadcnt 0x1
	v_mul_u64_e32 v[4:5], s[16:17], v[10:11]
	s_wait_loadcnt 0x0
	s_delay_alu instid0(VALU_DEP_1) | instskip(NEXT) | instid1(VALU_DEP_1)
	v_sub_nc_u64_e32 v[8:9], v[8:9], v[4:5]
	v_min_i64 v[8:9], v[10:11], v[8:9]
	s_delay_alu instid0(VALU_DEP_1) | instskip(SKIP_1) | instid1(VALU_DEP_2)
	v_max_i32_e32 v102, 0, v8
	v_cmp_lt_i32_e32 vcc_lo, 0, v8
	v_add_nc_u32_e32 v2, 31, v102
	s_and_b32 s13, s60, vcc_lo
	s_delay_alu instid0(VALU_DEP_1) | instskip(NEXT) | instid1(VALU_DEP_1)
	v_lshrrev_b32_e32 v2, 1, v2
	v_and_b32_e32 v9, 0x3ffffff0, v2
	s_delay_alu instid0(VALU_DEP_1)
	v_dual_mov_b32 v2, 0 :: v_dual_max_i32 v112, s56, v9
	s_wait_xcnt 0x0
	s_and_saveexec_b32 s18, s13
	s_cbranch_execnz .LBB4_8153
; %bb.18251:                            ;   in Loop: Header=BB4_47 Depth=1
	s_add_pc_i64 .LBB4_17637-.Lpost_addpc29
.Lpost_addpc29:
.LBB4_8153:                             ;   in Loop: Header=BB4_47 Depth=1
	scratch_load_b64 v[8:9], off, s33 offset:188 ; 8-byte Folded Reload
	v_mov_b32_e32 v114, 0
	s_mov_b32 s72, 1
	s_mov_b32 s63, -1
	s_mov_b32 s29, 0
	s_wait_loadcnt 0x0
	v_add_nc_u64_e32 v[4:5], v[4:5], v[8:9]
	scratch_store_b64 off, v[4:5], s33 offset:236 ; 8-byte Folded Spill
	s_branch .LBB4_8155
.LBB4_8154:                             ;   in Loop: Header=BB4_8155 Depth=2
	s_wait_xcnt 0x0
	s_or_b32 exec_lo, exec_lo, s13
	v_dual_add_nc_u32 v114, v112, v114 :: v_dual_mov_b32 v2, s72
	s_xor_b32 s13, s63, -1
	s_mov_b32 s63, 0
	s_mov_b32 s72, 2
	s_delay_alu instid0(VALU_DEP_1) | instskip(SKIP_1) | instid1(SALU_CYCLE_1)
	v_cmp_ge_i32_e32 vcc_lo, v114, v102
	s_or_b32 s13, s13, vcc_lo
	s_and_b32 s13, exec_lo, s13
	s_delay_alu instid0(SALU_CYCLE_1) | instskip(NEXT) | instid1(SALU_CYCLE_1)
	s_or_b32 s29, s13, s29
	s_and_not1_b32 exec_lo, exec_lo, s29
	s_cbranch_execnz .LBB4_8155
; %bb.18253:                            ;   in Loop: Header=BB4_47 Depth=1
	s_add_pc_i64 .LBB4_17636-.Lpost_addpc30
.Lpost_addpc30:
.LBB4_8155:                             ;   Parent Loop BB4_47 Depth=1
                                        ; =>  This Loop Header: Depth=2
                                        ;       Child Loop BB4_8163 Depth 3
                                        ;       Child Loop BB4_8191 Depth 3
	;; [unrolled: 1-line block ×5, first 2 shown]
                                        ;         Child Loop BB4_11531 Depth 4
                                        ;       Child Loop BB4_11564 Depth 3
                                        ;       Child Loop BB4_12823 Depth 3
                                        ;         Child Loop BB4_12910 Depth 4
                                        ;       Child Loop BB4_12924 Depth 3
                                        ;       Child Loop BB4_15177 Depth 3
                                        ;       Child Loop BB4_16247 Depth 3
                                        ;       Child Loop BB4_17508 Depth 3
                                        ;       Child Loop BB4_17602 Depth 3
                                        ;       Child Loop BB4_17621 Depth 3
	s_wait_xcnt 0x0
	s_and_saveexec_b32 s13, s0
	s_cbranch_execz .LBB4_8157
; %bb.8156:                             ;   in Loop: Header=BB4_8155 Depth=2
	s_trap 2
	ds_load_b64 v[4:5], v0
	ds_load_2addr_b64 v[8:11], v0 offset1:1
	scratch_load_b64 v[14:15], off, s33 offset:236 ; 8-byte Folded Reload
	s_wait_dscnt 0x1
	v_cmp_ne_u64_e32 vcc_lo, 0, v[4:5]
	v_ashrrev_i32_e32 v115, 31, v114
	s_wait_loadcnt 0x0
	v_add_nc_u64_e32 v[12:13], v[4:5], v[14:15]
	s_wait_dscnt 0x0
	v_add_nc_u64_e32 v[8:9], v[8:9], v[14:15]
	v_add_nc_u64_e32 v[10:11], v[10:11], v[14:15]
	s_delay_alu instid0(VALU_DEP_3) | instskip(NEXT) | instid1(VALU_DEP_3)
	v_add_nc_u64_e32 v[12:13], v[12:13], v[114:115]
	v_add_nc_u64_e32 v[4:5], v[8:9], v[114:115]
	s_delay_alu instid0(VALU_DEP_3) | instskip(NEXT) | instid1(VALU_DEP_3)
	v_add_nc_u64_e32 v[8:9], v[10:11], v[114:115]
	v_dual_cndmask_b32 v11, 0, v13 :: v_dual_cndmask_b32 v10, 0, v12
	ds_store_b64 v0, v[4:5]
	ds_store_b64 v0, v[8:9]
	;; [unrolled: 1-line block ×3, first 2 shown]
.LBB4_8157:                             ;   in Loop: Header=BB4_8155 Depth=2
	s_wait_xcnt 0x0
	s_or_b32 exec_lo, exec_lo, s13
	v_sub_nc_u32_e32 v2, v102, v114
	v_and_b32_e32 v4, 12, v126
	s_mov_b32 s14, exec_lo
	s_delay_alu instid0(VALU_DEP_2) | instskip(NEXT) | instid1(VALU_DEP_2)
	v_min_i32_e32 v112, v112, v2
	v_cmpx_ne_u32_e32 0, v4
	s_cbranch_execz .LBB4_8183
; %bb.8158:                             ;   in Loop: Header=BB4_8155 Depth=2
	v_dual_mov_b32 v9, v3 :: v_dual_bitop2_b32 v8, 8, v126 bitop3:0x40
	v_add_nc_u64_e32 v[4:5], 2, v[98:99]
	s_mov_b32 s15, exec_lo
	s_wait_loadcnt_dscnt 0x1
	s_delay_alu instid0(VALU_DEP_2) | instskip(NEXT) | instid1(VALU_DEP_1)
	v_add_nc_u64_e32 v[10:11], v[34:35], v[8:9]
	v_cmpx_lt_u64_e64 v[10:11], v[4:5]
	s_cbranch_execz .LBB4_8170
; %bb.8159:                             ;   in Loop: Header=BB4_8155 Depth=2
	v_and_b32_e32 v2, 64, v126
	s_mov_b32 s42, 0
	s_mov_b32 s75, 0
                                        ; implicit-def: $sgpr43
                                        ; implicit-def: $sgpr73
                                        ; implicit-def: $sgpr74
	s_delay_alu instid0(VALU_DEP_1)
	v_cmp_eq_u32_e32 vcc_lo, 0, v2
	s_branch .LBB4_8163
.LBB4_8160:                             ;   in Loop: Header=BB4_8163 Depth=3
	s_wait_loadcnt_dscnt 0x0
	v_add_nc_u64_e32 v[10:11], v[34:35], v[8:9]
	s_or_b32 s78, s78, exec_lo
	s_delay_alu instid0(VALU_DEP_1)
	v_cmp_ge_u64_e64 s13, v[10:11], v[4:5]
	s_or_not1_b32 s77, s13, exec_lo
.LBB4_8161:                             ;   in Loop: Header=BB4_8163 Depth=3
	s_or_b32 exec_lo, exec_lo, s88
	s_delay_alu instid0(SALU_CYCLE_1)
	s_and_not1_b32 s13, s74, exec_lo
	s_and_b32 s74, s78, exec_lo
	s_and_not1_b32 s73, s73, exec_lo
	s_and_b32 s77, s77, exec_lo
	s_or_b32 s74, s13, s74
	s_or_b32 s73, s73, s77
.LBB4_8162:                             ;   in Loop: Header=BB4_8163 Depth=3
	s_or_b32 exec_lo, exec_lo, s76
	s_delay_alu instid0(SALU_CYCLE_1) | instskip(NEXT) | instid1(SALU_CYCLE_1)
	s_and_b32 s13, exec_lo, s73
	s_or_b32 s42, s13, s42
	s_and_not1_b32 s13, s43, exec_lo
	s_and_b32 s43, s74, exec_lo
	s_delay_alu instid0(SALU_CYCLE_1)
	s_or_b32 s43, s13, s43
	s_and_not1_b32 exec_lo, exec_lo, s42
	s_cbranch_execz .LBB4_8167
.LBB4_8163:                             ;   Parent Loop BB4_47 Depth=1
                                        ;     Parent Loop BB4_8155 Depth=2
                                        ; =>    This Inner Loop Header: Depth=3
	s_sleep 1
	s_wait_loadcnt_dscnt 0x0
	flat_load_b64 v[34:35], v[22:23] scope:SCOPE_SYS
	s_or_b32 s74, s74, exec_lo
	s_or_b32 s73, s73, exec_lo
                                        ; implicit-def: $vgpr2
	s_wait_xcnt 0x0
	s_and_saveexec_b32 s76, vcc_lo
	s_cbranch_execz .LBB4_8162
; %bb.8164:                             ;   in Loop: Header=BB4_8163 Depth=3
	s_cmp_lt_i32 s75, 0x270f
	s_mov_b32 s77, -1
	s_cselect_b32 s79, -1, 0
	s_cmp_gt_i32 s75, 0x270e
	s_cbranch_scc0 .LBB4_8166
; %bb.8165:                             ;   in Loop: Header=BB4_8163 Depth=3
	s_trap 2
	ds_load_b64 v[10:11], v0
	s_and_not1_b32 s75, s79, exec_lo
	s_mov_b32 s78, 0
	s_wait_storecnt 0x0
	s_wait_loadcnt_dscnt 0x0
	flat_load_b32 v2, v[10:11] scope:SCOPE_SYS
	s_wait_loadcnt_dscnt 0x0
	global_inv scope:SCOPE_SYS
	v_cmp_eq_u32_e64 s13, 0, v2
	s_and_b32 s13, s13, exec_lo
	s_delay_alu instid0(SALU_CYCLE_1)
	s_or_b32 s79, s75, s13
	s_mov_b32 s75, 0
	s_and_saveexec_b32 s88, s79
	s_cbranch_execz .LBB4_8161
	s_branch .LBB4_8160
.LBB4_8166:                             ;   in Loop: Header=BB4_8163 Depth=3
	s_add_co_i32 s75, s75, 1
	s_mov_b32 s78, -1
                                        ; implicit-def: $vgpr2
	s_and_saveexec_b32 s88, s79
	s_cbranch_execz .LBB4_8161
	s_branch .LBB4_8160
.LBB4_8167:                             ;   in Loop: Header=BB4_8155 Depth=2
	s_or_b32 exec_lo, exec_lo, s42
	s_xor_b32 s13, s43, -1
	s_delay_alu instid0(SALU_CYCLE_1) | instskip(NEXT) | instid1(SALU_CYCLE_1)
	s_and_saveexec_b32 s42, s13
	s_xor_b32 s13, exec_lo, s42
	s_cbranch_execz .LBB4_8169
; %bb.8168:                             ;   in Loop: Header=BB4_8155 Depth=2
	v_or_b32_e32 v126, 64, v126
	s_wait_storecnt 0x0
	s_wait_loadcnt_dscnt 0x0
	ds_store_b32 v0, v2
	s_trap 2
.LBB4_8169:                             ;   in Loop: Header=BB4_8155 Depth=2
	s_or_b32 exec_lo, exec_lo, s13
.LBB4_8170:                             ;   in Loop: Header=BB4_8155 Depth=2
	s_delay_alu instid0(SALU_CYCLE_1) | instskip(SKIP_3) | instid1(VALU_DEP_1)
	s_or_b32 exec_lo, exec_lo, s15
	v_and_b32_e32 v2, 0x108, v126
	s_mov_b32 s13, exec_lo
	;;#ASMSTART
	s_wakeup
	;;#ASMEND
                                        ; implicit-def: $vgpr10_vgpr11
	v_cmpx_ne_u32_e32 0x108, v2
	s_xor_b32 s13, exec_lo, s13
; %bb.8171:                             ;   in Loop: Header=BB4_8155 Depth=2
	v_dual_mov_b32 v11, v3 :: v_dual_bitop2_b32 v10, 7, v98 bitop3:0x40
                                        ; implicit-def: $vgpr98_vgpr99
; %bb.8172:                             ;   in Loop: Header=BB4_8155 Depth=2
	s_and_not1_saveexec_b32 s13, s13
	s_cbranch_execz .LBB4_8174
; %bb.8173:                             ;   in Loop: Header=BB4_8155 Depth=2
	v_dual_ashrrev_i32 v113, 31, v112 :: v_dual_bitop2_b32 v10, 7, v98 bitop3:0x40
	v_mov_b32_e32 v11, v3
	s_delay_alu instid0(VALU_DEP_2)
	v_mad_nc_u64_u32 v[12:13], v10, 24, v[6:7]
	flat_store_b64 v[12:13], v[112:113] offset:8
.LBB4_8174:                             ;   in Loop: Header=BB4_8155 Depth=2
	s_wait_xcnt 0x0
	s_or_b32 exec_lo, exec_lo, s13
	v_and_b32_e32 v2, 0x100, v126
	s_mov_b32 s13, -1
	s_mov_b32 s15, exec_lo
                                        ; implicit-def: $vgpr12_vgpr13
	s_delay_alu instid0(VALU_DEP_1)
	v_cmpx_ne_u32_e32 0, v2
	s_cbranch_execz .LBB4_8178
; %bb.8175:                             ;   in Loop: Header=BB4_8155 Depth=2
	v_mad_nc_u64_u32 v[14:15], v10, 24, v[6:7]
	s_mov_b32 s42, exec_lo
                                        ; implicit-def: $vgpr12_vgpr13
	s_delay_alu instid0(VALU_DEP_1)
	v_mad_u32 v15, v11, 24, v15
	flat_load_b32 v2, v[14:15]
	s_wait_loadcnt_dscnt 0x0
	v_cmp_ne_u32_e32 vcc_lo, 1, v2
	s_wait_xcnt 0x0
	v_cmpx_eq_u32_e32 1, v2
	s_cbranch_execz .LBB4_8177
; %bb.8176:                             ;   in Loop: Header=BB4_8155 Depth=2
	flat_load_b32 v12, v[14:15] offset:4 scope:SCOPE_SYS
	s_wait_loadcnt_dscnt 0x0
	v_ashrrev_i32_e32 v13, 31, v12
.LBB4_8177:                             ;   in Loop: Header=BB4_8155 Depth=2
	s_wait_xcnt 0x0
	s_or_b32 exec_lo, exec_lo, s42
	s_delay_alu instid0(SALU_CYCLE_1)
	s_or_not1_b32 s13, vcc_lo, exec_lo
.LBB4_8178:                             ;   in Loop: Header=BB4_8155 Depth=2
	s_or_b32 exec_lo, exec_lo, s15
	s_and_saveexec_b32 s15, s13
; %bb.8179:                             ;   in Loop: Header=BB4_8155 Depth=2
	v_mul_u64_e32 v[12:13], v[10:11], v[24:25]
; %bb.8180:                             ;   in Loop: Header=BB4_8155 Depth=2
	s_or_b32 exec_lo, exec_lo, s15
	v_cmp_eq_u32_e32 vcc_lo, 0, v8
	v_mov_b32_e32 v2, 0x90
	s_delay_alu instid0(VALU_DEP_3) | instskip(SKIP_2) | instid1(VALU_DEP_3)
	v_add_nc_u64_e32 v[8:9], v[26:27], v[12:13]
	v_and_b32_e32 v10, 0x2000, v126
	s_mov_b32 s13, exec_lo
	v_cndmask_b32_e32 v2, 0xd0, v2, vcc_lo
	s_delay_alu instid0(VALU_DEP_1)
	v_add_nc_u32_e32 v2, v0, v2
	ds_store_b64 v2, v[8:9] offset:584
	v_cmpx_ne_u32_e32 0, v10
	s_cbranch_execz .LBB4_8182
; %bb.8181:                             ;   in Loop: Header=BB4_8155 Depth=2
	ds_load_b64 v[8:9], v0 offset:872
	s_wait_dscnt 0x0
	v_add_nc_u64_e32 v[8:9], 1, v[8:9]
	ds_store_b64 v0, v[8:9] offset:872
.LBB4_8182:                             ;   in Loop: Header=BB4_8155 Depth=2
	s_or_b32 exec_lo, exec_lo, s13
	v_mov_b64_e32 v[98:99], v[4:5]
.LBB4_8183:                             ;   in Loop: Header=BB4_8155 Depth=2
	s_or_b32 exec_lo, exec_lo, s14
	s_and_saveexec_b32 s13, s2
	s_cbranch_execz .LBB4_8202
; %bb.8184:                             ;   in Loop: Header=BB4_8155 Depth=2
	s_and_saveexec_b32 s14, s3
	s_delay_alu instid0(SALU_CYCLE_1)
	s_xor_b32 s14, exec_lo, s14
	s_cbranch_execz .LBB4_8199
; %bb.8185:                             ;   in Loop: Header=BB4_8155 Depth=2
	s_and_saveexec_b32 s15, s6
	s_cbranch_execz .LBB4_8198
; %bb.8186:                             ;   in Loop: Header=BB4_8155 Depth=2
	s_mov_b32 s43, exec_lo
	s_mov_b32 s42, exec_lo
	v_mbcnt_lo_u32_b32 v2, s43, 0
	global_wb scope:SCOPE_DEV
	s_wait_storecnt 0x0
	s_wait_loadcnt_dscnt 0x0
	global_inv scope:SCOPE_DEV
	v_cmpx_eq_u32_e32 0, v2
	s_cbranch_execz .LBB4_8188
; %bb.8187:                             ;   in Loop: Header=BB4_8155 Depth=2
	s_bcnt1_i32_b32 s43, s43
	s_delay_alu instid0(SALU_CYCLE_1)
	v_dual_mov_b32 v5, v3 :: v_dual_mov_b32 v4, s43
	s_wait_loadcnt 0x0
	ds_add_u64 v0, v[4:5]
	s_trap 2
.LBB4_8188:                             ;   in Loop: Header=BB4_8155 Depth=2
	s_or_b32 exec_lo, exec_lo, s42
	s_trap 2
	ds_load_b64 v[4:5], v0
	s_wait_dscnt 0x0
	v_add_nc_u64_e32 v[32:33], v[32:33], v[36:37]
	s_mov_b32 s42, exec_lo
	s_delay_alu instid0(VALU_DEP_1)
	v_cmpx_lt_u64_e64 v[4:5], v[32:33]
	s_cbranch_execz .LBB4_8197
; %bb.8189:                             ;   in Loop: Header=BB4_8155 Depth=2
	s_mov_b32 s43, 0
	s_mov_b32 s75, 0
                                        ; implicit-def: $sgpr73
                                        ; implicit-def: $sgpr74
	s_branch .LBB4_8191
.LBB4_8190:                             ;   in Loop: Header=BB4_8191 Depth=3
	s_or_b32 exec_lo, exec_lo, s77
	s_delay_alu instid0(SALU_CYCLE_1) | instskip(NEXT) | instid1(SALU_CYCLE_1)
	s_and_b32 s76, exec_lo, s78
	s_or_b32 s43, s76, s43
	s_and_not1_b32 s73, s73, exec_lo
	s_and_b32 s76, s74, exec_lo
	s_delay_alu instid0(SALU_CYCLE_1)
	s_or_b32 s73, s73, s76
	s_and_not1_b32 exec_lo, exec_lo, s43
	s_cbranch_execz .LBB4_8195
.LBB4_8191:                             ;   Parent Loop BB4_47 Depth=1
                                        ;     Parent Loop BB4_8155 Depth=2
                                        ; =>    This Inner Loop Header: Depth=3
	s_add_co_i32 s75, s75, 1
	s_delay_alu instid0(SALU_CYCLE_1) | instskip(SKIP_1) | instid1(SALU_CYCLE_1)
	s_cmp_lg_u32 s75, 0x2710
	s_cselect_b32 s76, -1, 0
	s_and_b32 vcc_lo, exec_lo, s76
	s_cbranch_vccz .LBB4_8193
; %bb.8192:                             ;   in Loop: Header=BB4_8191 Depth=3
	s_mov_b32 s78, -1
	s_or_b32 s74, s74, exec_lo
	s_and_saveexec_b32 s77, s76
	s_cbranch_execz .LBB4_8190
	s_branch .LBB4_8194
.LBB4_8193:                             ;   in Loop: Header=BB4_8191 Depth=3
	s_trap 2
	ds_load_b64 v[4:5], v0
	s_and_not1_b32 s76, s76, exec_lo
	s_mov_b32 s75, 0
	s_wait_loadcnt_dscnt 0x0
	flat_load_b32 v2, v[4:5] scope:SCOPE_SYS
	s_wait_loadcnt_dscnt 0x0
	global_inv scope:SCOPE_SYS
	v_cmp_eq_u32_e32 vcc_lo, 0, v2
	s_and_b32 s77, vcc_lo, exec_lo
	s_delay_alu instid0(SALU_CYCLE_1)
	s_or_b32 s76, s76, s77
	s_mov_b32 s78, -1
	s_or_b32 s74, s74, exec_lo
	s_and_saveexec_b32 s77, s76
	s_cbranch_execz .LBB4_8190
.LBB4_8194:                             ;   in Loop: Header=BB4_8191 Depth=3
	s_sleep 1
	s_trap 2
	ds_load_b64 v[4:5], v0
	s_wait_dscnt 0x0
	s_and_not1_b32 s74, s74, exec_lo
	v_cmp_ge_u64_e32 vcc_lo, v[4:5], v[32:33]
	s_or_not1_b32 s78, vcc_lo, exec_lo
	s_branch .LBB4_8190
.LBB4_8195:                             ;   in Loop: Header=BB4_8155 Depth=2
	s_or_b32 exec_lo, exec_lo, s43
	s_and_saveexec_b32 s43, s73
	s_delay_alu instid0(SALU_CYCLE_1)
	s_xor_b32 s43, exec_lo, s43
	s_cbranch_execz .LBB4_8197
; %bb.8196:                             ;   in Loop: Header=BB4_8155 Depth=2
	ds_store_b32 v0, v1
	s_trap 2
.LBB4_8197:                             ;   in Loop: Header=BB4_8155 Depth=2
	s_or_b32 exec_lo, exec_lo, s42
	;;#ASMSTART
	s_wakeup
	;;#ASMEND
.LBB4_8198:                             ;   in Loop: Header=BB4_8155 Depth=2
	s_or_b32 exec_lo, exec_lo, s15
.LBB4_8199:                             ;   in Loop: Header=BB4_8155 Depth=2
	s_and_not1_saveexec_b32 s14, s14
	s_cbranch_execz .LBB4_8201
; %bb.8200:                             ;   in Loop: Header=BB4_8155 Depth=2
	global_wb scope:SCOPE_DEV
	s_wait_storecnt 0x0
	s_wait_loadcnt_dscnt 0x0
	global_inv scope:SCOPE_DEV
	s_barrier_signal -1
	s_barrier_wait -1
.LBB4_8201:                             ;   in Loop: Header=BB4_8155 Depth=2
	s_or_b32 exec_lo, exec_lo, s14
.LBB4_8202:                             ;   in Loop: Header=BB4_8155 Depth=2
	s_delay_alu instid0(SALU_CYCLE_1) | instskip(SKIP_4) | instid1(VALU_DEP_1)
	s_or_b32 exec_lo, exec_lo, s13
	s_trap 2
	ds_load_b32 v2, v0
	v_and_b32_e32 v4, 0x4000, v126
	s_xor_b32 s13, s1, -1
	v_cmp_ne_u32_e32 vcc_lo, 0, v4
	s_and_b32 s14, s13, vcc_lo
	s_delay_alu instid0(SALU_CYCLE_1)
	s_and_saveexec_b32 s13, s14
	s_cbranch_execz .LBB4_8221
; %bb.8203:                             ;   in Loop: Header=BB4_8155 Depth=2
	s_and_saveexec_b32 s14, s3
	s_delay_alu instid0(SALU_CYCLE_1)
	s_xor_b32 s14, exec_lo, s14
	s_cbranch_execz .LBB4_8218
; %bb.8204:                             ;   in Loop: Header=BB4_8155 Depth=2
	s_and_saveexec_b32 s15, s6
	s_cbranch_execz .LBB4_8217
; %bb.8205:                             ;   in Loop: Header=BB4_8155 Depth=2
	s_mov_b32 s43, exec_lo
	s_mov_b32 s42, exec_lo
	v_mbcnt_lo_u32_b32 v4, s43, 0
	global_wb scope:SCOPE_DEV
	s_wait_storecnt 0x0
	s_wait_loadcnt_dscnt 0x0
	global_inv scope:SCOPE_DEV
	v_cmpx_eq_u32_e32 0, v4
	s_cbranch_execz .LBB4_8207
; %bb.8206:                             ;   in Loop: Header=BB4_8155 Depth=2
	s_bcnt1_i32_b32 s43, s43
	s_delay_alu instid0(SALU_CYCLE_1)
	v_dual_mov_b32 v5, v3 :: v_dual_mov_b32 v4, s43
	s_wait_loadcnt 0x0
	ds_add_u64 v0, v[4:5]
	s_trap 2
.LBB4_8207:                             ;   in Loop: Header=BB4_8155 Depth=2
	s_or_b32 exec_lo, exec_lo, s42
	s_trap 2
	ds_load_b64 v[4:5], v0
	s_wait_dscnt 0x0
	v_add_nc_u64_e32 v[32:33], v[32:33], v[36:37]
	s_mov_b32 s42, exec_lo
	s_delay_alu instid0(VALU_DEP_1)
	v_cmpx_lt_u64_e64 v[4:5], v[32:33]
	s_cbranch_execz .LBB4_8216
; %bb.8208:                             ;   in Loop: Header=BB4_8155 Depth=2
	s_mov_b32 s43, 0
	s_mov_b32 s75, 0
                                        ; implicit-def: $sgpr73
                                        ; implicit-def: $sgpr74
	s_branch .LBB4_8210
.LBB4_8209:                             ;   in Loop: Header=BB4_8210 Depth=3
	s_or_b32 exec_lo, exec_lo, s77
	s_delay_alu instid0(SALU_CYCLE_1) | instskip(NEXT) | instid1(SALU_CYCLE_1)
	s_and_b32 s76, exec_lo, s78
	s_or_b32 s43, s76, s43
	s_and_not1_b32 s73, s73, exec_lo
	s_and_b32 s76, s74, exec_lo
	s_delay_alu instid0(SALU_CYCLE_1)
	s_or_b32 s73, s73, s76
	s_and_not1_b32 exec_lo, exec_lo, s43
	s_cbranch_execz .LBB4_8214
.LBB4_8210:                             ;   Parent Loop BB4_47 Depth=1
                                        ;     Parent Loop BB4_8155 Depth=2
                                        ; =>    This Inner Loop Header: Depth=3
	s_add_co_i32 s75, s75, 1
	s_delay_alu instid0(SALU_CYCLE_1) | instskip(SKIP_1) | instid1(SALU_CYCLE_1)
	s_cmp_lg_u32 s75, 0x2710
	s_cselect_b32 s76, -1, 0
	s_and_b32 vcc_lo, exec_lo, s76
	s_cbranch_vccz .LBB4_8212
; %bb.8211:                             ;   in Loop: Header=BB4_8210 Depth=3
	s_mov_b32 s78, -1
	s_or_b32 s74, s74, exec_lo
	s_and_saveexec_b32 s77, s76
	s_cbranch_execz .LBB4_8209
	s_branch .LBB4_8213
.LBB4_8212:                             ;   in Loop: Header=BB4_8210 Depth=3
	s_trap 2
	ds_load_b64 v[4:5], v0
	s_and_not1_b32 s76, s76, exec_lo
	s_mov_b32 s75, 0
	s_wait_loadcnt_dscnt 0x0
	flat_load_b32 v4, v[4:5] scope:SCOPE_SYS
	s_wait_loadcnt_dscnt 0x0
	global_inv scope:SCOPE_SYS
	v_cmp_eq_u32_e32 vcc_lo, 0, v4
	s_and_b32 s77, vcc_lo, exec_lo
	s_delay_alu instid0(SALU_CYCLE_1)
	s_or_b32 s76, s76, s77
	s_mov_b32 s78, -1
	s_or_b32 s74, s74, exec_lo
	s_and_saveexec_b32 s77, s76
	s_cbranch_execz .LBB4_8209
.LBB4_8213:                             ;   in Loop: Header=BB4_8210 Depth=3
	s_sleep 1
	s_trap 2
	ds_load_b64 v[4:5], v0
	s_wait_dscnt 0x0
	s_and_not1_b32 s74, s74, exec_lo
	v_cmp_ge_u64_e32 vcc_lo, v[4:5], v[32:33]
	s_or_not1_b32 s78, vcc_lo, exec_lo
	s_branch .LBB4_8209
.LBB4_8214:                             ;   in Loop: Header=BB4_8155 Depth=2
	s_or_b32 exec_lo, exec_lo, s43
	s_and_saveexec_b32 s43, s73
	s_delay_alu instid0(SALU_CYCLE_1)
	s_xor_b32 s43, exec_lo, s43
	s_cbranch_execz .LBB4_8216
; %bb.8215:                             ;   in Loop: Header=BB4_8155 Depth=2
	ds_store_b32 v0, v1
	s_trap 2
.LBB4_8216:                             ;   in Loop: Header=BB4_8155 Depth=2
	s_or_b32 exec_lo, exec_lo, s42
	;;#ASMSTART
	s_wakeup
	;;#ASMEND
.LBB4_8217:                             ;   in Loop: Header=BB4_8155 Depth=2
	s_or_b32 exec_lo, exec_lo, s15
.LBB4_8218:                             ;   in Loop: Header=BB4_8155 Depth=2
	s_and_not1_saveexec_b32 s14, s14
	s_cbranch_execz .LBB4_8220
; %bb.8219:                             ;   in Loop: Header=BB4_8155 Depth=2
	global_wb scope:SCOPE_DEV
	s_wait_storecnt 0x0
	s_wait_loadcnt_dscnt 0x0
	global_inv scope:SCOPE_DEV
	s_barrier_signal -1
	s_barrier_wait -1
.LBB4_8220:                             ;   in Loop: Header=BB4_8155 Depth=2
	s_or_b32 exec_lo, exec_lo, s14
.LBB4_8221:                             ;   in Loop: Header=BB4_8155 Depth=2
	s_delay_alu instid0(SALU_CYCLE_1)
	s_or_b32 exec_lo, exec_lo, s13
	s_trap 2
	ds_load_b64 v[4:5], v0
	s_wait_dscnt 0x0
	v_cmp_eq_u64_e32 vcc_lo, 0, v[4:5]
	s_cbranch_vccnz .LBB4_8230
; %bb.8222:                             ;   in Loop: Header=BB4_8155 Depth=2
	s_trap 2
	ds_load_b64 v[8:9], v0
	s_wait_dscnt 0x0
	v_cmp_eq_u64_e32 vcc_lo, 0, v[8:9]
	s_cbranch_vccnz .LBB4_8230
; %bb.8223:                             ;   in Loop: Header=BB4_8155 Depth=2
	s_clause 0x1
	scratch_store_b64 off, v[8:9], s33 offset:228
	scratch_store_b64 off, v[4:5], s33 offset:220
	s_trap 2
	ds_load_b64 v[42:43], v0
	v_cmp_eq_u32_e64 s13, 0, v2
	s_delay_alu instid0(VALU_DEP_1)
	v_cndmask_b32_e64 v47, 0, v112, s13
	s_mov_b32 s13, -1
	s_wait_dscnt 0x0
	v_cmp_ne_u64_e32 vcc_lo, 0, v[42:43]
	s_cbranch_vccnz .LBB4_8224
; %bb.18255:                            ;   in Loop: Header=BB4_8155 Depth=2
	s_add_pc_i64 .LBB4_12913-.Lpost_addpc31
.Lpost_addpc31:
.LBB4_8224:                             ;   in Loop: Header=BB4_8155 Depth=2
	s_wait_xcnt 0x0
	s_and_saveexec_b32 s14, s11
	s_cbranch_execz .LBB4_8226
; %bb.8225:                             ;   in Loop: Header=BB4_8155 Depth=2
	ds_load_b32 v2, v0 offset:720
	s_wait_dscnt 0x0
	v_and_b32_e32 v2, 15, v2
	s_delay_alu instid0(VALU_DEP_1)
	v_cmp_eq_u32_e32 vcc_lo, 0, v2
	s_or_not1_b32 s13, vcc_lo, exec_lo
.LBB4_8226:                             ;   in Loop: Header=BB4_8155 Depth=2
	s_or_b32 exec_lo, exec_lo, s14
	s_and_saveexec_b32 s14, s11
	s_cbranch_execz .LBB4_8228
; %bb.8227:                             ;   in Loop: Header=BB4_8155 Depth=2
	ds_load_b32 v2, v0 offset:784
	s_wait_dscnt 0x0
	v_and_b32_e32 v2, 15, v2
	s_delay_alu instid0(VALU_DEP_1) | instskip(SKIP_3) | instid1(SALU_CYCLE_1)
	v_cmp_eq_u32_e32 vcc_lo, 0, v2
	s_and_b32 s15, s13, vcc_lo
	s_and_not1_b32 s13, s13, exec_lo
	s_and_b32 s15, s15, exec_lo
	s_or_b32 s13, s13, s15
.LBB4_8228:                             ;   in Loop: Header=BB4_8155 Depth=2
	s_or_b32 exec_lo, exec_lo, s14
	s_xor_b32 s13, s13, -1
	v_mov_b32_e32 v115, v0
	v_cndmask_b32_e64 v2, 0, 1, s13
	s_mov_b32 s13, -1
	v_mov_b32_e32 v113, v47
	s_delay_alu instid0(VALU_DEP_2)
	v_cmp_ne_u32_e32 vcc_lo, 0, v2
	v_mov_b32_e32 v2, 0
	s_cbranch_vccz .LBB4_8235
; %bb.8229:                             ;   in Loop: Header=BB4_8155 Depth=2
	s_and_saveexec_b32 s73, s13
	s_cbranch_execnz .LBB4_11560
; %bb.18257:                            ;   in Loop: Header=BB4_8155 Depth=2
	s_add_pc_i64 .LBB4_12912-.Lpost_addpc32
.Lpost_addpc32:
.LBB4_8230:                             ;   in Loop: Header=BB4_8155 Depth=2
	s_mov_b32 s13, 0
	s_and_saveexec_b32 s14, s2
	s_cbranch_execz .LBB4_8231
; %bb.18259:                            ;   in Loop: Header=BB4_8155 Depth=2
	s_add_pc_i64 .LBB4_17595-.Lpost_addpc33
.Lpost_addpc33:
.LBB4_8231:                             ;   in Loop: Header=BB4_8155 Depth=2
	s_or_b32 exec_lo, exec_lo, s14
                                        ; implicit-def: $vgpr2
	s_and_saveexec_b32 s14, s12
	s_delay_alu instid0(SALU_CYCLE_1)
	s_xor_b32 s14, exec_lo, s14
	s_cbranch_execnz .LBB4_8232
; %bb.18261:                            ;   in Loop: Header=BB4_8155 Depth=2
	s_add_pc_i64 .LBB4_17613-.Lpost_addpc34
.Lpost_addpc34:
.LBB4_8232:                             ;   in Loop: Header=BB4_8155 Depth=2
	v_and_b32_e32 v2, 16, v126
	s_delay_alu instid0(VALU_DEP_1) | instskip(SKIP_2) | instid1(SALU_CYCLE_1)
	v_cmp_ne_u32_e32 vcc_lo, 0, v2
	v_and_b32_e32 v2, 16, v126
	s_and_b32 s15, vcc_lo, s13
	s_and_saveexec_b32 s13, s15
	s_cbranch_execz .LBB4_8234
; %bb.8233:                             ;   in Loop: Header=BB4_8155 Depth=2
	v_mov_b32_e32 v2, 1
	global_wb scope:SCOPE_SYS
	s_wait_storecnt 0x0
	s_wait_loadcnt_dscnt 0x0
	global_inv scope:SCOPE_SYS
.LBB4_8234:                             ;   in Loop: Header=BB4_8155 Depth=2
	s_or_b32 exec_lo, exec_lo, s13
	s_and_not1_saveexec_b32 s13, s14
	s_cbranch_execnz .LBB4_18219
; %bb.18263:                            ;   in Loop: Header=BB4_8155 Depth=2
	s_add_pc_i64 .LBB4_17632-.Lpost_addpc35
.Lpost_addpc35:
.LBB4_18219:                            ;   in Loop: Header=BB4_8155 Depth=2
	s_add_pc_i64 .LBB4_17614-.Lpost_addpc13
.Lpost_addpc13:
.LBB4_8235:                             ;   in Loop: Header=BB4_8155 Depth=2
	v_ashrrev_i32_e32 v2, 31, v47
	s_mov_b32 s14, exec_lo
	s_delay_alu instid0(VALU_DEP_1) | instskip(NEXT) | instid1(VALU_DEP_1)
	v_lshrrev_b32_e32 v2, 22, v2
	v_add_nc_u32_e32 v2, v47, v2
	s_delay_alu instid0(VALU_DEP_1) | instskip(NEXT) | instid1(VALU_DEP_1)
	v_dual_ashrrev_i32 v21, 10, v2 :: v_dual_lshrrev_b32 v2, 5, v0
	v_sub_nc_u32_e32 v20, v21, v2
	s_delay_alu instid0(VALU_DEP_1)
	v_cmpx_lt_i32_e32 0, v20
	s_cbranch_execz .LBB4_10487
; %bb.8236:                             ;   in Loop: Header=BB4_8155 Depth=2
	s_trap 2
	ds_load_b64 v[4:5], v0
	s_clause 0x1
	scratch_load_b64 v[8:9], off, s33 offset:212
	scratch_load_b64 v[10:11], off, s33 offset:220
	v_mov_b32_e32 v89, v47
	s_wait_dscnt 0x0
	v_readfirstlane_b32 s42, v4
	v_readfirstlane_b32 s43, v5
	s_and_b32 s15, s42, 3
	s_bfe_i32 s13, s42, 0x80000
	s_clz_i32_u32 s75, s15
	s_bfe_u32 s73, s42, 0x50002
	s_min_u32 s75, s75, 32
	s_and_b32 s74, s42, 0x7c
	s_sub_co_i32 s78, s75, 29
	s_lshl_b32 s76, s42, 24
	s_sext_i32_i8 s77, s42
	s_lshl_b64 s[42:43], s[42:43], s78
	s_and_b32 s76, s76, 0x80000000
	s_sub_co_i32 s43, 30, s75
	s_and_b32 s42, s42, 3
	s_cmp_gt_i32 s77, -1
	s_cselect_b32 s75, s47, 0xff800000
	s_cmp_eq_u32 s15, 0
	s_cselect_b32 s75, s75, 0x7f800001
	s_cmp_eq_u32 s73, 0
	s_cselect_b32 s43, s43, s73
	s_cselect_b32 s15, s42, s15
	s_lshl_b32 s42, s43, 23
	s_lshl_b32 s15, s15, 21
	s_add_co_i32 s42, s42, s76
	s_delay_alu instid0(SALU_CYCLE_1) | instskip(NEXT) | instid1(SALU_CYCLE_1)
	s_or_b32 s15, s42, s15
	s_add_co_i32 s42, s15, 0x38000000
	s_cmp_eq_u32 s74, 0x7c
	s_mov_b32 s15, 0
	s_cselect_b32 s42, s75, s42
	s_and_b32 s43, s13, 0xff
	s_wait_loadcnt 0x1
	v_add_nc_u64_e32 v[56:57], v[42:43], v[8:9]
	s_wait_loadcnt 0x0
	v_add_nc_u64_e32 v[44:45], v[10:11], v[8:9]
	scratch_load_b64 v[10:11], off, s33 offset:228 ; 8-byte Folded Reload
	v_add_nc_u64_e32 v[58:59], v[4:5], v[8:9]
	s_wait_loadcnt 0x0
	v_add_nc_u64_e32 v[46:47], v[10:11], v[8:9]
	s_branch .LBB4_8239
.LBB4_8237:                             ;   in Loop: Header=BB4_8239 Depth=3
	s_or_b32 exec_lo, exec_lo, s73
.LBB4_8238:                             ;   in Loop: Header=BB4_8239 Depth=3
	s_delay_alu instid0(SALU_CYCLE_1)
	s_or_b32 exec_lo, exec_lo, s13
	v_lshl_or_b32 v2, v62, 8, v119
	v_dual_lshlrev_b32 v4, 16, v18 :: v_dual_lshlrev_b32 v5, 24, v19
	v_lshl_or_b32 v9, v50, 8, v30
	v_dual_lshlrev_b32 v10, 16, v65 :: v_dual_lshlrev_b32 v11, 24, v116
	;; [unrolled: 2-line block ×3, first 2 shown]
	v_or3_b32 v75, v2, v4, v5
	v_dual_lshlrev_b32 v2, 24, v17 :: v_dual_lshlrev_b32 v4, 16, v16
	v_lshl_or_b32 v5, v63, 8, v41
	v_or3_b32 v74, v9, v10, v11
	v_or3_b32 v76, v13, v18, v19
	v_lshl_or_b32 v9, v101, 8, v67
	v_dual_lshlrev_b32 v10, 16, v14 :: v_dual_lshlrev_b32 v11, 24, v15
	v_lshl_or_b32 v13, v40, 8, v118
	v_dual_lshlrev_b32 v14, 16, v61 :: v_dual_lshlrev_b32 v15, 24, v72
	;; [unrolled: 2-line block ×3, first 2 shown]
	v_lshlrev_b32_e32 v19, 24, v8
	v_lshlrev_b32_e32 v12, 16, v12
	v_lshl_or_b32 v30, v64, 8, v31
	v_or3_b32 v77, v5, v4, v2
	v_sub_nc_u32_e32 v20, v20, v36
	v_or3_b32 v9, v9, v10, v11
	v_or3_b32 v8, v13, v14, v15
	;; [unrolled: 1-line block ×4, first 2 shown]
	s_clause 0x1
	global_store_b128 v[46:47], v[74:77], off th:TH_STORE_NT
	global_store_b128 v[46:47], v[8:11], off offset:512 th:TH_STORE_NT
	s_clause 0x1
	global_store_b128 v[56:57], v[74:77], off th:TH_STORE_NT
	global_store_b128 v[56:57], v[8:11], off offset:512 th:TH_STORE_NT
	v_add_nc_u64_e32 v[44:45], v[44:45], v[68:69]
	v_add_nc_u64_e32 v[58:59], v[58:59], v[68:69]
	s_wait_xcnt 0x2
	v_add_nc_u64_e32 v[46:47], v[46:47], v[68:69]
	v_cmp_gt_i32_e32 vcc_lo, 1, v20
	s_wait_xcnt 0x0
	v_add_nc_u64_e32 v[56:57], v[56:57], v[68:69]
	s_or_b32 s15, vcc_lo, s15
	s_delay_alu instid0(SALU_CYCLE_1)
	s_and_not1_b32 exec_lo, exec_lo, s15
	s_cbranch_execz .LBB4_10486
.LBB4_8239:                             ;   Parent Loop BB4_47 Depth=1
                                        ;     Parent Loop BB4_8155 Depth=2
                                        ; =>    This Inner Loop Header: Depth=3
	s_cmp_lt_i32 s43, 0x80
	s_cbranch_scc1 .LBB4_8243
; %bb.8240:                             ;   in Loop: Header=BB4_8239 Depth=3
	s_and_b32 s13, 0xffff, s43
	s_delay_alu instid0(SALU_CYCLE_1)
	s_cmp_eq_u32 s13, 0x80
	s_mov_b32 s13, -1
	s_cbranch_scc0 .LBB4_8242
; %bb.8241:                             ;   in Loop: Header=BB4_8239 Depth=3
	s_mov_b32 s13, 0
.LBB4_8242:                             ;   in Loop: Header=BB4_8239 Depth=3
	s_brev_b32 s73, 1
	s_branch .LBB4_8245
.LBB4_8243:                             ;   in Loop: Header=BB4_8239 Depth=3
	s_mov_b32 s13, 0
	s_brev_b32 s73, 1
	s_cbranch_execz .LBB4_8245
; %bb.8244:                             ;   in Loop: Header=BB4_8239 Depth=3
	s_and_b32 s13, 0xffff, s43
	s_mov_b32 s73, 0
	s_cmp_lg_u32 s13, 0
	s_cselect_b32 s13, -1, 0
.LBB4_8245:                             ;   in Loop: Header=BB4_8239 Depth=3
	s_delay_alu instid0(SALU_CYCLE_1)
	s_and_not1_b32 vcc_lo, exec_lo, s13
	s_cbranch_vccnz .LBB4_8247
; %bb.8246:                             ;   in Loop: Header=BB4_8239 Depth=3
	s_mov_b32 s73, s42
.LBB4_8247:                             ;   in Loop: Header=BB4_8239 Depth=3
	global_load_b128 v[8:11], v[44:45], off th:TH_LOAD_NT
	s_wait_loadcnt 0x0
	v_and_b32_e32 v2, 0xff, v8
	s_delay_alu instid0(VALU_DEP_1)
	v_cmp_ne_u16_e32 vcc_lo, 0, v2
	v_mov_b32_e32 v2, 0
	s_wait_xcnt 0x0
	s_and_saveexec_b32 s13, vcc_lo
	s_cbranch_execz .LBB4_8257
; %bb.8248:                             ;   in Loop: Header=BB4_8239 Depth=3
	v_bfe_i32 v5, v8, 0, 8
	v_bfrev_b32_e32 v2, 1
	s_mov_b32 s74, exec_lo
	s_delay_alu instid0(VALU_DEP_2)
	v_cmpx_ne_u16_e32 0xff80, v5
	s_cbranch_execz .LBB4_8256
; %bb.8249:                             ;   in Loop: Header=BB4_8239 Depth=3
	v_and_b32_e32 v2, 0x7c, v8
	v_and_b32_e32 v4, 3, v8
	s_delay_alu instid0(VALU_DEP_2) | instskip(SKIP_1) | instid1(SALU_CYCLE_1)
	v_cmp_ne_u32_e32 vcc_lo, 0x7c, v2
                                        ; implicit-def: $vgpr2
	s_and_saveexec_b32 s75, vcc_lo
	s_xor_b32 s75, exec_lo, s75
	s_cbranch_execz .LBB4_8253
; %bb.8250:                             ;   in Loop: Header=BB4_8239 Depth=3
	v_bfe_u32 v2, v8, 2, 5
	s_mov_b32 s76, exec_lo
	s_delay_alu instid0(VALU_DEP_1)
	v_cmpx_eq_u32_e32 0, v2
; %bb.8251:                             ;   in Loop: Header=BB4_8239 Depth=3
	v_clz_i32_u32_e32 v2, v4
	s_delay_alu instid0(VALU_DEP_1) | instskip(NEXT) | instid1(VALU_DEP_1)
	v_min_u32_e32 v2, 32, v2
	v_subrev_nc_u32_e32 v4, 29, v2
	s_delay_alu instid0(VALU_DEP_1) | instskip(NEXT) | instid1(VALU_DEP_1)
	v_lshlrev_b64_e32 v[4:5], v4, v[8:9]
	v_dual_sub_nc_u32 v2, 30, v2 :: v_dual_bitop2_b32 v4, 3, v4 bitop3:0x40
; %bb.8252:                             ;   in Loop: Header=BB4_8239 Depth=3
	s_or_b32 exec_lo, exec_lo, s76
	v_lshlrev_b32_e32 v5, 24, v8
	s_delay_alu instid0(VALU_DEP_1) | instskip(NEXT) | instid1(VALU_DEP_1)
	v_and_b32_e32 v5, 0x80000000, v5
	v_lshl_add_u32 v2, v2, 23, v5
                                        ; implicit-def: $vgpr5
	s_delay_alu instid0(VALU_DEP_1) | instskip(NEXT) | instid1(VALU_DEP_1)
	v_lshl_or_b32 v2, v4, 21, v2
                                        ; implicit-def: $vgpr4
	v_add_nc_u32_e32 v2, 0x38000000, v2
.LBB4_8253:                             ;   in Loop: Header=BB4_8239 Depth=3
	s_and_not1_saveexec_b32 s75, s75
; %bb.8254:                             ;   in Loop: Header=BB4_8239 Depth=3
	v_cmp_lt_i16_e32 vcc_lo, -1, v5
	v_cndmask_b32_e32 v2, 0xff800000, v48, vcc_lo
	v_cmp_eq_u32_e32 vcc_lo, 0, v4
	s_delay_alu instid0(VALU_DEP_2)
	v_cndmask_b32_e32 v2, 0x7f800001, v2, vcc_lo
; %bb.8255:                             ;   in Loop: Header=BB4_8239 Depth=3
	s_or_b32 exec_lo, exec_lo, s75
.LBB4_8256:                             ;   in Loop: Header=BB4_8239 Depth=3
	s_delay_alu instid0(SALU_CYCLE_1)
	s_or_b32 exec_lo, exec_lo, s74
.LBB4_8257:                             ;   in Loop: Header=BB4_8239 Depth=3
	s_delay_alu instid0(SALU_CYCLE_1) | instskip(NEXT) | instid1(VALU_DEP_1)
	s_or_b32 exec_lo, exec_lo, s13
	v_dual_mul_f32 v12, s73, v2 :: v_dual_mov_b32 v15, v3
	v_mov_b32_e32 v5, v3
                                        ; implicit-def: $vgpr16
	s_mov_b32 s13, exec_lo
	s_delay_alu instid0(VALU_DEP_2) | instskip(SKIP_2) | instid1(VALU_DEP_3)
	v_and_b32_e32 v14, 0x7f800000, v12
	v_and_b32_e32 v4, 0x7fffff, v12
	v_lshrrev_b32_e32 v2, 24, v12
	v_cmpx_ne_u64_e32 0x7f800000, v[14:15]
	s_xor_b32 s74, exec_lo, s13
	s_cbranch_execz .LBB4_8271
; %bb.8258:                             ;   in Loop: Header=BB4_8239 Depth=3
	v_and_b32_e32 v14, 0x7fffffff, v12
	v_mov_b32_e32 v15, v3
	v_and_b32_e32 v2, 0x80, v2
                                        ; implicit-def: $vgpr16
	s_mov_b32 s13, exec_lo
	s_delay_alu instid0(VALU_DEP_2)
	v_cmpx_gt_u64_e32 0x47600001, v[14:15]
	s_xor_b32 s75, exec_lo, s13
	s_cbranch_execz .LBB4_8268
; %bb.8259:                             ;   in Loop: Header=BB4_8239 Depth=3
	v_mov_b32_e32 v16, 0
	s_mov_b32 s76, exec_lo
	v_cmpx_ne_u32_e32 0, v12
	s_cbranch_execz .LBB4_8267
; %bb.8260:                             ;   in Loop: Header=BB4_8239 Depth=3
	v_bfe_u32 v14, v12, 23, 8
	v_or_b32_e32 v16, 0x800000, v4
	s_delay_alu instid0(VALU_DEP_2) | instskip(SKIP_1) | instid1(VALU_DEP_2)
	v_sub_nc_u32_e32 v12, 0x71, v14
	v_cmp_gt_u32_e32 vcc_lo, 0x72, v14
	v_cndmask_b32_e32 v12, 0, v12, vcc_lo
	v_cmp_eq_u32_e32 vcc_lo, 0, v14
	s_delay_alu instid0(VALU_DEP_2) | instskip(NEXT) | instid1(VALU_DEP_1)
	v_cndmask_b32_e64 v15, v12, 0x70, vcc_lo
	v_dual_cndmask_b32 v4, v16, v4, vcc_lo :: v_dual_add_nc_u32 v12, 21, v15
	v_add_nc_u32_e32 v17, 20, v15
	s_delay_alu instid0(VALU_DEP_2) | instskip(NEXT) | instid1(VALU_DEP_2)
	v_lshlrev_b64_e64 v[12:13], v12, -1
	v_lshlrev_b64_e64 v[16:17], v17, 1
	s_delay_alu instid0(VALU_DEP_2) | instskip(SKIP_1) | instid1(VALU_DEP_4)
	v_bfi_b32 v12, v12, 0, v4
	v_lshrrev_b64 v[4:5], v15, v[4:5]
	v_bfi_b32 v13, v13, 0, 0
	s_delay_alu instid0(VALU_DEP_1) | instskip(NEXT) | instid1(VALU_DEP_3)
	v_cmp_eq_u64_e64 s13, v[12:13], v[16:17]
	v_mov_b64_e32 v[12:13], v[4:5]
	s_and_saveexec_b32 s77, s13
; %bb.8261:                             ;   in Loop: Header=BB4_8239 Depth=3
	v_bfe_u32 v12, v4, 21, 1
	v_mov_b32_e32 v13, v3
	s_delay_alu instid0(VALU_DEP_1) | instskip(NEXT) | instid1(VALU_DEP_1)
	v_add_nc_u64_e32 v[12:13], v[4:5], v[12:13]
	v_add_nc_u64_e32 v[12:13], -1, v[12:13]
; %bb.8262:                             ;   in Loop: Header=BB4_8239 Depth=3
	s_or_b32 exec_lo, exec_lo, s77
	v_add_nc_u32_e32 v5, 0xffffff81, v14
	v_lshrrev_b32_e32 v13, 23, v4
	s_mov_b32 s13, exec_lo
	s_delay_alu instid0(VALU_DEP_2) | instskip(NEXT) | instid1(VALU_DEP_1)
	v_cndmask_b32_e64 v5, v5, 0xffffff82, vcc_lo
	v_add3_u32 v13, v15, v5, v13
	v_and_b32_e32 v5, 0x1fffff, v12
                                        ; implicit-def: $vgpr12
	s_delay_alu instid0(VALU_DEP_1) | instskip(SKIP_1) | instid1(VALU_DEP_2)
	v_dual_add_nc_u32 v14, 14, v13 :: v_dual_add_nc_u32 v4, v5, v4
	v_mov_b32_e32 v5, v3
	v_cmpx_ne_u32_e32 0, v14
	s_xor_b32 s13, exec_lo, s13
; %bb.8263:                             ;   in Loop: Header=BB4_8239 Depth=3
	s_delay_alu instid0(VALU_DEP_2) | instskip(SKIP_2) | instid1(VALU_DEP_2)
	v_cmp_lt_u64_e32 vcc_lo, 0xffffff, v[4:5]
	v_add_nc_u32_e32 v12, 15, v13
	v_cndmask_b32_e64 v13, 0, 1, vcc_lo
	v_cndmask_b32_e32 v12, v14, v12, vcc_lo
	s_delay_alu instid0(VALU_DEP_2)
	v_lshrrev_b64 v[4:5], v13, v[4:5]
; %bb.8264:                             ;   in Loop: Header=BB4_8239 Depth=3
	s_and_not1_saveexec_b32 s13, s13
; %bb.8265:                             ;   in Loop: Header=BB4_8239 Depth=3
	s_delay_alu instid0(VALU_DEP_1)
	v_bfe_u32 v12, v4, 23, 1
; %bb.8266:                             ;   in Loop: Header=BB4_8239 Depth=3
	s_or_b32 exec_lo, exec_lo, s13
	s_delay_alu instid0(VALU_DEP_2) | instskip(NEXT) | instid1(VALU_DEP_2)
	v_lshrrev_b64 v[4:5], 21, v[4:5]
	v_cmp_gt_i32_e32 vcc_lo, 32, v12
	v_min_i32_e32 v13, 31, v12
	v_cmp_eq_u32_e64 s13, 0, v12
	s_delay_alu instid0(VALU_DEP_4) | instskip(NEXT) | instid1(VALU_DEP_3)
	v_cndmask_b32_e32 v5, 0, v5, vcc_lo
	v_dual_cndmask_b32 v4, 3, v4 :: v_dual_lshlrev_b32 v13, 2, v13
	s_delay_alu instid0(VALU_DEP_1) | instskip(NEXT) | instid1(VALU_DEP_2)
	v_and_b32_e32 v13, 0xfc, v13
	v_cmp_eq_u64_e32 vcc_lo, 0, v[4:5]
	s_delay_alu instid0(VALU_DEP_2)
	v_and_or_b32 v4, v4, 3, v13
	s_and_b32 s13, s13, vcc_lo
	s_delay_alu instid0(VALU_DEP_1) | instid1(SALU_CYCLE_1)
	v_cndmask_b32_e64 v4, v4, 0, s13
	s_delay_alu instid0(VALU_DEP_1)
	v_or_b32_e32 v16, v4, v2
.LBB4_8267:                             ;   in Loop: Header=BB4_8239 Depth=3
	s_or_b32 exec_lo, exec_lo, s76
                                        ; implicit-def: $vgpr2
.LBB4_8268:                             ;   in Loop: Header=BB4_8239 Depth=3
	s_and_not1_saveexec_b32 s13, s75
; %bb.8269:                             ;   in Loop: Header=BB4_8239 Depth=3
	v_or_b32_e32 v16, 0x7b, v2
; %bb.8270:                             ;   in Loop: Header=BB4_8239 Depth=3
	s_or_b32 exec_lo, exec_lo, s13
                                        ; implicit-def: $vgpr12
                                        ; implicit-def: $vgpr4_vgpr5
                                        ; implicit-def: $vgpr2
.LBB4_8271:                             ;   in Loop: Header=BB4_8239 Depth=3
	s_and_not1_saveexec_b32 s13, s74
	s_cbranch_execz .LBB4_8277
; %bb.8272:                             ;   in Loop: Header=BB4_8239 Depth=3
	s_mov_b32 s74, exec_lo
                                        ; implicit-def: $vgpr16
	v_cmpx_ne_u64_e32 0, v[4:5]
	s_xor_b32 s74, exec_lo, s74
; %bb.8273:                             ;   in Loop: Header=BB4_8239 Depth=3
	v_or_b32_e32 v16, 0x7f, v2
                                        ; implicit-def: $vgpr12
; %bb.8274:                             ;   in Loop: Header=BB4_8239 Depth=3
	s_and_not1_saveexec_b32 s74, s74
; %bb.8275:                             ;   in Loop: Header=BB4_8239 Depth=3
	v_cmp_lt_i32_e32 vcc_lo, -1, v12
	v_cndmask_b32_e32 v16, 0xfc, v49, vcc_lo
; %bb.8276:                             ;   in Loop: Header=BB4_8239 Depth=3
	s_or_b32 exec_lo, exec_lo, s74
.LBB4_8277:                             ;   in Loop: Header=BB4_8239 Depth=3
	s_delay_alu instid0(SALU_CYCLE_1) | instskip(SKIP_3) | instid1(VALU_DEP_2)
	s_or_b32 exec_lo, exec_lo, s13
	v_lshrrev_b16 v4, 8, v8
	v_mov_b32_e32 v5, 0
	s_mov_b32 s13, exec_lo
	v_cmpx_ne_u16_e32 0, v4
	s_cbranch_execz .LBB4_8287
; %bb.8278:                             ;   in Loop: Header=BB4_8239 Depth=3
	v_bfrev_b32_e32 v5, 1
	s_mov_b32 s74, exec_lo
	v_cmpx_ne_u16_e32 0x80, v4
	s_cbranch_execz .LBB4_8286
; %bb.8279:                             ;   in Loop: Header=BB4_8239 Depth=3
	v_and_b32_e32 v12, 0xffff, v4
	s_delay_alu instid0(VALU_DEP_1) | instskip(SKIP_1) | instid1(VALU_DEP_2)
	v_and_b32_e32 v5, 0x7c, v12
	v_and_b32_e32 v2, 3, v12
	v_cmp_ne_u32_e32 vcc_lo, 0x7c, v5
                                        ; implicit-def: $vgpr5
	s_and_saveexec_b32 s75, vcc_lo
	s_delay_alu instid0(SALU_CYCLE_1)
	s_xor_b32 s75, exec_lo, s75
	s_cbranch_execz .LBB4_8283
; %bb.8280:                             ;   in Loop: Header=BB4_8239 Depth=3
	v_bfe_u32 v5, v12, 2, 5
	s_mov_b32 s76, exec_lo
	s_delay_alu instid0(VALU_DEP_1)
	v_cmpx_eq_u32_e32 0, v5
; %bb.8281:                             ;   in Loop: Header=BB4_8239 Depth=3
	v_clz_i32_u32_e32 v2, v2
	v_mov_b32_e32 v5, v3
	s_delay_alu instid0(VALU_DEP_2) | instskip(NEXT) | instid1(VALU_DEP_1)
	v_min_u32_e32 v2, 32, v2
	v_subrev_nc_u32_e32 v12, 29, v2
	s_delay_alu instid0(VALU_DEP_1) | instskip(NEXT) | instid1(VALU_DEP_1)
	v_lshlrev_b64_e32 v[4:5], v12, v[4:5]
	v_dual_sub_nc_u32 v5, 30, v2 :: v_dual_bitop2_b32 v2, 3, v4 bitop3:0x40
; %bb.8282:                             ;   in Loop: Header=BB4_8239 Depth=3
	s_or_b32 exec_lo, exec_lo, s76
	v_lshlrev_b32_e32 v4, 16, v8
	s_delay_alu instid0(VALU_DEP_1) | instskip(NEXT) | instid1(VALU_DEP_1)
	v_and_b32_e32 v4, 0x80000000, v4
	v_lshl_add_u32 v4, v5, 23, v4
	s_delay_alu instid0(VALU_DEP_1) | instskip(NEXT) | instid1(VALU_DEP_1)
	v_lshl_or_b32 v2, v2, 21, v4
	v_add_nc_u32_e32 v5, 0x38000000, v2
                                        ; implicit-def: $vgpr2
.LBB4_8283:                             ;   in Loop: Header=BB4_8239 Depth=3
	s_and_not1_saveexec_b32 s75, s75
; %bb.8284:                             ;   in Loop: Header=BB4_8239 Depth=3
	v_cmp_lt_i16_e32 vcc_lo, -1, v8
	v_cndmask_b32_e32 v4, 0xff800000, v48, vcc_lo
	v_cmp_eq_u32_e32 vcc_lo, 0, v2
	s_delay_alu instid0(VALU_DEP_2)
	v_cndmask_b32_e32 v5, 0x7f800001, v4, vcc_lo
; %bb.8285:                             ;   in Loop: Header=BB4_8239 Depth=3
	s_or_b32 exec_lo, exec_lo, s75
.LBB4_8286:                             ;   in Loop: Header=BB4_8239 Depth=3
	s_delay_alu instid0(SALU_CYCLE_1)
	s_or_b32 exec_lo, exec_lo, s74
.LBB4_8287:                             ;   in Loop: Header=BB4_8239 Depth=3
	s_delay_alu instid0(SALU_CYCLE_1) | instskip(NEXT) | instid1(VALU_DEP_1)
	s_or_b32 exec_lo, exec_lo, s13
	v_dual_mul_f32 v12, s73, v5 :: v_dual_mov_b32 v15, v3
	v_mov_b32_e32 v5, v3
                                        ; implicit-def: $vgpr17
	s_mov_b32 s13, exec_lo
	s_delay_alu instid0(VALU_DEP_2) | instskip(SKIP_2) | instid1(VALU_DEP_3)
	v_and_b32_e32 v14, 0x7f800000, v12
	v_and_b32_e32 v4, 0x7fffff, v12
	v_lshrrev_b32_e32 v2, 24, v12
	v_cmpx_ne_u64_e32 0x7f800000, v[14:15]
	s_xor_b32 s74, exec_lo, s13
	s_cbranch_execz .LBB4_8301
; %bb.8288:                             ;   in Loop: Header=BB4_8239 Depth=3
	v_and_b32_e32 v14, 0x7fffffff, v12
	v_mov_b32_e32 v15, v3
	v_and_b32_e32 v2, 0x80, v2
                                        ; implicit-def: $vgpr17
	s_mov_b32 s13, exec_lo
	s_delay_alu instid0(VALU_DEP_2)
	v_cmpx_gt_u64_e32 0x47600001, v[14:15]
	s_xor_b32 s75, exec_lo, s13
	s_cbranch_execz .LBB4_8298
; %bb.8289:                             ;   in Loop: Header=BB4_8239 Depth=3
	v_mov_b32_e32 v17, 0
	s_mov_b32 s76, exec_lo
	v_cmpx_ne_u32_e32 0, v12
	s_cbranch_execz .LBB4_8297
; %bb.8290:                             ;   in Loop: Header=BB4_8239 Depth=3
	v_bfe_u32 v14, v12, 23, 8
	v_or_b32_e32 v17, 0x800000, v4
	s_delay_alu instid0(VALU_DEP_2) | instskip(SKIP_1) | instid1(VALU_DEP_2)
	v_sub_nc_u32_e32 v12, 0x71, v14
	v_cmp_gt_u32_e32 vcc_lo, 0x72, v14
	v_cndmask_b32_e32 v12, 0, v12, vcc_lo
	v_cmp_eq_u32_e32 vcc_lo, 0, v14
	s_delay_alu instid0(VALU_DEP_2) | instskip(NEXT) | instid1(VALU_DEP_1)
	v_cndmask_b32_e64 v15, v12, 0x70, vcc_lo
	v_dual_cndmask_b32 v4, v17, v4, vcc_lo :: v_dual_add_nc_u32 v12, 21, v15
	v_add_nc_u32_e32 v18, 20, v15
	s_delay_alu instid0(VALU_DEP_2) | instskip(NEXT) | instid1(VALU_DEP_2)
	v_lshlrev_b64_e64 v[12:13], v12, -1
	v_lshlrev_b64_e64 v[18:19], v18, 1
	s_delay_alu instid0(VALU_DEP_2) | instskip(SKIP_1) | instid1(VALU_DEP_4)
	v_bfi_b32 v12, v12, 0, v4
	v_lshrrev_b64 v[4:5], v15, v[4:5]
	v_bfi_b32 v13, v13, 0, 0
	s_delay_alu instid0(VALU_DEP_1) | instskip(NEXT) | instid1(VALU_DEP_3)
	v_cmp_eq_u64_e64 s13, v[12:13], v[18:19]
	v_mov_b64_e32 v[12:13], v[4:5]
	s_and_saveexec_b32 s77, s13
; %bb.8291:                             ;   in Loop: Header=BB4_8239 Depth=3
	v_bfe_u32 v12, v4, 21, 1
	v_mov_b32_e32 v13, v3
	s_delay_alu instid0(VALU_DEP_1) | instskip(NEXT) | instid1(VALU_DEP_1)
	v_add_nc_u64_e32 v[12:13], v[4:5], v[12:13]
	v_add_nc_u64_e32 v[12:13], -1, v[12:13]
; %bb.8292:                             ;   in Loop: Header=BB4_8239 Depth=3
	s_or_b32 exec_lo, exec_lo, s77
	v_add_nc_u32_e32 v5, 0xffffff81, v14
	v_lshrrev_b32_e32 v13, 23, v4
	s_mov_b32 s13, exec_lo
	s_delay_alu instid0(VALU_DEP_2) | instskip(NEXT) | instid1(VALU_DEP_1)
	v_cndmask_b32_e64 v5, v5, 0xffffff82, vcc_lo
	v_add3_u32 v13, v15, v5, v13
	v_and_b32_e32 v5, 0x1fffff, v12
                                        ; implicit-def: $vgpr12
	s_delay_alu instid0(VALU_DEP_1) | instskip(SKIP_1) | instid1(VALU_DEP_2)
	v_dual_add_nc_u32 v14, 14, v13 :: v_dual_add_nc_u32 v4, v5, v4
	v_mov_b32_e32 v5, v3
	v_cmpx_ne_u32_e32 0, v14
	s_xor_b32 s13, exec_lo, s13
; %bb.8293:                             ;   in Loop: Header=BB4_8239 Depth=3
	s_delay_alu instid0(VALU_DEP_2) | instskip(SKIP_2) | instid1(VALU_DEP_2)
	v_cmp_lt_u64_e32 vcc_lo, 0xffffff, v[4:5]
	v_add_nc_u32_e32 v12, 15, v13
	v_cndmask_b32_e64 v13, 0, 1, vcc_lo
	v_cndmask_b32_e32 v12, v14, v12, vcc_lo
	s_delay_alu instid0(VALU_DEP_2)
	v_lshrrev_b64 v[4:5], v13, v[4:5]
; %bb.8294:                             ;   in Loop: Header=BB4_8239 Depth=3
	s_and_not1_saveexec_b32 s13, s13
; %bb.8295:                             ;   in Loop: Header=BB4_8239 Depth=3
	s_delay_alu instid0(VALU_DEP_1)
	v_bfe_u32 v12, v4, 23, 1
; %bb.8296:                             ;   in Loop: Header=BB4_8239 Depth=3
	s_or_b32 exec_lo, exec_lo, s13
	s_delay_alu instid0(VALU_DEP_2) | instskip(NEXT) | instid1(VALU_DEP_2)
	v_lshrrev_b64 v[4:5], 21, v[4:5]
	v_cmp_gt_i32_e32 vcc_lo, 32, v12
	v_min_i32_e32 v13, 31, v12
	v_cmp_eq_u32_e64 s13, 0, v12
	s_delay_alu instid0(VALU_DEP_4) | instskip(NEXT) | instid1(VALU_DEP_3)
	v_cndmask_b32_e32 v5, 0, v5, vcc_lo
	v_dual_cndmask_b32 v4, 3, v4 :: v_dual_lshlrev_b32 v13, 2, v13
	s_delay_alu instid0(VALU_DEP_1) | instskip(NEXT) | instid1(VALU_DEP_2)
	v_and_b32_e32 v13, 0xfc, v13
	v_cmp_eq_u64_e32 vcc_lo, 0, v[4:5]
	s_delay_alu instid0(VALU_DEP_2)
	v_and_or_b32 v4, v4, 3, v13
	s_and_b32 s13, s13, vcc_lo
	s_delay_alu instid0(VALU_DEP_1) | instid1(SALU_CYCLE_1)
	v_cndmask_b32_e64 v4, v4, 0, s13
	s_delay_alu instid0(VALU_DEP_1)
	v_or_b32_e32 v17, v4, v2
.LBB4_8297:                             ;   in Loop: Header=BB4_8239 Depth=3
	s_or_b32 exec_lo, exec_lo, s76
                                        ; implicit-def: $vgpr2
.LBB4_8298:                             ;   in Loop: Header=BB4_8239 Depth=3
	s_and_not1_saveexec_b32 s13, s75
; %bb.8299:                             ;   in Loop: Header=BB4_8239 Depth=3
	v_or_b32_e32 v17, 0x7b, v2
; %bb.8300:                             ;   in Loop: Header=BB4_8239 Depth=3
	s_or_b32 exec_lo, exec_lo, s13
                                        ; implicit-def: $vgpr12
                                        ; implicit-def: $vgpr4_vgpr5
                                        ; implicit-def: $vgpr2
.LBB4_8301:                             ;   in Loop: Header=BB4_8239 Depth=3
	s_and_not1_saveexec_b32 s13, s74
	s_cbranch_execz .LBB4_8307
; %bb.8302:                             ;   in Loop: Header=BB4_8239 Depth=3
	s_mov_b32 s74, exec_lo
                                        ; implicit-def: $vgpr17
	v_cmpx_ne_u64_e32 0, v[4:5]
	s_xor_b32 s74, exec_lo, s74
; %bb.8303:                             ;   in Loop: Header=BB4_8239 Depth=3
	v_or_b32_e32 v17, 0x7f, v2
                                        ; implicit-def: $vgpr12
; %bb.8304:                             ;   in Loop: Header=BB4_8239 Depth=3
	s_and_not1_saveexec_b32 s74, s74
; %bb.8305:                             ;   in Loop: Header=BB4_8239 Depth=3
	v_cmp_lt_i32_e32 vcc_lo, -1, v12
	v_cndmask_b32_e32 v17, 0xfc, v49, vcc_lo
; %bb.8306:                             ;   in Loop: Header=BB4_8239 Depth=3
	s_or_b32 exec_lo, exec_lo, s74
.LBB4_8307:                             ;   in Loop: Header=BB4_8239 Depth=3
	s_delay_alu instid0(SALU_CYCLE_1) | instskip(SKIP_2) | instid1(VALU_DEP_1)
	s_or_b32 exec_lo, exec_lo, s13
	v_dual_lshrrev_b32 v2, 16, v8 :: v_dual_mov_b32 v4, 0
	s_mov_b32 s13, exec_lo
	v_and_b32_e32 v5, 0xff, v2
	s_delay_alu instid0(VALU_DEP_1)
	v_cmpx_ne_u16_e32 0, v5
	s_cbranch_execz .LBB4_8317
; %bb.8308:                             ;   in Loop: Header=BB4_8239 Depth=3
	v_bfrev_b32_e32 v4, 1
	s_mov_b32 s74, exec_lo
	v_cmpx_ne_u16_e32 0x80, v5
	s_cbranch_execz .LBB4_8316
; %bb.8309:                             ;   in Loop: Header=BB4_8239 Depth=3
	v_and_b32_e32 v4, 0x7c0000, v8
	v_bfe_u32 v5, v8, 16, 2
	s_delay_alu instid0(VALU_DEP_2) | instskip(SKIP_1) | instid1(SALU_CYCLE_1)
	v_cmp_ne_u32_e32 vcc_lo, 0x7c0000, v4
                                        ; implicit-def: $vgpr4
	s_and_saveexec_b32 s75, vcc_lo
	s_xor_b32 s75, exec_lo, s75
	s_cbranch_execz .LBB4_8313
; %bb.8310:                             ;   in Loop: Header=BB4_8239 Depth=3
	v_bfe_u32 v4, v8, 18, 5
	s_mov_b32 s76, exec_lo
	s_delay_alu instid0(VALU_DEP_1)
	v_cmpx_eq_u32_e32 0, v4
; %bb.8311:                             ;   in Loop: Header=BB4_8239 Depth=3
	v_clz_i32_u32_e32 v4, v5
	s_delay_alu instid0(VALU_DEP_1) | instskip(NEXT) | instid1(VALU_DEP_1)
	v_min_u32_e32 v4, 32, v4
	v_subrev_nc_u32_e32 v5, 29, v4
	v_sub_nc_u32_e32 v4, 30, v4
	s_delay_alu instid0(VALU_DEP_2) | instskip(NEXT) | instid1(VALU_DEP_1)
	v_lshlrev_b64_e32 v[12:13], v5, v[2:3]
	v_and_b32_e32 v5, 3, v12
; %bb.8312:                             ;   in Loop: Header=BB4_8239 Depth=3
	s_or_b32 exec_lo, exec_lo, s76
	v_lshlrev_b32_e32 v2, 24, v2
	s_delay_alu instid0(VALU_DEP_1) | instskip(NEXT) | instid1(VALU_DEP_1)
	v_and_b32_e32 v2, 0x80000000, v2
	v_lshl_add_u32 v2, v4, 23, v2
	s_delay_alu instid0(VALU_DEP_1) | instskip(NEXT) | instid1(VALU_DEP_1)
	v_lshl_or_b32 v2, v5, 21, v2
                                        ; implicit-def: $vgpr5
	v_add_nc_u32_e32 v4, 0x38000000, v2
                                        ; implicit-def: $vgpr2
.LBB4_8313:                             ;   in Loop: Header=BB4_8239 Depth=3
	s_and_not1_saveexec_b32 s75, s75
; %bb.8314:                             ;   in Loop: Header=BB4_8239 Depth=3
	v_bfe_i32 v2, v2, 0, 8
	s_delay_alu instid0(VALU_DEP_1) | instskip(SKIP_2) | instid1(VALU_DEP_2)
	v_cmp_lt_i16_e32 vcc_lo, -1, v2
	v_cndmask_b32_e32 v2, 0xff800000, v48, vcc_lo
	v_cmp_eq_u32_e32 vcc_lo, 0, v5
	v_cndmask_b32_e32 v4, 0x7f800001, v2, vcc_lo
; %bb.8315:                             ;   in Loop: Header=BB4_8239 Depth=3
	s_or_b32 exec_lo, exec_lo, s75
.LBB4_8316:                             ;   in Loop: Header=BB4_8239 Depth=3
	s_delay_alu instid0(SALU_CYCLE_1)
	s_or_b32 exec_lo, exec_lo, s74
.LBB4_8317:                             ;   in Loop: Header=BB4_8239 Depth=3
	s_delay_alu instid0(SALU_CYCLE_1) | instskip(NEXT) | instid1(VALU_DEP_1)
	s_or_b32 exec_lo, exec_lo, s13
	v_dual_mul_f32 v12, s73, v4 :: v_dual_mov_b32 v15, v3
	v_mov_b32_e32 v5, v3
                                        ; implicit-def: $vgpr18
	s_mov_b32 s13, exec_lo
	s_delay_alu instid0(VALU_DEP_2) | instskip(SKIP_2) | instid1(VALU_DEP_3)
	v_and_b32_e32 v14, 0x7f800000, v12
	v_and_b32_e32 v4, 0x7fffff, v12
	v_lshrrev_b32_e32 v2, 24, v12
	v_cmpx_ne_u64_e32 0x7f800000, v[14:15]
	s_xor_b32 s74, exec_lo, s13
	s_cbranch_execz .LBB4_8331
; %bb.8318:                             ;   in Loop: Header=BB4_8239 Depth=3
	v_and_b32_e32 v14, 0x7fffffff, v12
	v_mov_b32_e32 v15, v3
	v_and_b32_e32 v2, 0x80, v2
                                        ; implicit-def: $vgpr18
	s_mov_b32 s13, exec_lo
	s_delay_alu instid0(VALU_DEP_2)
	v_cmpx_gt_u64_e32 0x47600001, v[14:15]
	s_xor_b32 s75, exec_lo, s13
	s_cbranch_execz .LBB4_8328
; %bb.8319:                             ;   in Loop: Header=BB4_8239 Depth=3
	v_mov_b32_e32 v18, 0
	s_mov_b32 s76, exec_lo
	v_cmpx_ne_u32_e32 0, v12
	s_cbranch_execz .LBB4_8327
; %bb.8320:                             ;   in Loop: Header=BB4_8239 Depth=3
	v_bfe_u32 v14, v12, 23, 8
	v_or_b32_e32 v18, 0x800000, v4
	s_delay_alu instid0(VALU_DEP_2) | instskip(SKIP_1) | instid1(VALU_DEP_2)
	v_sub_nc_u32_e32 v12, 0x71, v14
	v_cmp_gt_u32_e32 vcc_lo, 0x72, v14
	v_cndmask_b32_e32 v12, 0, v12, vcc_lo
	v_cmp_eq_u32_e32 vcc_lo, 0, v14
	s_delay_alu instid0(VALU_DEP_2) | instskip(NEXT) | instid1(VALU_DEP_1)
	v_cndmask_b32_e64 v15, v12, 0x70, vcc_lo
	v_dual_cndmask_b32 v4, v18, v4, vcc_lo :: v_dual_add_nc_u32 v12, 21, v15
	v_add_nc_u32_e32 v19, 20, v15
	s_delay_alu instid0(VALU_DEP_2) | instskip(NEXT) | instid1(VALU_DEP_2)
	v_lshlrev_b64_e64 v[12:13], v12, -1
	v_lshlrev_b64_e64 v[18:19], v19, 1
	s_delay_alu instid0(VALU_DEP_2) | instskip(SKIP_1) | instid1(VALU_DEP_4)
	v_bfi_b32 v12, v12, 0, v4
	v_lshrrev_b64 v[4:5], v15, v[4:5]
	v_bfi_b32 v13, v13, 0, 0
	s_delay_alu instid0(VALU_DEP_1) | instskip(NEXT) | instid1(VALU_DEP_3)
	v_cmp_eq_u64_e64 s13, v[12:13], v[18:19]
	v_mov_b64_e32 v[12:13], v[4:5]
	s_and_saveexec_b32 s77, s13
; %bb.8321:                             ;   in Loop: Header=BB4_8239 Depth=3
	v_bfe_u32 v12, v4, 21, 1
	v_mov_b32_e32 v13, v3
	s_delay_alu instid0(VALU_DEP_1) | instskip(NEXT) | instid1(VALU_DEP_1)
	v_add_nc_u64_e32 v[12:13], v[4:5], v[12:13]
	v_add_nc_u64_e32 v[12:13], -1, v[12:13]
; %bb.8322:                             ;   in Loop: Header=BB4_8239 Depth=3
	s_or_b32 exec_lo, exec_lo, s77
	v_add_nc_u32_e32 v5, 0xffffff81, v14
	v_lshrrev_b32_e32 v13, 23, v4
	s_mov_b32 s13, exec_lo
	s_delay_alu instid0(VALU_DEP_2) | instskip(NEXT) | instid1(VALU_DEP_1)
	v_cndmask_b32_e64 v5, v5, 0xffffff82, vcc_lo
	v_add3_u32 v13, v15, v5, v13
	v_and_b32_e32 v5, 0x1fffff, v12
                                        ; implicit-def: $vgpr12
	s_delay_alu instid0(VALU_DEP_1) | instskip(SKIP_1) | instid1(VALU_DEP_2)
	v_dual_add_nc_u32 v14, 14, v13 :: v_dual_add_nc_u32 v4, v5, v4
	v_mov_b32_e32 v5, v3
	v_cmpx_ne_u32_e32 0, v14
	s_xor_b32 s13, exec_lo, s13
; %bb.8323:                             ;   in Loop: Header=BB4_8239 Depth=3
	s_delay_alu instid0(VALU_DEP_2) | instskip(SKIP_2) | instid1(VALU_DEP_2)
	v_cmp_lt_u64_e32 vcc_lo, 0xffffff, v[4:5]
	v_add_nc_u32_e32 v12, 15, v13
	v_cndmask_b32_e64 v13, 0, 1, vcc_lo
	v_cndmask_b32_e32 v12, v14, v12, vcc_lo
	s_delay_alu instid0(VALU_DEP_2)
	v_lshrrev_b64 v[4:5], v13, v[4:5]
; %bb.8324:                             ;   in Loop: Header=BB4_8239 Depth=3
	s_and_not1_saveexec_b32 s13, s13
; %bb.8325:                             ;   in Loop: Header=BB4_8239 Depth=3
	s_delay_alu instid0(VALU_DEP_1)
	v_bfe_u32 v12, v4, 23, 1
; %bb.8326:                             ;   in Loop: Header=BB4_8239 Depth=3
	s_or_b32 exec_lo, exec_lo, s13
	s_delay_alu instid0(VALU_DEP_2) | instskip(NEXT) | instid1(VALU_DEP_2)
	v_lshrrev_b64 v[4:5], 21, v[4:5]
	v_cmp_gt_i32_e32 vcc_lo, 32, v12
	v_min_i32_e32 v13, 31, v12
	v_cmp_eq_u32_e64 s13, 0, v12
	s_delay_alu instid0(VALU_DEP_4) | instskip(NEXT) | instid1(VALU_DEP_3)
	v_cndmask_b32_e32 v5, 0, v5, vcc_lo
	v_dual_cndmask_b32 v4, 3, v4 :: v_dual_lshlrev_b32 v13, 2, v13
	s_delay_alu instid0(VALU_DEP_1) | instskip(NEXT) | instid1(VALU_DEP_2)
	v_and_b32_e32 v13, 0xfc, v13
	v_cmp_eq_u64_e32 vcc_lo, 0, v[4:5]
	s_delay_alu instid0(VALU_DEP_2)
	v_and_or_b32 v4, v4, 3, v13
	s_and_b32 s13, s13, vcc_lo
	s_delay_alu instid0(VALU_DEP_1) | instid1(SALU_CYCLE_1)
	v_cndmask_b32_e64 v4, v4, 0, s13
	s_delay_alu instid0(VALU_DEP_1)
	v_or_b32_e32 v18, v4, v2
.LBB4_8327:                             ;   in Loop: Header=BB4_8239 Depth=3
	s_or_b32 exec_lo, exec_lo, s76
                                        ; implicit-def: $vgpr2
.LBB4_8328:                             ;   in Loop: Header=BB4_8239 Depth=3
	s_and_not1_saveexec_b32 s13, s75
; %bb.8329:                             ;   in Loop: Header=BB4_8239 Depth=3
	v_or_b32_e32 v18, 0x7b, v2
; %bb.8330:                             ;   in Loop: Header=BB4_8239 Depth=3
	s_or_b32 exec_lo, exec_lo, s13
                                        ; implicit-def: $vgpr12
                                        ; implicit-def: $vgpr4_vgpr5
                                        ; implicit-def: $vgpr2
.LBB4_8331:                             ;   in Loop: Header=BB4_8239 Depth=3
	s_and_not1_saveexec_b32 s13, s74
	s_cbranch_execz .LBB4_8337
; %bb.8332:                             ;   in Loop: Header=BB4_8239 Depth=3
	s_mov_b32 s74, exec_lo
                                        ; implicit-def: $vgpr18
	v_cmpx_ne_u64_e32 0, v[4:5]
	s_xor_b32 s74, exec_lo, s74
; %bb.8333:                             ;   in Loop: Header=BB4_8239 Depth=3
	v_or_b32_e32 v18, 0x7f, v2
                                        ; implicit-def: $vgpr12
; %bb.8334:                             ;   in Loop: Header=BB4_8239 Depth=3
	s_and_not1_saveexec_b32 s74, s74
; %bb.8335:                             ;   in Loop: Header=BB4_8239 Depth=3
	v_cmp_lt_i32_e32 vcc_lo, -1, v12
	v_cndmask_b32_e32 v18, 0xfc, v49, vcc_lo
; %bb.8336:                             ;   in Loop: Header=BB4_8239 Depth=3
	s_or_b32 exec_lo, exec_lo, s74
.LBB4_8337:                             ;   in Loop: Header=BB4_8239 Depth=3
	s_delay_alu instid0(SALU_CYCLE_1)
	s_or_b32 exec_lo, exec_lo, s13
	v_mov_b32_e32 v4, 0
	s_mov_b32 s13, exec_lo
	v_cmpx_lt_u32_e32 0xffffff, v8
	s_cbranch_execz .LBB4_8347
; %bb.8338:                             ;   in Loop: Header=BB4_8239 Depth=3
	v_lshrrev_b32_e32 v2, 24, v8
	v_bfrev_b32_e32 v4, 1
	s_mov_b32 s74, exec_lo
	s_delay_alu instid0(VALU_DEP_2)
	v_cmpx_ne_u32_e32 0x80, v2
	s_cbranch_execz .LBB4_8346
; %bb.8339:                             ;   in Loop: Header=BB4_8239 Depth=3
	v_and_b32_e32 v4, 0x7c000000, v8
	v_bfe_u32 v5, v8, 24, 2
	s_delay_alu instid0(VALU_DEP_2) | instskip(SKIP_1) | instid1(SALU_CYCLE_1)
	v_cmp_ne_u32_e32 vcc_lo, 0x7c000000, v4
                                        ; implicit-def: $vgpr4
	s_and_saveexec_b32 s75, vcc_lo
	s_xor_b32 s75, exec_lo, s75
	s_cbranch_execz .LBB4_8343
; %bb.8340:                             ;   in Loop: Header=BB4_8239 Depth=3
	v_bfe_u32 v4, v8, 26, 5
	s_mov_b32 s76, exec_lo
	s_delay_alu instid0(VALU_DEP_1)
	v_cmpx_eq_u32_e32 0, v4
; %bb.8341:                             ;   in Loop: Header=BB4_8239 Depth=3
	v_clz_i32_u32_e32 v4, v5
	s_delay_alu instid0(VALU_DEP_1) | instskip(NEXT) | instid1(VALU_DEP_1)
	v_min_u32_e32 v4, 32, v4
	v_subrev_nc_u32_e32 v5, 29, v4
	v_sub_nc_u32_e32 v4, 30, v4
	s_delay_alu instid0(VALU_DEP_2) | instskip(NEXT) | instid1(VALU_DEP_1)
	v_lshlrev_b64_e32 v[12:13], v5, v[2:3]
	v_and_b32_e32 v5, 3, v12
; %bb.8342:                             ;   in Loop: Header=BB4_8239 Depth=3
	s_or_b32 exec_lo, exec_lo, s76
	v_and_b32_e32 v2, 0x80000000, v8
	s_delay_alu instid0(VALU_DEP_1) | instskip(NEXT) | instid1(VALU_DEP_1)
	v_lshl_add_u32 v2, v4, 23, v2
	v_lshl_or_b32 v2, v5, 21, v2
                                        ; implicit-def: $vgpr5
	s_delay_alu instid0(VALU_DEP_1)
	v_add_nc_u32_e32 v4, 0x38000000, v2
.LBB4_8343:                             ;   in Loop: Header=BB4_8239 Depth=3
	s_and_not1_saveexec_b32 s75, s75
; %bb.8344:                             ;   in Loop: Header=BB4_8239 Depth=3
	v_cmp_lt_i32_e32 vcc_lo, -1, v8
	v_cndmask_b32_e32 v2, 0xff800000, v48, vcc_lo
	v_cmp_eq_u32_e32 vcc_lo, 0, v5
	s_delay_alu instid0(VALU_DEP_2)
	v_cndmask_b32_e32 v4, 0x7f800001, v2, vcc_lo
; %bb.8345:                             ;   in Loop: Header=BB4_8239 Depth=3
	s_or_b32 exec_lo, exec_lo, s75
.LBB4_8346:                             ;   in Loop: Header=BB4_8239 Depth=3
	s_delay_alu instid0(SALU_CYCLE_1)
	s_or_b32 exec_lo, exec_lo, s74
.LBB4_8347:                             ;   in Loop: Header=BB4_8239 Depth=3
	s_delay_alu instid0(SALU_CYCLE_1) | instskip(NEXT) | instid1(VALU_DEP_1)
	s_or_b32 exec_lo, exec_lo, s13
	v_dual_mul_f32 v12, s73, v4 :: v_dual_mov_b32 v15, v3
	v_mov_b32_e32 v5, v3
                                        ; implicit-def: $vgpr19
	s_mov_b32 s13, exec_lo
	s_delay_alu instid0(VALU_DEP_2) | instskip(SKIP_2) | instid1(VALU_DEP_3)
	v_and_b32_e32 v14, 0x7f800000, v12
	v_and_b32_e32 v4, 0x7fffff, v12
	v_lshrrev_b32_e32 v2, 24, v12
	v_cmpx_ne_u64_e32 0x7f800000, v[14:15]
	s_xor_b32 s74, exec_lo, s13
	s_cbranch_execz .LBB4_8361
; %bb.8348:                             ;   in Loop: Header=BB4_8239 Depth=3
	v_and_b32_e32 v14, 0x7fffffff, v12
	v_mov_b32_e32 v15, v3
	v_and_b32_e32 v2, 0x80, v2
                                        ; implicit-def: $vgpr19
	s_mov_b32 s13, exec_lo
	s_delay_alu instid0(VALU_DEP_2)
	v_cmpx_gt_u64_e32 0x47600001, v[14:15]
	s_xor_b32 s75, exec_lo, s13
	s_cbranch_execz .LBB4_8358
; %bb.8349:                             ;   in Loop: Header=BB4_8239 Depth=3
	v_mov_b32_e32 v19, 0
	s_mov_b32 s76, exec_lo
	v_cmpx_ne_u32_e32 0, v12
	s_cbranch_execz .LBB4_8357
; %bb.8350:                             ;   in Loop: Header=BB4_8239 Depth=3
	v_bfe_u32 v14, v12, 23, 8
	v_or_b32_e32 v19, 0x800000, v4
	s_delay_alu instid0(VALU_DEP_2) | instskip(SKIP_1) | instid1(VALU_DEP_2)
	v_sub_nc_u32_e32 v12, 0x71, v14
	v_cmp_gt_u32_e32 vcc_lo, 0x72, v14
	v_cndmask_b32_e32 v12, 0, v12, vcc_lo
	v_cmp_eq_u32_e32 vcc_lo, 0, v14
	s_delay_alu instid0(VALU_DEP_2) | instskip(NEXT) | instid1(VALU_DEP_1)
	v_cndmask_b32_e64 v15, v12, 0x70, vcc_lo
	v_dual_cndmask_b32 v4, v19, v4, vcc_lo :: v_dual_add_nc_u32 v12, 21, v15
	v_add_nc_u32_e32 v30, 20, v15
	s_delay_alu instid0(VALU_DEP_2) | instskip(NEXT) | instid1(VALU_DEP_2)
	v_lshlrev_b64_e64 v[12:13], v12, -1
	v_lshlrev_b64_e64 v[30:31], v30, 1
	s_delay_alu instid0(VALU_DEP_2) | instskip(SKIP_1) | instid1(VALU_DEP_4)
	v_bfi_b32 v12, v12, 0, v4
	v_lshrrev_b64 v[4:5], v15, v[4:5]
	v_bfi_b32 v13, v13, 0, 0
	s_delay_alu instid0(VALU_DEP_1) | instskip(NEXT) | instid1(VALU_DEP_3)
	v_cmp_eq_u64_e64 s13, v[12:13], v[30:31]
	v_mov_b64_e32 v[12:13], v[4:5]
	s_and_saveexec_b32 s77, s13
; %bb.8351:                             ;   in Loop: Header=BB4_8239 Depth=3
	v_bfe_u32 v12, v4, 21, 1
	v_mov_b32_e32 v13, v3
	s_delay_alu instid0(VALU_DEP_1) | instskip(NEXT) | instid1(VALU_DEP_1)
	v_add_nc_u64_e32 v[12:13], v[4:5], v[12:13]
	v_add_nc_u64_e32 v[12:13], -1, v[12:13]
; %bb.8352:                             ;   in Loop: Header=BB4_8239 Depth=3
	s_or_b32 exec_lo, exec_lo, s77
	v_add_nc_u32_e32 v5, 0xffffff81, v14
	v_lshrrev_b32_e32 v13, 23, v4
	s_mov_b32 s13, exec_lo
	s_delay_alu instid0(VALU_DEP_2) | instskip(NEXT) | instid1(VALU_DEP_1)
	v_cndmask_b32_e64 v5, v5, 0xffffff82, vcc_lo
	v_add3_u32 v13, v15, v5, v13
	v_and_b32_e32 v5, 0x1fffff, v12
                                        ; implicit-def: $vgpr12
	s_delay_alu instid0(VALU_DEP_1) | instskip(SKIP_1) | instid1(VALU_DEP_2)
	v_dual_add_nc_u32 v14, 14, v13 :: v_dual_add_nc_u32 v4, v5, v4
	v_mov_b32_e32 v5, v3
	v_cmpx_ne_u32_e32 0, v14
	s_xor_b32 s13, exec_lo, s13
; %bb.8353:                             ;   in Loop: Header=BB4_8239 Depth=3
	s_delay_alu instid0(VALU_DEP_2) | instskip(SKIP_2) | instid1(VALU_DEP_2)
	v_cmp_lt_u64_e32 vcc_lo, 0xffffff, v[4:5]
	v_add_nc_u32_e32 v12, 15, v13
	v_cndmask_b32_e64 v13, 0, 1, vcc_lo
	v_cndmask_b32_e32 v12, v14, v12, vcc_lo
	s_delay_alu instid0(VALU_DEP_2)
	v_lshrrev_b64 v[4:5], v13, v[4:5]
; %bb.8354:                             ;   in Loop: Header=BB4_8239 Depth=3
	s_and_not1_saveexec_b32 s13, s13
; %bb.8355:                             ;   in Loop: Header=BB4_8239 Depth=3
	s_delay_alu instid0(VALU_DEP_1)
	v_bfe_u32 v12, v4, 23, 1
; %bb.8356:                             ;   in Loop: Header=BB4_8239 Depth=3
	s_or_b32 exec_lo, exec_lo, s13
	s_delay_alu instid0(VALU_DEP_2) | instskip(NEXT) | instid1(VALU_DEP_2)
	v_lshrrev_b64 v[4:5], 21, v[4:5]
	v_cmp_gt_i32_e32 vcc_lo, 32, v12
	v_min_i32_e32 v13, 31, v12
	v_cmp_eq_u32_e64 s13, 0, v12
	s_delay_alu instid0(VALU_DEP_4) | instskip(NEXT) | instid1(VALU_DEP_3)
	v_cndmask_b32_e32 v5, 0, v5, vcc_lo
	v_dual_cndmask_b32 v4, 3, v4 :: v_dual_lshlrev_b32 v13, 2, v13
	s_delay_alu instid0(VALU_DEP_1) | instskip(NEXT) | instid1(VALU_DEP_2)
	v_and_b32_e32 v13, 0xfc, v13
	v_cmp_eq_u64_e32 vcc_lo, 0, v[4:5]
	s_delay_alu instid0(VALU_DEP_2)
	v_and_or_b32 v4, v4, 3, v13
	s_and_b32 s13, s13, vcc_lo
	s_delay_alu instid0(VALU_DEP_1) | instid1(SALU_CYCLE_1)
	v_cndmask_b32_e64 v4, v4, 0, s13
	s_delay_alu instid0(VALU_DEP_1)
	v_or_b32_e32 v19, v4, v2
.LBB4_8357:                             ;   in Loop: Header=BB4_8239 Depth=3
	s_or_b32 exec_lo, exec_lo, s76
                                        ; implicit-def: $vgpr2
.LBB4_8358:                             ;   in Loop: Header=BB4_8239 Depth=3
	s_and_not1_saveexec_b32 s13, s75
; %bb.8359:                             ;   in Loop: Header=BB4_8239 Depth=3
	v_or_b32_e32 v19, 0x7b, v2
; %bb.8360:                             ;   in Loop: Header=BB4_8239 Depth=3
	s_or_b32 exec_lo, exec_lo, s13
                                        ; implicit-def: $vgpr12
                                        ; implicit-def: $vgpr4_vgpr5
                                        ; implicit-def: $vgpr2
.LBB4_8361:                             ;   in Loop: Header=BB4_8239 Depth=3
	s_and_not1_saveexec_b32 s13, s74
	s_cbranch_execz .LBB4_8367
; %bb.8362:                             ;   in Loop: Header=BB4_8239 Depth=3
	s_mov_b32 s74, exec_lo
                                        ; implicit-def: $vgpr19
	v_cmpx_ne_u64_e32 0, v[4:5]
	s_xor_b32 s74, exec_lo, s74
; %bb.8363:                             ;   in Loop: Header=BB4_8239 Depth=3
	v_or_b32_e32 v19, 0x7f, v2
                                        ; implicit-def: $vgpr12
; %bb.8364:                             ;   in Loop: Header=BB4_8239 Depth=3
	s_and_not1_saveexec_b32 s74, s74
; %bb.8365:                             ;   in Loop: Header=BB4_8239 Depth=3
	v_cmp_lt_i32_e32 vcc_lo, -1, v12
	v_cndmask_b32_e32 v19, 0xfc, v49, vcc_lo
; %bb.8366:                             ;   in Loop: Header=BB4_8239 Depth=3
	s_or_b32 exec_lo, exec_lo, s74
.LBB4_8367:                             ;   in Loop: Header=BB4_8239 Depth=3
	s_delay_alu instid0(SALU_CYCLE_1) | instskip(SKIP_4) | instid1(VALU_DEP_3)
	s_or_b32 exec_lo, exec_lo, s13
	v_and_b32_e32 v12, 0xff, v9
	v_dual_mov_b32 v4, v9 :: v_dual_mov_b32 v5, v3
	v_mov_b32_e32 v2, 0
	s_mov_b32 s13, exec_lo
	v_cmpx_ne_u16_e32 0, v12
	s_cbranch_execz .LBB4_8377
; %bb.8368:                             ;   in Loop: Header=BB4_8239 Depth=3
	v_bfrev_b32_e32 v2, 1
	s_mov_b32 s74, exec_lo
	v_cmpx_ne_u16_e32 0x80, v12
	s_cbranch_execz .LBB4_8376
; %bb.8369:                             ;   in Loop: Header=BB4_8239 Depth=3
	v_and_b32_e32 v2, 0x7c, v9
	v_and_b32_e32 v12, 3, v9
	s_delay_alu instid0(VALU_DEP_2) | instskip(SKIP_1) | instid1(SALU_CYCLE_1)
	v_cmp_ne_u32_e32 vcc_lo, 0x7c, v2
                                        ; implicit-def: $vgpr2
	s_and_saveexec_b32 s75, vcc_lo
	s_xor_b32 s75, exec_lo, s75
	s_cbranch_execz .LBB4_8373
; %bb.8370:                             ;   in Loop: Header=BB4_8239 Depth=3
	v_bfe_u32 v2, v9, 2, 5
	s_mov_b32 s76, exec_lo
	s_delay_alu instid0(VALU_DEP_1)
	v_cmpx_eq_u32_e32 0, v2
; %bb.8371:                             ;   in Loop: Header=BB4_8239 Depth=3
	v_clz_i32_u32_e32 v2, v12
	s_delay_alu instid0(VALU_DEP_1) | instskip(NEXT) | instid1(VALU_DEP_1)
	v_min_u32_e32 v2, 32, v2
	v_subrev_nc_u32_e32 v12, 29, v2
	s_delay_alu instid0(VALU_DEP_1) | instskip(NEXT) | instid1(VALU_DEP_1)
	v_lshlrev_b64_e32 v[12:13], v12, v[4:5]
	v_dual_sub_nc_u32 v2, 30, v2 :: v_dual_bitop2_b32 v12, 3, v12 bitop3:0x40
; %bb.8372:                             ;   in Loop: Header=BB4_8239 Depth=3
	s_or_b32 exec_lo, exec_lo, s76
	v_lshlrev_b32_e32 v5, 24, v9
	s_delay_alu instid0(VALU_DEP_1) | instskip(NEXT) | instid1(VALU_DEP_1)
	v_and_b32_e32 v5, 0x80000000, v5
	v_lshl_add_u32 v2, v2, 23, v5
	s_delay_alu instid0(VALU_DEP_1) | instskip(NEXT) | instid1(VALU_DEP_1)
	v_lshl_or_b32 v2, v12, 21, v2
                                        ; implicit-def: $vgpr12
	v_add_nc_u32_e32 v2, 0x38000000, v2
.LBB4_8373:                             ;   in Loop: Header=BB4_8239 Depth=3
	s_and_not1_saveexec_b32 s75, s75
; %bb.8374:                             ;   in Loop: Header=BB4_8239 Depth=3
	v_bfe_i32 v2, v9, 0, 8
	s_delay_alu instid0(VALU_DEP_1) | instskip(SKIP_2) | instid1(VALU_DEP_2)
	v_cmp_lt_i16_e32 vcc_lo, -1, v2
	v_cndmask_b32_e32 v2, 0xff800000, v48, vcc_lo
	v_cmp_eq_u32_e32 vcc_lo, 0, v12
	v_cndmask_b32_e32 v2, 0x7f800001, v2, vcc_lo
; %bb.8375:                             ;   in Loop: Header=BB4_8239 Depth=3
	s_or_b32 exec_lo, exec_lo, s75
.LBB4_8376:                             ;   in Loop: Header=BB4_8239 Depth=3
	s_delay_alu instid0(SALU_CYCLE_1)
	s_or_b32 exec_lo, exec_lo, s74
.LBB4_8377:                             ;   in Loop: Header=BB4_8239 Depth=3
	s_delay_alu instid0(SALU_CYCLE_1) | instskip(NEXT) | instid1(VALU_DEP_1)
	s_or_b32 exec_lo, exec_lo, s13
	v_dual_mul_f32 v5, s73, v2 :: v_dual_mov_b32 v15, v3
	v_mov_b32_e32 v13, v3
                                        ; implicit-def: $vgpr119
	s_mov_b32 s13, exec_lo
	s_delay_alu instid0(VALU_DEP_2) | instskip(SKIP_2) | instid1(VALU_DEP_3)
	v_and_b32_e32 v14, 0x7f800000, v5
	v_and_b32_e32 v12, 0x7fffff, v5
	v_lshrrev_b32_e32 v2, 24, v5
	v_cmpx_ne_u64_e32 0x7f800000, v[14:15]
	s_xor_b32 s74, exec_lo, s13
	s_cbranch_execz .LBB4_8391
; %bb.8378:                             ;   in Loop: Header=BB4_8239 Depth=3
	v_and_b32_e32 v14, 0x7fffffff, v5
	v_mov_b32_e32 v15, v3
	v_and_b32_e32 v2, 0x80, v2
                                        ; implicit-def: $vgpr119
	s_mov_b32 s13, exec_lo
	s_delay_alu instid0(VALU_DEP_2)
	v_cmpx_gt_u64_e32 0x47600001, v[14:15]
	s_xor_b32 s75, exec_lo, s13
	s_cbranch_execz .LBB4_8388
; %bb.8379:                             ;   in Loop: Header=BB4_8239 Depth=3
	v_mov_b32_e32 v119, 0
	s_mov_b32 s76, exec_lo
	v_cmpx_ne_u32_e32 0, v5
	s_cbranch_execz .LBB4_8387
; %bb.8380:                             ;   in Loop: Header=BB4_8239 Depth=3
	v_bfe_u32 v5, v5, 23, 8
	v_or_b32_e32 v31, 0x800000, v12
	s_delay_alu instid0(VALU_DEP_2) | instskip(SKIP_1) | instid1(VALU_DEP_2)
	v_sub_nc_u32_e32 v14, 0x71, v5
	v_cmp_gt_u32_e32 vcc_lo, 0x72, v5
	v_cndmask_b32_e32 v14, 0, v14, vcc_lo
	v_cmp_eq_u32_e32 vcc_lo, 0, v5
	v_cndmask_b32_e32 v12, v31, v12, vcc_lo
	s_delay_alu instid0(VALU_DEP_3) | instskip(NEXT) | instid1(VALU_DEP_1)
	v_cndmask_b32_e64 v30, v14, 0x70, vcc_lo
	v_dual_add_nc_u32 v14, 21, v30 :: v_dual_add_nc_u32 v50, 20, v30
	s_delay_alu instid0(VALU_DEP_1) | instskip(NEXT) | instid1(VALU_DEP_2)
	v_lshlrev_b64_e64 v[14:15], v14, -1
	v_lshlrev_b64_e64 v[50:51], v50, 1
	s_delay_alu instid0(VALU_DEP_2) | instskip(SKIP_1) | instid1(VALU_DEP_4)
	v_bfi_b32 v14, v14, 0, v12
	v_lshrrev_b64 v[12:13], v30, v[12:13]
	v_bfi_b32 v15, v15, 0, 0
	s_delay_alu instid0(VALU_DEP_1) | instskip(NEXT) | instid1(VALU_DEP_3)
	v_cmp_eq_u64_e64 s13, v[14:15], v[50:51]
	v_mov_b64_e32 v[14:15], v[12:13]
	s_and_saveexec_b32 s77, s13
; %bb.8381:                             ;   in Loop: Header=BB4_8239 Depth=3
	v_bfe_u32 v14, v12, 21, 1
	v_mov_b32_e32 v15, v3
	s_delay_alu instid0(VALU_DEP_1) | instskip(NEXT) | instid1(VALU_DEP_1)
	v_add_nc_u64_e32 v[14:15], v[12:13], v[14:15]
	v_add_nc_u64_e32 v[14:15], -1, v[14:15]
; %bb.8382:                             ;   in Loop: Header=BB4_8239 Depth=3
	s_or_b32 exec_lo, exec_lo, s77
	v_add_nc_u32_e32 v5, 0xffffff81, v5
	v_lshrrev_b32_e32 v13, 23, v12
	s_mov_b32 s13, exec_lo
	s_delay_alu instid0(VALU_DEP_2) | instskip(NEXT) | instid1(VALU_DEP_1)
	v_cndmask_b32_e64 v5, v5, 0xffffff82, vcc_lo
	v_add3_u32 v15, v30, v5, v13
	v_and_b32_e32 v5, 0x1fffff, v14
	s_delay_alu instid0(VALU_DEP_2) | instskip(NEXT) | instid1(VALU_DEP_2)
	v_dual_mov_b32 v13, v3 :: v_dual_add_nc_u32 v14, 14, v15
	v_add_nc_u32_e32 v12, v5, v12
                                        ; implicit-def: $vgpr5
	s_delay_alu instid0(VALU_DEP_2)
	v_cmpx_ne_u32_e32 0, v14
	s_xor_b32 s13, exec_lo, s13
; %bb.8383:                             ;   in Loop: Header=BB4_8239 Depth=3
	s_delay_alu instid0(VALU_DEP_2) | instskip(SKIP_1) | instid1(VALU_DEP_1)
	v_cmp_lt_u64_e32 vcc_lo, 0xffffff, v[12:13]
	v_add_nc_u32_e32 v5, 15, v15
	v_cndmask_b32_e32 v5, v14, v5, vcc_lo
	v_cndmask_b32_e64 v14, 0, 1, vcc_lo
	s_delay_alu instid0(VALU_DEP_1)
	v_lshrrev_b64 v[12:13], v14, v[12:13]
; %bb.8384:                             ;   in Loop: Header=BB4_8239 Depth=3
	s_and_not1_saveexec_b32 s13, s13
; %bb.8385:                             ;   in Loop: Header=BB4_8239 Depth=3
	s_delay_alu instid0(VALU_DEP_1)
	v_bfe_u32 v5, v12, 23, 1
; %bb.8386:                             ;   in Loop: Header=BB4_8239 Depth=3
	s_or_b32 exec_lo, exec_lo, s13
	s_delay_alu instid0(VALU_DEP_2) | instskip(NEXT) | instid1(VALU_DEP_2)
	v_lshrrev_b64 v[12:13], 21, v[12:13]
	v_cmp_gt_i32_e32 vcc_lo, 32, v5
	v_min_i32_e32 v14, 31, v5
	v_cmp_eq_u32_e64 s13, 0, v5
	s_delay_alu instid0(VALU_DEP_2) | instskip(SKIP_1) | instid1(VALU_DEP_2)
	v_dual_cndmask_b32 v12, 3, v12, vcc_lo :: v_dual_lshlrev_b32 v14, 2, v14
	v_cndmask_b32_e32 v13, 0, v13, vcc_lo
	v_and_b32_e32 v14, 0xfc, v14
	s_delay_alu instid0(VALU_DEP_2) | instskip(NEXT) | instid1(VALU_DEP_2)
	v_cmp_eq_u64_e32 vcc_lo, 0, v[12:13]
	v_and_or_b32 v5, v12, 3, v14
	s_and_b32 s13, s13, vcc_lo
	s_delay_alu instid0(VALU_DEP_1) | instid1(SALU_CYCLE_1)
	v_cndmask_b32_e64 v5, v5, 0, s13
	s_delay_alu instid0(VALU_DEP_1)
	v_or_b32_e32 v119, v5, v2
.LBB4_8387:                             ;   in Loop: Header=BB4_8239 Depth=3
	s_or_b32 exec_lo, exec_lo, s76
                                        ; implicit-def: $vgpr2
.LBB4_8388:                             ;   in Loop: Header=BB4_8239 Depth=3
	s_and_not1_saveexec_b32 s13, s75
; %bb.8389:                             ;   in Loop: Header=BB4_8239 Depth=3
	v_or_b32_e32 v119, 0x7b, v2
; %bb.8390:                             ;   in Loop: Header=BB4_8239 Depth=3
	s_or_b32 exec_lo, exec_lo, s13
                                        ; implicit-def: $vgpr5
                                        ; implicit-def: $vgpr12_vgpr13
                                        ; implicit-def: $vgpr2
.LBB4_8391:                             ;   in Loop: Header=BB4_8239 Depth=3
	s_and_not1_saveexec_b32 s13, s74
	s_cbranch_execz .LBB4_8397
; %bb.8392:                             ;   in Loop: Header=BB4_8239 Depth=3
	s_mov_b32 s74, exec_lo
                                        ; implicit-def: $vgpr119
	v_cmpx_ne_u64_e32 0, v[12:13]
	s_xor_b32 s74, exec_lo, s74
; %bb.8393:                             ;   in Loop: Header=BB4_8239 Depth=3
	v_or_b32_e32 v119, 0x7f, v2
                                        ; implicit-def: $vgpr5
; %bb.8394:                             ;   in Loop: Header=BB4_8239 Depth=3
	s_and_not1_saveexec_b32 s74, s74
; %bb.8395:                             ;   in Loop: Header=BB4_8239 Depth=3
	v_cmp_lt_i32_e32 vcc_lo, -1, v5
	v_cndmask_b32_e32 v119, 0xfc, v49, vcc_lo
; %bb.8396:                             ;   in Loop: Header=BB4_8239 Depth=3
	s_or_b32 exec_lo, exec_lo, s74
.LBB4_8397:                             ;   in Loop: Header=BB4_8239 Depth=3
	s_delay_alu instid0(SALU_CYCLE_1) | instskip(SKIP_3) | instid1(VALU_DEP_2)
	s_or_b32 exec_lo, exec_lo, s13
	v_lshrrev_b16 v12, 8, v4
	v_mov_b32_e32 v13, 0
	s_mov_b32 s13, exec_lo
	v_cmpx_ne_u16_e32 0, v12
	s_cbranch_execz .LBB4_8407
; %bb.8398:                             ;   in Loop: Header=BB4_8239 Depth=3
	v_bfrev_b32_e32 v13, 1
	s_mov_b32 s74, exec_lo
	v_cmpx_ne_u16_e32 0x80, v12
	s_cbranch_execz .LBB4_8406
; %bb.8399:                             ;   in Loop: Header=BB4_8239 Depth=3
	v_and_b32_e32 v5, 0xffff, v12
	s_delay_alu instid0(VALU_DEP_1) | instskip(SKIP_1) | instid1(VALU_DEP_2)
	v_and_b32_e32 v13, 0x7c, v5
	v_and_b32_e32 v2, 3, v5
	v_cmp_ne_u32_e32 vcc_lo, 0x7c, v13
                                        ; implicit-def: $vgpr13
	s_and_saveexec_b32 s75, vcc_lo
	s_delay_alu instid0(SALU_CYCLE_1)
	s_xor_b32 s75, exec_lo, s75
	s_cbranch_execz .LBB4_8403
; %bb.8400:                             ;   in Loop: Header=BB4_8239 Depth=3
	v_bfe_u32 v5, v5, 2, 5
	s_mov_b32 s76, exec_lo
	s_delay_alu instid0(VALU_DEP_1)
	v_cmpx_eq_u32_e32 0, v5
; %bb.8401:                             ;   in Loop: Header=BB4_8239 Depth=3
	v_clz_i32_u32_e32 v2, v2
	s_delay_alu instid0(VALU_DEP_1) | instskip(SKIP_1) | instid1(VALU_DEP_2)
	v_min_u32_e32 v2, 32, v2
	v_mov_b32_e32 v13, v3
	v_subrev_nc_u32_e32 v5, 29, v2
	s_delay_alu instid0(VALU_DEP_1) | instskip(NEXT) | instid1(VALU_DEP_1)
	v_lshlrev_b64_e32 v[12:13], v5, v[12:13]
	v_dual_sub_nc_u32 v5, 30, v2 :: v_dual_bitop2_b32 v2, 3, v12 bitop3:0x40
; %bb.8402:                             ;   in Loop: Header=BB4_8239 Depth=3
	s_or_b32 exec_lo, exec_lo, s76
	v_lshlrev_b32_e32 v4, 16, v4
	s_delay_alu instid0(VALU_DEP_1) | instskip(NEXT) | instid1(VALU_DEP_1)
	v_and_b32_e32 v4, 0x80000000, v4
	v_lshl_add_u32 v4, v5, 23, v4
	s_delay_alu instid0(VALU_DEP_1) | instskip(NEXT) | instid1(VALU_DEP_1)
	v_lshl_or_b32 v2, v2, 21, v4
                                        ; implicit-def: $vgpr4_vgpr5
	v_add_nc_u32_e32 v13, 0x38000000, v2
                                        ; implicit-def: $vgpr2
.LBB4_8403:                             ;   in Loop: Header=BB4_8239 Depth=3
	s_and_not1_saveexec_b32 s75, s75
; %bb.8404:                             ;   in Loop: Header=BB4_8239 Depth=3
	v_cmp_lt_i16_e32 vcc_lo, -1, v4
	v_cndmask_b32_e32 v4, 0xff800000, v48, vcc_lo
	v_cmp_eq_u32_e32 vcc_lo, 0, v2
	s_delay_alu instid0(VALU_DEP_2)
	v_cndmask_b32_e32 v13, 0x7f800001, v4, vcc_lo
; %bb.8405:                             ;   in Loop: Header=BB4_8239 Depth=3
	s_or_b32 exec_lo, exec_lo, s75
.LBB4_8406:                             ;   in Loop: Header=BB4_8239 Depth=3
	s_delay_alu instid0(SALU_CYCLE_1)
	s_or_b32 exec_lo, exec_lo, s74
.LBB4_8407:                             ;   in Loop: Header=BB4_8239 Depth=3
	s_delay_alu instid0(SALU_CYCLE_1) | instskip(NEXT) | instid1(VALU_DEP_1)
	s_or_b32 exec_lo, exec_lo, s13
	v_dual_mul_f32 v12, s73, v13 :: v_dual_mov_b32 v15, v3
	v_mov_b32_e32 v5, v3
                                        ; implicit-def: $vgpr62
	s_mov_b32 s13, exec_lo
	s_delay_alu instid0(VALU_DEP_2) | instskip(SKIP_2) | instid1(VALU_DEP_3)
	v_and_b32_e32 v14, 0x7f800000, v12
	v_and_b32_e32 v4, 0x7fffff, v12
	v_lshrrev_b32_e32 v2, 24, v12
	v_cmpx_ne_u64_e32 0x7f800000, v[14:15]
	s_xor_b32 s74, exec_lo, s13
	s_cbranch_execz .LBB4_8421
; %bb.8408:                             ;   in Loop: Header=BB4_8239 Depth=3
	v_and_b32_e32 v14, 0x7fffffff, v12
	v_mov_b32_e32 v15, v3
	v_and_b32_e32 v2, 0x80, v2
                                        ; implicit-def: $vgpr62
	s_mov_b32 s13, exec_lo
	s_delay_alu instid0(VALU_DEP_2)
	v_cmpx_gt_u64_e32 0x47600001, v[14:15]
	s_xor_b32 s75, exec_lo, s13
	s_cbranch_execz .LBB4_8418
; %bb.8409:                             ;   in Loop: Header=BB4_8239 Depth=3
	v_mov_b32_e32 v62, 0
	s_mov_b32 s76, exec_lo
	v_cmpx_ne_u32_e32 0, v12
	s_cbranch_execz .LBB4_8417
; %bb.8410:                             ;   in Loop: Header=BB4_8239 Depth=3
	v_bfe_u32 v14, v12, 23, 8
	v_or_b32_e32 v30, 0x800000, v4
	s_delay_alu instid0(VALU_DEP_2) | instskip(SKIP_1) | instid1(VALU_DEP_2)
	v_sub_nc_u32_e32 v12, 0x71, v14
	v_cmp_gt_u32_e32 vcc_lo, 0x72, v14
	v_cndmask_b32_e32 v12, 0, v12, vcc_lo
	v_cmp_eq_u32_e32 vcc_lo, 0, v14
	s_delay_alu instid0(VALU_DEP_2) | instskip(NEXT) | instid1(VALU_DEP_1)
	v_cndmask_b32_e64 v15, v12, 0x70, vcc_lo
	v_dual_cndmask_b32 v4, v30, v4, vcc_lo :: v_dual_add_nc_u32 v12, 21, v15
	v_add_nc_u32_e32 v31, 20, v15
	s_delay_alu instid0(VALU_DEP_2) | instskip(NEXT) | instid1(VALU_DEP_2)
	v_lshlrev_b64_e64 v[12:13], v12, -1
	v_lshlrev_b64_e64 v[30:31], v31, 1
	s_delay_alu instid0(VALU_DEP_2) | instskip(SKIP_1) | instid1(VALU_DEP_4)
	v_bfi_b32 v12, v12, 0, v4
	v_lshrrev_b64 v[4:5], v15, v[4:5]
	v_bfi_b32 v13, v13, 0, 0
	s_delay_alu instid0(VALU_DEP_1) | instskip(NEXT) | instid1(VALU_DEP_3)
	v_cmp_eq_u64_e64 s13, v[12:13], v[30:31]
	v_mov_b64_e32 v[12:13], v[4:5]
	s_and_saveexec_b32 s77, s13
; %bb.8411:                             ;   in Loop: Header=BB4_8239 Depth=3
	v_bfe_u32 v12, v4, 21, 1
	v_mov_b32_e32 v13, v3
	s_delay_alu instid0(VALU_DEP_1) | instskip(NEXT) | instid1(VALU_DEP_1)
	v_add_nc_u64_e32 v[12:13], v[4:5], v[12:13]
	v_add_nc_u64_e32 v[12:13], -1, v[12:13]
; %bb.8412:                             ;   in Loop: Header=BB4_8239 Depth=3
	s_or_b32 exec_lo, exec_lo, s77
	v_add_nc_u32_e32 v5, 0xffffff81, v14
	v_lshrrev_b32_e32 v13, 23, v4
	s_mov_b32 s13, exec_lo
	s_delay_alu instid0(VALU_DEP_2) | instskip(NEXT) | instid1(VALU_DEP_1)
	v_cndmask_b32_e64 v5, v5, 0xffffff82, vcc_lo
	v_add3_u32 v13, v15, v5, v13
	v_and_b32_e32 v5, 0x1fffff, v12
                                        ; implicit-def: $vgpr12
	s_delay_alu instid0(VALU_DEP_1) | instskip(SKIP_1) | instid1(VALU_DEP_2)
	v_dual_add_nc_u32 v14, 14, v13 :: v_dual_add_nc_u32 v4, v5, v4
	v_mov_b32_e32 v5, v3
	v_cmpx_ne_u32_e32 0, v14
	s_xor_b32 s13, exec_lo, s13
; %bb.8413:                             ;   in Loop: Header=BB4_8239 Depth=3
	s_delay_alu instid0(VALU_DEP_2) | instskip(SKIP_2) | instid1(VALU_DEP_2)
	v_cmp_lt_u64_e32 vcc_lo, 0xffffff, v[4:5]
	v_add_nc_u32_e32 v12, 15, v13
	v_cndmask_b32_e64 v13, 0, 1, vcc_lo
	v_cndmask_b32_e32 v12, v14, v12, vcc_lo
	s_delay_alu instid0(VALU_DEP_2)
	v_lshrrev_b64 v[4:5], v13, v[4:5]
; %bb.8414:                             ;   in Loop: Header=BB4_8239 Depth=3
	s_and_not1_saveexec_b32 s13, s13
; %bb.8415:                             ;   in Loop: Header=BB4_8239 Depth=3
	s_delay_alu instid0(VALU_DEP_1)
	v_bfe_u32 v12, v4, 23, 1
; %bb.8416:                             ;   in Loop: Header=BB4_8239 Depth=3
	s_or_b32 exec_lo, exec_lo, s13
	s_delay_alu instid0(VALU_DEP_2) | instskip(NEXT) | instid1(VALU_DEP_2)
	v_lshrrev_b64 v[4:5], 21, v[4:5]
	v_cmp_gt_i32_e32 vcc_lo, 32, v12
	v_min_i32_e32 v13, 31, v12
	v_cmp_eq_u32_e64 s13, 0, v12
	s_delay_alu instid0(VALU_DEP_4) | instskip(NEXT) | instid1(VALU_DEP_3)
	v_cndmask_b32_e32 v5, 0, v5, vcc_lo
	v_dual_cndmask_b32 v4, 3, v4 :: v_dual_lshlrev_b32 v13, 2, v13
	s_delay_alu instid0(VALU_DEP_1) | instskip(NEXT) | instid1(VALU_DEP_2)
	v_and_b32_e32 v13, 0xfc, v13
	v_cmp_eq_u64_e32 vcc_lo, 0, v[4:5]
	s_delay_alu instid0(VALU_DEP_2)
	v_and_or_b32 v4, v4, 3, v13
	s_and_b32 s13, s13, vcc_lo
	s_delay_alu instid0(VALU_DEP_1) | instid1(SALU_CYCLE_1)
	v_cndmask_b32_e64 v4, v4, 0, s13
	s_delay_alu instid0(VALU_DEP_1)
	v_or_b32_e32 v62, v4, v2
.LBB4_8417:                             ;   in Loop: Header=BB4_8239 Depth=3
	s_or_b32 exec_lo, exec_lo, s76
                                        ; implicit-def: $vgpr2
.LBB4_8418:                             ;   in Loop: Header=BB4_8239 Depth=3
	s_and_not1_saveexec_b32 s13, s75
; %bb.8419:                             ;   in Loop: Header=BB4_8239 Depth=3
	v_or_b32_e32 v62, 0x7b, v2
; %bb.8420:                             ;   in Loop: Header=BB4_8239 Depth=3
	s_or_b32 exec_lo, exec_lo, s13
                                        ; implicit-def: $vgpr12
                                        ; implicit-def: $vgpr4_vgpr5
                                        ; implicit-def: $vgpr2
.LBB4_8421:                             ;   in Loop: Header=BB4_8239 Depth=3
	s_and_not1_saveexec_b32 s13, s74
	s_cbranch_execz .LBB4_8427
; %bb.8422:                             ;   in Loop: Header=BB4_8239 Depth=3
	s_mov_b32 s74, exec_lo
                                        ; implicit-def: $vgpr62
	v_cmpx_ne_u64_e32 0, v[4:5]
	s_xor_b32 s74, exec_lo, s74
; %bb.8423:                             ;   in Loop: Header=BB4_8239 Depth=3
	v_or_b32_e32 v62, 0x7f, v2
                                        ; implicit-def: $vgpr12
; %bb.8424:                             ;   in Loop: Header=BB4_8239 Depth=3
	s_and_not1_saveexec_b32 s74, s74
; %bb.8425:                             ;   in Loop: Header=BB4_8239 Depth=3
	v_cmp_lt_i32_e32 vcc_lo, -1, v12
	v_cndmask_b32_e32 v62, 0xfc, v49, vcc_lo
; %bb.8426:                             ;   in Loop: Header=BB4_8239 Depth=3
	s_or_b32 exec_lo, exec_lo, s74
.LBB4_8427:                             ;   in Loop: Header=BB4_8239 Depth=3
	s_delay_alu instid0(SALU_CYCLE_1) | instskip(SKIP_2) | instid1(VALU_DEP_1)
	s_or_b32 exec_lo, exec_lo, s13
	v_dual_lshrrev_b32 v2, 16, v9 :: v_dual_mov_b32 v4, 0
	s_mov_b32 s13, exec_lo
	v_and_b32_e32 v5, 0xff, v2
	s_delay_alu instid0(VALU_DEP_1)
	v_cmpx_ne_u16_e32 0, v5
	s_cbranch_execz .LBB4_8437
; %bb.8428:                             ;   in Loop: Header=BB4_8239 Depth=3
	v_bfrev_b32_e32 v4, 1
	s_mov_b32 s74, exec_lo
	v_cmpx_ne_u16_e32 0x80, v5
	s_cbranch_execz .LBB4_8436
; %bb.8429:                             ;   in Loop: Header=BB4_8239 Depth=3
	v_and_b32_e32 v4, 0x7c0000, v9
	v_bfe_u32 v5, v9, 16, 2
	s_delay_alu instid0(VALU_DEP_2) | instskip(SKIP_1) | instid1(SALU_CYCLE_1)
	v_cmp_ne_u32_e32 vcc_lo, 0x7c0000, v4
                                        ; implicit-def: $vgpr4
	s_and_saveexec_b32 s75, vcc_lo
	s_xor_b32 s75, exec_lo, s75
	s_cbranch_execz .LBB4_8433
; %bb.8430:                             ;   in Loop: Header=BB4_8239 Depth=3
	v_bfe_u32 v4, v9, 18, 5
	s_mov_b32 s76, exec_lo
	s_delay_alu instid0(VALU_DEP_1)
	v_cmpx_eq_u32_e32 0, v4
; %bb.8431:                             ;   in Loop: Header=BB4_8239 Depth=3
	v_clz_i32_u32_e32 v4, v5
	s_delay_alu instid0(VALU_DEP_1) | instskip(NEXT) | instid1(VALU_DEP_1)
	v_min_u32_e32 v4, 32, v4
	v_subrev_nc_u32_e32 v5, 29, v4
	v_sub_nc_u32_e32 v4, 30, v4
	s_delay_alu instid0(VALU_DEP_2) | instskip(NEXT) | instid1(VALU_DEP_1)
	v_lshlrev_b64_e32 v[12:13], v5, v[2:3]
	v_and_b32_e32 v5, 3, v12
; %bb.8432:                             ;   in Loop: Header=BB4_8239 Depth=3
	s_or_b32 exec_lo, exec_lo, s76
	v_lshlrev_b32_e32 v2, 24, v2
	s_delay_alu instid0(VALU_DEP_1) | instskip(NEXT) | instid1(VALU_DEP_1)
	v_and_b32_e32 v2, 0x80000000, v2
	v_lshl_add_u32 v2, v4, 23, v2
	s_delay_alu instid0(VALU_DEP_1) | instskip(NEXT) | instid1(VALU_DEP_1)
	v_lshl_or_b32 v2, v5, 21, v2
                                        ; implicit-def: $vgpr5
	v_add_nc_u32_e32 v4, 0x38000000, v2
                                        ; implicit-def: $vgpr2
.LBB4_8433:                             ;   in Loop: Header=BB4_8239 Depth=3
	s_and_not1_saveexec_b32 s75, s75
; %bb.8434:                             ;   in Loop: Header=BB4_8239 Depth=3
	v_bfe_i32 v2, v2, 0, 8
	s_delay_alu instid0(VALU_DEP_1) | instskip(SKIP_2) | instid1(VALU_DEP_2)
	v_cmp_lt_i16_e32 vcc_lo, -1, v2
	v_cndmask_b32_e32 v2, 0xff800000, v48, vcc_lo
	v_cmp_eq_u32_e32 vcc_lo, 0, v5
	v_cndmask_b32_e32 v4, 0x7f800001, v2, vcc_lo
; %bb.8435:                             ;   in Loop: Header=BB4_8239 Depth=3
	s_or_b32 exec_lo, exec_lo, s75
.LBB4_8436:                             ;   in Loop: Header=BB4_8239 Depth=3
	s_delay_alu instid0(SALU_CYCLE_1)
	s_or_b32 exec_lo, exec_lo, s74
.LBB4_8437:                             ;   in Loop: Header=BB4_8239 Depth=3
	s_delay_alu instid0(SALU_CYCLE_1) | instskip(NEXT) | instid1(VALU_DEP_1)
	s_or_b32 exec_lo, exec_lo, s13
	v_dual_mul_f32 v12, s73, v4 :: v_dual_mov_b32 v15, v3
	v_mov_b32_e32 v5, v3
                                        ; implicit-def: $vgpr79
	s_mov_b32 s13, exec_lo
	s_delay_alu instid0(VALU_DEP_2) | instskip(SKIP_2) | instid1(VALU_DEP_3)
	v_and_b32_e32 v14, 0x7f800000, v12
	v_and_b32_e32 v4, 0x7fffff, v12
	v_lshrrev_b32_e32 v2, 24, v12
	v_cmpx_ne_u64_e32 0x7f800000, v[14:15]
	s_xor_b32 s74, exec_lo, s13
	s_cbranch_execz .LBB4_8451
; %bb.8438:                             ;   in Loop: Header=BB4_8239 Depth=3
	v_and_b32_e32 v14, 0x7fffffff, v12
	v_mov_b32_e32 v15, v3
	v_and_b32_e32 v2, 0x80, v2
                                        ; implicit-def: $vgpr79
	s_mov_b32 s13, exec_lo
	s_delay_alu instid0(VALU_DEP_2)
	v_cmpx_gt_u64_e32 0x47600001, v[14:15]
	s_xor_b32 s75, exec_lo, s13
	s_cbranch_execz .LBB4_8448
; %bb.8439:                             ;   in Loop: Header=BB4_8239 Depth=3
	v_mov_b32_e32 v79, 0
	s_mov_b32 s76, exec_lo
	v_cmpx_ne_u32_e32 0, v12
	s_cbranch_execz .LBB4_8447
; %bb.8440:                             ;   in Loop: Header=BB4_8239 Depth=3
	v_bfe_u32 v14, v12, 23, 8
	v_or_b32_e32 v30, 0x800000, v4
	s_delay_alu instid0(VALU_DEP_2) | instskip(SKIP_1) | instid1(VALU_DEP_2)
	v_sub_nc_u32_e32 v12, 0x71, v14
	v_cmp_gt_u32_e32 vcc_lo, 0x72, v14
	v_cndmask_b32_e32 v12, 0, v12, vcc_lo
	v_cmp_eq_u32_e32 vcc_lo, 0, v14
	s_delay_alu instid0(VALU_DEP_2) | instskip(NEXT) | instid1(VALU_DEP_1)
	v_cndmask_b32_e64 v15, v12, 0x70, vcc_lo
	v_dual_cndmask_b32 v4, v30, v4, vcc_lo :: v_dual_add_nc_u32 v12, 21, v15
	v_add_nc_u32_e32 v31, 20, v15
	s_delay_alu instid0(VALU_DEP_2) | instskip(NEXT) | instid1(VALU_DEP_2)
	v_lshlrev_b64_e64 v[12:13], v12, -1
	v_lshlrev_b64_e64 v[30:31], v31, 1
	s_delay_alu instid0(VALU_DEP_2) | instskip(SKIP_1) | instid1(VALU_DEP_4)
	v_bfi_b32 v12, v12, 0, v4
	v_lshrrev_b64 v[4:5], v15, v[4:5]
	v_bfi_b32 v13, v13, 0, 0
	s_delay_alu instid0(VALU_DEP_1) | instskip(NEXT) | instid1(VALU_DEP_3)
	v_cmp_eq_u64_e64 s13, v[12:13], v[30:31]
	v_mov_b64_e32 v[12:13], v[4:5]
	s_and_saveexec_b32 s77, s13
; %bb.8441:                             ;   in Loop: Header=BB4_8239 Depth=3
	v_bfe_u32 v12, v4, 21, 1
	v_mov_b32_e32 v13, v3
	s_delay_alu instid0(VALU_DEP_1) | instskip(NEXT) | instid1(VALU_DEP_1)
	v_add_nc_u64_e32 v[12:13], v[4:5], v[12:13]
	v_add_nc_u64_e32 v[12:13], -1, v[12:13]
; %bb.8442:                             ;   in Loop: Header=BB4_8239 Depth=3
	s_or_b32 exec_lo, exec_lo, s77
	v_add_nc_u32_e32 v5, 0xffffff81, v14
	v_lshrrev_b32_e32 v13, 23, v4
	s_mov_b32 s13, exec_lo
	s_delay_alu instid0(VALU_DEP_2) | instskip(NEXT) | instid1(VALU_DEP_1)
	v_cndmask_b32_e64 v5, v5, 0xffffff82, vcc_lo
	v_add3_u32 v13, v15, v5, v13
	v_and_b32_e32 v5, 0x1fffff, v12
                                        ; implicit-def: $vgpr12
	s_delay_alu instid0(VALU_DEP_1) | instskip(SKIP_1) | instid1(VALU_DEP_2)
	v_dual_add_nc_u32 v14, 14, v13 :: v_dual_add_nc_u32 v4, v5, v4
	v_mov_b32_e32 v5, v3
	v_cmpx_ne_u32_e32 0, v14
	s_xor_b32 s13, exec_lo, s13
; %bb.8443:                             ;   in Loop: Header=BB4_8239 Depth=3
	s_delay_alu instid0(VALU_DEP_2) | instskip(SKIP_2) | instid1(VALU_DEP_2)
	v_cmp_lt_u64_e32 vcc_lo, 0xffffff, v[4:5]
	v_add_nc_u32_e32 v12, 15, v13
	v_cndmask_b32_e64 v13, 0, 1, vcc_lo
	v_cndmask_b32_e32 v12, v14, v12, vcc_lo
	s_delay_alu instid0(VALU_DEP_2)
	v_lshrrev_b64 v[4:5], v13, v[4:5]
; %bb.8444:                             ;   in Loop: Header=BB4_8239 Depth=3
	s_and_not1_saveexec_b32 s13, s13
; %bb.8445:                             ;   in Loop: Header=BB4_8239 Depth=3
	s_delay_alu instid0(VALU_DEP_1)
	v_bfe_u32 v12, v4, 23, 1
; %bb.8446:                             ;   in Loop: Header=BB4_8239 Depth=3
	s_or_b32 exec_lo, exec_lo, s13
	s_delay_alu instid0(VALU_DEP_2) | instskip(NEXT) | instid1(VALU_DEP_2)
	v_lshrrev_b64 v[4:5], 21, v[4:5]
	v_cmp_gt_i32_e32 vcc_lo, 32, v12
	v_min_i32_e32 v13, 31, v12
	v_cmp_eq_u32_e64 s13, 0, v12
	s_delay_alu instid0(VALU_DEP_4) | instskip(NEXT) | instid1(VALU_DEP_3)
	v_cndmask_b32_e32 v5, 0, v5, vcc_lo
	v_dual_cndmask_b32 v4, 3, v4 :: v_dual_lshlrev_b32 v13, 2, v13
	s_delay_alu instid0(VALU_DEP_1) | instskip(NEXT) | instid1(VALU_DEP_2)
	v_and_b32_e32 v13, 0xfc, v13
	v_cmp_eq_u64_e32 vcc_lo, 0, v[4:5]
	s_delay_alu instid0(VALU_DEP_2)
	v_and_or_b32 v4, v4, 3, v13
	s_and_b32 s13, s13, vcc_lo
	s_delay_alu instid0(VALU_DEP_1) | instid1(SALU_CYCLE_1)
	v_cndmask_b32_e64 v4, v4, 0, s13
	s_delay_alu instid0(VALU_DEP_1)
	v_or_b32_e32 v79, v4, v2
.LBB4_8447:                             ;   in Loop: Header=BB4_8239 Depth=3
	s_or_b32 exec_lo, exec_lo, s76
                                        ; implicit-def: $vgpr2
.LBB4_8448:                             ;   in Loop: Header=BB4_8239 Depth=3
	s_and_not1_saveexec_b32 s13, s75
; %bb.8449:                             ;   in Loop: Header=BB4_8239 Depth=3
	v_or_b32_e32 v79, 0x7b, v2
; %bb.8450:                             ;   in Loop: Header=BB4_8239 Depth=3
	s_or_b32 exec_lo, exec_lo, s13
                                        ; implicit-def: $vgpr12
                                        ; implicit-def: $vgpr4_vgpr5
                                        ; implicit-def: $vgpr2
.LBB4_8451:                             ;   in Loop: Header=BB4_8239 Depth=3
	s_and_not1_saveexec_b32 s13, s74
	s_cbranch_execz .LBB4_8457
; %bb.8452:                             ;   in Loop: Header=BB4_8239 Depth=3
	s_mov_b32 s74, exec_lo
                                        ; implicit-def: $vgpr79
	v_cmpx_ne_u64_e32 0, v[4:5]
	s_xor_b32 s74, exec_lo, s74
; %bb.8453:                             ;   in Loop: Header=BB4_8239 Depth=3
	v_or_b32_e32 v79, 0x7f, v2
                                        ; implicit-def: $vgpr12
; %bb.8454:                             ;   in Loop: Header=BB4_8239 Depth=3
	s_and_not1_saveexec_b32 s74, s74
; %bb.8455:                             ;   in Loop: Header=BB4_8239 Depth=3
	v_cmp_lt_i32_e32 vcc_lo, -1, v12
	v_cndmask_b32_e32 v79, 0xfc, v49, vcc_lo
; %bb.8456:                             ;   in Loop: Header=BB4_8239 Depth=3
	s_or_b32 exec_lo, exec_lo, s74
.LBB4_8457:                             ;   in Loop: Header=BB4_8239 Depth=3
	s_delay_alu instid0(SALU_CYCLE_1)
	s_or_b32 exec_lo, exec_lo, s13
	v_mov_b32_e32 v4, 0
	s_mov_b32 s13, exec_lo
	v_cmpx_lt_u64_e64 s[22:23], v[8:9]
	s_cbranch_execz .LBB4_8467
; %bb.8458:                             ;   in Loop: Header=BB4_8239 Depth=3
	v_lshrrev_b32_e32 v2, 24, v9
	v_bfrev_b32_e32 v4, 1
	s_mov_b32 s74, exec_lo
	s_delay_alu instid0(VALU_DEP_2)
	v_cmpx_ne_u32_e32 0x80, v2
	s_cbranch_execz .LBB4_8466
; %bb.8459:                             ;   in Loop: Header=BB4_8239 Depth=3
	v_and_b32_e32 v4, 0x7c000000, v9
	v_bfe_u32 v5, v9, 24, 2
	s_delay_alu instid0(VALU_DEP_2) | instskip(SKIP_1) | instid1(SALU_CYCLE_1)
	v_cmp_ne_u32_e32 vcc_lo, 0x7c000000, v4
                                        ; implicit-def: $vgpr4
	s_and_saveexec_b32 s75, vcc_lo
	s_xor_b32 s75, exec_lo, s75
	s_cbranch_execz .LBB4_8463
; %bb.8460:                             ;   in Loop: Header=BB4_8239 Depth=3
	v_bfe_u32 v4, v9, 26, 5
	s_mov_b32 s76, exec_lo
	s_delay_alu instid0(VALU_DEP_1)
	v_cmpx_eq_u32_e32 0, v4
; %bb.8461:                             ;   in Loop: Header=BB4_8239 Depth=3
	v_clz_i32_u32_e32 v4, v5
	s_delay_alu instid0(VALU_DEP_1) | instskip(NEXT) | instid1(VALU_DEP_1)
	v_min_u32_e32 v4, 32, v4
	v_subrev_nc_u32_e32 v5, 29, v4
	v_sub_nc_u32_e32 v4, 30, v4
	s_delay_alu instid0(VALU_DEP_2) | instskip(NEXT) | instid1(VALU_DEP_1)
	v_lshlrev_b64_e32 v[12:13], v5, v[2:3]
	v_and_b32_e32 v5, 3, v12
; %bb.8462:                             ;   in Loop: Header=BB4_8239 Depth=3
	s_or_b32 exec_lo, exec_lo, s76
	v_and_b32_e32 v2, 0x80000000, v9
	s_delay_alu instid0(VALU_DEP_1) | instskip(NEXT) | instid1(VALU_DEP_1)
	v_lshl_add_u32 v2, v4, 23, v2
	v_lshl_or_b32 v2, v5, 21, v2
                                        ; implicit-def: $vgpr5
	s_delay_alu instid0(VALU_DEP_1)
	v_add_nc_u32_e32 v4, 0x38000000, v2
.LBB4_8463:                             ;   in Loop: Header=BB4_8239 Depth=3
	s_and_not1_saveexec_b32 s75, s75
; %bb.8464:                             ;   in Loop: Header=BB4_8239 Depth=3
	v_cmp_lt_i64_e32 vcc_lo, -1, v[8:9]
	v_cndmask_b32_e32 v2, 0xff800000, v48, vcc_lo
	v_cmp_eq_u32_e32 vcc_lo, 0, v5
	s_delay_alu instid0(VALU_DEP_2)
	v_cndmask_b32_e32 v4, 0x7f800001, v2, vcc_lo
; %bb.8465:                             ;   in Loop: Header=BB4_8239 Depth=3
	s_or_b32 exec_lo, exec_lo, s75
.LBB4_8466:                             ;   in Loop: Header=BB4_8239 Depth=3
	s_delay_alu instid0(SALU_CYCLE_1)
	s_or_b32 exec_lo, exec_lo, s74
.LBB4_8467:                             ;   in Loop: Header=BB4_8239 Depth=3
	s_delay_alu instid0(SALU_CYCLE_1) | instskip(NEXT) | instid1(VALU_DEP_1)
	s_or_b32 exec_lo, exec_lo, s13
	v_dual_mul_f32 v8, s73, v4 :: v_dual_mov_b32 v13, v3
	v_mov_b32_e32 v5, v3
                                        ; implicit-def: $vgpr88
	s_mov_b32 s13, exec_lo
	s_delay_alu instid0(VALU_DEP_2) | instskip(SKIP_2) | instid1(VALU_DEP_3)
	v_and_b32_e32 v12, 0x7f800000, v8
	v_and_b32_e32 v4, 0x7fffff, v8
	v_lshrrev_b32_e32 v2, 24, v8
	v_cmpx_ne_u64_e32 0x7f800000, v[12:13]
	s_xor_b32 s74, exec_lo, s13
	s_cbranch_execz .LBB4_8481
; %bb.8468:                             ;   in Loop: Header=BB4_8239 Depth=3
	v_and_b32_e32 v12, 0x7fffffff, v8
	v_mov_b32_e32 v13, v3
	v_and_b32_e32 v2, 0x80, v2
                                        ; implicit-def: $vgpr88
	s_mov_b32 s13, exec_lo
	s_delay_alu instid0(VALU_DEP_2)
	v_cmpx_gt_u64_e32 0x47600001, v[12:13]
	s_xor_b32 s75, exec_lo, s13
	s_cbranch_execz .LBB4_8478
; %bb.8469:                             ;   in Loop: Header=BB4_8239 Depth=3
	v_mov_b32_e32 v88, 0
	s_mov_b32 s76, exec_lo
	v_cmpx_ne_u32_e32 0, v8
	s_cbranch_execz .LBB4_8477
; %bb.8470:                             ;   in Loop: Header=BB4_8239 Depth=3
	v_bfe_u32 v12, v8, 23, 8
	v_or_b32_e32 v14, 0x800000, v4
	s_delay_alu instid0(VALU_DEP_2) | instskip(SKIP_1) | instid1(VALU_DEP_2)
	v_sub_nc_u32_e32 v8, 0x71, v12
	v_cmp_gt_u32_e32 vcc_lo, 0x72, v12
	v_cndmask_b32_e32 v8, 0, v8, vcc_lo
	v_cmp_eq_u32_e32 vcc_lo, 0, v12
	s_delay_alu instid0(VALU_DEP_2) | instskip(NEXT) | instid1(VALU_DEP_1)
	v_cndmask_b32_e64 v13, v8, 0x70, vcc_lo
	v_dual_cndmask_b32 v4, v14, v4, vcc_lo :: v_dual_add_nc_u32 v8, 21, v13
	v_add_nc_u32_e32 v15, 20, v13
	s_delay_alu instid0(VALU_DEP_2) | instskip(NEXT) | instid1(VALU_DEP_2)
	v_lshlrev_b64_e64 v[8:9], v8, -1
	v_lshlrev_b64_e64 v[14:15], v15, 1
	s_delay_alu instid0(VALU_DEP_2) | instskip(SKIP_1) | instid1(VALU_DEP_4)
	v_bfi_b32 v8, v8, 0, v4
	v_lshrrev_b64 v[4:5], v13, v[4:5]
	v_bfi_b32 v9, v9, 0, 0
	s_delay_alu instid0(VALU_DEP_1) | instskip(NEXT) | instid1(VALU_DEP_3)
	v_cmp_eq_u64_e64 s13, v[8:9], v[14:15]
	v_mov_b64_e32 v[8:9], v[4:5]
	s_and_saveexec_b32 s77, s13
; %bb.8471:                             ;   in Loop: Header=BB4_8239 Depth=3
	v_bfe_u32 v8, v4, 21, 1
	v_mov_b32_e32 v9, v3
	s_delay_alu instid0(VALU_DEP_1) | instskip(NEXT) | instid1(VALU_DEP_1)
	v_add_nc_u64_e32 v[8:9], v[4:5], v[8:9]
	v_add_nc_u64_e32 v[8:9], -1, v[8:9]
; %bb.8472:                             ;   in Loop: Header=BB4_8239 Depth=3
	s_or_b32 exec_lo, exec_lo, s77
	v_add_nc_u32_e32 v5, 0xffffff81, v12
	v_lshrrev_b32_e32 v9, 23, v4
	s_mov_b32 s13, exec_lo
	s_delay_alu instid0(VALU_DEP_2) | instskip(NEXT) | instid1(VALU_DEP_1)
	v_cndmask_b32_e64 v5, v5, 0xffffff82, vcc_lo
	v_add3_u32 v9, v13, v5, v9
	v_and_b32_e32 v5, 0x1fffff, v8
                                        ; implicit-def: $vgpr8
	s_delay_alu instid0(VALU_DEP_1) | instskip(SKIP_1) | instid1(VALU_DEP_2)
	v_dual_add_nc_u32 v12, 14, v9 :: v_dual_add_nc_u32 v4, v5, v4
	v_mov_b32_e32 v5, v3
	v_cmpx_ne_u32_e32 0, v12
	s_xor_b32 s13, exec_lo, s13
; %bb.8473:                             ;   in Loop: Header=BB4_8239 Depth=3
	s_delay_alu instid0(VALU_DEP_2) | instskip(SKIP_2) | instid1(VALU_DEP_2)
	v_cmp_lt_u64_e32 vcc_lo, 0xffffff, v[4:5]
	v_add_nc_u32_e32 v8, 15, v9
	v_cndmask_b32_e64 v9, 0, 1, vcc_lo
	v_cndmask_b32_e32 v8, v12, v8, vcc_lo
	s_delay_alu instid0(VALU_DEP_2)
	v_lshrrev_b64 v[4:5], v9, v[4:5]
; %bb.8474:                             ;   in Loop: Header=BB4_8239 Depth=3
	s_and_not1_saveexec_b32 s13, s13
; %bb.8475:                             ;   in Loop: Header=BB4_8239 Depth=3
	s_delay_alu instid0(VALU_DEP_1)
	v_bfe_u32 v8, v4, 23, 1
; %bb.8476:                             ;   in Loop: Header=BB4_8239 Depth=3
	s_or_b32 exec_lo, exec_lo, s13
	s_delay_alu instid0(VALU_DEP_2) | instskip(NEXT) | instid1(VALU_DEP_2)
	v_lshrrev_b64 v[4:5], 21, v[4:5]
	v_cmp_gt_i32_e32 vcc_lo, 32, v8
	v_min_i32_e32 v9, 31, v8
	v_cmp_eq_u32_e64 s13, 0, v8
	s_delay_alu instid0(VALU_DEP_4) | instskip(NEXT) | instid1(VALU_DEP_3)
	v_cndmask_b32_e32 v5, 0, v5, vcc_lo
	v_dual_cndmask_b32 v4, 3, v4 :: v_dual_lshlrev_b32 v9, 2, v9
	s_delay_alu instid0(VALU_DEP_1) | instskip(NEXT) | instid1(VALU_DEP_2)
	v_and_b32_e32 v9, 0xfc, v9
	v_cmp_eq_u64_e32 vcc_lo, 0, v[4:5]
	s_delay_alu instid0(VALU_DEP_2)
	v_and_or_b32 v4, v4, 3, v9
	s_and_b32 s13, s13, vcc_lo
	s_delay_alu instid0(VALU_DEP_1) | instid1(SALU_CYCLE_1)
	v_cndmask_b32_e64 v4, v4, 0, s13
	s_delay_alu instid0(VALU_DEP_1)
	v_or_b32_e32 v88, v4, v2
.LBB4_8477:                             ;   in Loop: Header=BB4_8239 Depth=3
	s_or_b32 exec_lo, exec_lo, s76
                                        ; implicit-def: $vgpr2
.LBB4_8478:                             ;   in Loop: Header=BB4_8239 Depth=3
	s_and_not1_saveexec_b32 s13, s75
; %bb.8479:                             ;   in Loop: Header=BB4_8239 Depth=3
	v_or_b32_e32 v88, 0x7b, v2
; %bb.8480:                             ;   in Loop: Header=BB4_8239 Depth=3
	s_or_b32 exec_lo, exec_lo, s13
                                        ; implicit-def: $vgpr8
                                        ; implicit-def: $vgpr4_vgpr5
                                        ; implicit-def: $vgpr2
.LBB4_8481:                             ;   in Loop: Header=BB4_8239 Depth=3
	s_and_not1_saveexec_b32 s13, s74
	s_cbranch_execz .LBB4_8487
; %bb.8482:                             ;   in Loop: Header=BB4_8239 Depth=3
	s_mov_b32 s74, exec_lo
                                        ; implicit-def: $vgpr88
	v_cmpx_ne_u64_e32 0, v[4:5]
	s_xor_b32 s74, exec_lo, s74
; %bb.8483:                             ;   in Loop: Header=BB4_8239 Depth=3
	v_or_b32_e32 v88, 0x7f, v2
                                        ; implicit-def: $vgpr8
; %bb.8484:                             ;   in Loop: Header=BB4_8239 Depth=3
	s_and_not1_saveexec_b32 s74, s74
; %bb.8485:                             ;   in Loop: Header=BB4_8239 Depth=3
	v_cmp_lt_i32_e32 vcc_lo, -1, v8
	v_cndmask_b32_e32 v88, 0xfc, v49, vcc_lo
; %bb.8486:                             ;   in Loop: Header=BB4_8239 Depth=3
	s_or_b32 exec_lo, exec_lo, s74
.LBB4_8487:                             ;   in Loop: Header=BB4_8239 Depth=3
	s_delay_alu instid0(SALU_CYCLE_1) | instskip(SKIP_1) | instid1(VALU_DEP_1)
	s_or_b32 exec_lo, exec_lo, s13
	v_and_b32_e32 v2, 0xff, v10
	v_cmp_ne_u16_e32 vcc_lo, 0, v2
	v_mov_b32_e32 v2, 0
	s_and_saveexec_b32 s13, vcc_lo
	s_cbranch_execz .LBB4_8497
; %bb.8488:                             ;   in Loop: Header=BB4_8239 Depth=3
	v_bfe_i32 v5, v10, 0, 8
	v_bfrev_b32_e32 v2, 1
	s_mov_b32 s74, exec_lo
	s_delay_alu instid0(VALU_DEP_2)
	v_cmpx_ne_u16_e32 0xff80, v5
	s_cbranch_execz .LBB4_8496
; %bb.8489:                             ;   in Loop: Header=BB4_8239 Depth=3
	v_and_b32_e32 v2, 0x7c, v10
	v_and_b32_e32 v4, 3, v10
	s_delay_alu instid0(VALU_DEP_2) | instskip(SKIP_1) | instid1(SALU_CYCLE_1)
	v_cmp_ne_u32_e32 vcc_lo, 0x7c, v2
                                        ; implicit-def: $vgpr2
	s_and_saveexec_b32 s75, vcc_lo
	s_xor_b32 s75, exec_lo, s75
	s_cbranch_execz .LBB4_8493
; %bb.8490:                             ;   in Loop: Header=BB4_8239 Depth=3
	v_bfe_u32 v2, v10, 2, 5
	s_mov_b32 s76, exec_lo
	s_delay_alu instid0(VALU_DEP_1)
	v_cmpx_eq_u32_e32 0, v2
; %bb.8491:                             ;   in Loop: Header=BB4_8239 Depth=3
	v_clz_i32_u32_e32 v2, v4
	s_delay_alu instid0(VALU_DEP_1) | instskip(NEXT) | instid1(VALU_DEP_1)
	v_min_u32_e32 v2, 32, v2
	v_subrev_nc_u32_e32 v4, 29, v2
	s_delay_alu instid0(VALU_DEP_1) | instskip(NEXT) | instid1(VALU_DEP_1)
	v_lshlrev_b64_e32 v[4:5], v4, v[10:11]
	v_dual_sub_nc_u32 v2, 30, v2 :: v_dual_bitop2_b32 v4, 3, v4 bitop3:0x40
; %bb.8492:                             ;   in Loop: Header=BB4_8239 Depth=3
	s_or_b32 exec_lo, exec_lo, s76
	v_lshlrev_b32_e32 v5, 24, v10
	s_delay_alu instid0(VALU_DEP_1) | instskip(NEXT) | instid1(VALU_DEP_1)
	v_and_b32_e32 v5, 0x80000000, v5
	v_lshl_add_u32 v2, v2, 23, v5
                                        ; implicit-def: $vgpr5
	s_delay_alu instid0(VALU_DEP_1) | instskip(NEXT) | instid1(VALU_DEP_1)
	v_lshl_or_b32 v2, v4, 21, v2
                                        ; implicit-def: $vgpr4
	v_add_nc_u32_e32 v2, 0x38000000, v2
.LBB4_8493:                             ;   in Loop: Header=BB4_8239 Depth=3
	s_and_not1_saveexec_b32 s75, s75
; %bb.8494:                             ;   in Loop: Header=BB4_8239 Depth=3
	v_cmp_lt_i16_e32 vcc_lo, -1, v5
	v_cndmask_b32_e32 v2, 0xff800000, v48, vcc_lo
	v_cmp_eq_u32_e32 vcc_lo, 0, v4
	s_delay_alu instid0(VALU_DEP_2)
	v_cndmask_b32_e32 v2, 0x7f800001, v2, vcc_lo
; %bb.8495:                             ;   in Loop: Header=BB4_8239 Depth=3
	s_or_b32 exec_lo, exec_lo, s75
.LBB4_8496:                             ;   in Loop: Header=BB4_8239 Depth=3
	s_delay_alu instid0(SALU_CYCLE_1)
	s_or_b32 exec_lo, exec_lo, s74
.LBB4_8497:                             ;   in Loop: Header=BB4_8239 Depth=3
	s_delay_alu instid0(SALU_CYCLE_1) | instskip(NEXT) | instid1(VALU_DEP_1)
	s_or_b32 exec_lo, exec_lo, s13
	v_dual_mul_f32 v8, s73, v2 :: v_dual_mov_b32 v13, v3
	v_mov_b32_e32 v5, v3
                                        ; implicit-def: $vgpr73
	s_mov_b32 s13, exec_lo
	s_delay_alu instid0(VALU_DEP_2) | instskip(SKIP_2) | instid1(VALU_DEP_3)
	v_and_b32_e32 v12, 0x7f800000, v8
	v_and_b32_e32 v4, 0x7fffff, v8
	v_lshrrev_b32_e32 v2, 24, v8
	v_cmpx_ne_u64_e32 0x7f800000, v[12:13]
	s_xor_b32 s74, exec_lo, s13
	s_cbranch_execz .LBB4_8511
; %bb.8498:                             ;   in Loop: Header=BB4_8239 Depth=3
	v_and_b32_e32 v12, 0x7fffffff, v8
	v_mov_b32_e32 v13, v3
	v_and_b32_e32 v2, 0x80, v2
                                        ; implicit-def: $vgpr73
	s_mov_b32 s13, exec_lo
	s_delay_alu instid0(VALU_DEP_2)
	v_cmpx_gt_u64_e32 0x47600001, v[12:13]
	s_xor_b32 s75, exec_lo, s13
	s_cbranch_execz .LBB4_8508
; %bb.8499:                             ;   in Loop: Header=BB4_8239 Depth=3
	v_mov_b32_e32 v73, 0
	s_mov_b32 s76, exec_lo
	v_cmpx_ne_u32_e32 0, v8
	s_cbranch_execz .LBB4_8507
; %bb.8500:                             ;   in Loop: Header=BB4_8239 Depth=3
	v_bfe_u32 v12, v8, 23, 8
	v_or_b32_e32 v14, 0x800000, v4
	s_delay_alu instid0(VALU_DEP_2) | instskip(SKIP_1) | instid1(VALU_DEP_2)
	v_sub_nc_u32_e32 v8, 0x71, v12
	v_cmp_gt_u32_e32 vcc_lo, 0x72, v12
	v_cndmask_b32_e32 v8, 0, v8, vcc_lo
	v_cmp_eq_u32_e32 vcc_lo, 0, v12
	s_delay_alu instid0(VALU_DEP_2) | instskip(NEXT) | instid1(VALU_DEP_1)
	v_cndmask_b32_e64 v13, v8, 0x70, vcc_lo
	v_dual_cndmask_b32 v4, v14, v4, vcc_lo :: v_dual_add_nc_u32 v8, 21, v13
	v_add_nc_u32_e32 v15, 20, v13
	s_delay_alu instid0(VALU_DEP_2) | instskip(NEXT) | instid1(VALU_DEP_2)
	v_lshlrev_b64_e64 v[8:9], v8, -1
	v_lshlrev_b64_e64 v[14:15], v15, 1
	s_delay_alu instid0(VALU_DEP_2) | instskip(SKIP_1) | instid1(VALU_DEP_4)
	v_bfi_b32 v8, v8, 0, v4
	v_lshrrev_b64 v[4:5], v13, v[4:5]
	v_bfi_b32 v9, v9, 0, 0
	s_delay_alu instid0(VALU_DEP_1) | instskip(NEXT) | instid1(VALU_DEP_3)
	v_cmp_eq_u64_e64 s13, v[8:9], v[14:15]
	v_mov_b64_e32 v[8:9], v[4:5]
	s_and_saveexec_b32 s77, s13
; %bb.8501:                             ;   in Loop: Header=BB4_8239 Depth=3
	v_bfe_u32 v8, v4, 21, 1
	v_mov_b32_e32 v9, v3
	s_delay_alu instid0(VALU_DEP_1) | instskip(NEXT) | instid1(VALU_DEP_1)
	v_add_nc_u64_e32 v[8:9], v[4:5], v[8:9]
	v_add_nc_u64_e32 v[8:9], -1, v[8:9]
; %bb.8502:                             ;   in Loop: Header=BB4_8239 Depth=3
	s_or_b32 exec_lo, exec_lo, s77
	v_add_nc_u32_e32 v5, 0xffffff81, v12
	v_lshrrev_b32_e32 v9, 23, v4
	s_mov_b32 s13, exec_lo
	s_delay_alu instid0(VALU_DEP_2) | instskip(NEXT) | instid1(VALU_DEP_1)
	v_cndmask_b32_e64 v5, v5, 0xffffff82, vcc_lo
	v_add3_u32 v9, v13, v5, v9
	v_and_b32_e32 v5, 0x1fffff, v8
                                        ; implicit-def: $vgpr8
	s_delay_alu instid0(VALU_DEP_1) | instskip(SKIP_1) | instid1(VALU_DEP_2)
	v_dual_add_nc_u32 v12, 14, v9 :: v_dual_add_nc_u32 v4, v5, v4
	v_mov_b32_e32 v5, v3
	v_cmpx_ne_u32_e32 0, v12
	s_xor_b32 s13, exec_lo, s13
; %bb.8503:                             ;   in Loop: Header=BB4_8239 Depth=3
	s_delay_alu instid0(VALU_DEP_2) | instskip(SKIP_2) | instid1(VALU_DEP_2)
	v_cmp_lt_u64_e32 vcc_lo, 0xffffff, v[4:5]
	v_add_nc_u32_e32 v8, 15, v9
	v_cndmask_b32_e64 v9, 0, 1, vcc_lo
	v_cndmask_b32_e32 v8, v12, v8, vcc_lo
	s_delay_alu instid0(VALU_DEP_2)
	v_lshrrev_b64 v[4:5], v9, v[4:5]
; %bb.8504:                             ;   in Loop: Header=BB4_8239 Depth=3
	s_and_not1_saveexec_b32 s13, s13
; %bb.8505:                             ;   in Loop: Header=BB4_8239 Depth=3
	s_delay_alu instid0(VALU_DEP_1)
	v_bfe_u32 v8, v4, 23, 1
; %bb.8506:                             ;   in Loop: Header=BB4_8239 Depth=3
	s_or_b32 exec_lo, exec_lo, s13
	s_delay_alu instid0(VALU_DEP_2) | instskip(NEXT) | instid1(VALU_DEP_2)
	v_lshrrev_b64 v[4:5], 21, v[4:5]
	v_cmp_gt_i32_e32 vcc_lo, 32, v8
	v_min_i32_e32 v9, 31, v8
	v_cmp_eq_u32_e64 s13, 0, v8
	s_delay_alu instid0(VALU_DEP_4) | instskip(NEXT) | instid1(VALU_DEP_3)
	v_cndmask_b32_e32 v5, 0, v5, vcc_lo
	v_dual_cndmask_b32 v4, 3, v4 :: v_dual_lshlrev_b32 v9, 2, v9
	s_delay_alu instid0(VALU_DEP_1) | instskip(NEXT) | instid1(VALU_DEP_2)
	v_and_b32_e32 v9, 0xfc, v9
	v_cmp_eq_u64_e32 vcc_lo, 0, v[4:5]
	s_delay_alu instid0(VALU_DEP_2)
	v_and_or_b32 v4, v4, 3, v9
	s_and_b32 s13, s13, vcc_lo
	s_delay_alu instid0(VALU_DEP_1) | instid1(SALU_CYCLE_1)
	v_cndmask_b32_e64 v4, v4, 0, s13
	s_delay_alu instid0(VALU_DEP_1)
	v_or_b32_e32 v73, v4, v2
.LBB4_8507:                             ;   in Loop: Header=BB4_8239 Depth=3
	s_or_b32 exec_lo, exec_lo, s76
                                        ; implicit-def: $vgpr2
.LBB4_8508:                             ;   in Loop: Header=BB4_8239 Depth=3
	s_and_not1_saveexec_b32 s13, s75
; %bb.8509:                             ;   in Loop: Header=BB4_8239 Depth=3
	v_or_b32_e32 v73, 0x7b, v2
; %bb.8510:                             ;   in Loop: Header=BB4_8239 Depth=3
	s_or_b32 exec_lo, exec_lo, s13
                                        ; implicit-def: $vgpr8
                                        ; implicit-def: $vgpr4_vgpr5
                                        ; implicit-def: $vgpr2
.LBB4_8511:                             ;   in Loop: Header=BB4_8239 Depth=3
	s_and_not1_saveexec_b32 s13, s74
	s_cbranch_execz .LBB4_8517
; %bb.8512:                             ;   in Loop: Header=BB4_8239 Depth=3
	s_mov_b32 s74, exec_lo
                                        ; implicit-def: $vgpr73
	v_cmpx_ne_u64_e32 0, v[4:5]
	s_xor_b32 s74, exec_lo, s74
; %bb.8513:                             ;   in Loop: Header=BB4_8239 Depth=3
	v_or_b32_e32 v73, 0x7f, v2
                                        ; implicit-def: $vgpr8
; %bb.8514:                             ;   in Loop: Header=BB4_8239 Depth=3
	s_and_not1_saveexec_b32 s74, s74
; %bb.8515:                             ;   in Loop: Header=BB4_8239 Depth=3
	v_cmp_lt_i32_e32 vcc_lo, -1, v8
	v_cndmask_b32_e32 v73, 0xfc, v49, vcc_lo
; %bb.8516:                             ;   in Loop: Header=BB4_8239 Depth=3
	s_or_b32 exec_lo, exec_lo, s74
.LBB4_8517:                             ;   in Loop: Header=BB4_8239 Depth=3
	s_delay_alu instid0(SALU_CYCLE_1) | instskip(SKIP_3) | instid1(VALU_DEP_2)
	s_or_b32 exec_lo, exec_lo, s13
	v_lshrrev_b16 v4, 8, v10
	v_mov_b32_e32 v5, 0
	s_mov_b32 s13, exec_lo
	v_cmpx_ne_u16_e32 0, v4
	s_cbranch_execz .LBB4_8527
; %bb.8518:                             ;   in Loop: Header=BB4_8239 Depth=3
	v_bfrev_b32_e32 v5, 1
	s_mov_b32 s74, exec_lo
	v_cmpx_ne_u16_e32 0x80, v4
	s_cbranch_execz .LBB4_8526
; %bb.8519:                             ;   in Loop: Header=BB4_8239 Depth=3
	v_and_b32_e32 v8, 0xffff, v4
	s_delay_alu instid0(VALU_DEP_1) | instskip(SKIP_1) | instid1(VALU_DEP_2)
	v_and_b32_e32 v5, 0x7c, v8
	v_and_b32_e32 v2, 3, v8
	v_cmp_ne_u32_e32 vcc_lo, 0x7c, v5
                                        ; implicit-def: $vgpr5
	s_and_saveexec_b32 s75, vcc_lo
	s_delay_alu instid0(SALU_CYCLE_1)
	s_xor_b32 s75, exec_lo, s75
	s_cbranch_execz .LBB4_8523
; %bb.8520:                             ;   in Loop: Header=BB4_8239 Depth=3
	v_bfe_u32 v5, v8, 2, 5
	s_mov_b32 s76, exec_lo
	s_delay_alu instid0(VALU_DEP_1)
	v_cmpx_eq_u32_e32 0, v5
; %bb.8521:                             ;   in Loop: Header=BB4_8239 Depth=3
	v_clz_i32_u32_e32 v2, v2
	v_mov_b32_e32 v5, v3
	s_delay_alu instid0(VALU_DEP_2) | instskip(NEXT) | instid1(VALU_DEP_1)
	v_min_u32_e32 v2, 32, v2
	v_subrev_nc_u32_e32 v8, 29, v2
	s_delay_alu instid0(VALU_DEP_1) | instskip(NEXT) | instid1(VALU_DEP_1)
	v_lshlrev_b64_e32 v[4:5], v8, v[4:5]
	v_dual_sub_nc_u32 v5, 30, v2 :: v_dual_bitop2_b32 v2, 3, v4 bitop3:0x40
; %bb.8522:                             ;   in Loop: Header=BB4_8239 Depth=3
	s_or_b32 exec_lo, exec_lo, s76
	v_lshlrev_b32_e32 v4, 16, v10
	s_delay_alu instid0(VALU_DEP_1) | instskip(NEXT) | instid1(VALU_DEP_1)
	v_and_b32_e32 v4, 0x80000000, v4
	v_lshl_add_u32 v4, v5, 23, v4
	s_delay_alu instid0(VALU_DEP_1) | instskip(NEXT) | instid1(VALU_DEP_1)
	v_lshl_or_b32 v2, v2, 21, v4
	v_add_nc_u32_e32 v5, 0x38000000, v2
                                        ; implicit-def: $vgpr2
.LBB4_8523:                             ;   in Loop: Header=BB4_8239 Depth=3
	s_and_not1_saveexec_b32 s75, s75
; %bb.8524:                             ;   in Loop: Header=BB4_8239 Depth=3
	v_cmp_lt_i16_e32 vcc_lo, -1, v10
	v_cndmask_b32_e32 v4, 0xff800000, v48, vcc_lo
	v_cmp_eq_u32_e32 vcc_lo, 0, v2
	s_delay_alu instid0(VALU_DEP_2)
	v_cndmask_b32_e32 v5, 0x7f800001, v4, vcc_lo
; %bb.8525:                             ;   in Loop: Header=BB4_8239 Depth=3
	s_or_b32 exec_lo, exec_lo, s75
.LBB4_8526:                             ;   in Loop: Header=BB4_8239 Depth=3
	s_delay_alu instid0(SALU_CYCLE_1)
	s_or_b32 exec_lo, exec_lo, s74
.LBB4_8527:                             ;   in Loop: Header=BB4_8239 Depth=3
	s_delay_alu instid0(SALU_CYCLE_1) | instskip(NEXT) | instid1(VALU_DEP_1)
	s_or_b32 exec_lo, exec_lo, s13
	v_dual_mul_f32 v8, s73, v5 :: v_dual_mov_b32 v13, v3
	v_mov_b32_e32 v5, v3
                                        ; implicit-def: $vgpr75
	s_mov_b32 s13, exec_lo
	s_delay_alu instid0(VALU_DEP_2) | instskip(SKIP_2) | instid1(VALU_DEP_3)
	v_and_b32_e32 v12, 0x7f800000, v8
	v_and_b32_e32 v4, 0x7fffff, v8
	v_lshrrev_b32_e32 v2, 24, v8
	v_cmpx_ne_u64_e32 0x7f800000, v[12:13]
	s_xor_b32 s74, exec_lo, s13
	s_cbranch_execz .LBB4_8541
; %bb.8528:                             ;   in Loop: Header=BB4_8239 Depth=3
	v_and_b32_e32 v12, 0x7fffffff, v8
	v_mov_b32_e32 v13, v3
	v_and_b32_e32 v2, 0x80, v2
                                        ; implicit-def: $vgpr75
	s_mov_b32 s13, exec_lo
	s_delay_alu instid0(VALU_DEP_2)
	v_cmpx_gt_u64_e32 0x47600001, v[12:13]
	s_xor_b32 s75, exec_lo, s13
	s_cbranch_execz .LBB4_8538
; %bb.8529:                             ;   in Loop: Header=BB4_8239 Depth=3
	v_mov_b32_e32 v75, 0
	s_mov_b32 s76, exec_lo
	v_cmpx_ne_u32_e32 0, v8
	s_cbranch_execz .LBB4_8537
; %bb.8530:                             ;   in Loop: Header=BB4_8239 Depth=3
	v_bfe_u32 v12, v8, 23, 8
	v_or_b32_e32 v14, 0x800000, v4
	s_delay_alu instid0(VALU_DEP_2) | instskip(SKIP_1) | instid1(VALU_DEP_2)
	v_sub_nc_u32_e32 v8, 0x71, v12
	v_cmp_gt_u32_e32 vcc_lo, 0x72, v12
	v_cndmask_b32_e32 v8, 0, v8, vcc_lo
	v_cmp_eq_u32_e32 vcc_lo, 0, v12
	s_delay_alu instid0(VALU_DEP_2) | instskip(NEXT) | instid1(VALU_DEP_1)
	v_cndmask_b32_e64 v13, v8, 0x70, vcc_lo
	v_dual_cndmask_b32 v4, v14, v4, vcc_lo :: v_dual_add_nc_u32 v8, 21, v13
	v_add_nc_u32_e32 v15, 20, v13
	s_delay_alu instid0(VALU_DEP_2) | instskip(NEXT) | instid1(VALU_DEP_2)
	v_lshlrev_b64_e64 v[8:9], v8, -1
	v_lshlrev_b64_e64 v[14:15], v15, 1
	s_delay_alu instid0(VALU_DEP_2) | instskip(SKIP_1) | instid1(VALU_DEP_4)
	v_bfi_b32 v8, v8, 0, v4
	v_lshrrev_b64 v[4:5], v13, v[4:5]
	v_bfi_b32 v9, v9, 0, 0
	s_delay_alu instid0(VALU_DEP_1) | instskip(NEXT) | instid1(VALU_DEP_3)
	v_cmp_eq_u64_e64 s13, v[8:9], v[14:15]
	v_mov_b64_e32 v[8:9], v[4:5]
	s_and_saveexec_b32 s77, s13
; %bb.8531:                             ;   in Loop: Header=BB4_8239 Depth=3
	v_bfe_u32 v8, v4, 21, 1
	v_mov_b32_e32 v9, v3
	s_delay_alu instid0(VALU_DEP_1) | instskip(NEXT) | instid1(VALU_DEP_1)
	v_add_nc_u64_e32 v[8:9], v[4:5], v[8:9]
	v_add_nc_u64_e32 v[8:9], -1, v[8:9]
; %bb.8532:                             ;   in Loop: Header=BB4_8239 Depth=3
	s_or_b32 exec_lo, exec_lo, s77
	v_add_nc_u32_e32 v5, 0xffffff81, v12
	v_lshrrev_b32_e32 v9, 23, v4
	s_mov_b32 s13, exec_lo
	s_delay_alu instid0(VALU_DEP_2) | instskip(NEXT) | instid1(VALU_DEP_1)
	v_cndmask_b32_e64 v5, v5, 0xffffff82, vcc_lo
	v_add3_u32 v9, v13, v5, v9
	v_and_b32_e32 v5, 0x1fffff, v8
                                        ; implicit-def: $vgpr8
	s_delay_alu instid0(VALU_DEP_1) | instskip(SKIP_1) | instid1(VALU_DEP_2)
	v_dual_add_nc_u32 v12, 14, v9 :: v_dual_add_nc_u32 v4, v5, v4
	v_mov_b32_e32 v5, v3
	v_cmpx_ne_u32_e32 0, v12
	s_xor_b32 s13, exec_lo, s13
; %bb.8533:                             ;   in Loop: Header=BB4_8239 Depth=3
	s_delay_alu instid0(VALU_DEP_2) | instskip(SKIP_2) | instid1(VALU_DEP_2)
	v_cmp_lt_u64_e32 vcc_lo, 0xffffff, v[4:5]
	v_add_nc_u32_e32 v8, 15, v9
	v_cndmask_b32_e64 v9, 0, 1, vcc_lo
	v_cndmask_b32_e32 v8, v12, v8, vcc_lo
	s_delay_alu instid0(VALU_DEP_2)
	v_lshrrev_b64 v[4:5], v9, v[4:5]
; %bb.8534:                             ;   in Loop: Header=BB4_8239 Depth=3
	s_and_not1_saveexec_b32 s13, s13
; %bb.8535:                             ;   in Loop: Header=BB4_8239 Depth=3
	s_delay_alu instid0(VALU_DEP_1)
	v_bfe_u32 v8, v4, 23, 1
; %bb.8536:                             ;   in Loop: Header=BB4_8239 Depth=3
	s_or_b32 exec_lo, exec_lo, s13
	s_delay_alu instid0(VALU_DEP_2) | instskip(NEXT) | instid1(VALU_DEP_2)
	v_lshrrev_b64 v[4:5], 21, v[4:5]
	v_cmp_gt_i32_e32 vcc_lo, 32, v8
	v_min_i32_e32 v9, 31, v8
	v_cmp_eq_u32_e64 s13, 0, v8
	s_delay_alu instid0(VALU_DEP_4) | instskip(NEXT) | instid1(VALU_DEP_3)
	v_cndmask_b32_e32 v5, 0, v5, vcc_lo
	v_dual_cndmask_b32 v4, 3, v4 :: v_dual_lshlrev_b32 v9, 2, v9
	s_delay_alu instid0(VALU_DEP_1) | instskip(NEXT) | instid1(VALU_DEP_2)
	v_and_b32_e32 v9, 0xfc, v9
	v_cmp_eq_u64_e32 vcc_lo, 0, v[4:5]
	s_delay_alu instid0(VALU_DEP_2)
	v_and_or_b32 v4, v4, 3, v9
	s_and_b32 s13, s13, vcc_lo
	s_delay_alu instid0(VALU_DEP_1) | instid1(SALU_CYCLE_1)
	v_cndmask_b32_e64 v4, v4, 0, s13
	s_delay_alu instid0(VALU_DEP_1)
	v_or_b32_e32 v75, v4, v2
.LBB4_8537:                             ;   in Loop: Header=BB4_8239 Depth=3
	s_or_b32 exec_lo, exec_lo, s76
                                        ; implicit-def: $vgpr2
.LBB4_8538:                             ;   in Loop: Header=BB4_8239 Depth=3
	s_and_not1_saveexec_b32 s13, s75
; %bb.8539:                             ;   in Loop: Header=BB4_8239 Depth=3
	v_or_b32_e32 v75, 0x7b, v2
; %bb.8540:                             ;   in Loop: Header=BB4_8239 Depth=3
	s_or_b32 exec_lo, exec_lo, s13
                                        ; implicit-def: $vgpr8
                                        ; implicit-def: $vgpr4_vgpr5
                                        ; implicit-def: $vgpr2
.LBB4_8541:                             ;   in Loop: Header=BB4_8239 Depth=3
	s_and_not1_saveexec_b32 s13, s74
	s_cbranch_execz .LBB4_8547
; %bb.8542:                             ;   in Loop: Header=BB4_8239 Depth=3
	s_mov_b32 s74, exec_lo
                                        ; implicit-def: $vgpr75
	v_cmpx_ne_u64_e32 0, v[4:5]
	s_xor_b32 s74, exec_lo, s74
; %bb.8543:                             ;   in Loop: Header=BB4_8239 Depth=3
	v_or_b32_e32 v75, 0x7f, v2
                                        ; implicit-def: $vgpr8
; %bb.8544:                             ;   in Loop: Header=BB4_8239 Depth=3
	s_and_not1_saveexec_b32 s74, s74
; %bb.8545:                             ;   in Loop: Header=BB4_8239 Depth=3
	v_cmp_lt_i32_e32 vcc_lo, -1, v8
	v_cndmask_b32_e32 v75, 0xfc, v49, vcc_lo
; %bb.8546:                             ;   in Loop: Header=BB4_8239 Depth=3
	s_or_b32 exec_lo, exec_lo, s74
.LBB4_8547:                             ;   in Loop: Header=BB4_8239 Depth=3
	s_delay_alu instid0(SALU_CYCLE_1) | instskip(SKIP_2) | instid1(VALU_DEP_1)
	s_or_b32 exec_lo, exec_lo, s13
	v_dual_lshrrev_b32 v2, 16, v10 :: v_dual_mov_b32 v4, 0
	s_mov_b32 s13, exec_lo
	v_and_b32_e32 v5, 0xff, v2
	s_delay_alu instid0(VALU_DEP_1)
	v_cmpx_ne_u16_e32 0, v5
	s_cbranch_execz .LBB4_8557
; %bb.8548:                             ;   in Loop: Header=BB4_8239 Depth=3
	v_bfrev_b32_e32 v4, 1
	s_mov_b32 s74, exec_lo
	v_cmpx_ne_u16_e32 0x80, v5
	s_cbranch_execz .LBB4_8556
; %bb.8549:                             ;   in Loop: Header=BB4_8239 Depth=3
	v_and_b32_e32 v4, 0x7c0000, v10
	v_bfe_u32 v5, v10, 16, 2
	s_delay_alu instid0(VALU_DEP_2) | instskip(SKIP_1) | instid1(SALU_CYCLE_1)
	v_cmp_ne_u32_e32 vcc_lo, 0x7c0000, v4
                                        ; implicit-def: $vgpr4
	s_and_saveexec_b32 s75, vcc_lo
	s_xor_b32 s75, exec_lo, s75
	s_cbranch_execz .LBB4_8553
; %bb.8550:                             ;   in Loop: Header=BB4_8239 Depth=3
	v_bfe_u32 v4, v10, 18, 5
	s_mov_b32 s76, exec_lo
	s_delay_alu instid0(VALU_DEP_1)
	v_cmpx_eq_u32_e32 0, v4
; %bb.8551:                             ;   in Loop: Header=BB4_8239 Depth=3
	v_clz_i32_u32_e32 v4, v5
	s_delay_alu instid0(VALU_DEP_1) | instskip(NEXT) | instid1(VALU_DEP_1)
	v_min_u32_e32 v4, 32, v4
	v_subrev_nc_u32_e32 v5, 29, v4
	v_sub_nc_u32_e32 v4, 30, v4
	s_delay_alu instid0(VALU_DEP_2) | instskip(NEXT) | instid1(VALU_DEP_1)
	v_lshlrev_b64_e32 v[8:9], v5, v[2:3]
	v_and_b32_e32 v5, 3, v8
; %bb.8552:                             ;   in Loop: Header=BB4_8239 Depth=3
	s_or_b32 exec_lo, exec_lo, s76
	v_lshlrev_b32_e32 v2, 24, v2
	s_delay_alu instid0(VALU_DEP_1) | instskip(NEXT) | instid1(VALU_DEP_1)
	v_and_b32_e32 v2, 0x80000000, v2
	v_lshl_add_u32 v2, v4, 23, v2
	s_delay_alu instid0(VALU_DEP_1) | instskip(NEXT) | instid1(VALU_DEP_1)
	v_lshl_or_b32 v2, v5, 21, v2
                                        ; implicit-def: $vgpr5
	v_add_nc_u32_e32 v4, 0x38000000, v2
                                        ; implicit-def: $vgpr2
.LBB4_8553:                             ;   in Loop: Header=BB4_8239 Depth=3
	s_and_not1_saveexec_b32 s75, s75
; %bb.8554:                             ;   in Loop: Header=BB4_8239 Depth=3
	v_bfe_i32 v2, v2, 0, 8
	s_delay_alu instid0(VALU_DEP_1) | instskip(SKIP_2) | instid1(VALU_DEP_2)
	v_cmp_lt_i16_e32 vcc_lo, -1, v2
	v_cndmask_b32_e32 v2, 0xff800000, v48, vcc_lo
	v_cmp_eq_u32_e32 vcc_lo, 0, v5
	v_cndmask_b32_e32 v4, 0x7f800001, v2, vcc_lo
; %bb.8555:                             ;   in Loop: Header=BB4_8239 Depth=3
	s_or_b32 exec_lo, exec_lo, s75
.LBB4_8556:                             ;   in Loop: Header=BB4_8239 Depth=3
	s_delay_alu instid0(SALU_CYCLE_1)
	s_or_b32 exec_lo, exec_lo, s74
.LBB4_8557:                             ;   in Loop: Header=BB4_8239 Depth=3
	s_delay_alu instid0(SALU_CYCLE_1) | instskip(NEXT) | instid1(VALU_DEP_1)
	s_or_b32 exec_lo, exec_lo, s13
	v_dual_mul_f32 v8, s73, v4 :: v_dual_mov_b32 v13, v3
	v_mov_b32_e32 v5, v3
                                        ; implicit-def: $vgpr77
	s_mov_b32 s13, exec_lo
	s_delay_alu instid0(VALU_DEP_2) | instskip(SKIP_2) | instid1(VALU_DEP_3)
	v_and_b32_e32 v12, 0x7f800000, v8
	v_and_b32_e32 v4, 0x7fffff, v8
	v_lshrrev_b32_e32 v2, 24, v8
	v_cmpx_ne_u64_e32 0x7f800000, v[12:13]
	s_xor_b32 s74, exec_lo, s13
	s_cbranch_execz .LBB4_8571
; %bb.8558:                             ;   in Loop: Header=BB4_8239 Depth=3
	v_and_b32_e32 v12, 0x7fffffff, v8
	v_mov_b32_e32 v13, v3
	v_and_b32_e32 v2, 0x80, v2
                                        ; implicit-def: $vgpr77
	s_mov_b32 s13, exec_lo
	s_delay_alu instid0(VALU_DEP_2)
	v_cmpx_gt_u64_e32 0x47600001, v[12:13]
	s_xor_b32 s75, exec_lo, s13
	s_cbranch_execz .LBB4_8568
; %bb.8559:                             ;   in Loop: Header=BB4_8239 Depth=3
	v_mov_b32_e32 v77, 0
	s_mov_b32 s76, exec_lo
	v_cmpx_ne_u32_e32 0, v8
	s_cbranch_execz .LBB4_8567
; %bb.8560:                             ;   in Loop: Header=BB4_8239 Depth=3
	v_bfe_u32 v12, v8, 23, 8
	v_or_b32_e32 v14, 0x800000, v4
	s_delay_alu instid0(VALU_DEP_2) | instskip(SKIP_1) | instid1(VALU_DEP_2)
	v_sub_nc_u32_e32 v8, 0x71, v12
	v_cmp_gt_u32_e32 vcc_lo, 0x72, v12
	v_cndmask_b32_e32 v8, 0, v8, vcc_lo
	v_cmp_eq_u32_e32 vcc_lo, 0, v12
	s_delay_alu instid0(VALU_DEP_2) | instskip(NEXT) | instid1(VALU_DEP_1)
	v_cndmask_b32_e64 v13, v8, 0x70, vcc_lo
	v_dual_cndmask_b32 v4, v14, v4, vcc_lo :: v_dual_add_nc_u32 v8, 21, v13
	v_add_nc_u32_e32 v15, 20, v13
	s_delay_alu instid0(VALU_DEP_2) | instskip(NEXT) | instid1(VALU_DEP_2)
	v_lshlrev_b64_e64 v[8:9], v8, -1
	v_lshlrev_b64_e64 v[14:15], v15, 1
	s_delay_alu instid0(VALU_DEP_2) | instskip(SKIP_1) | instid1(VALU_DEP_4)
	v_bfi_b32 v8, v8, 0, v4
	v_lshrrev_b64 v[4:5], v13, v[4:5]
	v_bfi_b32 v9, v9, 0, 0
	s_delay_alu instid0(VALU_DEP_1) | instskip(NEXT) | instid1(VALU_DEP_3)
	v_cmp_eq_u64_e64 s13, v[8:9], v[14:15]
	v_mov_b64_e32 v[8:9], v[4:5]
	s_and_saveexec_b32 s77, s13
; %bb.8561:                             ;   in Loop: Header=BB4_8239 Depth=3
	v_bfe_u32 v8, v4, 21, 1
	v_mov_b32_e32 v9, v3
	s_delay_alu instid0(VALU_DEP_1) | instskip(NEXT) | instid1(VALU_DEP_1)
	v_add_nc_u64_e32 v[8:9], v[4:5], v[8:9]
	v_add_nc_u64_e32 v[8:9], -1, v[8:9]
; %bb.8562:                             ;   in Loop: Header=BB4_8239 Depth=3
	s_or_b32 exec_lo, exec_lo, s77
	v_add_nc_u32_e32 v5, 0xffffff81, v12
	v_lshrrev_b32_e32 v9, 23, v4
	s_mov_b32 s13, exec_lo
	s_delay_alu instid0(VALU_DEP_2) | instskip(NEXT) | instid1(VALU_DEP_1)
	v_cndmask_b32_e64 v5, v5, 0xffffff82, vcc_lo
	v_add3_u32 v9, v13, v5, v9
	v_and_b32_e32 v5, 0x1fffff, v8
                                        ; implicit-def: $vgpr8
	s_delay_alu instid0(VALU_DEP_1) | instskip(SKIP_1) | instid1(VALU_DEP_2)
	v_dual_add_nc_u32 v12, 14, v9 :: v_dual_add_nc_u32 v4, v5, v4
	v_mov_b32_e32 v5, v3
	v_cmpx_ne_u32_e32 0, v12
	s_xor_b32 s13, exec_lo, s13
; %bb.8563:                             ;   in Loop: Header=BB4_8239 Depth=3
	s_delay_alu instid0(VALU_DEP_2) | instskip(SKIP_2) | instid1(VALU_DEP_2)
	v_cmp_lt_u64_e32 vcc_lo, 0xffffff, v[4:5]
	v_add_nc_u32_e32 v8, 15, v9
	v_cndmask_b32_e64 v9, 0, 1, vcc_lo
	v_cndmask_b32_e32 v8, v12, v8, vcc_lo
	s_delay_alu instid0(VALU_DEP_2)
	v_lshrrev_b64 v[4:5], v9, v[4:5]
; %bb.8564:                             ;   in Loop: Header=BB4_8239 Depth=3
	s_and_not1_saveexec_b32 s13, s13
; %bb.8565:                             ;   in Loop: Header=BB4_8239 Depth=3
	s_delay_alu instid0(VALU_DEP_1)
	v_bfe_u32 v8, v4, 23, 1
; %bb.8566:                             ;   in Loop: Header=BB4_8239 Depth=3
	s_or_b32 exec_lo, exec_lo, s13
	s_delay_alu instid0(VALU_DEP_2) | instskip(NEXT) | instid1(VALU_DEP_2)
	v_lshrrev_b64 v[4:5], 21, v[4:5]
	v_cmp_gt_i32_e32 vcc_lo, 32, v8
	v_min_i32_e32 v9, 31, v8
	v_cmp_eq_u32_e64 s13, 0, v8
	s_delay_alu instid0(VALU_DEP_4) | instskip(NEXT) | instid1(VALU_DEP_3)
	v_cndmask_b32_e32 v5, 0, v5, vcc_lo
	v_dual_cndmask_b32 v4, 3, v4 :: v_dual_lshlrev_b32 v9, 2, v9
	s_delay_alu instid0(VALU_DEP_1) | instskip(NEXT) | instid1(VALU_DEP_2)
	v_and_b32_e32 v9, 0xfc, v9
	v_cmp_eq_u64_e32 vcc_lo, 0, v[4:5]
	s_delay_alu instid0(VALU_DEP_2)
	v_and_or_b32 v4, v4, 3, v9
	s_and_b32 s13, s13, vcc_lo
	s_delay_alu instid0(VALU_DEP_1) | instid1(SALU_CYCLE_1)
	v_cndmask_b32_e64 v4, v4, 0, s13
	s_delay_alu instid0(VALU_DEP_1)
	v_or_b32_e32 v77, v4, v2
.LBB4_8567:                             ;   in Loop: Header=BB4_8239 Depth=3
	s_or_b32 exec_lo, exec_lo, s76
                                        ; implicit-def: $vgpr2
.LBB4_8568:                             ;   in Loop: Header=BB4_8239 Depth=3
	s_and_not1_saveexec_b32 s13, s75
; %bb.8569:                             ;   in Loop: Header=BB4_8239 Depth=3
	v_or_b32_e32 v77, 0x7b, v2
; %bb.8570:                             ;   in Loop: Header=BB4_8239 Depth=3
	s_or_b32 exec_lo, exec_lo, s13
                                        ; implicit-def: $vgpr8
                                        ; implicit-def: $vgpr4_vgpr5
                                        ; implicit-def: $vgpr2
.LBB4_8571:                             ;   in Loop: Header=BB4_8239 Depth=3
	s_and_not1_saveexec_b32 s13, s74
	s_cbranch_execz .LBB4_8577
; %bb.8572:                             ;   in Loop: Header=BB4_8239 Depth=3
	s_mov_b32 s74, exec_lo
                                        ; implicit-def: $vgpr77
	v_cmpx_ne_u64_e32 0, v[4:5]
	s_xor_b32 s74, exec_lo, s74
; %bb.8573:                             ;   in Loop: Header=BB4_8239 Depth=3
	v_or_b32_e32 v77, 0x7f, v2
                                        ; implicit-def: $vgpr8
; %bb.8574:                             ;   in Loop: Header=BB4_8239 Depth=3
	s_and_not1_saveexec_b32 s74, s74
; %bb.8575:                             ;   in Loop: Header=BB4_8239 Depth=3
	v_cmp_lt_i32_e32 vcc_lo, -1, v8
	v_cndmask_b32_e32 v77, 0xfc, v49, vcc_lo
; %bb.8576:                             ;   in Loop: Header=BB4_8239 Depth=3
	s_or_b32 exec_lo, exec_lo, s74
.LBB4_8577:                             ;   in Loop: Header=BB4_8239 Depth=3
	s_delay_alu instid0(SALU_CYCLE_1)
	s_or_b32 exec_lo, exec_lo, s13
	v_mov_b32_e32 v4, 0
	s_mov_b32 s13, exec_lo
	v_cmpx_lt_u32_e32 0xffffff, v10
	s_cbranch_execz .LBB4_8587
; %bb.8578:                             ;   in Loop: Header=BB4_8239 Depth=3
	v_lshrrev_b32_e32 v2, 24, v10
	v_bfrev_b32_e32 v4, 1
	s_mov_b32 s74, exec_lo
	s_delay_alu instid0(VALU_DEP_2)
	v_cmpx_ne_u32_e32 0x80, v2
	s_cbranch_execz .LBB4_8586
; %bb.8579:                             ;   in Loop: Header=BB4_8239 Depth=3
	v_and_b32_e32 v4, 0x7c000000, v10
	v_bfe_u32 v5, v10, 24, 2
	s_delay_alu instid0(VALU_DEP_2) | instskip(SKIP_1) | instid1(SALU_CYCLE_1)
	v_cmp_ne_u32_e32 vcc_lo, 0x7c000000, v4
                                        ; implicit-def: $vgpr4
	s_and_saveexec_b32 s75, vcc_lo
	s_xor_b32 s75, exec_lo, s75
	s_cbranch_execz .LBB4_8583
; %bb.8580:                             ;   in Loop: Header=BB4_8239 Depth=3
	v_bfe_u32 v4, v10, 26, 5
	s_mov_b32 s76, exec_lo
	s_delay_alu instid0(VALU_DEP_1)
	v_cmpx_eq_u32_e32 0, v4
; %bb.8581:                             ;   in Loop: Header=BB4_8239 Depth=3
	v_clz_i32_u32_e32 v4, v5
	s_delay_alu instid0(VALU_DEP_1) | instskip(NEXT) | instid1(VALU_DEP_1)
	v_min_u32_e32 v4, 32, v4
	v_subrev_nc_u32_e32 v5, 29, v4
	v_sub_nc_u32_e32 v4, 30, v4
	s_delay_alu instid0(VALU_DEP_2) | instskip(NEXT) | instid1(VALU_DEP_1)
	v_lshlrev_b64_e32 v[8:9], v5, v[2:3]
	v_and_b32_e32 v5, 3, v8
; %bb.8582:                             ;   in Loop: Header=BB4_8239 Depth=3
	s_or_b32 exec_lo, exec_lo, s76
	v_and_b32_e32 v2, 0x80000000, v10
	s_delay_alu instid0(VALU_DEP_1) | instskip(NEXT) | instid1(VALU_DEP_1)
	v_lshl_add_u32 v2, v4, 23, v2
	v_lshl_or_b32 v2, v5, 21, v2
                                        ; implicit-def: $vgpr5
	s_delay_alu instid0(VALU_DEP_1)
	v_add_nc_u32_e32 v4, 0x38000000, v2
.LBB4_8583:                             ;   in Loop: Header=BB4_8239 Depth=3
	s_and_not1_saveexec_b32 s75, s75
; %bb.8584:                             ;   in Loop: Header=BB4_8239 Depth=3
	v_cmp_lt_i32_e32 vcc_lo, -1, v10
	v_cndmask_b32_e32 v2, 0xff800000, v48, vcc_lo
	v_cmp_eq_u32_e32 vcc_lo, 0, v5
	s_delay_alu instid0(VALU_DEP_2)
	v_cndmask_b32_e32 v4, 0x7f800001, v2, vcc_lo
; %bb.8585:                             ;   in Loop: Header=BB4_8239 Depth=3
	s_or_b32 exec_lo, exec_lo, s75
.LBB4_8586:                             ;   in Loop: Header=BB4_8239 Depth=3
	s_delay_alu instid0(SALU_CYCLE_1)
	s_or_b32 exec_lo, exec_lo, s74
.LBB4_8587:                             ;   in Loop: Header=BB4_8239 Depth=3
	s_delay_alu instid0(SALU_CYCLE_1) | instskip(NEXT) | instid1(VALU_DEP_1)
	s_or_b32 exec_lo, exec_lo, s13
	v_dual_mul_f32 v8, s73, v4 :: v_dual_mov_b32 v13, v3
	v_mov_b32_e32 v5, v3
                                        ; implicit-def: $vgpr78
	s_mov_b32 s13, exec_lo
	s_delay_alu instid0(VALU_DEP_2) | instskip(SKIP_2) | instid1(VALU_DEP_3)
	v_and_b32_e32 v12, 0x7f800000, v8
	v_and_b32_e32 v4, 0x7fffff, v8
	v_lshrrev_b32_e32 v2, 24, v8
	v_cmpx_ne_u64_e32 0x7f800000, v[12:13]
	s_xor_b32 s74, exec_lo, s13
	s_cbranch_execz .LBB4_8601
; %bb.8588:                             ;   in Loop: Header=BB4_8239 Depth=3
	v_and_b32_e32 v12, 0x7fffffff, v8
	v_mov_b32_e32 v13, v3
	v_and_b32_e32 v2, 0x80, v2
                                        ; implicit-def: $vgpr78
	s_mov_b32 s13, exec_lo
	s_delay_alu instid0(VALU_DEP_2)
	v_cmpx_gt_u64_e32 0x47600001, v[12:13]
	s_xor_b32 s75, exec_lo, s13
	s_cbranch_execz .LBB4_8598
; %bb.8589:                             ;   in Loop: Header=BB4_8239 Depth=3
	v_mov_b32_e32 v78, 0
	s_mov_b32 s76, exec_lo
	v_cmpx_ne_u32_e32 0, v8
	s_cbranch_execz .LBB4_8597
; %bb.8590:                             ;   in Loop: Header=BB4_8239 Depth=3
	v_bfe_u32 v12, v8, 23, 8
	v_or_b32_e32 v14, 0x800000, v4
	s_delay_alu instid0(VALU_DEP_2) | instskip(SKIP_1) | instid1(VALU_DEP_2)
	v_sub_nc_u32_e32 v8, 0x71, v12
	v_cmp_gt_u32_e32 vcc_lo, 0x72, v12
	v_cndmask_b32_e32 v8, 0, v8, vcc_lo
	v_cmp_eq_u32_e32 vcc_lo, 0, v12
	s_delay_alu instid0(VALU_DEP_2) | instskip(NEXT) | instid1(VALU_DEP_1)
	v_cndmask_b32_e64 v13, v8, 0x70, vcc_lo
	v_dual_cndmask_b32 v4, v14, v4, vcc_lo :: v_dual_add_nc_u32 v8, 21, v13
	v_add_nc_u32_e32 v15, 20, v13
	s_delay_alu instid0(VALU_DEP_2) | instskip(NEXT) | instid1(VALU_DEP_2)
	v_lshlrev_b64_e64 v[8:9], v8, -1
	v_lshlrev_b64_e64 v[14:15], v15, 1
	s_delay_alu instid0(VALU_DEP_2) | instskip(SKIP_1) | instid1(VALU_DEP_4)
	v_bfi_b32 v8, v8, 0, v4
	v_lshrrev_b64 v[4:5], v13, v[4:5]
	v_bfi_b32 v9, v9, 0, 0
	s_delay_alu instid0(VALU_DEP_1) | instskip(NEXT) | instid1(VALU_DEP_3)
	v_cmp_eq_u64_e64 s13, v[8:9], v[14:15]
	v_mov_b64_e32 v[8:9], v[4:5]
	s_and_saveexec_b32 s77, s13
; %bb.8591:                             ;   in Loop: Header=BB4_8239 Depth=3
	v_bfe_u32 v8, v4, 21, 1
	v_mov_b32_e32 v9, v3
	s_delay_alu instid0(VALU_DEP_1) | instskip(NEXT) | instid1(VALU_DEP_1)
	v_add_nc_u64_e32 v[8:9], v[4:5], v[8:9]
	v_add_nc_u64_e32 v[8:9], -1, v[8:9]
; %bb.8592:                             ;   in Loop: Header=BB4_8239 Depth=3
	s_or_b32 exec_lo, exec_lo, s77
	v_add_nc_u32_e32 v5, 0xffffff81, v12
	v_lshrrev_b32_e32 v9, 23, v4
	s_mov_b32 s13, exec_lo
	s_delay_alu instid0(VALU_DEP_2) | instskip(NEXT) | instid1(VALU_DEP_1)
	v_cndmask_b32_e64 v5, v5, 0xffffff82, vcc_lo
	v_add3_u32 v9, v13, v5, v9
	v_and_b32_e32 v5, 0x1fffff, v8
                                        ; implicit-def: $vgpr8
	s_delay_alu instid0(VALU_DEP_1) | instskip(SKIP_1) | instid1(VALU_DEP_2)
	v_dual_add_nc_u32 v12, 14, v9 :: v_dual_add_nc_u32 v4, v5, v4
	v_mov_b32_e32 v5, v3
	v_cmpx_ne_u32_e32 0, v12
	s_xor_b32 s13, exec_lo, s13
; %bb.8593:                             ;   in Loop: Header=BB4_8239 Depth=3
	s_delay_alu instid0(VALU_DEP_2) | instskip(SKIP_2) | instid1(VALU_DEP_2)
	v_cmp_lt_u64_e32 vcc_lo, 0xffffff, v[4:5]
	v_add_nc_u32_e32 v8, 15, v9
	v_cndmask_b32_e64 v9, 0, 1, vcc_lo
	v_cndmask_b32_e32 v8, v12, v8, vcc_lo
	s_delay_alu instid0(VALU_DEP_2)
	v_lshrrev_b64 v[4:5], v9, v[4:5]
; %bb.8594:                             ;   in Loop: Header=BB4_8239 Depth=3
	s_and_not1_saveexec_b32 s13, s13
; %bb.8595:                             ;   in Loop: Header=BB4_8239 Depth=3
	s_delay_alu instid0(VALU_DEP_1)
	v_bfe_u32 v8, v4, 23, 1
; %bb.8596:                             ;   in Loop: Header=BB4_8239 Depth=3
	s_or_b32 exec_lo, exec_lo, s13
	s_delay_alu instid0(VALU_DEP_2) | instskip(NEXT) | instid1(VALU_DEP_2)
	v_lshrrev_b64 v[4:5], 21, v[4:5]
	v_cmp_gt_i32_e32 vcc_lo, 32, v8
	v_min_i32_e32 v9, 31, v8
	v_cmp_eq_u32_e64 s13, 0, v8
	s_delay_alu instid0(VALU_DEP_4) | instskip(NEXT) | instid1(VALU_DEP_3)
	v_cndmask_b32_e32 v5, 0, v5, vcc_lo
	v_dual_cndmask_b32 v4, 3, v4 :: v_dual_lshlrev_b32 v9, 2, v9
	s_delay_alu instid0(VALU_DEP_1) | instskip(NEXT) | instid1(VALU_DEP_2)
	v_and_b32_e32 v9, 0xfc, v9
	v_cmp_eq_u64_e32 vcc_lo, 0, v[4:5]
	s_delay_alu instid0(VALU_DEP_2)
	v_and_or_b32 v4, v4, 3, v9
	s_and_b32 s13, s13, vcc_lo
	s_delay_alu instid0(VALU_DEP_1) | instid1(SALU_CYCLE_1)
	v_cndmask_b32_e64 v4, v4, 0, s13
	s_delay_alu instid0(VALU_DEP_1)
	v_or_b32_e32 v78, v4, v2
.LBB4_8597:                             ;   in Loop: Header=BB4_8239 Depth=3
	s_or_b32 exec_lo, exec_lo, s76
                                        ; implicit-def: $vgpr2
.LBB4_8598:                             ;   in Loop: Header=BB4_8239 Depth=3
	s_and_not1_saveexec_b32 s13, s75
; %bb.8599:                             ;   in Loop: Header=BB4_8239 Depth=3
	v_or_b32_e32 v78, 0x7b, v2
; %bb.8600:                             ;   in Loop: Header=BB4_8239 Depth=3
	s_or_b32 exec_lo, exec_lo, s13
                                        ; implicit-def: $vgpr8
                                        ; implicit-def: $vgpr4_vgpr5
                                        ; implicit-def: $vgpr2
.LBB4_8601:                             ;   in Loop: Header=BB4_8239 Depth=3
	s_and_not1_saveexec_b32 s13, s74
	s_cbranch_execz .LBB4_8607
; %bb.8602:                             ;   in Loop: Header=BB4_8239 Depth=3
	s_mov_b32 s74, exec_lo
                                        ; implicit-def: $vgpr78
	v_cmpx_ne_u64_e32 0, v[4:5]
	s_xor_b32 s74, exec_lo, s74
; %bb.8603:                             ;   in Loop: Header=BB4_8239 Depth=3
	v_or_b32_e32 v78, 0x7f, v2
                                        ; implicit-def: $vgpr8
; %bb.8604:                             ;   in Loop: Header=BB4_8239 Depth=3
	s_and_not1_saveexec_b32 s74, s74
; %bb.8605:                             ;   in Loop: Header=BB4_8239 Depth=3
	v_cmp_lt_i32_e32 vcc_lo, -1, v8
	v_cndmask_b32_e32 v78, 0xfc, v49, vcc_lo
; %bb.8606:                             ;   in Loop: Header=BB4_8239 Depth=3
	s_or_b32 exec_lo, exec_lo, s74
.LBB4_8607:                             ;   in Loop: Header=BB4_8239 Depth=3
	s_delay_alu instid0(SALU_CYCLE_1) | instskip(SKIP_4) | instid1(VALU_DEP_3)
	s_or_b32 exec_lo, exec_lo, s13
	v_and_b32_e32 v8, 0xff, v11
	v_dual_mov_b32 v4, v11 :: v_dual_mov_b32 v5, v3
	v_mov_b32_e32 v2, 0
	s_mov_b32 s13, exec_lo
	v_cmpx_ne_u16_e32 0, v8
	s_cbranch_execz .LBB4_8617
; %bb.8608:                             ;   in Loop: Header=BB4_8239 Depth=3
	v_bfrev_b32_e32 v2, 1
	s_mov_b32 s74, exec_lo
	v_cmpx_ne_u16_e32 0x80, v8
	s_cbranch_execz .LBB4_8616
; %bb.8609:                             ;   in Loop: Header=BB4_8239 Depth=3
	v_and_b32_e32 v2, 0x7c, v11
	v_and_b32_e32 v8, 3, v11
	s_delay_alu instid0(VALU_DEP_2) | instskip(SKIP_1) | instid1(SALU_CYCLE_1)
	v_cmp_ne_u32_e32 vcc_lo, 0x7c, v2
                                        ; implicit-def: $vgpr2
	s_and_saveexec_b32 s75, vcc_lo
	s_xor_b32 s75, exec_lo, s75
	s_cbranch_execz .LBB4_8613
; %bb.8610:                             ;   in Loop: Header=BB4_8239 Depth=3
	v_bfe_u32 v2, v11, 2, 5
	s_mov_b32 s76, exec_lo
	s_delay_alu instid0(VALU_DEP_1)
	v_cmpx_eq_u32_e32 0, v2
; %bb.8611:                             ;   in Loop: Header=BB4_8239 Depth=3
	v_clz_i32_u32_e32 v2, v8
	s_delay_alu instid0(VALU_DEP_1) | instskip(NEXT) | instid1(VALU_DEP_1)
	v_min_u32_e32 v2, 32, v2
	v_subrev_nc_u32_e32 v8, 29, v2
	s_delay_alu instid0(VALU_DEP_1) | instskip(NEXT) | instid1(VALU_DEP_1)
	v_lshlrev_b64_e32 v[8:9], v8, v[4:5]
	v_dual_sub_nc_u32 v2, 30, v2 :: v_dual_bitop2_b32 v8, 3, v8 bitop3:0x40
; %bb.8612:                             ;   in Loop: Header=BB4_8239 Depth=3
	s_or_b32 exec_lo, exec_lo, s76
	v_lshlrev_b32_e32 v5, 24, v11
	s_delay_alu instid0(VALU_DEP_1) | instskip(NEXT) | instid1(VALU_DEP_1)
	v_and_b32_e32 v5, 0x80000000, v5
	v_lshl_add_u32 v2, v2, 23, v5
	s_delay_alu instid0(VALU_DEP_1) | instskip(NEXT) | instid1(VALU_DEP_1)
	v_lshl_or_b32 v2, v8, 21, v2
                                        ; implicit-def: $vgpr8
	v_add_nc_u32_e32 v2, 0x38000000, v2
.LBB4_8613:                             ;   in Loop: Header=BB4_8239 Depth=3
	s_and_not1_saveexec_b32 s75, s75
; %bb.8614:                             ;   in Loop: Header=BB4_8239 Depth=3
	v_bfe_i32 v2, v11, 0, 8
	s_delay_alu instid0(VALU_DEP_1) | instskip(SKIP_2) | instid1(VALU_DEP_2)
	v_cmp_lt_i16_e32 vcc_lo, -1, v2
	v_cndmask_b32_e32 v2, 0xff800000, v48, vcc_lo
	v_cmp_eq_u32_e32 vcc_lo, 0, v8
	v_cndmask_b32_e32 v2, 0x7f800001, v2, vcc_lo
; %bb.8615:                             ;   in Loop: Header=BB4_8239 Depth=3
	s_or_b32 exec_lo, exec_lo, s75
.LBB4_8616:                             ;   in Loop: Header=BB4_8239 Depth=3
	s_delay_alu instid0(SALU_CYCLE_1)
	s_or_b32 exec_lo, exec_lo, s74
.LBB4_8617:                             ;   in Loop: Header=BB4_8239 Depth=3
	s_delay_alu instid0(SALU_CYCLE_1) | instskip(NEXT) | instid1(VALU_DEP_1)
	s_or_b32 exec_lo, exec_lo, s13
	v_dual_mul_f32 v5, s73, v2 :: v_dual_mov_b32 v13, v3
	v_mov_b32_e32 v9, v3
                                        ; implicit-def: $vgpr41
	s_mov_b32 s13, exec_lo
	s_delay_alu instid0(VALU_DEP_2) | instskip(SKIP_2) | instid1(VALU_DEP_3)
	v_and_b32_e32 v12, 0x7f800000, v5
	v_and_b32_e32 v8, 0x7fffff, v5
	v_lshrrev_b32_e32 v2, 24, v5
	v_cmpx_ne_u64_e32 0x7f800000, v[12:13]
	s_xor_b32 s74, exec_lo, s13
	s_cbranch_execz .LBB4_8631
; %bb.8618:                             ;   in Loop: Header=BB4_8239 Depth=3
	v_and_b32_e32 v12, 0x7fffffff, v5
	v_mov_b32_e32 v13, v3
	v_and_b32_e32 v2, 0x80, v2
                                        ; implicit-def: $vgpr41
	s_mov_b32 s13, exec_lo
	s_delay_alu instid0(VALU_DEP_2)
	v_cmpx_gt_u64_e32 0x47600001, v[12:13]
	s_xor_b32 s75, exec_lo, s13
	s_cbranch_execz .LBB4_8628
; %bb.8619:                             ;   in Loop: Header=BB4_8239 Depth=3
	v_mov_b32_e32 v41, 0
	s_mov_b32 s76, exec_lo
	v_cmpx_ne_u32_e32 0, v5
	s_cbranch_execz .LBB4_8627
; %bb.8620:                             ;   in Loop: Header=BB4_8239 Depth=3
	v_bfe_u32 v5, v5, 23, 8
	v_or_b32_e32 v15, 0x800000, v8
	s_delay_alu instid0(VALU_DEP_2) | instskip(SKIP_1) | instid1(VALU_DEP_2)
	v_sub_nc_u32_e32 v12, 0x71, v5
	v_cmp_gt_u32_e32 vcc_lo, 0x72, v5
	v_cndmask_b32_e32 v12, 0, v12, vcc_lo
	v_cmp_eq_u32_e32 vcc_lo, 0, v5
	s_delay_alu instid0(VALU_DEP_2) | instskip(NEXT) | instid1(VALU_DEP_1)
	v_cndmask_b32_e64 v14, v12, 0x70, vcc_lo
	v_dual_cndmask_b32 v8, v15, v8, vcc_lo :: v_dual_add_nc_u32 v12, 21, v14
	v_add_nc_u32_e32 v30, 20, v14
	s_delay_alu instid0(VALU_DEP_2) | instskip(NEXT) | instid1(VALU_DEP_2)
	v_lshlrev_b64_e64 v[12:13], v12, -1
	v_lshlrev_b64_e64 v[30:31], v30, 1
	s_delay_alu instid0(VALU_DEP_2) | instskip(SKIP_1) | instid1(VALU_DEP_4)
	v_bfi_b32 v12, v12, 0, v8
	v_lshrrev_b64 v[8:9], v14, v[8:9]
	v_bfi_b32 v13, v13, 0, 0
	s_delay_alu instid0(VALU_DEP_1) | instskip(NEXT) | instid1(VALU_DEP_3)
	v_cmp_eq_u64_e64 s13, v[12:13], v[30:31]
	v_mov_b64_e32 v[12:13], v[8:9]
	s_and_saveexec_b32 s77, s13
; %bb.8621:                             ;   in Loop: Header=BB4_8239 Depth=3
	v_bfe_u32 v12, v8, 21, 1
	v_mov_b32_e32 v13, v3
	s_delay_alu instid0(VALU_DEP_1) | instskip(NEXT) | instid1(VALU_DEP_1)
	v_add_nc_u64_e32 v[12:13], v[8:9], v[12:13]
	v_add_nc_u64_e32 v[12:13], -1, v[12:13]
; %bb.8622:                             ;   in Loop: Header=BB4_8239 Depth=3
	s_or_b32 exec_lo, exec_lo, s77
	v_add_nc_u32_e32 v5, 0xffffff81, v5
	v_lshrrev_b32_e32 v9, 23, v8
	s_mov_b32 s13, exec_lo
	s_delay_alu instid0(VALU_DEP_2) | instskip(NEXT) | instid1(VALU_DEP_1)
	v_cndmask_b32_e64 v5, v5, 0xffffff82, vcc_lo
	v_add3_u32 v13, v14, v5, v9
	v_and_b32_e32 v5, 0x1fffff, v12
	s_delay_alu instid0(VALU_DEP_2) | instskip(NEXT) | instid1(VALU_DEP_2)
	v_dual_mov_b32 v9, v3 :: v_dual_add_nc_u32 v12, 14, v13
	v_add_nc_u32_e32 v8, v5, v8
                                        ; implicit-def: $vgpr5
	s_delay_alu instid0(VALU_DEP_2)
	v_cmpx_ne_u32_e32 0, v12
	s_xor_b32 s13, exec_lo, s13
; %bb.8623:                             ;   in Loop: Header=BB4_8239 Depth=3
	s_delay_alu instid0(VALU_DEP_2) | instskip(SKIP_1) | instid1(VALU_DEP_1)
	v_cmp_lt_u64_e32 vcc_lo, 0xffffff, v[8:9]
	v_add_nc_u32_e32 v5, 15, v13
	v_cndmask_b32_e32 v5, v12, v5, vcc_lo
	v_cndmask_b32_e64 v12, 0, 1, vcc_lo
	s_delay_alu instid0(VALU_DEP_1)
	v_lshrrev_b64 v[8:9], v12, v[8:9]
; %bb.8624:                             ;   in Loop: Header=BB4_8239 Depth=3
	s_and_not1_saveexec_b32 s13, s13
; %bb.8625:                             ;   in Loop: Header=BB4_8239 Depth=3
	s_delay_alu instid0(VALU_DEP_1)
	v_bfe_u32 v5, v8, 23, 1
; %bb.8626:                             ;   in Loop: Header=BB4_8239 Depth=3
	s_or_b32 exec_lo, exec_lo, s13
	s_delay_alu instid0(VALU_DEP_2) | instskip(NEXT) | instid1(VALU_DEP_2)
	v_lshrrev_b64 v[8:9], 21, v[8:9]
	v_cmp_gt_i32_e32 vcc_lo, 32, v5
	v_min_i32_e32 v12, 31, v5
	v_cmp_eq_u32_e64 s13, 0, v5
	s_delay_alu instid0(VALU_DEP_4) | instskip(NEXT) | instid1(VALU_DEP_3)
	v_cndmask_b32_e32 v8, 3, v8, vcc_lo
	v_dual_cndmask_b32 v9, 0, v9 :: v_dual_lshlrev_b32 v12, 2, v12
	s_delay_alu instid0(VALU_DEP_1) | instskip(NEXT) | instid1(VALU_DEP_2)
	v_and_b32_e32 v12, 0xfc, v12
	v_cmp_eq_u64_e32 vcc_lo, 0, v[8:9]
	s_delay_alu instid0(VALU_DEP_2)
	v_and_or_b32 v5, v8, 3, v12
	s_and_b32 s13, s13, vcc_lo
	s_delay_alu instid0(VALU_DEP_1) | instid1(SALU_CYCLE_1)
	v_cndmask_b32_e64 v5, v5, 0, s13
	s_delay_alu instid0(VALU_DEP_1)
	v_or_b32_e32 v41, v5, v2
.LBB4_8627:                             ;   in Loop: Header=BB4_8239 Depth=3
	s_or_b32 exec_lo, exec_lo, s76
                                        ; implicit-def: $vgpr2
.LBB4_8628:                             ;   in Loop: Header=BB4_8239 Depth=3
	s_and_not1_saveexec_b32 s13, s75
; %bb.8629:                             ;   in Loop: Header=BB4_8239 Depth=3
	v_or_b32_e32 v41, 0x7b, v2
; %bb.8630:                             ;   in Loop: Header=BB4_8239 Depth=3
	s_or_b32 exec_lo, exec_lo, s13
                                        ; implicit-def: $vgpr5
                                        ; implicit-def: $vgpr8_vgpr9
                                        ; implicit-def: $vgpr2
.LBB4_8631:                             ;   in Loop: Header=BB4_8239 Depth=3
	s_and_not1_saveexec_b32 s13, s74
	s_cbranch_execz .LBB4_8637
; %bb.8632:                             ;   in Loop: Header=BB4_8239 Depth=3
	s_mov_b32 s74, exec_lo
                                        ; implicit-def: $vgpr41
	v_cmpx_ne_u64_e32 0, v[8:9]
	s_xor_b32 s74, exec_lo, s74
; %bb.8633:                             ;   in Loop: Header=BB4_8239 Depth=3
	v_or_b32_e32 v41, 0x7f, v2
                                        ; implicit-def: $vgpr5
; %bb.8634:                             ;   in Loop: Header=BB4_8239 Depth=3
	s_and_not1_saveexec_b32 s74, s74
; %bb.8635:                             ;   in Loop: Header=BB4_8239 Depth=3
	v_cmp_lt_i32_e32 vcc_lo, -1, v5
	v_cndmask_b32_e32 v41, 0xfc, v49, vcc_lo
; %bb.8636:                             ;   in Loop: Header=BB4_8239 Depth=3
	s_or_b32 exec_lo, exec_lo, s74
.LBB4_8637:                             ;   in Loop: Header=BB4_8239 Depth=3
	s_delay_alu instid0(SALU_CYCLE_1) | instskip(SKIP_3) | instid1(VALU_DEP_2)
	s_or_b32 exec_lo, exec_lo, s13
	v_lshrrev_b16 v8, 8, v4
	v_mov_b32_e32 v9, 0
	s_mov_b32 s13, exec_lo
	v_cmpx_ne_u16_e32 0, v8
	s_cbranch_execz .LBB4_8647
; %bb.8638:                             ;   in Loop: Header=BB4_8239 Depth=3
	v_bfrev_b32_e32 v9, 1
	s_mov_b32 s74, exec_lo
	v_cmpx_ne_u16_e32 0x80, v8
	s_cbranch_execz .LBB4_8646
; %bb.8639:                             ;   in Loop: Header=BB4_8239 Depth=3
	v_and_b32_e32 v5, 0xffff, v8
	s_delay_alu instid0(VALU_DEP_1) | instskip(SKIP_1) | instid1(VALU_DEP_2)
	v_and_b32_e32 v9, 0x7c, v5
	v_and_b32_e32 v2, 3, v5
	v_cmp_ne_u32_e32 vcc_lo, 0x7c, v9
                                        ; implicit-def: $vgpr9
	s_and_saveexec_b32 s75, vcc_lo
	s_delay_alu instid0(SALU_CYCLE_1)
	s_xor_b32 s75, exec_lo, s75
	s_cbranch_execz .LBB4_8643
; %bb.8640:                             ;   in Loop: Header=BB4_8239 Depth=3
	v_bfe_u32 v5, v5, 2, 5
	s_mov_b32 s76, exec_lo
	s_delay_alu instid0(VALU_DEP_1)
	v_cmpx_eq_u32_e32 0, v5
; %bb.8641:                             ;   in Loop: Header=BB4_8239 Depth=3
	v_clz_i32_u32_e32 v2, v2
	s_delay_alu instid0(VALU_DEP_1) | instskip(SKIP_1) | instid1(VALU_DEP_2)
	v_min_u32_e32 v2, 32, v2
	v_mov_b32_e32 v9, v3
	v_subrev_nc_u32_e32 v5, 29, v2
	s_delay_alu instid0(VALU_DEP_1) | instskip(NEXT) | instid1(VALU_DEP_1)
	v_lshlrev_b64_e32 v[8:9], v5, v[8:9]
	v_dual_sub_nc_u32 v5, 30, v2 :: v_dual_bitop2_b32 v2, 3, v8 bitop3:0x40
; %bb.8642:                             ;   in Loop: Header=BB4_8239 Depth=3
	s_or_b32 exec_lo, exec_lo, s76
	v_lshlrev_b32_e32 v4, 16, v4
	s_delay_alu instid0(VALU_DEP_1) | instskip(NEXT) | instid1(VALU_DEP_1)
	v_and_b32_e32 v4, 0x80000000, v4
	v_lshl_add_u32 v4, v5, 23, v4
	s_delay_alu instid0(VALU_DEP_1) | instskip(NEXT) | instid1(VALU_DEP_1)
	v_lshl_or_b32 v2, v2, 21, v4
                                        ; implicit-def: $vgpr4_vgpr5
	v_add_nc_u32_e32 v9, 0x38000000, v2
                                        ; implicit-def: $vgpr2
.LBB4_8643:                             ;   in Loop: Header=BB4_8239 Depth=3
	s_and_not1_saveexec_b32 s75, s75
; %bb.8644:                             ;   in Loop: Header=BB4_8239 Depth=3
	v_cmp_lt_i16_e32 vcc_lo, -1, v4
	v_cndmask_b32_e32 v4, 0xff800000, v48, vcc_lo
	v_cmp_eq_u32_e32 vcc_lo, 0, v2
	s_delay_alu instid0(VALU_DEP_2)
	v_cndmask_b32_e32 v9, 0x7f800001, v4, vcc_lo
; %bb.8645:                             ;   in Loop: Header=BB4_8239 Depth=3
	s_or_b32 exec_lo, exec_lo, s75
.LBB4_8646:                             ;   in Loop: Header=BB4_8239 Depth=3
	s_delay_alu instid0(SALU_CYCLE_1)
	s_or_b32 exec_lo, exec_lo, s74
.LBB4_8647:                             ;   in Loop: Header=BB4_8239 Depth=3
	s_delay_alu instid0(SALU_CYCLE_1) | instskip(NEXT) | instid1(VALU_DEP_1)
	s_or_b32 exec_lo, exec_lo, s13
	v_dual_mul_f32 v8, s73, v9 :: v_dual_mov_b32 v13, v3
	v_mov_b32_e32 v5, v3
                                        ; implicit-def: $vgpr63
	s_mov_b32 s13, exec_lo
	s_delay_alu instid0(VALU_DEP_2) | instskip(SKIP_2) | instid1(VALU_DEP_3)
	v_and_b32_e32 v12, 0x7f800000, v8
	v_and_b32_e32 v4, 0x7fffff, v8
	v_lshrrev_b32_e32 v2, 24, v8
	v_cmpx_ne_u64_e32 0x7f800000, v[12:13]
	s_xor_b32 s74, exec_lo, s13
	s_cbranch_execz .LBB4_8661
; %bb.8648:                             ;   in Loop: Header=BB4_8239 Depth=3
	v_and_b32_e32 v12, 0x7fffffff, v8
	v_mov_b32_e32 v13, v3
	v_and_b32_e32 v2, 0x80, v2
                                        ; implicit-def: $vgpr63
	s_mov_b32 s13, exec_lo
	s_delay_alu instid0(VALU_DEP_2)
	v_cmpx_gt_u64_e32 0x47600001, v[12:13]
	s_xor_b32 s75, exec_lo, s13
	s_cbranch_execz .LBB4_8658
; %bb.8649:                             ;   in Loop: Header=BB4_8239 Depth=3
	v_mov_b32_e32 v63, 0
	s_mov_b32 s76, exec_lo
	v_cmpx_ne_u32_e32 0, v8
	s_cbranch_execz .LBB4_8657
; %bb.8650:                             ;   in Loop: Header=BB4_8239 Depth=3
	v_bfe_u32 v12, v8, 23, 8
	v_or_b32_e32 v14, 0x800000, v4
	s_delay_alu instid0(VALU_DEP_2) | instskip(SKIP_1) | instid1(VALU_DEP_2)
	v_sub_nc_u32_e32 v8, 0x71, v12
	v_cmp_gt_u32_e32 vcc_lo, 0x72, v12
	v_cndmask_b32_e32 v8, 0, v8, vcc_lo
	v_cmp_eq_u32_e32 vcc_lo, 0, v12
	s_delay_alu instid0(VALU_DEP_2) | instskip(NEXT) | instid1(VALU_DEP_1)
	v_cndmask_b32_e64 v13, v8, 0x70, vcc_lo
	v_dual_cndmask_b32 v4, v14, v4, vcc_lo :: v_dual_add_nc_u32 v8, 21, v13
	v_add_nc_u32_e32 v15, 20, v13
	s_delay_alu instid0(VALU_DEP_2) | instskip(NEXT) | instid1(VALU_DEP_2)
	v_lshlrev_b64_e64 v[8:9], v8, -1
	v_lshlrev_b64_e64 v[14:15], v15, 1
	s_delay_alu instid0(VALU_DEP_2) | instskip(SKIP_1) | instid1(VALU_DEP_4)
	v_bfi_b32 v8, v8, 0, v4
	v_lshrrev_b64 v[4:5], v13, v[4:5]
	v_bfi_b32 v9, v9, 0, 0
	s_delay_alu instid0(VALU_DEP_1) | instskip(NEXT) | instid1(VALU_DEP_3)
	v_cmp_eq_u64_e64 s13, v[8:9], v[14:15]
	v_mov_b64_e32 v[8:9], v[4:5]
	s_and_saveexec_b32 s77, s13
; %bb.8651:                             ;   in Loop: Header=BB4_8239 Depth=3
	v_bfe_u32 v8, v4, 21, 1
	v_mov_b32_e32 v9, v3
	s_delay_alu instid0(VALU_DEP_1) | instskip(NEXT) | instid1(VALU_DEP_1)
	v_add_nc_u64_e32 v[8:9], v[4:5], v[8:9]
	v_add_nc_u64_e32 v[8:9], -1, v[8:9]
; %bb.8652:                             ;   in Loop: Header=BB4_8239 Depth=3
	s_or_b32 exec_lo, exec_lo, s77
	v_add_nc_u32_e32 v5, 0xffffff81, v12
	v_lshrrev_b32_e32 v9, 23, v4
	s_mov_b32 s13, exec_lo
	s_delay_alu instid0(VALU_DEP_2) | instskip(NEXT) | instid1(VALU_DEP_1)
	v_cndmask_b32_e64 v5, v5, 0xffffff82, vcc_lo
	v_add3_u32 v9, v13, v5, v9
	v_and_b32_e32 v5, 0x1fffff, v8
                                        ; implicit-def: $vgpr8
	s_delay_alu instid0(VALU_DEP_1) | instskip(SKIP_1) | instid1(VALU_DEP_2)
	v_dual_add_nc_u32 v12, 14, v9 :: v_dual_add_nc_u32 v4, v5, v4
	v_mov_b32_e32 v5, v3
	v_cmpx_ne_u32_e32 0, v12
	s_xor_b32 s13, exec_lo, s13
; %bb.8653:                             ;   in Loop: Header=BB4_8239 Depth=3
	s_delay_alu instid0(VALU_DEP_2) | instskip(SKIP_2) | instid1(VALU_DEP_2)
	v_cmp_lt_u64_e32 vcc_lo, 0xffffff, v[4:5]
	v_add_nc_u32_e32 v8, 15, v9
	v_cndmask_b32_e64 v9, 0, 1, vcc_lo
	v_cndmask_b32_e32 v8, v12, v8, vcc_lo
	s_delay_alu instid0(VALU_DEP_2)
	v_lshrrev_b64 v[4:5], v9, v[4:5]
; %bb.8654:                             ;   in Loop: Header=BB4_8239 Depth=3
	s_and_not1_saveexec_b32 s13, s13
; %bb.8655:                             ;   in Loop: Header=BB4_8239 Depth=3
	s_delay_alu instid0(VALU_DEP_1)
	v_bfe_u32 v8, v4, 23, 1
; %bb.8656:                             ;   in Loop: Header=BB4_8239 Depth=3
	s_or_b32 exec_lo, exec_lo, s13
	s_delay_alu instid0(VALU_DEP_2) | instskip(NEXT) | instid1(VALU_DEP_2)
	v_lshrrev_b64 v[4:5], 21, v[4:5]
	v_cmp_gt_i32_e32 vcc_lo, 32, v8
	v_min_i32_e32 v9, 31, v8
	v_cmp_eq_u32_e64 s13, 0, v8
	s_delay_alu instid0(VALU_DEP_4) | instskip(NEXT) | instid1(VALU_DEP_3)
	v_cndmask_b32_e32 v5, 0, v5, vcc_lo
	v_dual_cndmask_b32 v4, 3, v4 :: v_dual_lshlrev_b32 v9, 2, v9
	s_delay_alu instid0(VALU_DEP_1) | instskip(NEXT) | instid1(VALU_DEP_2)
	v_and_b32_e32 v9, 0xfc, v9
	v_cmp_eq_u64_e32 vcc_lo, 0, v[4:5]
	s_delay_alu instid0(VALU_DEP_2)
	v_and_or_b32 v4, v4, 3, v9
	s_and_b32 s13, s13, vcc_lo
	s_delay_alu instid0(VALU_DEP_1) | instid1(SALU_CYCLE_1)
	v_cndmask_b32_e64 v4, v4, 0, s13
	s_delay_alu instid0(VALU_DEP_1)
	v_or_b32_e32 v63, v4, v2
.LBB4_8657:                             ;   in Loop: Header=BB4_8239 Depth=3
	s_or_b32 exec_lo, exec_lo, s76
                                        ; implicit-def: $vgpr2
.LBB4_8658:                             ;   in Loop: Header=BB4_8239 Depth=3
	s_and_not1_saveexec_b32 s13, s75
; %bb.8659:                             ;   in Loop: Header=BB4_8239 Depth=3
	v_or_b32_e32 v63, 0x7b, v2
; %bb.8660:                             ;   in Loop: Header=BB4_8239 Depth=3
	s_or_b32 exec_lo, exec_lo, s13
                                        ; implicit-def: $vgpr8
                                        ; implicit-def: $vgpr4_vgpr5
                                        ; implicit-def: $vgpr2
.LBB4_8661:                             ;   in Loop: Header=BB4_8239 Depth=3
	s_and_not1_saveexec_b32 s13, s74
	s_cbranch_execz .LBB4_8667
; %bb.8662:                             ;   in Loop: Header=BB4_8239 Depth=3
	s_mov_b32 s74, exec_lo
                                        ; implicit-def: $vgpr63
	v_cmpx_ne_u64_e32 0, v[4:5]
	s_xor_b32 s74, exec_lo, s74
; %bb.8663:                             ;   in Loop: Header=BB4_8239 Depth=3
	v_or_b32_e32 v63, 0x7f, v2
                                        ; implicit-def: $vgpr8
; %bb.8664:                             ;   in Loop: Header=BB4_8239 Depth=3
	s_and_not1_saveexec_b32 s74, s74
; %bb.8665:                             ;   in Loop: Header=BB4_8239 Depth=3
	v_cmp_lt_i32_e32 vcc_lo, -1, v8
	v_cndmask_b32_e32 v63, 0xfc, v49, vcc_lo
; %bb.8666:                             ;   in Loop: Header=BB4_8239 Depth=3
	s_or_b32 exec_lo, exec_lo, s74
.LBB4_8667:                             ;   in Loop: Header=BB4_8239 Depth=3
	s_delay_alu instid0(SALU_CYCLE_1) | instskip(SKIP_2) | instid1(VALU_DEP_1)
	s_or_b32 exec_lo, exec_lo, s13
	v_dual_lshrrev_b32 v2, 16, v11 :: v_dual_mov_b32 v4, 0
	s_mov_b32 s13, exec_lo
	v_and_b32_e32 v5, 0xff, v2
	s_delay_alu instid0(VALU_DEP_1)
	v_cmpx_ne_u16_e32 0, v5
	s_cbranch_execz .LBB4_8677
; %bb.8668:                             ;   in Loop: Header=BB4_8239 Depth=3
	v_bfrev_b32_e32 v4, 1
	s_mov_b32 s74, exec_lo
	v_cmpx_ne_u16_e32 0x80, v5
	s_cbranch_execz .LBB4_8676
; %bb.8669:                             ;   in Loop: Header=BB4_8239 Depth=3
	v_and_b32_e32 v4, 0x7c0000, v11
	v_bfe_u32 v5, v11, 16, 2
	s_delay_alu instid0(VALU_DEP_2) | instskip(SKIP_1) | instid1(SALU_CYCLE_1)
	v_cmp_ne_u32_e32 vcc_lo, 0x7c0000, v4
                                        ; implicit-def: $vgpr4
	s_and_saveexec_b32 s75, vcc_lo
	s_xor_b32 s75, exec_lo, s75
	s_cbranch_execz .LBB4_8673
; %bb.8670:                             ;   in Loop: Header=BB4_8239 Depth=3
	v_bfe_u32 v4, v11, 18, 5
	s_mov_b32 s76, exec_lo
	s_delay_alu instid0(VALU_DEP_1)
	v_cmpx_eq_u32_e32 0, v4
; %bb.8671:                             ;   in Loop: Header=BB4_8239 Depth=3
	v_clz_i32_u32_e32 v4, v5
	s_delay_alu instid0(VALU_DEP_1) | instskip(NEXT) | instid1(VALU_DEP_1)
	v_min_u32_e32 v4, 32, v4
	v_subrev_nc_u32_e32 v5, 29, v4
	v_sub_nc_u32_e32 v4, 30, v4
	s_delay_alu instid0(VALU_DEP_2) | instskip(NEXT) | instid1(VALU_DEP_1)
	v_lshlrev_b64_e32 v[8:9], v5, v[2:3]
	v_and_b32_e32 v5, 3, v8
; %bb.8672:                             ;   in Loop: Header=BB4_8239 Depth=3
	s_or_b32 exec_lo, exec_lo, s76
	v_lshlrev_b32_e32 v2, 24, v2
	s_delay_alu instid0(VALU_DEP_1) | instskip(NEXT) | instid1(VALU_DEP_1)
	v_and_b32_e32 v2, 0x80000000, v2
	v_lshl_add_u32 v2, v4, 23, v2
	s_delay_alu instid0(VALU_DEP_1) | instskip(NEXT) | instid1(VALU_DEP_1)
	v_lshl_or_b32 v2, v5, 21, v2
                                        ; implicit-def: $vgpr5
	v_add_nc_u32_e32 v4, 0x38000000, v2
                                        ; implicit-def: $vgpr2
.LBB4_8673:                             ;   in Loop: Header=BB4_8239 Depth=3
	s_and_not1_saveexec_b32 s75, s75
; %bb.8674:                             ;   in Loop: Header=BB4_8239 Depth=3
	v_bfe_i32 v2, v2, 0, 8
	s_delay_alu instid0(VALU_DEP_1) | instskip(SKIP_2) | instid1(VALU_DEP_2)
	v_cmp_lt_i16_e32 vcc_lo, -1, v2
	v_cndmask_b32_e32 v2, 0xff800000, v48, vcc_lo
	v_cmp_eq_u32_e32 vcc_lo, 0, v5
	v_cndmask_b32_e32 v4, 0x7f800001, v2, vcc_lo
; %bb.8675:                             ;   in Loop: Header=BB4_8239 Depth=3
	s_or_b32 exec_lo, exec_lo, s75
.LBB4_8676:                             ;   in Loop: Header=BB4_8239 Depth=3
	s_delay_alu instid0(SALU_CYCLE_1)
	s_or_b32 exec_lo, exec_lo, s74
.LBB4_8677:                             ;   in Loop: Header=BB4_8239 Depth=3
	s_delay_alu instid0(SALU_CYCLE_1) | instskip(NEXT) | instid1(VALU_DEP_1)
	s_or_b32 exec_lo, exec_lo, s13
	v_dual_mul_f32 v8, s73, v4 :: v_dual_mov_b32 v13, v3
	v_mov_b32_e32 v5, v3
                                        ; implicit-def: $vgpr74
	s_mov_b32 s13, exec_lo
	s_delay_alu instid0(VALU_DEP_2) | instskip(SKIP_2) | instid1(VALU_DEP_3)
	v_and_b32_e32 v12, 0x7f800000, v8
	v_and_b32_e32 v4, 0x7fffff, v8
	v_lshrrev_b32_e32 v2, 24, v8
	v_cmpx_ne_u64_e32 0x7f800000, v[12:13]
	s_xor_b32 s74, exec_lo, s13
	s_cbranch_execz .LBB4_8691
; %bb.8678:                             ;   in Loop: Header=BB4_8239 Depth=3
	v_and_b32_e32 v12, 0x7fffffff, v8
	v_mov_b32_e32 v13, v3
	v_and_b32_e32 v2, 0x80, v2
                                        ; implicit-def: $vgpr74
	s_mov_b32 s13, exec_lo
	s_delay_alu instid0(VALU_DEP_2)
	v_cmpx_gt_u64_e32 0x47600001, v[12:13]
	s_xor_b32 s75, exec_lo, s13
	s_cbranch_execz .LBB4_8688
; %bb.8679:                             ;   in Loop: Header=BB4_8239 Depth=3
	v_mov_b32_e32 v74, 0
	s_mov_b32 s76, exec_lo
	v_cmpx_ne_u32_e32 0, v8
	s_cbranch_execz .LBB4_8687
; %bb.8680:                             ;   in Loop: Header=BB4_8239 Depth=3
	v_bfe_u32 v12, v8, 23, 8
	v_or_b32_e32 v14, 0x800000, v4
	s_delay_alu instid0(VALU_DEP_2) | instskip(SKIP_1) | instid1(VALU_DEP_2)
	v_sub_nc_u32_e32 v8, 0x71, v12
	v_cmp_gt_u32_e32 vcc_lo, 0x72, v12
	v_cndmask_b32_e32 v8, 0, v8, vcc_lo
	v_cmp_eq_u32_e32 vcc_lo, 0, v12
	s_delay_alu instid0(VALU_DEP_2) | instskip(NEXT) | instid1(VALU_DEP_1)
	v_cndmask_b32_e64 v13, v8, 0x70, vcc_lo
	v_dual_cndmask_b32 v4, v14, v4, vcc_lo :: v_dual_add_nc_u32 v8, 21, v13
	v_add_nc_u32_e32 v15, 20, v13
	s_delay_alu instid0(VALU_DEP_2) | instskip(NEXT) | instid1(VALU_DEP_2)
	v_lshlrev_b64_e64 v[8:9], v8, -1
	v_lshlrev_b64_e64 v[14:15], v15, 1
	s_delay_alu instid0(VALU_DEP_2) | instskip(SKIP_1) | instid1(VALU_DEP_4)
	v_bfi_b32 v8, v8, 0, v4
	v_lshrrev_b64 v[4:5], v13, v[4:5]
	v_bfi_b32 v9, v9, 0, 0
	s_delay_alu instid0(VALU_DEP_1) | instskip(NEXT) | instid1(VALU_DEP_3)
	v_cmp_eq_u64_e64 s13, v[8:9], v[14:15]
	v_mov_b64_e32 v[8:9], v[4:5]
	s_and_saveexec_b32 s77, s13
; %bb.8681:                             ;   in Loop: Header=BB4_8239 Depth=3
	v_bfe_u32 v8, v4, 21, 1
	v_mov_b32_e32 v9, v3
	s_delay_alu instid0(VALU_DEP_1) | instskip(NEXT) | instid1(VALU_DEP_1)
	v_add_nc_u64_e32 v[8:9], v[4:5], v[8:9]
	v_add_nc_u64_e32 v[8:9], -1, v[8:9]
; %bb.8682:                             ;   in Loop: Header=BB4_8239 Depth=3
	s_or_b32 exec_lo, exec_lo, s77
	v_add_nc_u32_e32 v5, 0xffffff81, v12
	v_lshrrev_b32_e32 v9, 23, v4
	s_mov_b32 s13, exec_lo
	s_delay_alu instid0(VALU_DEP_2) | instskip(NEXT) | instid1(VALU_DEP_1)
	v_cndmask_b32_e64 v5, v5, 0xffffff82, vcc_lo
	v_add3_u32 v9, v13, v5, v9
	v_and_b32_e32 v5, 0x1fffff, v8
                                        ; implicit-def: $vgpr8
	s_delay_alu instid0(VALU_DEP_1) | instskip(SKIP_1) | instid1(VALU_DEP_2)
	v_dual_add_nc_u32 v12, 14, v9 :: v_dual_add_nc_u32 v4, v5, v4
	v_mov_b32_e32 v5, v3
	v_cmpx_ne_u32_e32 0, v12
	s_xor_b32 s13, exec_lo, s13
; %bb.8683:                             ;   in Loop: Header=BB4_8239 Depth=3
	s_delay_alu instid0(VALU_DEP_2) | instskip(SKIP_2) | instid1(VALU_DEP_2)
	v_cmp_lt_u64_e32 vcc_lo, 0xffffff, v[4:5]
	v_add_nc_u32_e32 v8, 15, v9
	v_cndmask_b32_e64 v9, 0, 1, vcc_lo
	v_cndmask_b32_e32 v8, v12, v8, vcc_lo
	s_delay_alu instid0(VALU_DEP_2)
	v_lshrrev_b64 v[4:5], v9, v[4:5]
; %bb.8684:                             ;   in Loop: Header=BB4_8239 Depth=3
	s_and_not1_saveexec_b32 s13, s13
; %bb.8685:                             ;   in Loop: Header=BB4_8239 Depth=3
	s_delay_alu instid0(VALU_DEP_1)
	v_bfe_u32 v8, v4, 23, 1
; %bb.8686:                             ;   in Loop: Header=BB4_8239 Depth=3
	s_or_b32 exec_lo, exec_lo, s13
	s_delay_alu instid0(VALU_DEP_2) | instskip(NEXT) | instid1(VALU_DEP_2)
	v_lshrrev_b64 v[4:5], 21, v[4:5]
	v_cmp_gt_i32_e32 vcc_lo, 32, v8
	v_min_i32_e32 v9, 31, v8
	v_cmp_eq_u32_e64 s13, 0, v8
	s_delay_alu instid0(VALU_DEP_4) | instskip(NEXT) | instid1(VALU_DEP_3)
	v_cndmask_b32_e32 v5, 0, v5, vcc_lo
	v_dual_cndmask_b32 v4, 3, v4 :: v_dual_lshlrev_b32 v9, 2, v9
	s_delay_alu instid0(VALU_DEP_1) | instskip(NEXT) | instid1(VALU_DEP_2)
	v_and_b32_e32 v9, 0xfc, v9
	v_cmp_eq_u64_e32 vcc_lo, 0, v[4:5]
	s_delay_alu instid0(VALU_DEP_2)
	v_and_or_b32 v4, v4, 3, v9
	s_and_b32 s13, s13, vcc_lo
	s_delay_alu instid0(VALU_DEP_1) | instid1(SALU_CYCLE_1)
	v_cndmask_b32_e64 v4, v4, 0, s13
	s_delay_alu instid0(VALU_DEP_1)
	v_or_b32_e32 v74, v4, v2
.LBB4_8687:                             ;   in Loop: Header=BB4_8239 Depth=3
	s_or_b32 exec_lo, exec_lo, s76
                                        ; implicit-def: $vgpr2
.LBB4_8688:                             ;   in Loop: Header=BB4_8239 Depth=3
	s_and_not1_saveexec_b32 s13, s75
; %bb.8689:                             ;   in Loop: Header=BB4_8239 Depth=3
	v_or_b32_e32 v74, 0x7b, v2
; %bb.8690:                             ;   in Loop: Header=BB4_8239 Depth=3
	s_or_b32 exec_lo, exec_lo, s13
                                        ; implicit-def: $vgpr8
                                        ; implicit-def: $vgpr4_vgpr5
                                        ; implicit-def: $vgpr2
.LBB4_8691:                             ;   in Loop: Header=BB4_8239 Depth=3
	s_and_not1_saveexec_b32 s13, s74
	s_cbranch_execz .LBB4_8697
; %bb.8692:                             ;   in Loop: Header=BB4_8239 Depth=3
	s_mov_b32 s74, exec_lo
                                        ; implicit-def: $vgpr74
	v_cmpx_ne_u64_e32 0, v[4:5]
	s_xor_b32 s74, exec_lo, s74
; %bb.8693:                             ;   in Loop: Header=BB4_8239 Depth=3
	v_or_b32_e32 v74, 0x7f, v2
                                        ; implicit-def: $vgpr8
; %bb.8694:                             ;   in Loop: Header=BB4_8239 Depth=3
	s_and_not1_saveexec_b32 s74, s74
; %bb.8695:                             ;   in Loop: Header=BB4_8239 Depth=3
	v_cmp_lt_i32_e32 vcc_lo, -1, v8
	v_cndmask_b32_e32 v74, 0xfc, v49, vcc_lo
; %bb.8696:                             ;   in Loop: Header=BB4_8239 Depth=3
	s_or_b32 exec_lo, exec_lo, s74
.LBB4_8697:                             ;   in Loop: Header=BB4_8239 Depth=3
	s_delay_alu instid0(SALU_CYCLE_1)
	s_or_b32 exec_lo, exec_lo, s13
	v_mov_b32_e32 v4, 0
	s_mov_b32 s13, exec_lo
	v_cmpx_lt_u64_e64 s[22:23], v[10:11]
	s_cbranch_execz .LBB4_8707
; %bb.8698:                             ;   in Loop: Header=BB4_8239 Depth=3
	v_lshrrev_b32_e32 v2, 24, v11
	v_bfrev_b32_e32 v4, 1
	s_mov_b32 s74, exec_lo
	s_delay_alu instid0(VALU_DEP_2)
	v_cmpx_ne_u32_e32 0x80, v2
	s_cbranch_execz .LBB4_8706
; %bb.8699:                             ;   in Loop: Header=BB4_8239 Depth=3
	v_and_b32_e32 v4, 0x7c000000, v11
	v_bfe_u32 v5, v11, 24, 2
	s_delay_alu instid0(VALU_DEP_2) | instskip(SKIP_1) | instid1(SALU_CYCLE_1)
	v_cmp_ne_u32_e32 vcc_lo, 0x7c000000, v4
                                        ; implicit-def: $vgpr4
	s_and_saveexec_b32 s75, vcc_lo
	s_xor_b32 s75, exec_lo, s75
	s_cbranch_execz .LBB4_8703
; %bb.8700:                             ;   in Loop: Header=BB4_8239 Depth=3
	v_bfe_u32 v4, v11, 26, 5
	s_mov_b32 s76, exec_lo
	s_delay_alu instid0(VALU_DEP_1)
	v_cmpx_eq_u32_e32 0, v4
; %bb.8701:                             ;   in Loop: Header=BB4_8239 Depth=3
	v_clz_i32_u32_e32 v4, v5
	s_delay_alu instid0(VALU_DEP_1) | instskip(NEXT) | instid1(VALU_DEP_1)
	v_min_u32_e32 v4, 32, v4
	v_subrev_nc_u32_e32 v5, 29, v4
	v_sub_nc_u32_e32 v4, 30, v4
	s_delay_alu instid0(VALU_DEP_2) | instskip(NEXT) | instid1(VALU_DEP_1)
	v_lshlrev_b64_e32 v[8:9], v5, v[2:3]
	v_and_b32_e32 v5, 3, v8
; %bb.8702:                             ;   in Loop: Header=BB4_8239 Depth=3
	s_or_b32 exec_lo, exec_lo, s76
	v_and_b32_e32 v2, 0x80000000, v11
                                        ; implicit-def: $vgpr10_vgpr11
	s_delay_alu instid0(VALU_DEP_1) | instskip(NEXT) | instid1(VALU_DEP_1)
	v_lshl_add_u32 v2, v4, 23, v2
	v_lshl_or_b32 v2, v5, 21, v2
                                        ; implicit-def: $vgpr5
	s_delay_alu instid0(VALU_DEP_1)
	v_add_nc_u32_e32 v4, 0x38000000, v2
.LBB4_8703:                             ;   in Loop: Header=BB4_8239 Depth=3
	s_and_not1_saveexec_b32 s75, s75
; %bb.8704:                             ;   in Loop: Header=BB4_8239 Depth=3
	v_cmp_lt_i64_e32 vcc_lo, -1, v[10:11]
	v_cndmask_b32_e32 v2, 0xff800000, v48, vcc_lo
	v_cmp_eq_u32_e32 vcc_lo, 0, v5
	s_delay_alu instid0(VALU_DEP_2)
	v_cndmask_b32_e32 v4, 0x7f800001, v2, vcc_lo
; %bb.8705:                             ;   in Loop: Header=BB4_8239 Depth=3
	s_or_b32 exec_lo, exec_lo, s75
.LBB4_8706:                             ;   in Loop: Header=BB4_8239 Depth=3
	s_delay_alu instid0(SALU_CYCLE_1)
	s_or_b32 exec_lo, exec_lo, s74
.LBB4_8707:                             ;   in Loop: Header=BB4_8239 Depth=3
	s_delay_alu instid0(SALU_CYCLE_1) | instskip(NEXT) | instid1(VALU_DEP_1)
	s_or_b32 exec_lo, exec_lo, s13
	v_dual_mul_f32 v8, s73, v4 :: v_dual_mov_b32 v11, v3
	v_mov_b32_e32 v5, v3
                                        ; implicit-def: $vgpr76
	s_mov_b32 s13, exec_lo
	s_delay_alu instid0(VALU_DEP_2) | instskip(SKIP_2) | instid1(VALU_DEP_3)
	v_and_b32_e32 v10, 0x7f800000, v8
	v_and_b32_e32 v4, 0x7fffff, v8
	v_lshrrev_b32_e32 v2, 24, v8
	v_cmpx_ne_u64_e32 0x7f800000, v[10:11]
	s_xor_b32 s74, exec_lo, s13
	s_cbranch_execz .LBB4_8721
; %bb.8708:                             ;   in Loop: Header=BB4_8239 Depth=3
	v_and_b32_e32 v10, 0x7fffffff, v8
	v_mov_b32_e32 v11, v3
	v_and_b32_e32 v2, 0x80, v2
                                        ; implicit-def: $vgpr76
	s_mov_b32 s13, exec_lo
	s_delay_alu instid0(VALU_DEP_2)
	v_cmpx_gt_u64_e32 0x47600001, v[10:11]
	s_xor_b32 s75, exec_lo, s13
	s_cbranch_execz .LBB4_8718
; %bb.8709:                             ;   in Loop: Header=BB4_8239 Depth=3
	v_mov_b32_e32 v76, 0
	s_mov_b32 s76, exec_lo
	v_cmpx_ne_u32_e32 0, v8
	s_cbranch_execz .LBB4_8717
; %bb.8710:                             ;   in Loop: Header=BB4_8239 Depth=3
	v_bfe_u32 v10, v8, 23, 8
	v_or_b32_e32 v12, 0x800000, v4
	s_delay_alu instid0(VALU_DEP_2) | instskip(SKIP_1) | instid1(VALU_DEP_2)
	v_sub_nc_u32_e32 v8, 0x71, v10
	v_cmp_gt_u32_e32 vcc_lo, 0x72, v10
	v_cndmask_b32_e32 v8, 0, v8, vcc_lo
	v_cmp_eq_u32_e32 vcc_lo, 0, v10
	s_delay_alu instid0(VALU_DEP_2) | instskip(NEXT) | instid1(VALU_DEP_1)
	v_cndmask_b32_e64 v11, v8, 0x70, vcc_lo
	v_dual_cndmask_b32 v4, v12, v4, vcc_lo :: v_dual_add_nc_u32 v8, 21, v11
	v_add_nc_u32_e32 v13, 20, v11
	s_delay_alu instid0(VALU_DEP_2) | instskip(NEXT) | instid1(VALU_DEP_2)
	v_lshlrev_b64_e64 v[8:9], v8, -1
	v_lshlrev_b64_e64 v[12:13], v13, 1
	s_delay_alu instid0(VALU_DEP_2) | instskip(SKIP_1) | instid1(VALU_DEP_4)
	v_bfi_b32 v8, v8, 0, v4
	v_lshrrev_b64 v[4:5], v11, v[4:5]
	v_bfi_b32 v9, v9, 0, 0
	s_delay_alu instid0(VALU_DEP_1) | instskip(NEXT) | instid1(VALU_DEP_3)
	v_cmp_eq_u64_e64 s13, v[8:9], v[12:13]
	v_mov_b64_e32 v[8:9], v[4:5]
	s_and_saveexec_b32 s77, s13
; %bb.8711:                             ;   in Loop: Header=BB4_8239 Depth=3
	v_bfe_u32 v8, v4, 21, 1
	v_mov_b32_e32 v9, v3
	s_delay_alu instid0(VALU_DEP_1) | instskip(NEXT) | instid1(VALU_DEP_1)
	v_add_nc_u64_e32 v[8:9], v[4:5], v[8:9]
	v_add_nc_u64_e32 v[8:9], -1, v[8:9]
; %bb.8712:                             ;   in Loop: Header=BB4_8239 Depth=3
	s_or_b32 exec_lo, exec_lo, s77
	v_add_nc_u32_e32 v5, 0xffffff81, v10
	v_lshrrev_b32_e32 v9, 23, v4
	s_mov_b32 s13, exec_lo
	s_delay_alu instid0(VALU_DEP_2) | instskip(NEXT) | instid1(VALU_DEP_1)
	v_cndmask_b32_e64 v5, v5, 0xffffff82, vcc_lo
	v_add3_u32 v9, v11, v5, v9
	v_and_b32_e32 v5, 0x1fffff, v8
                                        ; implicit-def: $vgpr8
	s_delay_alu instid0(VALU_DEP_1) | instskip(SKIP_1) | instid1(VALU_DEP_2)
	v_dual_add_nc_u32 v10, 14, v9 :: v_dual_add_nc_u32 v4, v5, v4
	v_mov_b32_e32 v5, v3
	v_cmpx_ne_u32_e32 0, v10
	s_xor_b32 s13, exec_lo, s13
; %bb.8713:                             ;   in Loop: Header=BB4_8239 Depth=3
	s_delay_alu instid0(VALU_DEP_2) | instskip(SKIP_2) | instid1(VALU_DEP_2)
	v_cmp_lt_u64_e32 vcc_lo, 0xffffff, v[4:5]
	v_add_nc_u32_e32 v8, 15, v9
	v_cndmask_b32_e64 v9, 0, 1, vcc_lo
	v_cndmask_b32_e32 v8, v10, v8, vcc_lo
	s_delay_alu instid0(VALU_DEP_2)
	v_lshrrev_b64 v[4:5], v9, v[4:5]
; %bb.8714:                             ;   in Loop: Header=BB4_8239 Depth=3
	s_and_not1_saveexec_b32 s13, s13
; %bb.8715:                             ;   in Loop: Header=BB4_8239 Depth=3
	s_delay_alu instid0(VALU_DEP_1)
	v_bfe_u32 v8, v4, 23, 1
; %bb.8716:                             ;   in Loop: Header=BB4_8239 Depth=3
	s_or_b32 exec_lo, exec_lo, s13
	s_delay_alu instid0(VALU_DEP_2) | instskip(NEXT) | instid1(VALU_DEP_2)
	v_lshrrev_b64 v[4:5], 21, v[4:5]
	v_cmp_gt_i32_e32 vcc_lo, 32, v8
	v_min_i32_e32 v9, 31, v8
	v_cmp_eq_u32_e64 s13, 0, v8
	s_delay_alu instid0(VALU_DEP_4) | instskip(NEXT) | instid1(VALU_DEP_3)
	v_cndmask_b32_e32 v5, 0, v5, vcc_lo
	v_dual_cndmask_b32 v4, 3, v4 :: v_dual_lshlrev_b32 v9, 2, v9
	s_delay_alu instid0(VALU_DEP_1) | instskip(NEXT) | instid1(VALU_DEP_2)
	v_and_b32_e32 v9, 0xfc, v9
	v_cmp_eq_u64_e32 vcc_lo, 0, v[4:5]
	s_delay_alu instid0(VALU_DEP_2)
	v_and_or_b32 v4, v4, 3, v9
	s_and_b32 s13, s13, vcc_lo
	s_delay_alu instid0(VALU_DEP_1) | instid1(SALU_CYCLE_1)
	v_cndmask_b32_e64 v4, v4, 0, s13
	s_delay_alu instid0(VALU_DEP_1)
	v_or_b32_e32 v76, v4, v2
.LBB4_8717:                             ;   in Loop: Header=BB4_8239 Depth=3
	s_or_b32 exec_lo, exec_lo, s76
                                        ; implicit-def: $vgpr2
.LBB4_8718:                             ;   in Loop: Header=BB4_8239 Depth=3
	s_and_not1_saveexec_b32 s13, s75
; %bb.8719:                             ;   in Loop: Header=BB4_8239 Depth=3
	v_or_b32_e32 v76, 0x7b, v2
; %bb.8720:                             ;   in Loop: Header=BB4_8239 Depth=3
	s_or_b32 exec_lo, exec_lo, s13
                                        ; implicit-def: $vgpr8
                                        ; implicit-def: $vgpr4_vgpr5
                                        ; implicit-def: $vgpr2
.LBB4_8721:                             ;   in Loop: Header=BB4_8239 Depth=3
	s_and_not1_saveexec_b32 s13, s74
	s_cbranch_execz .LBB4_8727
; %bb.8722:                             ;   in Loop: Header=BB4_8239 Depth=3
	s_mov_b32 s74, exec_lo
                                        ; implicit-def: $vgpr76
	v_cmpx_ne_u64_e32 0, v[4:5]
	s_xor_b32 s74, exec_lo, s74
; %bb.8723:                             ;   in Loop: Header=BB4_8239 Depth=3
	v_or_b32_e32 v76, 0x7f, v2
                                        ; implicit-def: $vgpr8
; %bb.8724:                             ;   in Loop: Header=BB4_8239 Depth=3
	s_and_not1_saveexec_b32 s74, s74
; %bb.8725:                             ;   in Loop: Header=BB4_8239 Depth=3
	v_cmp_lt_i32_e32 vcc_lo, -1, v8
	v_cndmask_b32_e32 v76, 0xfc, v49, vcc_lo
; %bb.8726:                             ;   in Loop: Header=BB4_8239 Depth=3
	s_or_b32 exec_lo, exec_lo, s74
.LBB4_8727:                             ;   in Loop: Header=BB4_8239 Depth=3
	s_delay_alu instid0(SALU_CYCLE_1) | instskip(SKIP_3) | instid1(VALU_DEP_1)
	s_or_b32 exec_lo, exec_lo, s13
	global_load_b128 v[8:11], v[44:45], off offset:512 th:TH_LOAD_NT
	s_wait_loadcnt 0x0
	v_and_b32_e32 v2, 0xff, v8
	v_cmp_ne_u16_e32 vcc_lo, 0, v2
	v_mov_b32_e32 v2, 0
	s_wait_xcnt 0x0
	s_and_saveexec_b32 s13, vcc_lo
	s_cbranch_execz .LBB4_8737
; %bb.8728:                             ;   in Loop: Header=BB4_8239 Depth=3
	v_bfe_i32 v5, v8, 0, 8
	v_bfrev_b32_e32 v2, 1
	s_mov_b32 s74, exec_lo
	s_delay_alu instid0(VALU_DEP_2)
	v_cmpx_ne_u16_e32 0xff80, v5
	s_cbranch_execz .LBB4_8736
; %bb.8729:                             ;   in Loop: Header=BB4_8239 Depth=3
	v_and_b32_e32 v2, 0x7c, v8
	v_and_b32_e32 v4, 3, v8
	s_delay_alu instid0(VALU_DEP_2) | instskip(SKIP_1) | instid1(SALU_CYCLE_1)
	v_cmp_ne_u32_e32 vcc_lo, 0x7c, v2
                                        ; implicit-def: $vgpr2
	s_and_saveexec_b32 s75, vcc_lo
	s_xor_b32 s75, exec_lo, s75
	s_cbranch_execz .LBB4_8733
; %bb.8730:                             ;   in Loop: Header=BB4_8239 Depth=3
	v_bfe_u32 v2, v8, 2, 5
	s_mov_b32 s76, exec_lo
	s_delay_alu instid0(VALU_DEP_1)
	v_cmpx_eq_u32_e32 0, v2
; %bb.8731:                             ;   in Loop: Header=BB4_8239 Depth=3
	v_clz_i32_u32_e32 v2, v4
	s_delay_alu instid0(VALU_DEP_1) | instskip(NEXT) | instid1(VALU_DEP_1)
	v_min_u32_e32 v2, 32, v2
	v_subrev_nc_u32_e32 v4, 29, v2
	s_delay_alu instid0(VALU_DEP_1) | instskip(NEXT) | instid1(VALU_DEP_1)
	v_lshlrev_b64_e32 v[4:5], v4, v[8:9]
	v_dual_sub_nc_u32 v2, 30, v2 :: v_dual_bitop2_b32 v4, 3, v4 bitop3:0x40
; %bb.8732:                             ;   in Loop: Header=BB4_8239 Depth=3
	s_or_b32 exec_lo, exec_lo, s76
	v_lshlrev_b32_e32 v5, 24, v8
	s_delay_alu instid0(VALU_DEP_1) | instskip(NEXT) | instid1(VALU_DEP_1)
	v_and_b32_e32 v5, 0x80000000, v5
	v_lshl_add_u32 v2, v2, 23, v5
                                        ; implicit-def: $vgpr5
	s_delay_alu instid0(VALU_DEP_1) | instskip(NEXT) | instid1(VALU_DEP_1)
	v_lshl_or_b32 v2, v4, 21, v2
                                        ; implicit-def: $vgpr4
	v_add_nc_u32_e32 v2, 0x38000000, v2
.LBB4_8733:                             ;   in Loop: Header=BB4_8239 Depth=3
	s_and_not1_saveexec_b32 s75, s75
; %bb.8734:                             ;   in Loop: Header=BB4_8239 Depth=3
	v_cmp_lt_i16_e32 vcc_lo, -1, v5
	v_cndmask_b32_e32 v2, 0xff800000, v48, vcc_lo
	v_cmp_eq_u32_e32 vcc_lo, 0, v4
	s_delay_alu instid0(VALU_DEP_2)
	v_cndmask_b32_e32 v2, 0x7f800001, v2, vcc_lo
; %bb.8735:                             ;   in Loop: Header=BB4_8239 Depth=3
	s_or_b32 exec_lo, exec_lo, s75
.LBB4_8736:                             ;   in Loop: Header=BB4_8239 Depth=3
	s_delay_alu instid0(SALU_CYCLE_1)
	s_or_b32 exec_lo, exec_lo, s74
.LBB4_8737:                             ;   in Loop: Header=BB4_8239 Depth=3
	s_delay_alu instid0(SALU_CYCLE_1) | instskip(NEXT) | instid1(VALU_DEP_1)
	s_or_b32 exec_lo, exec_lo, s13
	v_dual_mul_f32 v12, s73, v2 :: v_dual_mov_b32 v15, v3
	v_mov_b32_e32 v5, v3
                                        ; implicit-def: $vgpr118
	s_mov_b32 s13, exec_lo
	s_delay_alu instid0(VALU_DEP_2) | instskip(SKIP_2) | instid1(VALU_DEP_3)
	v_and_b32_e32 v14, 0x7f800000, v12
	v_and_b32_e32 v4, 0x7fffff, v12
	v_lshrrev_b32_e32 v2, 24, v12
	v_cmpx_ne_u64_e32 0x7f800000, v[14:15]
	s_xor_b32 s74, exec_lo, s13
	s_cbranch_execz .LBB4_8751
; %bb.8738:                             ;   in Loop: Header=BB4_8239 Depth=3
	v_and_b32_e32 v14, 0x7fffffff, v12
	v_mov_b32_e32 v15, v3
	v_and_b32_e32 v2, 0x80, v2
                                        ; implicit-def: $vgpr118
	s_mov_b32 s13, exec_lo
	s_delay_alu instid0(VALU_DEP_2)
	v_cmpx_gt_u64_e32 0x47600001, v[14:15]
	s_xor_b32 s75, exec_lo, s13
	s_cbranch_execz .LBB4_8748
; %bb.8739:                             ;   in Loop: Header=BB4_8239 Depth=3
	v_mov_b32_e32 v118, 0
	s_mov_b32 s76, exec_lo
	v_cmpx_ne_u32_e32 0, v12
	s_cbranch_execz .LBB4_8747
; %bb.8740:                             ;   in Loop: Header=BB4_8239 Depth=3
	v_bfe_u32 v14, v12, 23, 8
	v_or_b32_e32 v30, 0x800000, v4
	s_delay_alu instid0(VALU_DEP_2) | instskip(SKIP_1) | instid1(VALU_DEP_2)
	v_sub_nc_u32_e32 v12, 0x71, v14
	v_cmp_gt_u32_e32 vcc_lo, 0x72, v14
	v_cndmask_b32_e32 v12, 0, v12, vcc_lo
	v_cmp_eq_u32_e32 vcc_lo, 0, v14
	s_delay_alu instid0(VALU_DEP_2) | instskip(NEXT) | instid1(VALU_DEP_1)
	v_cndmask_b32_e64 v15, v12, 0x70, vcc_lo
	v_dual_cndmask_b32 v4, v30, v4, vcc_lo :: v_dual_add_nc_u32 v12, 21, v15
	v_add_nc_u32_e32 v31, 20, v15
	s_delay_alu instid0(VALU_DEP_2) | instskip(NEXT) | instid1(VALU_DEP_2)
	v_lshlrev_b64_e64 v[12:13], v12, -1
	v_lshlrev_b64_e64 v[30:31], v31, 1
	s_delay_alu instid0(VALU_DEP_2) | instskip(SKIP_1) | instid1(VALU_DEP_4)
	v_bfi_b32 v12, v12, 0, v4
	v_lshrrev_b64 v[4:5], v15, v[4:5]
	v_bfi_b32 v13, v13, 0, 0
	s_delay_alu instid0(VALU_DEP_1) | instskip(NEXT) | instid1(VALU_DEP_3)
	v_cmp_eq_u64_e64 s13, v[12:13], v[30:31]
	v_mov_b64_e32 v[12:13], v[4:5]
	s_and_saveexec_b32 s77, s13
; %bb.8741:                             ;   in Loop: Header=BB4_8239 Depth=3
	v_bfe_u32 v12, v4, 21, 1
	v_mov_b32_e32 v13, v3
	s_delay_alu instid0(VALU_DEP_1) | instskip(NEXT) | instid1(VALU_DEP_1)
	v_add_nc_u64_e32 v[12:13], v[4:5], v[12:13]
	v_add_nc_u64_e32 v[12:13], -1, v[12:13]
; %bb.8742:                             ;   in Loop: Header=BB4_8239 Depth=3
	s_or_b32 exec_lo, exec_lo, s77
	v_add_nc_u32_e32 v5, 0xffffff81, v14
	v_lshrrev_b32_e32 v13, 23, v4
	s_mov_b32 s13, exec_lo
	s_delay_alu instid0(VALU_DEP_2) | instskip(NEXT) | instid1(VALU_DEP_1)
	v_cndmask_b32_e64 v5, v5, 0xffffff82, vcc_lo
	v_add3_u32 v13, v15, v5, v13
	v_and_b32_e32 v5, 0x1fffff, v12
                                        ; implicit-def: $vgpr12
	s_delay_alu instid0(VALU_DEP_1) | instskip(SKIP_1) | instid1(VALU_DEP_2)
	v_dual_add_nc_u32 v14, 14, v13 :: v_dual_add_nc_u32 v4, v5, v4
	v_mov_b32_e32 v5, v3
	v_cmpx_ne_u32_e32 0, v14
	s_xor_b32 s13, exec_lo, s13
; %bb.8743:                             ;   in Loop: Header=BB4_8239 Depth=3
	s_delay_alu instid0(VALU_DEP_2) | instskip(SKIP_2) | instid1(VALU_DEP_2)
	v_cmp_lt_u64_e32 vcc_lo, 0xffffff, v[4:5]
	v_add_nc_u32_e32 v12, 15, v13
	v_cndmask_b32_e64 v13, 0, 1, vcc_lo
	v_cndmask_b32_e32 v12, v14, v12, vcc_lo
	s_delay_alu instid0(VALU_DEP_2)
	v_lshrrev_b64 v[4:5], v13, v[4:5]
; %bb.8744:                             ;   in Loop: Header=BB4_8239 Depth=3
	s_and_not1_saveexec_b32 s13, s13
; %bb.8745:                             ;   in Loop: Header=BB4_8239 Depth=3
	s_delay_alu instid0(VALU_DEP_1)
	v_bfe_u32 v12, v4, 23, 1
; %bb.8746:                             ;   in Loop: Header=BB4_8239 Depth=3
	s_or_b32 exec_lo, exec_lo, s13
	s_delay_alu instid0(VALU_DEP_2) | instskip(NEXT) | instid1(VALU_DEP_2)
	v_lshrrev_b64 v[4:5], 21, v[4:5]
	v_cmp_gt_i32_e32 vcc_lo, 32, v12
	v_min_i32_e32 v13, 31, v12
	v_cmp_eq_u32_e64 s13, 0, v12
	s_delay_alu instid0(VALU_DEP_4) | instskip(NEXT) | instid1(VALU_DEP_3)
	v_cndmask_b32_e32 v5, 0, v5, vcc_lo
	v_dual_cndmask_b32 v4, 3, v4 :: v_dual_lshlrev_b32 v13, 2, v13
	s_delay_alu instid0(VALU_DEP_1) | instskip(NEXT) | instid1(VALU_DEP_2)
	v_and_b32_e32 v13, 0xfc, v13
	v_cmp_eq_u64_e32 vcc_lo, 0, v[4:5]
	s_delay_alu instid0(VALU_DEP_2)
	v_and_or_b32 v4, v4, 3, v13
	s_and_b32 s13, s13, vcc_lo
	s_delay_alu instid0(VALU_DEP_1) | instid1(SALU_CYCLE_1)
	v_cndmask_b32_e64 v4, v4, 0, s13
	s_delay_alu instid0(VALU_DEP_1)
	v_or_b32_e32 v118, v4, v2
.LBB4_8747:                             ;   in Loop: Header=BB4_8239 Depth=3
	s_or_b32 exec_lo, exec_lo, s76
                                        ; implicit-def: $vgpr2
.LBB4_8748:                             ;   in Loop: Header=BB4_8239 Depth=3
	s_and_not1_saveexec_b32 s13, s75
; %bb.8749:                             ;   in Loop: Header=BB4_8239 Depth=3
	v_or_b32_e32 v118, 0x7b, v2
; %bb.8750:                             ;   in Loop: Header=BB4_8239 Depth=3
	s_or_b32 exec_lo, exec_lo, s13
                                        ; implicit-def: $vgpr12
                                        ; implicit-def: $vgpr4_vgpr5
                                        ; implicit-def: $vgpr2
.LBB4_8751:                             ;   in Loop: Header=BB4_8239 Depth=3
	s_and_not1_saveexec_b32 s13, s74
	s_cbranch_execz .LBB4_8757
; %bb.8752:                             ;   in Loop: Header=BB4_8239 Depth=3
	s_mov_b32 s74, exec_lo
                                        ; implicit-def: $vgpr118
	v_cmpx_ne_u64_e32 0, v[4:5]
	s_xor_b32 s74, exec_lo, s74
; %bb.8753:                             ;   in Loop: Header=BB4_8239 Depth=3
	v_or_b32_e32 v118, 0x7f, v2
                                        ; implicit-def: $vgpr12
; %bb.8754:                             ;   in Loop: Header=BB4_8239 Depth=3
	s_and_not1_saveexec_b32 s74, s74
; %bb.8755:                             ;   in Loop: Header=BB4_8239 Depth=3
	v_cmp_lt_i32_e32 vcc_lo, -1, v12
	v_cndmask_b32_e32 v118, 0xfc, v49, vcc_lo
; %bb.8756:                             ;   in Loop: Header=BB4_8239 Depth=3
	s_or_b32 exec_lo, exec_lo, s74
.LBB4_8757:                             ;   in Loop: Header=BB4_8239 Depth=3
	s_delay_alu instid0(SALU_CYCLE_1) | instskip(SKIP_3) | instid1(VALU_DEP_2)
	s_or_b32 exec_lo, exec_lo, s13
	v_lshrrev_b16 v4, 8, v8
	v_mov_b32_e32 v5, 0
	s_mov_b32 s13, exec_lo
	v_cmpx_ne_u16_e32 0, v4
	s_cbranch_execz .LBB4_8767
; %bb.8758:                             ;   in Loop: Header=BB4_8239 Depth=3
	v_bfrev_b32_e32 v5, 1
	s_mov_b32 s74, exec_lo
	v_cmpx_ne_u16_e32 0x80, v4
	s_cbranch_execz .LBB4_8766
; %bb.8759:                             ;   in Loop: Header=BB4_8239 Depth=3
	v_and_b32_e32 v12, 0xffff, v4
	s_delay_alu instid0(VALU_DEP_1) | instskip(SKIP_1) | instid1(VALU_DEP_2)
	v_and_b32_e32 v5, 0x7c, v12
	v_and_b32_e32 v2, 3, v12
	v_cmp_ne_u32_e32 vcc_lo, 0x7c, v5
                                        ; implicit-def: $vgpr5
	s_and_saveexec_b32 s75, vcc_lo
	s_delay_alu instid0(SALU_CYCLE_1)
	s_xor_b32 s75, exec_lo, s75
	s_cbranch_execz .LBB4_8763
; %bb.8760:                             ;   in Loop: Header=BB4_8239 Depth=3
	v_bfe_u32 v5, v12, 2, 5
	s_mov_b32 s76, exec_lo
	s_delay_alu instid0(VALU_DEP_1)
	v_cmpx_eq_u32_e32 0, v5
; %bb.8761:                             ;   in Loop: Header=BB4_8239 Depth=3
	v_clz_i32_u32_e32 v2, v2
	v_mov_b32_e32 v5, v3
	s_delay_alu instid0(VALU_DEP_2) | instskip(NEXT) | instid1(VALU_DEP_1)
	v_min_u32_e32 v2, 32, v2
	v_subrev_nc_u32_e32 v12, 29, v2
	s_delay_alu instid0(VALU_DEP_1) | instskip(NEXT) | instid1(VALU_DEP_1)
	v_lshlrev_b64_e32 v[4:5], v12, v[4:5]
	v_dual_sub_nc_u32 v5, 30, v2 :: v_dual_bitop2_b32 v2, 3, v4 bitop3:0x40
; %bb.8762:                             ;   in Loop: Header=BB4_8239 Depth=3
	s_or_b32 exec_lo, exec_lo, s76
	v_lshlrev_b32_e32 v4, 16, v8
	s_delay_alu instid0(VALU_DEP_1) | instskip(NEXT) | instid1(VALU_DEP_1)
	v_and_b32_e32 v4, 0x80000000, v4
	v_lshl_add_u32 v4, v5, 23, v4
	s_delay_alu instid0(VALU_DEP_1) | instskip(NEXT) | instid1(VALU_DEP_1)
	v_lshl_or_b32 v2, v2, 21, v4
	v_add_nc_u32_e32 v5, 0x38000000, v2
                                        ; implicit-def: $vgpr2
.LBB4_8763:                             ;   in Loop: Header=BB4_8239 Depth=3
	s_and_not1_saveexec_b32 s75, s75
; %bb.8764:                             ;   in Loop: Header=BB4_8239 Depth=3
	v_cmp_lt_i16_e32 vcc_lo, -1, v8
	v_cndmask_b32_e32 v4, 0xff800000, v48, vcc_lo
	v_cmp_eq_u32_e32 vcc_lo, 0, v2
	s_delay_alu instid0(VALU_DEP_2)
	v_cndmask_b32_e32 v5, 0x7f800001, v4, vcc_lo
; %bb.8765:                             ;   in Loop: Header=BB4_8239 Depth=3
	s_or_b32 exec_lo, exec_lo, s75
.LBB4_8766:                             ;   in Loop: Header=BB4_8239 Depth=3
	s_delay_alu instid0(SALU_CYCLE_1)
	s_or_b32 exec_lo, exec_lo, s74
.LBB4_8767:                             ;   in Loop: Header=BB4_8239 Depth=3
	s_delay_alu instid0(SALU_CYCLE_1) | instskip(NEXT) | instid1(VALU_DEP_1)
	s_or_b32 exec_lo, exec_lo, s13
	v_dual_mul_f32 v12, s73, v5 :: v_dual_mov_b32 v15, v3
	v_mov_b32_e32 v5, v3
                                        ; implicit-def: $vgpr40
	s_mov_b32 s13, exec_lo
	s_delay_alu instid0(VALU_DEP_2) | instskip(SKIP_2) | instid1(VALU_DEP_3)
	v_and_b32_e32 v14, 0x7f800000, v12
	v_and_b32_e32 v4, 0x7fffff, v12
	v_lshrrev_b32_e32 v2, 24, v12
	v_cmpx_ne_u64_e32 0x7f800000, v[14:15]
	s_xor_b32 s74, exec_lo, s13
	s_cbranch_execz .LBB4_8781
; %bb.8768:                             ;   in Loop: Header=BB4_8239 Depth=3
	v_and_b32_e32 v14, 0x7fffffff, v12
	v_mov_b32_e32 v15, v3
	v_and_b32_e32 v2, 0x80, v2
                                        ; implicit-def: $vgpr40
	s_mov_b32 s13, exec_lo
	s_delay_alu instid0(VALU_DEP_2)
	v_cmpx_gt_u64_e32 0x47600001, v[14:15]
	s_xor_b32 s75, exec_lo, s13
	s_cbranch_execz .LBB4_8778
; %bb.8769:                             ;   in Loop: Header=BB4_8239 Depth=3
	v_mov_b32_e32 v40, 0
	s_mov_b32 s76, exec_lo
	v_cmpx_ne_u32_e32 0, v12
	s_cbranch_execz .LBB4_8777
; %bb.8770:                             ;   in Loop: Header=BB4_8239 Depth=3
	v_bfe_u32 v14, v12, 23, 8
	v_or_b32_e32 v30, 0x800000, v4
	s_delay_alu instid0(VALU_DEP_2) | instskip(SKIP_1) | instid1(VALU_DEP_2)
	v_sub_nc_u32_e32 v12, 0x71, v14
	v_cmp_gt_u32_e32 vcc_lo, 0x72, v14
	v_cndmask_b32_e32 v12, 0, v12, vcc_lo
	v_cmp_eq_u32_e32 vcc_lo, 0, v14
	s_delay_alu instid0(VALU_DEP_2) | instskip(NEXT) | instid1(VALU_DEP_1)
	v_cndmask_b32_e64 v15, v12, 0x70, vcc_lo
	v_dual_cndmask_b32 v4, v30, v4, vcc_lo :: v_dual_add_nc_u32 v12, 21, v15
	v_add_nc_u32_e32 v31, 20, v15
	s_delay_alu instid0(VALU_DEP_2) | instskip(NEXT) | instid1(VALU_DEP_2)
	v_lshlrev_b64_e64 v[12:13], v12, -1
	v_lshlrev_b64_e64 v[30:31], v31, 1
	s_delay_alu instid0(VALU_DEP_2) | instskip(SKIP_1) | instid1(VALU_DEP_4)
	v_bfi_b32 v12, v12, 0, v4
	v_lshrrev_b64 v[4:5], v15, v[4:5]
	v_bfi_b32 v13, v13, 0, 0
	s_delay_alu instid0(VALU_DEP_1) | instskip(NEXT) | instid1(VALU_DEP_3)
	v_cmp_eq_u64_e64 s13, v[12:13], v[30:31]
	v_mov_b64_e32 v[12:13], v[4:5]
	s_and_saveexec_b32 s77, s13
; %bb.8771:                             ;   in Loop: Header=BB4_8239 Depth=3
	v_bfe_u32 v12, v4, 21, 1
	v_mov_b32_e32 v13, v3
	s_delay_alu instid0(VALU_DEP_1) | instskip(NEXT) | instid1(VALU_DEP_1)
	v_add_nc_u64_e32 v[12:13], v[4:5], v[12:13]
	v_add_nc_u64_e32 v[12:13], -1, v[12:13]
; %bb.8772:                             ;   in Loop: Header=BB4_8239 Depth=3
	s_or_b32 exec_lo, exec_lo, s77
	v_add_nc_u32_e32 v5, 0xffffff81, v14
	v_lshrrev_b32_e32 v13, 23, v4
	s_mov_b32 s13, exec_lo
	s_delay_alu instid0(VALU_DEP_2) | instskip(NEXT) | instid1(VALU_DEP_1)
	v_cndmask_b32_e64 v5, v5, 0xffffff82, vcc_lo
	v_add3_u32 v13, v15, v5, v13
	v_and_b32_e32 v5, 0x1fffff, v12
                                        ; implicit-def: $vgpr12
	s_delay_alu instid0(VALU_DEP_1) | instskip(SKIP_1) | instid1(VALU_DEP_2)
	v_dual_add_nc_u32 v14, 14, v13 :: v_dual_add_nc_u32 v4, v5, v4
	v_mov_b32_e32 v5, v3
	v_cmpx_ne_u32_e32 0, v14
	s_xor_b32 s13, exec_lo, s13
; %bb.8773:                             ;   in Loop: Header=BB4_8239 Depth=3
	s_delay_alu instid0(VALU_DEP_2) | instskip(SKIP_2) | instid1(VALU_DEP_2)
	v_cmp_lt_u64_e32 vcc_lo, 0xffffff, v[4:5]
	v_add_nc_u32_e32 v12, 15, v13
	v_cndmask_b32_e64 v13, 0, 1, vcc_lo
	v_cndmask_b32_e32 v12, v14, v12, vcc_lo
	s_delay_alu instid0(VALU_DEP_2)
	v_lshrrev_b64 v[4:5], v13, v[4:5]
; %bb.8774:                             ;   in Loop: Header=BB4_8239 Depth=3
	s_and_not1_saveexec_b32 s13, s13
; %bb.8775:                             ;   in Loop: Header=BB4_8239 Depth=3
	s_delay_alu instid0(VALU_DEP_1)
	v_bfe_u32 v12, v4, 23, 1
; %bb.8776:                             ;   in Loop: Header=BB4_8239 Depth=3
	s_or_b32 exec_lo, exec_lo, s13
	s_delay_alu instid0(VALU_DEP_2) | instskip(NEXT) | instid1(VALU_DEP_2)
	v_lshrrev_b64 v[4:5], 21, v[4:5]
	v_cmp_gt_i32_e32 vcc_lo, 32, v12
	v_min_i32_e32 v13, 31, v12
	v_cmp_eq_u32_e64 s13, 0, v12
	s_delay_alu instid0(VALU_DEP_4) | instskip(NEXT) | instid1(VALU_DEP_3)
	v_cndmask_b32_e32 v5, 0, v5, vcc_lo
	v_dual_cndmask_b32 v4, 3, v4 :: v_dual_lshlrev_b32 v13, 2, v13
	s_delay_alu instid0(VALU_DEP_1) | instskip(NEXT) | instid1(VALU_DEP_2)
	v_and_b32_e32 v13, 0xfc, v13
	v_cmp_eq_u64_e32 vcc_lo, 0, v[4:5]
	s_delay_alu instid0(VALU_DEP_2)
	v_and_or_b32 v4, v4, 3, v13
	s_and_b32 s13, s13, vcc_lo
	s_delay_alu instid0(VALU_DEP_1) | instid1(SALU_CYCLE_1)
	v_cndmask_b32_e64 v4, v4, 0, s13
	s_delay_alu instid0(VALU_DEP_1)
	v_or_b32_e32 v40, v4, v2
.LBB4_8777:                             ;   in Loop: Header=BB4_8239 Depth=3
	s_or_b32 exec_lo, exec_lo, s76
                                        ; implicit-def: $vgpr2
.LBB4_8778:                             ;   in Loop: Header=BB4_8239 Depth=3
	s_and_not1_saveexec_b32 s13, s75
; %bb.8779:                             ;   in Loop: Header=BB4_8239 Depth=3
	v_or_b32_e32 v40, 0x7b, v2
; %bb.8780:                             ;   in Loop: Header=BB4_8239 Depth=3
	s_or_b32 exec_lo, exec_lo, s13
                                        ; implicit-def: $vgpr12
                                        ; implicit-def: $vgpr4_vgpr5
                                        ; implicit-def: $vgpr2
.LBB4_8781:                             ;   in Loop: Header=BB4_8239 Depth=3
	s_and_not1_saveexec_b32 s13, s74
	s_cbranch_execz .LBB4_8787
; %bb.8782:                             ;   in Loop: Header=BB4_8239 Depth=3
	s_mov_b32 s74, exec_lo
                                        ; implicit-def: $vgpr40
	v_cmpx_ne_u64_e32 0, v[4:5]
	s_xor_b32 s74, exec_lo, s74
; %bb.8783:                             ;   in Loop: Header=BB4_8239 Depth=3
	v_or_b32_e32 v40, 0x7f, v2
                                        ; implicit-def: $vgpr12
; %bb.8784:                             ;   in Loop: Header=BB4_8239 Depth=3
	s_and_not1_saveexec_b32 s74, s74
; %bb.8785:                             ;   in Loop: Header=BB4_8239 Depth=3
	v_cmp_lt_i32_e32 vcc_lo, -1, v12
	v_cndmask_b32_e32 v40, 0xfc, v49, vcc_lo
; %bb.8786:                             ;   in Loop: Header=BB4_8239 Depth=3
	s_or_b32 exec_lo, exec_lo, s74
.LBB4_8787:                             ;   in Loop: Header=BB4_8239 Depth=3
	s_delay_alu instid0(SALU_CYCLE_1) | instskip(SKIP_2) | instid1(VALU_DEP_1)
	s_or_b32 exec_lo, exec_lo, s13
	v_dual_mov_b32 v5, 0 :: v_dual_lshrrev_b32 v2, 16, v8
	s_mov_b32 s13, exec_lo
	v_and_b32_e32 v4, 0xff, v2
	s_delay_alu instid0(VALU_DEP_1)
	v_cmpx_ne_u16_e32 0, v4
	s_cbranch_execz .LBB4_8797
; %bb.8788:                             ;   in Loop: Header=BB4_8239 Depth=3
	v_bfrev_b32_e32 v5, 1
	s_mov_b32 s74, exec_lo
	v_cmpx_ne_u16_e32 0x80, v4
	s_cbranch_execz .LBB4_8796
; %bb.8789:                             ;   in Loop: Header=BB4_8239 Depth=3
	v_and_b32_e32 v5, 0x7c0000, v8
	v_bfe_u32 v4, v8, 16, 2
	s_delay_alu instid0(VALU_DEP_2) | instskip(SKIP_1) | instid1(SALU_CYCLE_1)
	v_cmp_ne_u32_e32 vcc_lo, 0x7c0000, v5
                                        ; implicit-def: $vgpr5
	s_and_saveexec_b32 s75, vcc_lo
	s_xor_b32 s75, exec_lo, s75
	s_cbranch_execz .LBB4_8793
; %bb.8790:                             ;   in Loop: Header=BB4_8239 Depth=3
	v_bfe_u32 v5, v8, 18, 5
	s_mov_b32 s76, exec_lo
	s_delay_alu instid0(VALU_DEP_1)
	v_cmpx_eq_u32_e32 0, v5
; %bb.8791:                             ;   in Loop: Header=BB4_8239 Depth=3
	v_clz_i32_u32_e32 v4, v4
	s_delay_alu instid0(VALU_DEP_1) | instskip(NEXT) | instid1(VALU_DEP_1)
	v_min_u32_e32 v12, 32, v4
	v_subrev_nc_u32_e32 v4, 29, v12
	s_delay_alu instid0(VALU_DEP_1) | instskip(SKIP_1) | instid1(VALU_DEP_2)
	v_lshlrev_b64_e32 v[4:5], v4, v[2:3]
	v_sub_nc_u32_e32 v5, 30, v12
	v_and_b32_e32 v4, 3, v4
; %bb.8792:                             ;   in Loop: Header=BB4_8239 Depth=3
	s_or_b32 exec_lo, exec_lo, s76
	v_lshlrev_b32_e32 v2, 24, v2
	s_delay_alu instid0(VALU_DEP_1) | instskip(NEXT) | instid1(VALU_DEP_1)
	v_and_b32_e32 v2, 0x80000000, v2
	v_lshl_add_u32 v2, v5, 23, v2
	s_delay_alu instid0(VALU_DEP_1) | instskip(NEXT) | instid1(VALU_DEP_1)
	v_lshl_or_b32 v2, v4, 21, v2
                                        ; implicit-def: $vgpr4
	v_add_nc_u32_e32 v5, 0x38000000, v2
                                        ; implicit-def: $vgpr2
.LBB4_8793:                             ;   in Loop: Header=BB4_8239 Depth=3
	s_and_not1_saveexec_b32 s75, s75
; %bb.8794:                             ;   in Loop: Header=BB4_8239 Depth=3
	v_bfe_i32 v2, v2, 0, 8
	s_delay_alu instid0(VALU_DEP_1) | instskip(SKIP_2) | instid1(VALU_DEP_2)
	v_cmp_lt_i16_e32 vcc_lo, -1, v2
	v_cndmask_b32_e32 v2, 0xff800000, v48, vcc_lo
	v_cmp_eq_u32_e32 vcc_lo, 0, v4
	v_cndmask_b32_e32 v5, 0x7f800001, v2, vcc_lo
; %bb.8795:                             ;   in Loop: Header=BB4_8239 Depth=3
	s_or_b32 exec_lo, exec_lo, s75
.LBB4_8796:                             ;   in Loop: Header=BB4_8239 Depth=3
	s_delay_alu instid0(SALU_CYCLE_1)
	s_or_b32 exec_lo, exec_lo, s74
.LBB4_8797:                             ;   in Loop: Header=BB4_8239 Depth=3
	s_delay_alu instid0(SALU_CYCLE_1) | instskip(NEXT) | instid1(VALU_DEP_1)
	s_or_b32 exec_lo, exec_lo, s13
	v_dual_mul_f32 v12, s73, v5 :: v_dual_mov_b32 v15, v3
	v_mov_b32_e32 v5, v3
                                        ; implicit-def: $vgpr61
	s_mov_b32 s13, exec_lo
	s_delay_alu instid0(VALU_DEP_2) | instskip(SKIP_2) | instid1(VALU_DEP_3)
	v_and_b32_e32 v14, 0x7f800000, v12
	v_and_b32_e32 v4, 0x7fffff, v12
	v_lshrrev_b32_e32 v2, 24, v12
	v_cmpx_ne_u64_e32 0x7f800000, v[14:15]
	s_xor_b32 s74, exec_lo, s13
	s_cbranch_execz .LBB4_8811
; %bb.8798:                             ;   in Loop: Header=BB4_8239 Depth=3
	v_and_b32_e32 v14, 0x7fffffff, v12
	v_mov_b32_e32 v15, v3
	v_and_b32_e32 v2, 0x80, v2
                                        ; implicit-def: $vgpr61
	s_mov_b32 s13, exec_lo
	s_delay_alu instid0(VALU_DEP_2)
	v_cmpx_gt_u64_e32 0x47600001, v[14:15]
	s_xor_b32 s75, exec_lo, s13
	s_cbranch_execz .LBB4_8808
; %bb.8799:                             ;   in Loop: Header=BB4_8239 Depth=3
	v_mov_b32_e32 v61, 0
	s_mov_b32 s76, exec_lo
	v_cmpx_ne_u32_e32 0, v12
	s_cbranch_execz .LBB4_8807
; %bb.8800:                             ;   in Loop: Header=BB4_8239 Depth=3
	v_bfe_u32 v14, v12, 23, 8
	v_or_b32_e32 v30, 0x800000, v4
	s_delay_alu instid0(VALU_DEP_2) | instskip(SKIP_1) | instid1(VALU_DEP_2)
	v_sub_nc_u32_e32 v12, 0x71, v14
	v_cmp_gt_u32_e32 vcc_lo, 0x72, v14
	v_cndmask_b32_e32 v12, 0, v12, vcc_lo
	v_cmp_eq_u32_e32 vcc_lo, 0, v14
	s_delay_alu instid0(VALU_DEP_2) | instskip(NEXT) | instid1(VALU_DEP_1)
	v_cndmask_b32_e64 v15, v12, 0x70, vcc_lo
	v_dual_cndmask_b32 v4, v30, v4, vcc_lo :: v_dual_add_nc_u32 v12, 21, v15
	v_add_nc_u32_e32 v31, 20, v15
	s_delay_alu instid0(VALU_DEP_2) | instskip(NEXT) | instid1(VALU_DEP_2)
	v_lshlrev_b64_e64 v[12:13], v12, -1
	v_lshlrev_b64_e64 v[30:31], v31, 1
	s_delay_alu instid0(VALU_DEP_2) | instskip(SKIP_1) | instid1(VALU_DEP_4)
	v_bfi_b32 v12, v12, 0, v4
	v_lshrrev_b64 v[4:5], v15, v[4:5]
	v_bfi_b32 v13, v13, 0, 0
	s_delay_alu instid0(VALU_DEP_1) | instskip(NEXT) | instid1(VALU_DEP_3)
	v_cmp_eq_u64_e64 s13, v[12:13], v[30:31]
	v_mov_b64_e32 v[12:13], v[4:5]
	s_and_saveexec_b32 s77, s13
; %bb.8801:                             ;   in Loop: Header=BB4_8239 Depth=3
	v_bfe_u32 v12, v4, 21, 1
	v_mov_b32_e32 v13, v3
	s_delay_alu instid0(VALU_DEP_1) | instskip(NEXT) | instid1(VALU_DEP_1)
	v_add_nc_u64_e32 v[12:13], v[4:5], v[12:13]
	v_add_nc_u64_e32 v[12:13], -1, v[12:13]
; %bb.8802:                             ;   in Loop: Header=BB4_8239 Depth=3
	s_or_b32 exec_lo, exec_lo, s77
	v_add_nc_u32_e32 v5, 0xffffff81, v14
	v_lshrrev_b32_e32 v13, 23, v4
	s_mov_b32 s13, exec_lo
	s_delay_alu instid0(VALU_DEP_2) | instskip(NEXT) | instid1(VALU_DEP_1)
	v_cndmask_b32_e64 v5, v5, 0xffffff82, vcc_lo
	v_add3_u32 v13, v15, v5, v13
	v_and_b32_e32 v5, 0x1fffff, v12
                                        ; implicit-def: $vgpr12
	s_delay_alu instid0(VALU_DEP_1) | instskip(SKIP_1) | instid1(VALU_DEP_2)
	v_dual_add_nc_u32 v14, 14, v13 :: v_dual_add_nc_u32 v4, v5, v4
	v_mov_b32_e32 v5, v3
	v_cmpx_ne_u32_e32 0, v14
	s_xor_b32 s13, exec_lo, s13
; %bb.8803:                             ;   in Loop: Header=BB4_8239 Depth=3
	s_delay_alu instid0(VALU_DEP_2) | instskip(SKIP_2) | instid1(VALU_DEP_2)
	v_cmp_lt_u64_e32 vcc_lo, 0xffffff, v[4:5]
	v_add_nc_u32_e32 v12, 15, v13
	v_cndmask_b32_e64 v13, 0, 1, vcc_lo
	v_cndmask_b32_e32 v12, v14, v12, vcc_lo
	s_delay_alu instid0(VALU_DEP_2)
	v_lshrrev_b64 v[4:5], v13, v[4:5]
; %bb.8804:                             ;   in Loop: Header=BB4_8239 Depth=3
	s_and_not1_saveexec_b32 s13, s13
; %bb.8805:                             ;   in Loop: Header=BB4_8239 Depth=3
	s_delay_alu instid0(VALU_DEP_1)
	v_bfe_u32 v12, v4, 23, 1
; %bb.8806:                             ;   in Loop: Header=BB4_8239 Depth=3
	s_or_b32 exec_lo, exec_lo, s13
	s_delay_alu instid0(VALU_DEP_2) | instskip(NEXT) | instid1(VALU_DEP_2)
	v_lshrrev_b64 v[4:5], 21, v[4:5]
	v_cmp_gt_i32_e32 vcc_lo, 32, v12
	v_min_i32_e32 v13, 31, v12
	v_cmp_eq_u32_e64 s13, 0, v12
	s_delay_alu instid0(VALU_DEP_4) | instskip(NEXT) | instid1(VALU_DEP_3)
	v_cndmask_b32_e32 v5, 0, v5, vcc_lo
	v_dual_cndmask_b32 v4, 3, v4 :: v_dual_lshlrev_b32 v13, 2, v13
	s_delay_alu instid0(VALU_DEP_1) | instskip(NEXT) | instid1(VALU_DEP_2)
	v_and_b32_e32 v13, 0xfc, v13
	v_cmp_eq_u64_e32 vcc_lo, 0, v[4:5]
	s_delay_alu instid0(VALU_DEP_2)
	v_and_or_b32 v4, v4, 3, v13
	s_and_b32 s13, s13, vcc_lo
	s_delay_alu instid0(VALU_DEP_1) | instid1(SALU_CYCLE_1)
	v_cndmask_b32_e64 v4, v4, 0, s13
	s_delay_alu instid0(VALU_DEP_1)
	v_or_b32_e32 v61, v4, v2
.LBB4_8807:                             ;   in Loop: Header=BB4_8239 Depth=3
	s_or_b32 exec_lo, exec_lo, s76
                                        ; implicit-def: $vgpr2
.LBB4_8808:                             ;   in Loop: Header=BB4_8239 Depth=3
	s_and_not1_saveexec_b32 s13, s75
; %bb.8809:                             ;   in Loop: Header=BB4_8239 Depth=3
	v_or_b32_e32 v61, 0x7b, v2
; %bb.8810:                             ;   in Loop: Header=BB4_8239 Depth=3
	s_or_b32 exec_lo, exec_lo, s13
                                        ; implicit-def: $vgpr12
                                        ; implicit-def: $vgpr4_vgpr5
                                        ; implicit-def: $vgpr2
.LBB4_8811:                             ;   in Loop: Header=BB4_8239 Depth=3
	s_and_not1_saveexec_b32 s13, s74
	s_cbranch_execz .LBB4_8817
; %bb.8812:                             ;   in Loop: Header=BB4_8239 Depth=3
	s_mov_b32 s74, exec_lo
                                        ; implicit-def: $vgpr61
	v_cmpx_ne_u64_e32 0, v[4:5]
	s_xor_b32 s74, exec_lo, s74
; %bb.8813:                             ;   in Loop: Header=BB4_8239 Depth=3
	v_or_b32_e32 v61, 0x7f, v2
                                        ; implicit-def: $vgpr12
; %bb.8814:                             ;   in Loop: Header=BB4_8239 Depth=3
	s_and_not1_saveexec_b32 s74, s74
; %bb.8815:                             ;   in Loop: Header=BB4_8239 Depth=3
	v_cmp_lt_i32_e32 vcc_lo, -1, v12
	v_cndmask_b32_e32 v61, 0xfc, v49, vcc_lo
; %bb.8816:                             ;   in Loop: Header=BB4_8239 Depth=3
	s_or_b32 exec_lo, exec_lo, s74
.LBB4_8817:                             ;   in Loop: Header=BB4_8239 Depth=3
	s_delay_alu instid0(SALU_CYCLE_1)
	s_or_b32 exec_lo, exec_lo, s13
	v_mov_b32_e32 v4, 0
	s_mov_b32 s13, exec_lo
	v_cmpx_lt_u32_e32 0xffffff, v8
	s_cbranch_execz .LBB4_8827
; %bb.8818:                             ;   in Loop: Header=BB4_8239 Depth=3
	v_lshrrev_b32_e32 v2, 24, v8
	v_bfrev_b32_e32 v4, 1
	s_mov_b32 s74, exec_lo
	s_delay_alu instid0(VALU_DEP_2)
	v_cmpx_ne_u32_e32 0x80, v2
	s_cbranch_execz .LBB4_8826
; %bb.8819:                             ;   in Loop: Header=BB4_8239 Depth=3
	v_and_b32_e32 v4, 0x7c000000, v8
	v_bfe_u32 v5, v8, 24, 2
	s_delay_alu instid0(VALU_DEP_2) | instskip(SKIP_1) | instid1(SALU_CYCLE_1)
	v_cmp_ne_u32_e32 vcc_lo, 0x7c000000, v4
                                        ; implicit-def: $vgpr4
	s_and_saveexec_b32 s75, vcc_lo
	s_xor_b32 s75, exec_lo, s75
	s_cbranch_execz .LBB4_8823
; %bb.8820:                             ;   in Loop: Header=BB4_8239 Depth=3
	v_bfe_u32 v4, v8, 26, 5
	s_mov_b32 s76, exec_lo
	s_delay_alu instid0(VALU_DEP_1)
	v_cmpx_eq_u32_e32 0, v4
; %bb.8821:                             ;   in Loop: Header=BB4_8239 Depth=3
	v_clz_i32_u32_e32 v4, v5
	s_delay_alu instid0(VALU_DEP_1) | instskip(NEXT) | instid1(VALU_DEP_1)
	v_min_u32_e32 v4, 32, v4
	v_subrev_nc_u32_e32 v5, 29, v4
	v_sub_nc_u32_e32 v4, 30, v4
	s_delay_alu instid0(VALU_DEP_2) | instskip(NEXT) | instid1(VALU_DEP_1)
	v_lshlrev_b64_e32 v[12:13], v5, v[2:3]
	v_and_b32_e32 v5, 3, v12
; %bb.8822:                             ;   in Loop: Header=BB4_8239 Depth=3
	s_or_b32 exec_lo, exec_lo, s76
	v_and_b32_e32 v2, 0x80000000, v8
	s_delay_alu instid0(VALU_DEP_1) | instskip(NEXT) | instid1(VALU_DEP_1)
	v_lshl_add_u32 v2, v4, 23, v2
	v_lshl_or_b32 v2, v5, 21, v2
                                        ; implicit-def: $vgpr5
	s_delay_alu instid0(VALU_DEP_1)
	v_add_nc_u32_e32 v4, 0x38000000, v2
.LBB4_8823:                             ;   in Loop: Header=BB4_8239 Depth=3
	s_and_not1_saveexec_b32 s75, s75
; %bb.8824:                             ;   in Loop: Header=BB4_8239 Depth=3
	v_cmp_lt_i32_e32 vcc_lo, -1, v8
	v_cndmask_b32_e32 v2, 0xff800000, v48, vcc_lo
	v_cmp_eq_u32_e32 vcc_lo, 0, v5
	s_delay_alu instid0(VALU_DEP_2)
	v_cndmask_b32_e32 v4, 0x7f800001, v2, vcc_lo
; %bb.8825:                             ;   in Loop: Header=BB4_8239 Depth=3
	s_or_b32 exec_lo, exec_lo, s75
.LBB4_8826:                             ;   in Loop: Header=BB4_8239 Depth=3
	s_delay_alu instid0(SALU_CYCLE_1)
	s_or_b32 exec_lo, exec_lo, s74
.LBB4_8827:                             ;   in Loop: Header=BB4_8239 Depth=3
	s_delay_alu instid0(SALU_CYCLE_1) | instskip(NEXT) | instid1(VALU_DEP_1)
	s_or_b32 exec_lo, exec_lo, s13
	v_dual_mul_f32 v12, s73, v4 :: v_dual_mov_b32 v15, v3
	v_mov_b32_e32 v5, v3
                                        ; implicit-def: $vgpr72
	s_mov_b32 s13, exec_lo
	s_delay_alu instid0(VALU_DEP_2) | instskip(SKIP_2) | instid1(VALU_DEP_3)
	v_and_b32_e32 v14, 0x7f800000, v12
	v_and_b32_e32 v4, 0x7fffff, v12
	v_lshrrev_b32_e32 v2, 24, v12
	v_cmpx_ne_u64_e32 0x7f800000, v[14:15]
	s_xor_b32 s74, exec_lo, s13
	s_cbranch_execz .LBB4_8841
; %bb.8828:                             ;   in Loop: Header=BB4_8239 Depth=3
	v_and_b32_e32 v14, 0x7fffffff, v12
	v_mov_b32_e32 v15, v3
	v_and_b32_e32 v2, 0x80, v2
                                        ; implicit-def: $vgpr72
	s_mov_b32 s13, exec_lo
	s_delay_alu instid0(VALU_DEP_2)
	v_cmpx_gt_u64_e32 0x47600001, v[14:15]
	s_xor_b32 s75, exec_lo, s13
	s_cbranch_execz .LBB4_8838
; %bb.8829:                             ;   in Loop: Header=BB4_8239 Depth=3
	v_mov_b32_e32 v72, 0
	s_mov_b32 s76, exec_lo
	v_cmpx_ne_u32_e32 0, v12
	s_cbranch_execz .LBB4_8837
; %bb.8830:                             ;   in Loop: Header=BB4_8239 Depth=3
	v_bfe_u32 v14, v12, 23, 8
	v_or_b32_e32 v30, 0x800000, v4
	s_delay_alu instid0(VALU_DEP_2) | instskip(SKIP_1) | instid1(VALU_DEP_2)
	v_sub_nc_u32_e32 v12, 0x71, v14
	v_cmp_gt_u32_e32 vcc_lo, 0x72, v14
	v_cndmask_b32_e32 v12, 0, v12, vcc_lo
	v_cmp_eq_u32_e32 vcc_lo, 0, v14
	s_delay_alu instid0(VALU_DEP_2) | instskip(NEXT) | instid1(VALU_DEP_1)
	v_cndmask_b32_e64 v15, v12, 0x70, vcc_lo
	v_dual_cndmask_b32 v4, v30, v4, vcc_lo :: v_dual_add_nc_u32 v12, 21, v15
	v_add_nc_u32_e32 v31, 20, v15
	s_delay_alu instid0(VALU_DEP_2) | instskip(NEXT) | instid1(VALU_DEP_2)
	v_lshlrev_b64_e64 v[12:13], v12, -1
	v_lshlrev_b64_e64 v[30:31], v31, 1
	s_delay_alu instid0(VALU_DEP_2) | instskip(SKIP_1) | instid1(VALU_DEP_4)
	v_bfi_b32 v12, v12, 0, v4
	v_lshrrev_b64 v[4:5], v15, v[4:5]
	v_bfi_b32 v13, v13, 0, 0
	s_delay_alu instid0(VALU_DEP_1) | instskip(NEXT) | instid1(VALU_DEP_3)
	v_cmp_eq_u64_e64 s13, v[12:13], v[30:31]
	v_mov_b64_e32 v[12:13], v[4:5]
	s_and_saveexec_b32 s77, s13
; %bb.8831:                             ;   in Loop: Header=BB4_8239 Depth=3
	v_bfe_u32 v12, v4, 21, 1
	v_mov_b32_e32 v13, v3
	s_delay_alu instid0(VALU_DEP_1) | instskip(NEXT) | instid1(VALU_DEP_1)
	v_add_nc_u64_e32 v[12:13], v[4:5], v[12:13]
	v_add_nc_u64_e32 v[12:13], -1, v[12:13]
; %bb.8832:                             ;   in Loop: Header=BB4_8239 Depth=3
	s_or_b32 exec_lo, exec_lo, s77
	v_add_nc_u32_e32 v5, 0xffffff81, v14
	v_lshrrev_b32_e32 v13, 23, v4
	s_mov_b32 s13, exec_lo
	s_delay_alu instid0(VALU_DEP_2) | instskip(NEXT) | instid1(VALU_DEP_1)
	v_cndmask_b32_e64 v5, v5, 0xffffff82, vcc_lo
	v_add3_u32 v13, v15, v5, v13
	v_and_b32_e32 v5, 0x1fffff, v12
                                        ; implicit-def: $vgpr12
	s_delay_alu instid0(VALU_DEP_1) | instskip(SKIP_1) | instid1(VALU_DEP_2)
	v_dual_add_nc_u32 v14, 14, v13 :: v_dual_add_nc_u32 v4, v5, v4
	v_mov_b32_e32 v5, v3
	v_cmpx_ne_u32_e32 0, v14
	s_xor_b32 s13, exec_lo, s13
; %bb.8833:                             ;   in Loop: Header=BB4_8239 Depth=3
	s_delay_alu instid0(VALU_DEP_2) | instskip(SKIP_2) | instid1(VALU_DEP_2)
	v_cmp_lt_u64_e32 vcc_lo, 0xffffff, v[4:5]
	v_add_nc_u32_e32 v12, 15, v13
	v_cndmask_b32_e64 v13, 0, 1, vcc_lo
	v_cndmask_b32_e32 v12, v14, v12, vcc_lo
	s_delay_alu instid0(VALU_DEP_2)
	v_lshrrev_b64 v[4:5], v13, v[4:5]
; %bb.8834:                             ;   in Loop: Header=BB4_8239 Depth=3
	s_and_not1_saveexec_b32 s13, s13
; %bb.8835:                             ;   in Loop: Header=BB4_8239 Depth=3
	s_delay_alu instid0(VALU_DEP_1)
	v_bfe_u32 v12, v4, 23, 1
; %bb.8836:                             ;   in Loop: Header=BB4_8239 Depth=3
	s_or_b32 exec_lo, exec_lo, s13
	s_delay_alu instid0(VALU_DEP_2) | instskip(NEXT) | instid1(VALU_DEP_2)
	v_lshrrev_b64 v[4:5], 21, v[4:5]
	v_cmp_gt_i32_e32 vcc_lo, 32, v12
	v_min_i32_e32 v13, 31, v12
	v_cmp_eq_u32_e64 s13, 0, v12
	s_delay_alu instid0(VALU_DEP_4) | instskip(NEXT) | instid1(VALU_DEP_3)
	v_cndmask_b32_e32 v5, 0, v5, vcc_lo
	v_dual_cndmask_b32 v4, 3, v4 :: v_dual_lshlrev_b32 v13, 2, v13
	s_delay_alu instid0(VALU_DEP_1) | instskip(NEXT) | instid1(VALU_DEP_2)
	v_and_b32_e32 v13, 0xfc, v13
	v_cmp_eq_u64_e32 vcc_lo, 0, v[4:5]
	s_delay_alu instid0(VALU_DEP_2)
	v_and_or_b32 v4, v4, 3, v13
	s_and_b32 s13, s13, vcc_lo
	s_delay_alu instid0(VALU_DEP_1) | instid1(SALU_CYCLE_1)
	v_cndmask_b32_e64 v4, v4, 0, s13
	s_delay_alu instid0(VALU_DEP_1)
	v_or_b32_e32 v72, v4, v2
.LBB4_8837:                             ;   in Loop: Header=BB4_8239 Depth=3
	s_or_b32 exec_lo, exec_lo, s76
                                        ; implicit-def: $vgpr2
.LBB4_8838:                             ;   in Loop: Header=BB4_8239 Depth=3
	s_and_not1_saveexec_b32 s13, s75
; %bb.8839:                             ;   in Loop: Header=BB4_8239 Depth=3
	v_or_b32_e32 v72, 0x7b, v2
; %bb.8840:                             ;   in Loop: Header=BB4_8239 Depth=3
	s_or_b32 exec_lo, exec_lo, s13
                                        ; implicit-def: $vgpr12
                                        ; implicit-def: $vgpr4_vgpr5
                                        ; implicit-def: $vgpr2
.LBB4_8841:                             ;   in Loop: Header=BB4_8239 Depth=3
	s_and_not1_saveexec_b32 s13, s74
	s_cbranch_execz .LBB4_8847
; %bb.8842:                             ;   in Loop: Header=BB4_8239 Depth=3
	s_mov_b32 s74, exec_lo
                                        ; implicit-def: $vgpr72
	v_cmpx_ne_u64_e32 0, v[4:5]
	s_xor_b32 s74, exec_lo, s74
; %bb.8843:                             ;   in Loop: Header=BB4_8239 Depth=3
	v_or_b32_e32 v72, 0x7f, v2
                                        ; implicit-def: $vgpr12
; %bb.8844:                             ;   in Loop: Header=BB4_8239 Depth=3
	s_and_not1_saveexec_b32 s74, s74
; %bb.8845:                             ;   in Loop: Header=BB4_8239 Depth=3
	v_cmp_lt_i32_e32 vcc_lo, -1, v12
	v_cndmask_b32_e32 v72, 0xfc, v49, vcc_lo
; %bb.8846:                             ;   in Loop: Header=BB4_8239 Depth=3
	s_or_b32 exec_lo, exec_lo, s74
.LBB4_8847:                             ;   in Loop: Header=BB4_8239 Depth=3
	s_delay_alu instid0(SALU_CYCLE_1) | instskip(SKIP_4) | instid1(VALU_DEP_3)
	s_or_b32 exec_lo, exec_lo, s13
	v_and_b32_e32 v2, 0xff, v9
	v_dual_mov_b32 v4, v9 :: v_dual_mov_b32 v5, v3
	v_mov_b32_e32 v12, 0
	s_mov_b32 s13, exec_lo
	v_cmpx_ne_u16_e32 0, v2
	s_cbranch_execz .LBB4_8857
; %bb.8848:                             ;   in Loop: Header=BB4_8239 Depth=3
	v_bfrev_b32_e32 v12, 1
	s_mov_b32 s74, exec_lo
	v_cmpx_ne_u16_e32 0x80, v2
	s_cbranch_execz .LBB4_8856
; %bb.8849:                             ;   in Loop: Header=BB4_8239 Depth=3
	v_and_b32_e32 v12, 0x7c, v9
	v_and_b32_e32 v2, 3, v9
	s_delay_alu instid0(VALU_DEP_2) | instskip(SKIP_1) | instid1(SALU_CYCLE_1)
	v_cmp_ne_u32_e32 vcc_lo, 0x7c, v12
                                        ; implicit-def: $vgpr12
	s_and_saveexec_b32 s75, vcc_lo
	s_xor_b32 s75, exec_lo, s75
	s_cbranch_execz .LBB4_8853
; %bb.8850:                             ;   in Loop: Header=BB4_8239 Depth=3
	v_bfe_u32 v12, v9, 2, 5
	s_mov_b32 s76, exec_lo
	s_delay_alu instid0(VALU_DEP_1)
	v_cmpx_eq_u32_e32 0, v12
; %bb.8851:                             ;   in Loop: Header=BB4_8239 Depth=3
	v_clz_i32_u32_e32 v2, v2
	s_delay_alu instid0(VALU_DEP_1) | instskip(NEXT) | instid1(VALU_DEP_1)
	v_min_u32_e32 v2, 32, v2
	v_subrev_nc_u32_e32 v12, 29, v2
	s_delay_alu instid0(VALU_DEP_1) | instskip(SKIP_1) | instid1(VALU_DEP_2)
	v_lshlrev_b64_e32 v[14:15], v12, v[4:5]
	v_sub_nc_u32_e32 v12, 30, v2
	v_and_b32_e32 v2, 3, v14
; %bb.8852:                             ;   in Loop: Header=BB4_8239 Depth=3
	s_or_b32 exec_lo, exec_lo, s76
	v_lshlrev_b32_e32 v5, 24, v9
	s_delay_alu instid0(VALU_DEP_1) | instskip(NEXT) | instid1(VALU_DEP_1)
	v_and_b32_e32 v5, 0x80000000, v5
	v_lshl_add_u32 v5, v12, 23, v5
	s_delay_alu instid0(VALU_DEP_1) | instskip(NEXT) | instid1(VALU_DEP_1)
	v_lshl_or_b32 v2, v2, 21, v5
	v_add_nc_u32_e32 v12, 0x38000000, v2
                                        ; implicit-def: $vgpr2
.LBB4_8853:                             ;   in Loop: Header=BB4_8239 Depth=3
	s_and_not1_saveexec_b32 s75, s75
; %bb.8854:                             ;   in Loop: Header=BB4_8239 Depth=3
	v_bfe_i32 v5, v9, 0, 8
	s_delay_alu instid0(VALU_DEP_1) | instskip(SKIP_2) | instid1(VALU_DEP_2)
	v_cmp_lt_i16_e32 vcc_lo, -1, v5
	v_cndmask_b32_e32 v5, 0xff800000, v48, vcc_lo
	v_cmp_eq_u32_e32 vcc_lo, 0, v2
	v_cndmask_b32_e32 v12, 0x7f800001, v5, vcc_lo
; %bb.8855:                             ;   in Loop: Header=BB4_8239 Depth=3
	s_or_b32 exec_lo, exec_lo, s75
.LBB4_8856:                             ;   in Loop: Header=BB4_8239 Depth=3
	s_delay_alu instid0(SALU_CYCLE_1)
	s_or_b32 exec_lo, exec_lo, s74
.LBB4_8857:                             ;   in Loop: Header=BB4_8239 Depth=3
	s_delay_alu instid0(SALU_CYCLE_1) | instskip(NEXT) | instid1(VALU_DEP_1)
	s_or_b32 exec_lo, exec_lo, s13
	v_dual_mul_f32 v5, s73, v12 :: v_dual_mov_b32 v15, v3
	v_mov_b32_e32 v13, v3
                                        ; implicit-def: $vgpr101
	s_mov_b32 s13, exec_lo
	s_delay_alu instid0(VALU_DEP_2) | instskip(SKIP_2) | instid1(VALU_DEP_3)
	v_and_b32_e32 v14, 0x7f800000, v5
	v_and_b32_e32 v12, 0x7fffff, v5
	v_lshrrev_b32_e32 v2, 24, v5
	v_cmpx_ne_u64_e32 0x7f800000, v[14:15]
	s_xor_b32 s74, exec_lo, s13
	s_cbranch_execz .LBB4_8871
; %bb.8858:                             ;   in Loop: Header=BB4_8239 Depth=3
	v_and_b32_e32 v14, 0x7fffffff, v5
	v_mov_b32_e32 v15, v3
	v_and_b32_e32 v2, 0x80, v2
                                        ; implicit-def: $vgpr101
	s_mov_b32 s13, exec_lo
	s_delay_alu instid0(VALU_DEP_2)
	v_cmpx_gt_u64_e32 0x47600001, v[14:15]
	s_xor_b32 s75, exec_lo, s13
	s_cbranch_execz .LBB4_8868
; %bb.8859:                             ;   in Loop: Header=BB4_8239 Depth=3
	v_mov_b32_e32 v101, 0
	s_mov_b32 s76, exec_lo
	v_cmpx_ne_u32_e32 0, v5
	s_cbranch_execz .LBB4_8867
; %bb.8860:                             ;   in Loop: Header=BB4_8239 Depth=3
	v_bfe_u32 v5, v5, 23, 8
	v_or_b32_e32 v15, 0x800000, v12
	s_delay_alu instid0(VALU_DEP_2) | instskip(SKIP_2) | instid1(VALU_DEP_2)
	v_cmp_gt_u32_e64 s13, 0x72, v5
	v_sub_nc_u32_e32 v14, 0x71, v5
	v_cmp_eq_u32_e32 vcc_lo, 0, v5
	v_dual_cndmask_b32 v14, 0, v14, s13 :: v_dual_cndmask_b32 v12, v15, v12, vcc_lo
	s_delay_alu instid0(VALU_DEP_1) | instskip(NEXT) | instid1(VALU_DEP_1)
	v_cndmask_b32_e64 v30, v14, 0x70, vcc_lo
	v_dual_add_nc_u32 v14, 21, v30 :: v_dual_add_nc_u32 v31, 20, v30
	s_delay_alu instid0(VALU_DEP_1) | instskip(NEXT) | instid1(VALU_DEP_2)
	v_lshlrev_b64_e64 v[14:15], v14, -1
	v_lshlrev_b64_e64 v[50:51], v31, 1
	s_delay_alu instid0(VALU_DEP_2) | instskip(SKIP_1) | instid1(VALU_DEP_4)
	v_bfi_b32 v14, v14, 0, v12
	v_lshrrev_b64 v[12:13], v30, v[12:13]
	v_bfi_b32 v15, v15, 0, 0
	s_delay_alu instid0(VALU_DEP_1) | instskip(NEXT) | instid1(VALU_DEP_3)
	v_cmp_eq_u64_e64 s13, v[14:15], v[50:51]
	v_mov_b64_e32 v[14:15], v[12:13]
	s_and_saveexec_b32 s77, s13
; %bb.8861:                             ;   in Loop: Header=BB4_8239 Depth=3
	v_bfe_u32 v14, v12, 21, 1
	v_mov_b32_e32 v15, v3
	s_delay_alu instid0(VALU_DEP_1) | instskip(NEXT) | instid1(VALU_DEP_1)
	v_add_nc_u64_e32 v[14:15], v[12:13], v[14:15]
	v_add_nc_u64_e32 v[14:15], -1, v[14:15]
; %bb.8862:                             ;   in Loop: Header=BB4_8239 Depth=3
	s_or_b32 exec_lo, exec_lo, s77
	v_add_nc_u32_e32 v5, 0xffffff81, v5
	v_lshrrev_b32_e32 v13, 23, v12
	s_mov_b32 s13, exec_lo
	s_delay_alu instid0(VALU_DEP_2) | instskip(NEXT) | instid1(VALU_DEP_1)
	v_cndmask_b32_e64 v5, v5, 0xffffff82, vcc_lo
	v_add3_u32 v15, v30, v5, v13
	v_and_b32_e32 v5, 0x1fffff, v14
	s_delay_alu instid0(VALU_DEP_2) | instskip(NEXT) | instid1(VALU_DEP_2)
	v_dual_mov_b32 v13, v3 :: v_dual_add_nc_u32 v14, 14, v15
	v_add_nc_u32_e32 v12, v5, v12
                                        ; implicit-def: $vgpr5
	s_delay_alu instid0(VALU_DEP_2)
	v_cmpx_ne_u32_e32 0, v14
	s_xor_b32 s13, exec_lo, s13
; %bb.8863:                             ;   in Loop: Header=BB4_8239 Depth=3
	s_delay_alu instid0(VALU_DEP_2) | instskip(SKIP_1) | instid1(VALU_DEP_1)
	v_cmp_lt_u64_e32 vcc_lo, 0xffffff, v[12:13]
	v_add_nc_u32_e32 v5, 15, v15
	v_cndmask_b32_e32 v5, v14, v5, vcc_lo
	v_cndmask_b32_e64 v14, 0, 1, vcc_lo
	s_delay_alu instid0(VALU_DEP_1)
	v_lshrrev_b64 v[12:13], v14, v[12:13]
; %bb.8864:                             ;   in Loop: Header=BB4_8239 Depth=3
	s_and_not1_saveexec_b32 s13, s13
; %bb.8865:                             ;   in Loop: Header=BB4_8239 Depth=3
	s_delay_alu instid0(VALU_DEP_1)
	v_bfe_u32 v5, v12, 23, 1
; %bb.8866:                             ;   in Loop: Header=BB4_8239 Depth=3
	s_or_b32 exec_lo, exec_lo, s13
	s_delay_alu instid0(VALU_DEP_2) | instskip(NEXT) | instid1(VALU_DEP_2)
	v_lshrrev_b64 v[12:13], 21, v[12:13]
	v_cmp_gt_i32_e32 vcc_lo, 32, v5
	v_min_i32_e32 v14, 31, v5
	v_cmp_eq_u32_e64 s13, 0, v5
	s_delay_alu instid0(VALU_DEP_2) | instskip(SKIP_1) | instid1(VALU_DEP_2)
	v_dual_cndmask_b32 v12, 3, v12, vcc_lo :: v_dual_lshlrev_b32 v14, 2, v14
	v_cndmask_b32_e32 v13, 0, v13, vcc_lo
	v_and_b32_e32 v14, 0xfc, v14
	s_delay_alu instid0(VALU_DEP_2) | instskip(NEXT) | instid1(VALU_DEP_2)
	v_cmp_eq_u64_e32 vcc_lo, 0, v[12:13]
	v_and_or_b32 v5, v12, 3, v14
	s_and_b32 s13, s13, vcc_lo
	s_delay_alu instid0(VALU_DEP_1) | instid1(SALU_CYCLE_1)
	v_cndmask_b32_e64 v5, v5, 0, s13
	s_delay_alu instid0(VALU_DEP_1)
	v_or_b32_e32 v101, v5, v2
.LBB4_8867:                             ;   in Loop: Header=BB4_8239 Depth=3
	s_or_b32 exec_lo, exec_lo, s76
                                        ; implicit-def: $vgpr2
.LBB4_8868:                             ;   in Loop: Header=BB4_8239 Depth=3
	s_and_not1_saveexec_b32 s13, s75
; %bb.8869:                             ;   in Loop: Header=BB4_8239 Depth=3
	v_or_b32_e32 v101, 0x7b, v2
; %bb.8870:                             ;   in Loop: Header=BB4_8239 Depth=3
	s_or_b32 exec_lo, exec_lo, s13
                                        ; implicit-def: $vgpr5
                                        ; implicit-def: $vgpr12_vgpr13
                                        ; implicit-def: $vgpr2
.LBB4_8871:                             ;   in Loop: Header=BB4_8239 Depth=3
	s_and_not1_saveexec_b32 s13, s74
	s_cbranch_execz .LBB4_8877
; %bb.8872:                             ;   in Loop: Header=BB4_8239 Depth=3
	s_mov_b32 s74, exec_lo
                                        ; implicit-def: $vgpr101
	v_cmpx_ne_u64_e32 0, v[12:13]
	s_xor_b32 s74, exec_lo, s74
; %bb.8873:                             ;   in Loop: Header=BB4_8239 Depth=3
	v_or_b32_e32 v101, 0x7f, v2
                                        ; implicit-def: $vgpr5
; %bb.8874:                             ;   in Loop: Header=BB4_8239 Depth=3
	s_and_not1_saveexec_b32 s74, s74
; %bb.8875:                             ;   in Loop: Header=BB4_8239 Depth=3
	v_cmp_lt_i32_e32 vcc_lo, -1, v5
	v_cndmask_b32_e32 v101, 0xfc, v49, vcc_lo
; %bb.8876:                             ;   in Loop: Header=BB4_8239 Depth=3
	s_or_b32 exec_lo, exec_lo, s74
.LBB4_8877:                             ;   in Loop: Header=BB4_8239 Depth=3
	s_delay_alu instid0(SALU_CYCLE_1) | instskip(SKIP_3) | instid1(VALU_DEP_2)
	s_or_b32 exec_lo, exec_lo, s13
	v_lshrrev_b16 v12, 8, v4
	v_mov_b32_e32 v13, 0
	s_mov_b32 s13, exec_lo
	v_cmpx_ne_u16_e32 0, v12
	s_cbranch_execz .LBB4_8887
; %bb.8878:                             ;   in Loop: Header=BB4_8239 Depth=3
	v_bfrev_b32_e32 v13, 1
	s_mov_b32 s74, exec_lo
	v_cmpx_ne_u16_e32 0x80, v12
	s_cbranch_execz .LBB4_8886
; %bb.8879:                             ;   in Loop: Header=BB4_8239 Depth=3
	v_and_b32_e32 v5, 0xffff, v12
	s_delay_alu instid0(VALU_DEP_1) | instskip(SKIP_1) | instid1(VALU_DEP_2)
	v_and_b32_e32 v13, 0x7c, v5
	v_and_b32_e32 v2, 3, v5
	v_cmp_ne_u32_e32 vcc_lo, 0x7c, v13
                                        ; implicit-def: $vgpr13
	s_and_saveexec_b32 s75, vcc_lo
	s_delay_alu instid0(SALU_CYCLE_1)
	s_xor_b32 s75, exec_lo, s75
	s_cbranch_execz .LBB4_8883
; %bb.8880:                             ;   in Loop: Header=BB4_8239 Depth=3
	v_bfe_u32 v5, v5, 2, 5
	s_mov_b32 s76, exec_lo
	s_delay_alu instid0(VALU_DEP_1)
	v_cmpx_eq_u32_e32 0, v5
; %bb.8881:                             ;   in Loop: Header=BB4_8239 Depth=3
	v_clz_i32_u32_e32 v2, v2
	s_delay_alu instid0(VALU_DEP_1) | instskip(SKIP_1) | instid1(VALU_DEP_2)
	v_min_u32_e32 v2, 32, v2
	v_mov_b32_e32 v13, v3
	v_subrev_nc_u32_e32 v5, 29, v2
	s_delay_alu instid0(VALU_DEP_1) | instskip(NEXT) | instid1(VALU_DEP_1)
	v_lshlrev_b64_e32 v[12:13], v5, v[12:13]
	v_dual_sub_nc_u32 v5, 30, v2 :: v_dual_bitop2_b32 v2, 3, v12 bitop3:0x40
; %bb.8882:                             ;   in Loop: Header=BB4_8239 Depth=3
	s_or_b32 exec_lo, exec_lo, s76
	v_lshlrev_b32_e32 v4, 16, v4
	s_delay_alu instid0(VALU_DEP_1) | instskip(NEXT) | instid1(VALU_DEP_1)
	v_and_b32_e32 v4, 0x80000000, v4
	v_lshl_add_u32 v4, v5, 23, v4
	s_delay_alu instid0(VALU_DEP_1) | instskip(NEXT) | instid1(VALU_DEP_1)
	v_lshl_or_b32 v2, v2, 21, v4
                                        ; implicit-def: $vgpr4_vgpr5
	v_add_nc_u32_e32 v13, 0x38000000, v2
                                        ; implicit-def: $vgpr2
.LBB4_8883:                             ;   in Loop: Header=BB4_8239 Depth=3
	s_and_not1_saveexec_b32 s75, s75
; %bb.8884:                             ;   in Loop: Header=BB4_8239 Depth=3
	v_cmp_lt_i16_e32 vcc_lo, -1, v4
	v_cndmask_b32_e32 v4, 0xff800000, v48, vcc_lo
	v_cmp_eq_u32_e32 vcc_lo, 0, v2
	s_delay_alu instid0(VALU_DEP_2)
	v_cndmask_b32_e32 v13, 0x7f800001, v4, vcc_lo
; %bb.8885:                             ;   in Loop: Header=BB4_8239 Depth=3
	s_or_b32 exec_lo, exec_lo, s75
.LBB4_8886:                             ;   in Loop: Header=BB4_8239 Depth=3
	s_delay_alu instid0(SALU_CYCLE_1)
	s_or_b32 exec_lo, exec_lo, s74
.LBB4_8887:                             ;   in Loop: Header=BB4_8239 Depth=3
	s_delay_alu instid0(SALU_CYCLE_1) | instskip(NEXT) | instid1(VALU_DEP_1)
	s_or_b32 exec_lo, exec_lo, s13
	v_dual_mul_f32 v12, s73, v13 :: v_dual_mov_b32 v15, v3
	v_mov_b32_e32 v5, v3
                                        ; implicit-def: $vgpr103
	s_mov_b32 s13, exec_lo
	s_delay_alu instid0(VALU_DEP_2) | instskip(SKIP_2) | instid1(VALU_DEP_3)
	v_and_b32_e32 v14, 0x7f800000, v12
	v_and_b32_e32 v4, 0x7fffff, v12
	v_lshrrev_b32_e32 v2, 24, v12
	v_cmpx_ne_u64_e32 0x7f800000, v[14:15]
	s_xor_b32 s74, exec_lo, s13
	s_cbranch_execz .LBB4_8901
; %bb.8888:                             ;   in Loop: Header=BB4_8239 Depth=3
	v_and_b32_e32 v14, 0x7fffffff, v12
	v_mov_b32_e32 v15, v3
	v_and_b32_e32 v2, 0x80, v2
                                        ; implicit-def: $vgpr103
	s_mov_b32 s13, exec_lo
	s_delay_alu instid0(VALU_DEP_2)
	v_cmpx_gt_u64_e32 0x47600001, v[14:15]
	s_xor_b32 s75, exec_lo, s13
	s_cbranch_execz .LBB4_8898
; %bb.8889:                             ;   in Loop: Header=BB4_8239 Depth=3
	v_mov_b32_e32 v103, 0
	s_mov_b32 s76, exec_lo
	v_cmpx_ne_u32_e32 0, v12
	s_cbranch_execz .LBB4_8897
; %bb.8890:                             ;   in Loop: Header=BB4_8239 Depth=3
	v_bfe_u32 v14, v12, 23, 8
	v_or_b32_e32 v13, 0x800000, v4
	s_delay_alu instid0(VALU_DEP_2) | instskip(SKIP_2) | instid1(VALU_DEP_2)
	v_cmp_gt_u32_e64 s13, 0x72, v14
	v_sub_nc_u32_e32 v12, 0x71, v14
	v_cmp_eq_u32_e32 vcc_lo, 0, v14
	v_cndmask_b32_e64 v12, 0, v12, s13
	s_delay_alu instid0(VALU_DEP_1) | instskip(NEXT) | instid1(VALU_DEP_1)
	v_cndmask_b32_e64 v15, v12, 0x70, vcc_lo
	v_dual_cndmask_b32 v4, v13, v4, vcc_lo :: v_dual_add_nc_u32 v12, 21, v15
	v_add_nc_u32_e32 v30, 20, v15
	s_delay_alu instid0(VALU_DEP_2) | instskip(NEXT) | instid1(VALU_DEP_2)
	v_lshlrev_b64_e64 v[12:13], v12, -1
	v_lshlrev_b64_e64 v[30:31], v30, 1
	s_delay_alu instid0(VALU_DEP_2) | instskip(SKIP_1) | instid1(VALU_DEP_4)
	v_bfi_b32 v12, v12, 0, v4
	v_lshrrev_b64 v[4:5], v15, v[4:5]
	v_bfi_b32 v13, v13, 0, 0
	s_delay_alu instid0(VALU_DEP_1) | instskip(NEXT) | instid1(VALU_DEP_3)
	v_cmp_eq_u64_e64 s13, v[12:13], v[30:31]
	v_mov_b64_e32 v[12:13], v[4:5]
	s_and_saveexec_b32 s77, s13
; %bb.8891:                             ;   in Loop: Header=BB4_8239 Depth=3
	v_bfe_u32 v12, v4, 21, 1
	v_mov_b32_e32 v13, v3
	s_delay_alu instid0(VALU_DEP_1) | instskip(NEXT) | instid1(VALU_DEP_1)
	v_add_nc_u64_e32 v[12:13], v[4:5], v[12:13]
	v_add_nc_u64_e32 v[12:13], -1, v[12:13]
; %bb.8892:                             ;   in Loop: Header=BB4_8239 Depth=3
	s_or_b32 exec_lo, exec_lo, s77
	v_add_nc_u32_e32 v5, 0xffffff81, v14
	v_lshrrev_b32_e32 v13, 23, v4
	s_mov_b32 s13, exec_lo
	s_delay_alu instid0(VALU_DEP_2) | instskip(NEXT) | instid1(VALU_DEP_1)
	v_cndmask_b32_e64 v5, v5, 0xffffff82, vcc_lo
	v_add3_u32 v13, v15, v5, v13
	v_and_b32_e32 v5, 0x1fffff, v12
                                        ; implicit-def: $vgpr12
	s_delay_alu instid0(VALU_DEP_1) | instskip(SKIP_1) | instid1(VALU_DEP_2)
	v_dual_add_nc_u32 v14, 14, v13 :: v_dual_add_nc_u32 v4, v5, v4
	v_mov_b32_e32 v5, v3
	v_cmpx_ne_u32_e32 0, v14
	s_xor_b32 s13, exec_lo, s13
; %bb.8893:                             ;   in Loop: Header=BB4_8239 Depth=3
	s_delay_alu instid0(VALU_DEP_2) | instskip(SKIP_2) | instid1(VALU_DEP_2)
	v_cmp_lt_u64_e32 vcc_lo, 0xffffff, v[4:5]
	v_add_nc_u32_e32 v12, 15, v13
	v_cndmask_b32_e64 v13, 0, 1, vcc_lo
	v_cndmask_b32_e32 v12, v14, v12, vcc_lo
	s_delay_alu instid0(VALU_DEP_2)
	v_lshrrev_b64 v[4:5], v13, v[4:5]
; %bb.8894:                             ;   in Loop: Header=BB4_8239 Depth=3
	s_and_not1_saveexec_b32 s13, s13
; %bb.8895:                             ;   in Loop: Header=BB4_8239 Depth=3
	s_delay_alu instid0(VALU_DEP_1)
	v_bfe_u32 v12, v4, 23, 1
; %bb.8896:                             ;   in Loop: Header=BB4_8239 Depth=3
	s_or_b32 exec_lo, exec_lo, s13
	s_delay_alu instid0(VALU_DEP_2) | instskip(NEXT) | instid1(VALU_DEP_2)
	v_lshrrev_b64 v[4:5], 21, v[4:5]
	v_cmp_gt_i32_e32 vcc_lo, 32, v12
	v_min_i32_e32 v13, 31, v12
	v_cmp_eq_u32_e64 s13, 0, v12
	s_delay_alu instid0(VALU_DEP_4) | instskip(NEXT) | instid1(VALU_DEP_3)
	v_cndmask_b32_e32 v5, 0, v5, vcc_lo
	v_dual_cndmask_b32 v4, 3, v4 :: v_dual_lshlrev_b32 v13, 2, v13
	s_delay_alu instid0(VALU_DEP_1) | instskip(NEXT) | instid1(VALU_DEP_2)
	v_and_b32_e32 v13, 0xfc, v13
	v_cmp_eq_u64_e32 vcc_lo, 0, v[4:5]
	s_delay_alu instid0(VALU_DEP_2)
	v_and_or_b32 v4, v4, 3, v13
	s_and_b32 s13, s13, vcc_lo
	s_delay_alu instid0(VALU_DEP_1) | instid1(SALU_CYCLE_1)
	v_cndmask_b32_e64 v4, v4, 0, s13
	s_delay_alu instid0(VALU_DEP_1)
	v_or_b32_e32 v103, v4, v2
.LBB4_8897:                             ;   in Loop: Header=BB4_8239 Depth=3
	s_or_b32 exec_lo, exec_lo, s76
                                        ; implicit-def: $vgpr2
.LBB4_8898:                             ;   in Loop: Header=BB4_8239 Depth=3
	s_and_not1_saveexec_b32 s13, s75
; %bb.8899:                             ;   in Loop: Header=BB4_8239 Depth=3
	v_or_b32_e32 v103, 0x7b, v2
; %bb.8900:                             ;   in Loop: Header=BB4_8239 Depth=3
	s_or_b32 exec_lo, exec_lo, s13
                                        ; implicit-def: $vgpr12
                                        ; implicit-def: $vgpr4_vgpr5
                                        ; implicit-def: $vgpr2
.LBB4_8901:                             ;   in Loop: Header=BB4_8239 Depth=3
	s_and_not1_saveexec_b32 s13, s74
	s_cbranch_execz .LBB4_8907
; %bb.8902:                             ;   in Loop: Header=BB4_8239 Depth=3
	s_mov_b32 s74, exec_lo
                                        ; implicit-def: $vgpr103
	v_cmpx_ne_u64_e32 0, v[4:5]
	s_xor_b32 s74, exec_lo, s74
; %bb.8903:                             ;   in Loop: Header=BB4_8239 Depth=3
	v_or_b32_e32 v103, 0x7f, v2
                                        ; implicit-def: $vgpr12
; %bb.8904:                             ;   in Loop: Header=BB4_8239 Depth=3
	s_and_not1_saveexec_b32 s74, s74
; %bb.8905:                             ;   in Loop: Header=BB4_8239 Depth=3
	v_cmp_lt_i32_e32 vcc_lo, -1, v12
	v_cndmask_b32_e32 v103, 0xfc, v49, vcc_lo
; %bb.8906:                             ;   in Loop: Header=BB4_8239 Depth=3
	s_or_b32 exec_lo, exec_lo, s74
.LBB4_8907:                             ;   in Loop: Header=BB4_8239 Depth=3
	s_delay_alu instid0(SALU_CYCLE_1) | instskip(SKIP_2) | instid1(VALU_DEP_1)
	s_or_b32 exec_lo, exec_lo, s13
	v_dual_mov_b32 v5, 0 :: v_dual_lshrrev_b32 v2, 16, v9
	s_mov_b32 s13, exec_lo
	v_and_b32_e32 v4, 0xff, v2
	s_delay_alu instid0(VALU_DEP_1)
	v_cmpx_ne_u16_e32 0, v4
	s_cbranch_execz .LBB4_8917
; %bb.8908:                             ;   in Loop: Header=BB4_8239 Depth=3
	v_bfrev_b32_e32 v5, 1
	s_mov_b32 s74, exec_lo
	v_cmpx_ne_u16_e32 0x80, v4
	s_cbranch_execz .LBB4_8916
; %bb.8909:                             ;   in Loop: Header=BB4_8239 Depth=3
	v_and_b32_e32 v5, 0x7c0000, v9
	v_bfe_u32 v4, v9, 16, 2
	s_delay_alu instid0(VALU_DEP_2) | instskip(SKIP_1) | instid1(SALU_CYCLE_1)
	v_cmp_ne_u32_e32 vcc_lo, 0x7c0000, v5
                                        ; implicit-def: $vgpr5
	s_and_saveexec_b32 s75, vcc_lo
	s_xor_b32 s75, exec_lo, s75
	s_cbranch_execz .LBB4_8913
; %bb.8910:                             ;   in Loop: Header=BB4_8239 Depth=3
	v_bfe_u32 v5, v9, 18, 5
	s_mov_b32 s76, exec_lo
	s_delay_alu instid0(VALU_DEP_1)
	v_cmpx_eq_u32_e32 0, v5
; %bb.8911:                             ;   in Loop: Header=BB4_8239 Depth=3
	v_clz_i32_u32_e32 v4, v4
	s_delay_alu instid0(VALU_DEP_1) | instskip(NEXT) | instid1(VALU_DEP_1)
	v_min_u32_e32 v12, 32, v4
	v_subrev_nc_u32_e32 v4, 29, v12
	s_delay_alu instid0(VALU_DEP_1) | instskip(SKIP_1) | instid1(VALU_DEP_2)
	v_lshlrev_b64_e32 v[4:5], v4, v[2:3]
	v_sub_nc_u32_e32 v5, 30, v12
	v_and_b32_e32 v4, 3, v4
; %bb.8912:                             ;   in Loop: Header=BB4_8239 Depth=3
	s_or_b32 exec_lo, exec_lo, s76
	v_lshlrev_b32_e32 v2, 24, v2
	s_delay_alu instid0(VALU_DEP_1) | instskip(NEXT) | instid1(VALU_DEP_1)
	v_and_b32_e32 v2, 0x80000000, v2
	v_lshl_add_u32 v2, v5, 23, v2
	s_delay_alu instid0(VALU_DEP_1) | instskip(NEXT) | instid1(VALU_DEP_1)
	v_lshl_or_b32 v2, v4, 21, v2
                                        ; implicit-def: $vgpr4
	v_add_nc_u32_e32 v5, 0x38000000, v2
                                        ; implicit-def: $vgpr2
.LBB4_8913:                             ;   in Loop: Header=BB4_8239 Depth=3
	s_and_not1_saveexec_b32 s75, s75
; %bb.8914:                             ;   in Loop: Header=BB4_8239 Depth=3
	v_bfe_i32 v2, v2, 0, 8
	s_delay_alu instid0(VALU_DEP_1) | instskip(SKIP_2) | instid1(VALU_DEP_2)
	v_cmp_lt_i16_e32 vcc_lo, -1, v2
	v_cndmask_b32_e32 v2, 0xff800000, v48, vcc_lo
	v_cmp_eq_u32_e32 vcc_lo, 0, v4
	v_cndmask_b32_e32 v5, 0x7f800001, v2, vcc_lo
; %bb.8915:                             ;   in Loop: Header=BB4_8239 Depth=3
	s_or_b32 exec_lo, exec_lo, s75
.LBB4_8916:                             ;   in Loop: Header=BB4_8239 Depth=3
	s_delay_alu instid0(SALU_CYCLE_1)
	s_or_b32 exec_lo, exec_lo, s74
.LBB4_8917:                             ;   in Loop: Header=BB4_8239 Depth=3
	s_delay_alu instid0(SALU_CYCLE_1) | instskip(NEXT) | instid1(VALU_DEP_1)
	s_or_b32 exec_lo, exec_lo, s13
	v_dual_mul_f32 v12, s73, v5 :: v_dual_mov_b32 v15, v3
	v_mov_b32_e32 v5, v3
                                        ; implicit-def: $vgpr67
	s_mov_b32 s13, exec_lo
	s_delay_alu instid0(VALU_DEP_2) | instskip(SKIP_2) | instid1(VALU_DEP_3)
	v_and_b32_e32 v14, 0x7f800000, v12
	v_and_b32_e32 v4, 0x7fffff, v12
	v_lshrrev_b32_e32 v2, 24, v12
	v_cmpx_ne_u64_e32 0x7f800000, v[14:15]
	s_xor_b32 s74, exec_lo, s13
	s_cbranch_execz .LBB4_8931
; %bb.8918:                             ;   in Loop: Header=BB4_8239 Depth=3
	v_and_b32_e32 v14, 0x7fffffff, v12
	v_mov_b32_e32 v15, v3
	v_and_b32_e32 v2, 0x80, v2
                                        ; implicit-def: $vgpr67
	s_mov_b32 s13, exec_lo
	s_delay_alu instid0(VALU_DEP_2)
	v_cmpx_gt_u64_e32 0x47600001, v[14:15]
	s_xor_b32 s75, exec_lo, s13
	s_cbranch_execz .LBB4_8928
; %bb.8919:                             ;   in Loop: Header=BB4_8239 Depth=3
	v_mov_b32_e32 v67, 0
	s_mov_b32 s76, exec_lo
	v_cmpx_ne_u32_e32 0, v12
	s_cbranch_execz .LBB4_8927
; %bb.8920:                             ;   in Loop: Header=BB4_8239 Depth=3
	v_bfe_u32 v14, v12, 23, 8
	v_or_b32_e32 v13, 0x800000, v4
	s_delay_alu instid0(VALU_DEP_2) | instskip(SKIP_2) | instid1(VALU_DEP_2)
	v_cmp_gt_u32_e64 s13, 0x72, v14
	v_sub_nc_u32_e32 v12, 0x71, v14
	v_cmp_eq_u32_e32 vcc_lo, 0, v14
	v_cndmask_b32_e64 v12, 0, v12, s13
	s_delay_alu instid0(VALU_DEP_1) | instskip(NEXT) | instid1(VALU_DEP_1)
	v_cndmask_b32_e64 v15, v12, 0x70, vcc_lo
	v_dual_cndmask_b32 v4, v13, v4, vcc_lo :: v_dual_add_nc_u32 v12, 21, v15
	v_add_nc_u32_e32 v30, 20, v15
	s_delay_alu instid0(VALU_DEP_2) | instskip(NEXT) | instid1(VALU_DEP_2)
	v_lshlrev_b64_e64 v[12:13], v12, -1
	v_lshlrev_b64_e64 v[30:31], v30, 1
	s_delay_alu instid0(VALU_DEP_2) | instskip(SKIP_1) | instid1(VALU_DEP_4)
	v_bfi_b32 v12, v12, 0, v4
	v_lshrrev_b64 v[4:5], v15, v[4:5]
	v_bfi_b32 v13, v13, 0, 0
	s_delay_alu instid0(VALU_DEP_1) | instskip(NEXT) | instid1(VALU_DEP_3)
	v_cmp_eq_u64_e64 s13, v[12:13], v[30:31]
	v_mov_b64_e32 v[12:13], v[4:5]
	s_and_saveexec_b32 s77, s13
; %bb.8921:                             ;   in Loop: Header=BB4_8239 Depth=3
	v_bfe_u32 v12, v4, 21, 1
	v_mov_b32_e32 v13, v3
	s_delay_alu instid0(VALU_DEP_1) | instskip(NEXT) | instid1(VALU_DEP_1)
	v_add_nc_u64_e32 v[12:13], v[4:5], v[12:13]
	v_add_nc_u64_e32 v[12:13], -1, v[12:13]
; %bb.8922:                             ;   in Loop: Header=BB4_8239 Depth=3
	s_or_b32 exec_lo, exec_lo, s77
	v_add_nc_u32_e32 v5, 0xffffff81, v14
	v_lshrrev_b32_e32 v13, 23, v4
	s_mov_b32 s13, exec_lo
	s_delay_alu instid0(VALU_DEP_2) | instskip(NEXT) | instid1(VALU_DEP_1)
	v_cndmask_b32_e64 v5, v5, 0xffffff82, vcc_lo
	v_add3_u32 v13, v15, v5, v13
	v_and_b32_e32 v5, 0x1fffff, v12
                                        ; implicit-def: $vgpr12
	s_delay_alu instid0(VALU_DEP_1) | instskip(SKIP_1) | instid1(VALU_DEP_2)
	v_dual_add_nc_u32 v14, 14, v13 :: v_dual_add_nc_u32 v4, v5, v4
	v_mov_b32_e32 v5, v3
	v_cmpx_ne_u32_e32 0, v14
	s_xor_b32 s13, exec_lo, s13
; %bb.8923:                             ;   in Loop: Header=BB4_8239 Depth=3
	s_delay_alu instid0(VALU_DEP_2) | instskip(SKIP_2) | instid1(VALU_DEP_2)
	v_cmp_lt_u64_e32 vcc_lo, 0xffffff, v[4:5]
	v_add_nc_u32_e32 v12, 15, v13
	v_cndmask_b32_e64 v13, 0, 1, vcc_lo
	v_cndmask_b32_e32 v12, v14, v12, vcc_lo
	s_delay_alu instid0(VALU_DEP_2)
	v_lshrrev_b64 v[4:5], v13, v[4:5]
; %bb.8924:                             ;   in Loop: Header=BB4_8239 Depth=3
	s_and_not1_saveexec_b32 s13, s13
; %bb.8925:                             ;   in Loop: Header=BB4_8239 Depth=3
	s_delay_alu instid0(VALU_DEP_1)
	v_bfe_u32 v12, v4, 23, 1
; %bb.8926:                             ;   in Loop: Header=BB4_8239 Depth=3
	s_or_b32 exec_lo, exec_lo, s13
	s_delay_alu instid0(VALU_DEP_2) | instskip(NEXT) | instid1(VALU_DEP_2)
	v_lshrrev_b64 v[4:5], 21, v[4:5]
	v_cmp_gt_i32_e32 vcc_lo, 32, v12
	v_min_i32_e32 v13, 31, v12
	v_cmp_eq_u32_e64 s13, 0, v12
	s_delay_alu instid0(VALU_DEP_4) | instskip(NEXT) | instid1(VALU_DEP_3)
	v_cndmask_b32_e32 v5, 0, v5, vcc_lo
	v_dual_cndmask_b32 v4, 3, v4 :: v_dual_lshlrev_b32 v13, 2, v13
	s_delay_alu instid0(VALU_DEP_1) | instskip(NEXT) | instid1(VALU_DEP_2)
	v_and_b32_e32 v13, 0xfc, v13
	v_cmp_eq_u64_e32 vcc_lo, 0, v[4:5]
	s_delay_alu instid0(VALU_DEP_2)
	v_and_or_b32 v4, v4, 3, v13
	s_and_b32 s13, s13, vcc_lo
	s_delay_alu instid0(VALU_DEP_1) | instid1(SALU_CYCLE_1)
	v_cndmask_b32_e64 v4, v4, 0, s13
	s_delay_alu instid0(VALU_DEP_1)
	v_or_b32_e32 v67, v4, v2
.LBB4_8927:                             ;   in Loop: Header=BB4_8239 Depth=3
	s_or_b32 exec_lo, exec_lo, s76
                                        ; implicit-def: $vgpr2
.LBB4_8928:                             ;   in Loop: Header=BB4_8239 Depth=3
	s_and_not1_saveexec_b32 s13, s75
; %bb.8929:                             ;   in Loop: Header=BB4_8239 Depth=3
	v_or_b32_e32 v67, 0x7b, v2
; %bb.8930:                             ;   in Loop: Header=BB4_8239 Depth=3
	s_or_b32 exec_lo, exec_lo, s13
                                        ; implicit-def: $vgpr12
                                        ; implicit-def: $vgpr4_vgpr5
                                        ; implicit-def: $vgpr2
.LBB4_8931:                             ;   in Loop: Header=BB4_8239 Depth=3
	s_and_not1_saveexec_b32 s13, s74
	s_cbranch_execz .LBB4_8937
; %bb.8932:                             ;   in Loop: Header=BB4_8239 Depth=3
	s_mov_b32 s74, exec_lo
                                        ; implicit-def: $vgpr67
	v_cmpx_ne_u64_e32 0, v[4:5]
	s_xor_b32 s74, exec_lo, s74
; %bb.8933:                             ;   in Loop: Header=BB4_8239 Depth=3
	v_or_b32_e32 v67, 0x7f, v2
                                        ; implicit-def: $vgpr12
; %bb.8934:                             ;   in Loop: Header=BB4_8239 Depth=3
	s_and_not1_saveexec_b32 s74, s74
; %bb.8935:                             ;   in Loop: Header=BB4_8239 Depth=3
	v_cmp_lt_i32_e32 vcc_lo, -1, v12
	v_cndmask_b32_e32 v67, 0xfc, v49, vcc_lo
; %bb.8936:                             ;   in Loop: Header=BB4_8239 Depth=3
	s_or_b32 exec_lo, exec_lo, s74
.LBB4_8937:                             ;   in Loop: Header=BB4_8239 Depth=3
	s_delay_alu instid0(SALU_CYCLE_1)
	s_or_b32 exec_lo, exec_lo, s13
	v_mov_b32_e32 v4, 0
	s_mov_b32 s13, exec_lo
	v_cmpx_lt_u64_e64 s[22:23], v[8:9]
	s_cbranch_execz .LBB4_8947
; %bb.8938:                             ;   in Loop: Header=BB4_8239 Depth=3
	v_lshrrev_b32_e32 v2, 24, v9
	v_bfrev_b32_e32 v4, 1
	s_mov_b32 s74, exec_lo
	s_delay_alu instid0(VALU_DEP_2)
	v_cmpx_ne_u32_e32 0x80, v2
	s_cbranch_execz .LBB4_8946
; %bb.8939:                             ;   in Loop: Header=BB4_8239 Depth=3
	v_and_b32_e32 v4, 0x7c000000, v9
	v_bfe_u32 v5, v9, 24, 2
	s_delay_alu instid0(VALU_DEP_2) | instskip(SKIP_1) | instid1(SALU_CYCLE_1)
	v_cmp_ne_u32_e32 vcc_lo, 0x7c000000, v4
                                        ; implicit-def: $vgpr4
	s_and_saveexec_b32 s75, vcc_lo
	s_xor_b32 s75, exec_lo, s75
	s_cbranch_execz .LBB4_8943
; %bb.8940:                             ;   in Loop: Header=BB4_8239 Depth=3
	v_bfe_u32 v4, v9, 26, 5
	s_mov_b32 s76, exec_lo
	s_delay_alu instid0(VALU_DEP_1)
	v_cmpx_eq_u32_e32 0, v4
; %bb.8941:                             ;   in Loop: Header=BB4_8239 Depth=3
	v_clz_i32_u32_e32 v4, v5
	s_delay_alu instid0(VALU_DEP_1) | instskip(NEXT) | instid1(VALU_DEP_1)
	v_min_u32_e32 v4, 32, v4
	v_subrev_nc_u32_e32 v5, 29, v4
	v_sub_nc_u32_e32 v4, 30, v4
	s_delay_alu instid0(VALU_DEP_2) | instskip(NEXT) | instid1(VALU_DEP_1)
	v_lshlrev_b64_e32 v[12:13], v5, v[2:3]
	v_and_b32_e32 v5, 3, v12
; %bb.8942:                             ;   in Loop: Header=BB4_8239 Depth=3
	s_or_b32 exec_lo, exec_lo, s76
	v_and_b32_e32 v2, 0x80000000, v9
	s_delay_alu instid0(VALU_DEP_1) | instskip(NEXT) | instid1(VALU_DEP_1)
	v_lshl_add_u32 v2, v4, 23, v2
	v_lshl_or_b32 v2, v5, 21, v2
                                        ; implicit-def: $vgpr5
	s_delay_alu instid0(VALU_DEP_1)
	v_add_nc_u32_e32 v4, 0x38000000, v2
.LBB4_8943:                             ;   in Loop: Header=BB4_8239 Depth=3
	s_and_not1_saveexec_b32 s75, s75
; %bb.8944:                             ;   in Loop: Header=BB4_8239 Depth=3
	v_cmp_lt_i64_e32 vcc_lo, -1, v[8:9]
	v_cndmask_b32_e32 v2, 0xff800000, v48, vcc_lo
	v_cmp_eq_u32_e32 vcc_lo, 0, v5
	s_delay_alu instid0(VALU_DEP_2)
	v_cndmask_b32_e32 v4, 0x7f800001, v2, vcc_lo
; %bb.8945:                             ;   in Loop: Header=BB4_8239 Depth=3
	s_or_b32 exec_lo, exec_lo, s75
.LBB4_8946:                             ;   in Loop: Header=BB4_8239 Depth=3
	s_delay_alu instid0(SALU_CYCLE_1)
	s_or_b32 exec_lo, exec_lo, s74
.LBB4_8947:                             ;   in Loop: Header=BB4_8239 Depth=3
	s_delay_alu instid0(SALU_CYCLE_1) | instskip(NEXT) | instid1(VALU_DEP_1)
	s_or_b32 exec_lo, exec_lo, s13
	v_dual_mul_f32 v8, s73, v4 :: v_dual_mov_b32 v13, v3
	v_mov_b32_e32 v5, v3
                                        ; implicit-def: $vgpr60
	s_mov_b32 s13, exec_lo
	s_delay_alu instid0(VALU_DEP_2) | instskip(SKIP_2) | instid1(VALU_DEP_3)
	v_and_b32_e32 v12, 0x7f800000, v8
	v_and_b32_e32 v4, 0x7fffff, v8
	v_lshrrev_b32_e32 v2, 24, v8
	v_cmpx_ne_u64_e32 0x7f800000, v[12:13]
	s_xor_b32 s74, exec_lo, s13
	s_cbranch_execz .LBB4_8961
; %bb.8948:                             ;   in Loop: Header=BB4_8239 Depth=3
	v_and_b32_e32 v12, 0x7fffffff, v8
	v_mov_b32_e32 v13, v3
	v_and_b32_e32 v2, 0x80, v2
                                        ; implicit-def: $vgpr60
	s_mov_b32 s13, exec_lo
	s_delay_alu instid0(VALU_DEP_2)
	v_cmpx_gt_u64_e32 0x47600001, v[12:13]
	s_xor_b32 s75, exec_lo, s13
	s_cbranch_execz .LBB4_8958
; %bb.8949:                             ;   in Loop: Header=BB4_8239 Depth=3
	v_mov_b32_e32 v60, 0
	s_mov_b32 s76, exec_lo
	v_cmpx_ne_u32_e32 0, v8
	s_cbranch_execz .LBB4_8957
; %bb.8950:                             ;   in Loop: Header=BB4_8239 Depth=3
	v_bfe_u32 v12, v8, 23, 8
	v_or_b32_e32 v9, 0x800000, v4
	s_delay_alu instid0(VALU_DEP_2) | instskip(SKIP_2) | instid1(VALU_DEP_2)
	v_cmp_gt_u32_e64 s13, 0x72, v12
	v_sub_nc_u32_e32 v8, 0x71, v12
	v_cmp_eq_u32_e32 vcc_lo, 0, v12
	v_cndmask_b32_e64 v8, 0, v8, s13
	s_delay_alu instid0(VALU_DEP_1) | instskip(NEXT) | instid1(VALU_DEP_1)
	v_cndmask_b32_e64 v13, v8, 0x70, vcc_lo
	v_dual_cndmask_b32 v4, v9, v4, vcc_lo :: v_dual_add_nc_u32 v8, 21, v13
	v_add_nc_u32_e32 v14, 20, v13
	s_delay_alu instid0(VALU_DEP_2) | instskip(NEXT) | instid1(VALU_DEP_2)
	v_lshlrev_b64_e64 v[8:9], v8, -1
	v_lshlrev_b64_e64 v[14:15], v14, 1
	s_delay_alu instid0(VALU_DEP_2) | instskip(SKIP_1) | instid1(VALU_DEP_4)
	v_bfi_b32 v8, v8, 0, v4
	v_lshrrev_b64 v[4:5], v13, v[4:5]
	v_bfi_b32 v9, v9, 0, 0
	s_delay_alu instid0(VALU_DEP_1) | instskip(NEXT) | instid1(VALU_DEP_3)
	v_cmp_eq_u64_e64 s13, v[8:9], v[14:15]
	v_mov_b64_e32 v[8:9], v[4:5]
	s_and_saveexec_b32 s77, s13
; %bb.8951:                             ;   in Loop: Header=BB4_8239 Depth=3
	v_bfe_u32 v8, v4, 21, 1
	v_mov_b32_e32 v9, v3
	s_delay_alu instid0(VALU_DEP_1) | instskip(NEXT) | instid1(VALU_DEP_1)
	v_add_nc_u64_e32 v[8:9], v[4:5], v[8:9]
	v_add_nc_u64_e32 v[8:9], -1, v[8:9]
; %bb.8952:                             ;   in Loop: Header=BB4_8239 Depth=3
	s_or_b32 exec_lo, exec_lo, s77
	v_add_nc_u32_e32 v5, 0xffffff81, v12
	v_lshrrev_b32_e32 v9, 23, v4
	s_mov_b32 s13, exec_lo
	s_delay_alu instid0(VALU_DEP_2) | instskip(NEXT) | instid1(VALU_DEP_1)
	v_cndmask_b32_e64 v5, v5, 0xffffff82, vcc_lo
	v_add3_u32 v9, v13, v5, v9
	v_and_b32_e32 v5, 0x1fffff, v8
                                        ; implicit-def: $vgpr8
	s_delay_alu instid0(VALU_DEP_1) | instskip(SKIP_1) | instid1(VALU_DEP_2)
	v_dual_add_nc_u32 v12, 14, v9 :: v_dual_add_nc_u32 v4, v5, v4
	v_mov_b32_e32 v5, v3
	v_cmpx_ne_u32_e32 0, v12
	s_xor_b32 s13, exec_lo, s13
; %bb.8953:                             ;   in Loop: Header=BB4_8239 Depth=3
	s_delay_alu instid0(VALU_DEP_2) | instskip(SKIP_2) | instid1(VALU_DEP_2)
	v_cmp_lt_u64_e32 vcc_lo, 0xffffff, v[4:5]
	v_add_nc_u32_e32 v8, 15, v9
	v_cndmask_b32_e64 v9, 0, 1, vcc_lo
	v_cndmask_b32_e32 v8, v12, v8, vcc_lo
	s_delay_alu instid0(VALU_DEP_2)
	v_lshrrev_b64 v[4:5], v9, v[4:5]
; %bb.8954:                             ;   in Loop: Header=BB4_8239 Depth=3
	s_and_not1_saveexec_b32 s13, s13
; %bb.8955:                             ;   in Loop: Header=BB4_8239 Depth=3
	s_delay_alu instid0(VALU_DEP_1)
	v_bfe_u32 v8, v4, 23, 1
; %bb.8956:                             ;   in Loop: Header=BB4_8239 Depth=3
	s_or_b32 exec_lo, exec_lo, s13
	s_delay_alu instid0(VALU_DEP_2) | instskip(NEXT) | instid1(VALU_DEP_2)
	v_lshrrev_b64 v[4:5], 21, v[4:5]
	v_cmp_gt_i32_e32 vcc_lo, 32, v8
	v_min_i32_e32 v9, 31, v8
	v_cmp_eq_u32_e64 s13, 0, v8
	s_delay_alu instid0(VALU_DEP_4) | instskip(NEXT) | instid1(VALU_DEP_3)
	v_cndmask_b32_e32 v5, 0, v5, vcc_lo
	v_dual_cndmask_b32 v4, 3, v4 :: v_dual_lshlrev_b32 v9, 2, v9
	s_delay_alu instid0(VALU_DEP_1) | instskip(NEXT) | instid1(VALU_DEP_2)
	v_and_b32_e32 v9, 0xfc, v9
	v_cmp_eq_u64_e32 vcc_lo, 0, v[4:5]
	s_delay_alu instid0(VALU_DEP_2)
	v_and_or_b32 v4, v4, 3, v9
	s_and_b32 s13, s13, vcc_lo
	s_delay_alu instid0(VALU_DEP_1) | instid1(SALU_CYCLE_1)
	v_cndmask_b32_e64 v4, v4, 0, s13
	s_delay_alu instid0(VALU_DEP_1)
	v_or_b32_e32 v60, v4, v2
.LBB4_8957:                             ;   in Loop: Header=BB4_8239 Depth=3
	s_or_b32 exec_lo, exec_lo, s76
                                        ; implicit-def: $vgpr2
.LBB4_8958:                             ;   in Loop: Header=BB4_8239 Depth=3
	s_and_not1_saveexec_b32 s13, s75
; %bb.8959:                             ;   in Loop: Header=BB4_8239 Depth=3
	v_or_b32_e32 v60, 0x7b, v2
; %bb.8960:                             ;   in Loop: Header=BB4_8239 Depth=3
	s_or_b32 exec_lo, exec_lo, s13
                                        ; implicit-def: $vgpr8
                                        ; implicit-def: $vgpr4_vgpr5
                                        ; implicit-def: $vgpr2
.LBB4_8961:                             ;   in Loop: Header=BB4_8239 Depth=3
	s_and_not1_saveexec_b32 s13, s74
	s_cbranch_execz .LBB4_8967
; %bb.8962:                             ;   in Loop: Header=BB4_8239 Depth=3
	s_mov_b32 s74, exec_lo
                                        ; implicit-def: $vgpr60
	v_cmpx_ne_u64_e32 0, v[4:5]
	s_xor_b32 s74, exec_lo, s74
; %bb.8963:                             ;   in Loop: Header=BB4_8239 Depth=3
	v_or_b32_e32 v60, 0x7f, v2
                                        ; implicit-def: $vgpr8
; %bb.8964:                             ;   in Loop: Header=BB4_8239 Depth=3
	s_and_not1_saveexec_b32 s74, s74
; %bb.8965:                             ;   in Loop: Header=BB4_8239 Depth=3
	v_cmp_lt_i32_e32 vcc_lo, -1, v8
	v_cndmask_b32_e32 v60, 0xfc, v49, vcc_lo
; %bb.8966:                             ;   in Loop: Header=BB4_8239 Depth=3
	s_or_b32 exec_lo, exec_lo, s74
.LBB4_8967:                             ;   in Loop: Header=BB4_8239 Depth=3
	s_delay_alu instid0(SALU_CYCLE_1) | instskip(SKIP_1) | instid1(VALU_DEP_1)
	s_or_b32 exec_lo, exec_lo, s13
	v_and_b32_e32 v2, 0xff, v10
	v_cmp_ne_u16_e32 vcc_lo, 0, v2
	v_mov_b32_e32 v2, 0
	s_and_saveexec_b32 s13, vcc_lo
	s_cbranch_execz .LBB4_8977
; %bb.8968:                             ;   in Loop: Header=BB4_8239 Depth=3
	v_bfe_i32 v5, v10, 0, 8
	v_bfrev_b32_e32 v2, 1
	s_mov_b32 s74, exec_lo
	s_delay_alu instid0(VALU_DEP_2)
	v_cmpx_ne_u16_e32 0xff80, v5
	s_cbranch_execz .LBB4_8976
; %bb.8969:                             ;   in Loop: Header=BB4_8239 Depth=3
	v_and_b32_e32 v2, 0x7c, v10
	v_and_b32_e32 v4, 3, v10
	s_delay_alu instid0(VALU_DEP_2) | instskip(SKIP_1) | instid1(SALU_CYCLE_1)
	v_cmp_ne_u32_e32 vcc_lo, 0x7c, v2
                                        ; implicit-def: $vgpr2
	s_and_saveexec_b32 s75, vcc_lo
	s_xor_b32 s75, exec_lo, s75
	s_cbranch_execz .LBB4_8973
; %bb.8970:                             ;   in Loop: Header=BB4_8239 Depth=3
	v_bfe_u32 v2, v10, 2, 5
	s_mov_b32 s76, exec_lo
	s_delay_alu instid0(VALU_DEP_1)
	v_cmpx_eq_u32_e32 0, v2
; %bb.8971:                             ;   in Loop: Header=BB4_8239 Depth=3
	v_clz_i32_u32_e32 v2, v4
	s_delay_alu instid0(VALU_DEP_1) | instskip(NEXT) | instid1(VALU_DEP_1)
	v_min_u32_e32 v2, 32, v2
	v_subrev_nc_u32_e32 v4, 29, v2
	s_delay_alu instid0(VALU_DEP_1) | instskip(NEXT) | instid1(VALU_DEP_1)
	v_lshlrev_b64_e32 v[4:5], v4, v[10:11]
	v_dual_sub_nc_u32 v2, 30, v2 :: v_dual_bitop2_b32 v4, 3, v4 bitop3:0x40
; %bb.8972:                             ;   in Loop: Header=BB4_8239 Depth=3
	s_or_b32 exec_lo, exec_lo, s76
	v_lshlrev_b32_e32 v5, 24, v10
	s_delay_alu instid0(VALU_DEP_1) | instskip(NEXT) | instid1(VALU_DEP_1)
	v_and_b32_e32 v5, 0x80000000, v5
	v_lshl_add_u32 v2, v2, 23, v5
                                        ; implicit-def: $vgpr5
	s_delay_alu instid0(VALU_DEP_1) | instskip(NEXT) | instid1(VALU_DEP_1)
	v_lshl_or_b32 v2, v4, 21, v2
                                        ; implicit-def: $vgpr4
	v_add_nc_u32_e32 v2, 0x38000000, v2
.LBB4_8973:                             ;   in Loop: Header=BB4_8239 Depth=3
	s_and_not1_saveexec_b32 s75, s75
; %bb.8974:                             ;   in Loop: Header=BB4_8239 Depth=3
	v_cmp_lt_i16_e32 vcc_lo, -1, v5
	v_cndmask_b32_e32 v2, 0xff800000, v48, vcc_lo
	v_cmp_eq_u32_e32 vcc_lo, 0, v4
	s_delay_alu instid0(VALU_DEP_2)
	v_cndmask_b32_e32 v2, 0x7f800001, v2, vcc_lo
; %bb.8975:                             ;   in Loop: Header=BB4_8239 Depth=3
	s_or_b32 exec_lo, exec_lo, s75
.LBB4_8976:                             ;   in Loop: Header=BB4_8239 Depth=3
	s_delay_alu instid0(SALU_CYCLE_1)
	s_or_b32 exec_lo, exec_lo, s74
.LBB4_8977:                             ;   in Loop: Header=BB4_8239 Depth=3
	s_delay_alu instid0(SALU_CYCLE_1) | instskip(NEXT) | instid1(VALU_DEP_1)
	s_or_b32 exec_lo, exec_lo, s13
	v_dual_mul_f32 v8, s73, v2 :: v_dual_mov_b32 v13, v3
	v_mov_b32_e32 v5, v3
                                        ; implicit-def: $vgpr51
	s_mov_b32 s13, exec_lo
	s_delay_alu instid0(VALU_DEP_2) | instskip(SKIP_2) | instid1(VALU_DEP_3)
	v_and_b32_e32 v12, 0x7f800000, v8
	v_and_b32_e32 v4, 0x7fffff, v8
	v_lshrrev_b32_e32 v2, 24, v8
	v_cmpx_ne_u64_e32 0x7f800000, v[12:13]
	s_xor_b32 s74, exec_lo, s13
	s_cbranch_execz .LBB4_8991
; %bb.8978:                             ;   in Loop: Header=BB4_8239 Depth=3
	v_and_b32_e32 v12, 0x7fffffff, v8
	v_mov_b32_e32 v13, v3
	v_and_b32_e32 v2, 0x80, v2
                                        ; implicit-def: $vgpr51
	s_mov_b32 s13, exec_lo
	s_delay_alu instid0(VALU_DEP_2)
	v_cmpx_gt_u64_e32 0x47600001, v[12:13]
	s_xor_b32 s75, exec_lo, s13
	s_cbranch_execz .LBB4_8988
; %bb.8979:                             ;   in Loop: Header=BB4_8239 Depth=3
	v_mov_b32_e32 v51, 0
	s_mov_b32 s76, exec_lo
	v_cmpx_ne_u32_e32 0, v8
	s_cbranch_execz .LBB4_8987
; %bb.8980:                             ;   in Loop: Header=BB4_8239 Depth=3
	v_bfe_u32 v12, v8, 23, 8
	v_or_b32_e32 v9, 0x800000, v4
	s_delay_alu instid0(VALU_DEP_2) | instskip(SKIP_2) | instid1(VALU_DEP_2)
	v_cmp_gt_u32_e64 s13, 0x72, v12
	v_sub_nc_u32_e32 v8, 0x71, v12
	v_cmp_eq_u32_e32 vcc_lo, 0, v12
	v_cndmask_b32_e64 v8, 0, v8, s13
	s_delay_alu instid0(VALU_DEP_1) | instskip(NEXT) | instid1(VALU_DEP_1)
	v_cndmask_b32_e64 v13, v8, 0x70, vcc_lo
	v_dual_cndmask_b32 v4, v9, v4, vcc_lo :: v_dual_add_nc_u32 v8, 21, v13
	v_add_nc_u32_e32 v14, 20, v13
	s_delay_alu instid0(VALU_DEP_2) | instskip(NEXT) | instid1(VALU_DEP_2)
	v_lshlrev_b64_e64 v[8:9], v8, -1
	v_lshlrev_b64_e64 v[14:15], v14, 1
	s_delay_alu instid0(VALU_DEP_2) | instskip(SKIP_1) | instid1(VALU_DEP_4)
	v_bfi_b32 v8, v8, 0, v4
	v_lshrrev_b64 v[4:5], v13, v[4:5]
	v_bfi_b32 v9, v9, 0, 0
	s_delay_alu instid0(VALU_DEP_1) | instskip(NEXT) | instid1(VALU_DEP_3)
	v_cmp_eq_u64_e64 s13, v[8:9], v[14:15]
	v_mov_b64_e32 v[8:9], v[4:5]
	s_and_saveexec_b32 s77, s13
; %bb.8981:                             ;   in Loop: Header=BB4_8239 Depth=3
	v_bfe_u32 v8, v4, 21, 1
	v_mov_b32_e32 v9, v3
	s_delay_alu instid0(VALU_DEP_1) | instskip(NEXT) | instid1(VALU_DEP_1)
	v_add_nc_u64_e32 v[8:9], v[4:5], v[8:9]
	v_add_nc_u64_e32 v[8:9], -1, v[8:9]
; %bb.8982:                             ;   in Loop: Header=BB4_8239 Depth=3
	s_or_b32 exec_lo, exec_lo, s77
	v_add_nc_u32_e32 v5, 0xffffff81, v12
	v_lshrrev_b32_e32 v9, 23, v4
	s_mov_b32 s13, exec_lo
	s_delay_alu instid0(VALU_DEP_2) | instskip(NEXT) | instid1(VALU_DEP_1)
	v_cndmask_b32_e64 v5, v5, 0xffffff82, vcc_lo
	v_add3_u32 v9, v13, v5, v9
	v_and_b32_e32 v5, 0x1fffff, v8
                                        ; implicit-def: $vgpr8
	s_delay_alu instid0(VALU_DEP_1) | instskip(SKIP_1) | instid1(VALU_DEP_2)
	v_dual_add_nc_u32 v12, 14, v9 :: v_dual_add_nc_u32 v4, v5, v4
	v_mov_b32_e32 v5, v3
	v_cmpx_ne_u32_e32 0, v12
	s_xor_b32 s13, exec_lo, s13
; %bb.8983:                             ;   in Loop: Header=BB4_8239 Depth=3
	s_delay_alu instid0(VALU_DEP_2) | instskip(SKIP_2) | instid1(VALU_DEP_2)
	v_cmp_lt_u64_e32 vcc_lo, 0xffffff, v[4:5]
	v_add_nc_u32_e32 v8, 15, v9
	v_cndmask_b32_e64 v9, 0, 1, vcc_lo
	v_cndmask_b32_e32 v8, v12, v8, vcc_lo
	s_delay_alu instid0(VALU_DEP_2)
	v_lshrrev_b64 v[4:5], v9, v[4:5]
; %bb.8984:                             ;   in Loop: Header=BB4_8239 Depth=3
	s_and_not1_saveexec_b32 s13, s13
; %bb.8985:                             ;   in Loop: Header=BB4_8239 Depth=3
	s_delay_alu instid0(VALU_DEP_1)
	v_bfe_u32 v8, v4, 23, 1
; %bb.8986:                             ;   in Loop: Header=BB4_8239 Depth=3
	s_or_b32 exec_lo, exec_lo, s13
	s_delay_alu instid0(VALU_DEP_2) | instskip(NEXT) | instid1(VALU_DEP_2)
	v_lshrrev_b64 v[4:5], 21, v[4:5]
	v_cmp_gt_i32_e32 vcc_lo, 32, v8
	v_min_i32_e32 v9, 31, v8
	v_cmp_eq_u32_e64 s13, 0, v8
	s_delay_alu instid0(VALU_DEP_4) | instskip(NEXT) | instid1(VALU_DEP_3)
	v_cndmask_b32_e32 v5, 0, v5, vcc_lo
	v_dual_cndmask_b32 v4, 3, v4 :: v_dual_lshlrev_b32 v9, 2, v9
	s_delay_alu instid0(VALU_DEP_1) | instskip(NEXT) | instid1(VALU_DEP_2)
	v_and_b32_e32 v9, 0xfc, v9
	v_cmp_eq_u64_e32 vcc_lo, 0, v[4:5]
	s_delay_alu instid0(VALU_DEP_2)
	v_and_or_b32 v4, v4, 3, v9
	s_and_b32 s13, s13, vcc_lo
	s_delay_alu instid0(VALU_DEP_1) | instid1(SALU_CYCLE_1)
	v_cndmask_b32_e64 v4, v4, 0, s13
	s_delay_alu instid0(VALU_DEP_1)
	v_or_b32_e32 v51, v4, v2
.LBB4_8987:                             ;   in Loop: Header=BB4_8239 Depth=3
	s_or_b32 exec_lo, exec_lo, s76
                                        ; implicit-def: $vgpr2
.LBB4_8988:                             ;   in Loop: Header=BB4_8239 Depth=3
	s_and_not1_saveexec_b32 s13, s75
; %bb.8989:                             ;   in Loop: Header=BB4_8239 Depth=3
	v_or_b32_e32 v51, 0x7b, v2
; %bb.8990:                             ;   in Loop: Header=BB4_8239 Depth=3
	s_or_b32 exec_lo, exec_lo, s13
                                        ; implicit-def: $vgpr8
                                        ; implicit-def: $vgpr4_vgpr5
                                        ; implicit-def: $vgpr2
.LBB4_8991:                             ;   in Loop: Header=BB4_8239 Depth=3
	s_and_not1_saveexec_b32 s13, s74
	s_cbranch_execz .LBB4_8997
; %bb.8992:                             ;   in Loop: Header=BB4_8239 Depth=3
	s_mov_b32 s74, exec_lo
                                        ; implicit-def: $vgpr51
	v_cmpx_ne_u64_e32 0, v[4:5]
	s_xor_b32 s74, exec_lo, s74
; %bb.8993:                             ;   in Loop: Header=BB4_8239 Depth=3
	v_or_b32_e32 v51, 0x7f, v2
                                        ; implicit-def: $vgpr8
; %bb.8994:                             ;   in Loop: Header=BB4_8239 Depth=3
	s_and_not1_saveexec_b32 s74, s74
; %bb.8995:                             ;   in Loop: Header=BB4_8239 Depth=3
	v_cmp_lt_i32_e32 vcc_lo, -1, v8
	v_cndmask_b32_e32 v51, 0xfc, v49, vcc_lo
; %bb.8996:                             ;   in Loop: Header=BB4_8239 Depth=3
	s_or_b32 exec_lo, exec_lo, s74
.LBB4_8997:                             ;   in Loop: Header=BB4_8239 Depth=3
	s_delay_alu instid0(SALU_CYCLE_1) | instskip(SKIP_3) | instid1(VALU_DEP_2)
	s_or_b32 exec_lo, exec_lo, s13
	v_lshrrev_b16 v4, 8, v10
	v_mov_b32_e32 v5, 0
	s_mov_b32 s13, exec_lo
	v_cmpx_ne_u16_e32 0, v4
	s_cbranch_execz .LBB4_9007
; %bb.8998:                             ;   in Loop: Header=BB4_8239 Depth=3
	v_bfrev_b32_e32 v5, 1
	s_mov_b32 s74, exec_lo
	v_cmpx_ne_u16_e32 0x80, v4
	s_cbranch_execz .LBB4_9006
; %bb.8999:                             ;   in Loop: Header=BB4_8239 Depth=3
	v_and_b32_e32 v8, 0xffff, v4
	s_delay_alu instid0(VALU_DEP_1) | instskip(SKIP_1) | instid1(VALU_DEP_2)
	v_and_b32_e32 v5, 0x7c, v8
	v_and_b32_e32 v2, 3, v8
	v_cmp_ne_u32_e32 vcc_lo, 0x7c, v5
                                        ; implicit-def: $vgpr5
	s_and_saveexec_b32 s75, vcc_lo
	s_delay_alu instid0(SALU_CYCLE_1)
	s_xor_b32 s75, exec_lo, s75
	s_cbranch_execz .LBB4_9003
; %bb.9000:                             ;   in Loop: Header=BB4_8239 Depth=3
	v_bfe_u32 v5, v8, 2, 5
	s_mov_b32 s76, exec_lo
	s_delay_alu instid0(VALU_DEP_1)
	v_cmpx_eq_u32_e32 0, v5
; %bb.9001:                             ;   in Loop: Header=BB4_8239 Depth=3
	v_clz_i32_u32_e32 v2, v2
	v_mov_b32_e32 v5, v3
	s_delay_alu instid0(VALU_DEP_2) | instskip(NEXT) | instid1(VALU_DEP_1)
	v_min_u32_e32 v2, 32, v2
	v_subrev_nc_u32_e32 v8, 29, v2
	s_delay_alu instid0(VALU_DEP_1) | instskip(NEXT) | instid1(VALU_DEP_1)
	v_lshlrev_b64_e32 v[4:5], v8, v[4:5]
	v_dual_sub_nc_u32 v5, 30, v2 :: v_dual_bitop2_b32 v2, 3, v4 bitop3:0x40
; %bb.9002:                             ;   in Loop: Header=BB4_8239 Depth=3
	s_or_b32 exec_lo, exec_lo, s76
	v_lshlrev_b32_e32 v4, 16, v10
	s_delay_alu instid0(VALU_DEP_1) | instskip(NEXT) | instid1(VALU_DEP_1)
	v_and_b32_e32 v4, 0x80000000, v4
	v_lshl_add_u32 v4, v5, 23, v4
	s_delay_alu instid0(VALU_DEP_1) | instskip(NEXT) | instid1(VALU_DEP_1)
	v_lshl_or_b32 v2, v2, 21, v4
	v_add_nc_u32_e32 v5, 0x38000000, v2
                                        ; implicit-def: $vgpr2
.LBB4_9003:                             ;   in Loop: Header=BB4_8239 Depth=3
	s_and_not1_saveexec_b32 s75, s75
; %bb.9004:                             ;   in Loop: Header=BB4_8239 Depth=3
	v_cmp_lt_i16_e32 vcc_lo, -1, v10
	v_cndmask_b32_e32 v4, 0xff800000, v48, vcc_lo
	v_cmp_eq_u32_e32 vcc_lo, 0, v2
	s_delay_alu instid0(VALU_DEP_2)
	v_cndmask_b32_e32 v5, 0x7f800001, v4, vcc_lo
; %bb.9005:                             ;   in Loop: Header=BB4_8239 Depth=3
	s_or_b32 exec_lo, exec_lo, s75
.LBB4_9006:                             ;   in Loop: Header=BB4_8239 Depth=3
	s_delay_alu instid0(SALU_CYCLE_1)
	s_or_b32 exec_lo, exec_lo, s74
.LBB4_9007:                             ;   in Loop: Header=BB4_8239 Depth=3
	s_delay_alu instid0(SALU_CYCLE_1) | instskip(NEXT) | instid1(VALU_DEP_1)
	s_or_b32 exec_lo, exec_lo, s13
	v_dual_mul_f32 v8, s73, v5 :: v_dual_mov_b32 v13, v3
	v_mov_b32_e32 v5, v3
                                        ; implicit-def: $vgpr113
	s_mov_b32 s13, exec_lo
	s_delay_alu instid0(VALU_DEP_2) | instskip(SKIP_2) | instid1(VALU_DEP_3)
	v_and_b32_e32 v12, 0x7f800000, v8
	v_and_b32_e32 v4, 0x7fffff, v8
	v_lshrrev_b32_e32 v2, 24, v8
	v_cmpx_ne_u64_e32 0x7f800000, v[12:13]
	s_xor_b32 s74, exec_lo, s13
	s_cbranch_execz .LBB4_9021
; %bb.9008:                             ;   in Loop: Header=BB4_8239 Depth=3
	v_and_b32_e32 v12, 0x7fffffff, v8
	v_mov_b32_e32 v13, v3
	v_and_b32_e32 v2, 0x80, v2
                                        ; implicit-def: $vgpr113
	s_mov_b32 s13, exec_lo
	s_delay_alu instid0(VALU_DEP_2)
	v_cmpx_gt_u64_e32 0x47600001, v[12:13]
	s_xor_b32 s75, exec_lo, s13
	s_cbranch_execz .LBB4_9018
; %bb.9009:                             ;   in Loop: Header=BB4_8239 Depth=3
	v_mov_b32_e32 v113, 0
	s_mov_b32 s76, exec_lo
	v_cmpx_ne_u32_e32 0, v8
	s_cbranch_execz .LBB4_9017
; %bb.9010:                             ;   in Loop: Header=BB4_8239 Depth=3
	v_bfe_u32 v12, v8, 23, 8
	v_or_b32_e32 v9, 0x800000, v4
	s_delay_alu instid0(VALU_DEP_2) | instskip(SKIP_2) | instid1(VALU_DEP_2)
	v_cmp_gt_u32_e64 s13, 0x72, v12
	v_sub_nc_u32_e32 v8, 0x71, v12
	v_cmp_eq_u32_e32 vcc_lo, 0, v12
	v_cndmask_b32_e64 v8, 0, v8, s13
	s_delay_alu instid0(VALU_DEP_1) | instskip(NEXT) | instid1(VALU_DEP_1)
	v_cndmask_b32_e64 v13, v8, 0x70, vcc_lo
	v_dual_cndmask_b32 v4, v9, v4, vcc_lo :: v_dual_add_nc_u32 v8, 21, v13
	v_add_nc_u32_e32 v14, 20, v13
	s_delay_alu instid0(VALU_DEP_2) | instskip(NEXT) | instid1(VALU_DEP_2)
	v_lshlrev_b64_e64 v[8:9], v8, -1
	v_lshlrev_b64_e64 v[14:15], v14, 1
	s_delay_alu instid0(VALU_DEP_2) | instskip(SKIP_1) | instid1(VALU_DEP_4)
	v_bfi_b32 v8, v8, 0, v4
	v_lshrrev_b64 v[4:5], v13, v[4:5]
	v_bfi_b32 v9, v9, 0, 0
	s_delay_alu instid0(VALU_DEP_1) | instskip(NEXT) | instid1(VALU_DEP_3)
	v_cmp_eq_u64_e64 s13, v[8:9], v[14:15]
	v_mov_b64_e32 v[8:9], v[4:5]
	s_and_saveexec_b32 s77, s13
; %bb.9011:                             ;   in Loop: Header=BB4_8239 Depth=3
	v_bfe_u32 v8, v4, 21, 1
	v_mov_b32_e32 v9, v3
	s_delay_alu instid0(VALU_DEP_1) | instskip(NEXT) | instid1(VALU_DEP_1)
	v_add_nc_u64_e32 v[8:9], v[4:5], v[8:9]
	v_add_nc_u64_e32 v[8:9], -1, v[8:9]
; %bb.9012:                             ;   in Loop: Header=BB4_8239 Depth=3
	s_or_b32 exec_lo, exec_lo, s77
	v_add_nc_u32_e32 v5, 0xffffff81, v12
	v_lshrrev_b32_e32 v9, 23, v4
	s_mov_b32 s13, exec_lo
	s_delay_alu instid0(VALU_DEP_2) | instskip(NEXT) | instid1(VALU_DEP_1)
	v_cndmask_b32_e64 v5, v5, 0xffffff82, vcc_lo
	v_add3_u32 v9, v13, v5, v9
	v_and_b32_e32 v5, 0x1fffff, v8
                                        ; implicit-def: $vgpr8
	s_delay_alu instid0(VALU_DEP_1) | instskip(SKIP_1) | instid1(VALU_DEP_2)
	v_dual_add_nc_u32 v12, 14, v9 :: v_dual_add_nc_u32 v4, v5, v4
	v_mov_b32_e32 v5, v3
	v_cmpx_ne_u32_e32 0, v12
	s_xor_b32 s13, exec_lo, s13
; %bb.9013:                             ;   in Loop: Header=BB4_8239 Depth=3
	s_delay_alu instid0(VALU_DEP_2) | instskip(SKIP_2) | instid1(VALU_DEP_2)
	v_cmp_lt_u64_e32 vcc_lo, 0xffffff, v[4:5]
	v_add_nc_u32_e32 v8, 15, v9
	v_cndmask_b32_e64 v9, 0, 1, vcc_lo
	v_cndmask_b32_e32 v8, v12, v8, vcc_lo
	s_delay_alu instid0(VALU_DEP_2)
	v_lshrrev_b64 v[4:5], v9, v[4:5]
; %bb.9014:                             ;   in Loop: Header=BB4_8239 Depth=3
	s_and_not1_saveexec_b32 s13, s13
; %bb.9015:                             ;   in Loop: Header=BB4_8239 Depth=3
	s_delay_alu instid0(VALU_DEP_1)
	v_bfe_u32 v8, v4, 23, 1
; %bb.9016:                             ;   in Loop: Header=BB4_8239 Depth=3
	s_or_b32 exec_lo, exec_lo, s13
	s_delay_alu instid0(VALU_DEP_2) | instskip(NEXT) | instid1(VALU_DEP_2)
	v_lshrrev_b64 v[4:5], 21, v[4:5]
	v_cmp_gt_i32_e32 vcc_lo, 32, v8
	v_min_i32_e32 v9, 31, v8
	v_cmp_eq_u32_e64 s13, 0, v8
	s_delay_alu instid0(VALU_DEP_4) | instskip(NEXT) | instid1(VALU_DEP_3)
	v_cndmask_b32_e32 v5, 0, v5, vcc_lo
	v_dual_cndmask_b32 v4, 3, v4 :: v_dual_lshlrev_b32 v9, 2, v9
	s_delay_alu instid0(VALU_DEP_1) | instskip(NEXT) | instid1(VALU_DEP_2)
	v_and_b32_e32 v9, 0xfc, v9
	v_cmp_eq_u64_e32 vcc_lo, 0, v[4:5]
	s_delay_alu instid0(VALU_DEP_2)
	v_and_or_b32 v4, v4, 3, v9
	s_and_b32 s13, s13, vcc_lo
	s_delay_alu instid0(VALU_DEP_1) | instid1(SALU_CYCLE_1)
	v_cndmask_b32_e64 v4, v4, 0, s13
	s_delay_alu instid0(VALU_DEP_1)
	v_or_b32_e32 v113, v4, v2
.LBB4_9017:                             ;   in Loop: Header=BB4_8239 Depth=3
	s_or_b32 exec_lo, exec_lo, s76
                                        ; implicit-def: $vgpr2
.LBB4_9018:                             ;   in Loop: Header=BB4_8239 Depth=3
	s_and_not1_saveexec_b32 s13, s75
; %bb.9019:                             ;   in Loop: Header=BB4_8239 Depth=3
	v_or_b32_e32 v113, 0x7b, v2
; %bb.9020:                             ;   in Loop: Header=BB4_8239 Depth=3
	s_or_b32 exec_lo, exec_lo, s13
                                        ; implicit-def: $vgpr8
                                        ; implicit-def: $vgpr4_vgpr5
                                        ; implicit-def: $vgpr2
.LBB4_9021:                             ;   in Loop: Header=BB4_8239 Depth=3
	s_and_not1_saveexec_b32 s13, s74
	s_cbranch_execz .LBB4_9027
; %bb.9022:                             ;   in Loop: Header=BB4_8239 Depth=3
	s_mov_b32 s74, exec_lo
                                        ; implicit-def: $vgpr113
	v_cmpx_ne_u64_e32 0, v[4:5]
	s_xor_b32 s74, exec_lo, s74
; %bb.9023:                             ;   in Loop: Header=BB4_8239 Depth=3
	v_or_b32_e32 v113, 0x7f, v2
                                        ; implicit-def: $vgpr8
; %bb.9024:                             ;   in Loop: Header=BB4_8239 Depth=3
	s_and_not1_saveexec_b32 s74, s74
; %bb.9025:                             ;   in Loop: Header=BB4_8239 Depth=3
	v_cmp_lt_i32_e32 vcc_lo, -1, v8
	v_cndmask_b32_e32 v113, 0xfc, v49, vcc_lo
; %bb.9026:                             ;   in Loop: Header=BB4_8239 Depth=3
	s_or_b32 exec_lo, exec_lo, s74
.LBB4_9027:                             ;   in Loop: Header=BB4_8239 Depth=3
	s_delay_alu instid0(SALU_CYCLE_1) | instskip(SKIP_2) | instid1(VALU_DEP_1)
	s_or_b32 exec_lo, exec_lo, s13
	v_dual_mov_b32 v5, 0 :: v_dual_lshrrev_b32 v2, 16, v10
	s_mov_b32 s13, exec_lo
	v_and_b32_e32 v4, 0xff, v2
	s_delay_alu instid0(VALU_DEP_1)
	v_cmpx_ne_u16_e32 0, v4
	s_cbranch_execz .LBB4_9037
; %bb.9028:                             ;   in Loop: Header=BB4_8239 Depth=3
	v_bfrev_b32_e32 v5, 1
	s_mov_b32 s74, exec_lo
	v_cmpx_ne_u16_e32 0x80, v4
	s_cbranch_execz .LBB4_9036
; %bb.9029:                             ;   in Loop: Header=BB4_8239 Depth=3
	v_and_b32_e32 v5, 0x7c0000, v10
	v_bfe_u32 v4, v10, 16, 2
	s_delay_alu instid0(VALU_DEP_2) | instskip(SKIP_1) | instid1(SALU_CYCLE_1)
	v_cmp_ne_u32_e32 vcc_lo, 0x7c0000, v5
                                        ; implicit-def: $vgpr5
	s_and_saveexec_b32 s75, vcc_lo
	s_xor_b32 s75, exec_lo, s75
	s_cbranch_execz .LBB4_9033
; %bb.9030:                             ;   in Loop: Header=BB4_8239 Depth=3
	v_bfe_u32 v5, v10, 18, 5
	s_mov_b32 s76, exec_lo
	s_delay_alu instid0(VALU_DEP_1)
	v_cmpx_eq_u32_e32 0, v5
; %bb.9031:                             ;   in Loop: Header=BB4_8239 Depth=3
	v_clz_i32_u32_e32 v4, v4
	s_delay_alu instid0(VALU_DEP_1) | instskip(NEXT) | instid1(VALU_DEP_1)
	v_min_u32_e32 v8, 32, v4
	v_subrev_nc_u32_e32 v4, 29, v8
	s_delay_alu instid0(VALU_DEP_1) | instskip(SKIP_1) | instid1(VALU_DEP_2)
	v_lshlrev_b64_e32 v[4:5], v4, v[2:3]
	v_sub_nc_u32_e32 v5, 30, v8
	v_and_b32_e32 v4, 3, v4
; %bb.9032:                             ;   in Loop: Header=BB4_8239 Depth=3
	s_or_b32 exec_lo, exec_lo, s76
	v_lshlrev_b32_e32 v2, 24, v2
	s_delay_alu instid0(VALU_DEP_1) | instskip(NEXT) | instid1(VALU_DEP_1)
	v_and_b32_e32 v2, 0x80000000, v2
	v_lshl_add_u32 v2, v5, 23, v2
	s_delay_alu instid0(VALU_DEP_1) | instskip(NEXT) | instid1(VALU_DEP_1)
	v_lshl_or_b32 v2, v4, 21, v2
                                        ; implicit-def: $vgpr4
	v_add_nc_u32_e32 v5, 0x38000000, v2
                                        ; implicit-def: $vgpr2
.LBB4_9033:                             ;   in Loop: Header=BB4_8239 Depth=3
	s_and_not1_saveexec_b32 s75, s75
; %bb.9034:                             ;   in Loop: Header=BB4_8239 Depth=3
	v_bfe_i32 v2, v2, 0, 8
	s_delay_alu instid0(VALU_DEP_1) | instskip(SKIP_2) | instid1(VALU_DEP_2)
	v_cmp_lt_i16_e32 vcc_lo, -1, v2
	v_cndmask_b32_e32 v2, 0xff800000, v48, vcc_lo
	v_cmp_eq_u32_e32 vcc_lo, 0, v4
	v_cndmask_b32_e32 v5, 0x7f800001, v2, vcc_lo
; %bb.9035:                             ;   in Loop: Header=BB4_8239 Depth=3
	s_or_b32 exec_lo, exec_lo, s75
.LBB4_9036:                             ;   in Loop: Header=BB4_8239 Depth=3
	s_delay_alu instid0(SALU_CYCLE_1)
	s_or_b32 exec_lo, exec_lo, s74
.LBB4_9037:                             ;   in Loop: Header=BB4_8239 Depth=3
	s_delay_alu instid0(SALU_CYCLE_1) | instskip(NEXT) | instid1(VALU_DEP_1)
	s_or_b32 exec_lo, exec_lo, s13
	v_dual_mul_f32 v8, s73, v5 :: v_dual_mov_b32 v13, v3
	v_mov_b32_e32 v5, v3
                                        ; implicit-def: $vgpr117
	s_mov_b32 s13, exec_lo
	s_delay_alu instid0(VALU_DEP_2) | instskip(SKIP_2) | instid1(VALU_DEP_3)
	v_and_b32_e32 v12, 0x7f800000, v8
	v_and_b32_e32 v4, 0x7fffff, v8
	v_lshrrev_b32_e32 v2, 24, v8
	v_cmpx_ne_u64_e32 0x7f800000, v[12:13]
	s_xor_b32 s74, exec_lo, s13
	s_cbranch_execz .LBB4_9051
; %bb.9038:                             ;   in Loop: Header=BB4_8239 Depth=3
	v_and_b32_e32 v12, 0x7fffffff, v8
	v_mov_b32_e32 v13, v3
	v_and_b32_e32 v2, 0x80, v2
                                        ; implicit-def: $vgpr117
	s_mov_b32 s13, exec_lo
	s_delay_alu instid0(VALU_DEP_2)
	v_cmpx_gt_u64_e32 0x47600001, v[12:13]
	s_xor_b32 s75, exec_lo, s13
	s_cbranch_execz .LBB4_9048
; %bb.9039:                             ;   in Loop: Header=BB4_8239 Depth=3
	v_mov_b32_e32 v117, 0
	s_mov_b32 s76, exec_lo
	v_cmpx_ne_u32_e32 0, v8
	s_cbranch_execz .LBB4_9047
; %bb.9040:                             ;   in Loop: Header=BB4_8239 Depth=3
	v_bfe_u32 v12, v8, 23, 8
	v_or_b32_e32 v9, 0x800000, v4
	s_delay_alu instid0(VALU_DEP_2) | instskip(SKIP_2) | instid1(VALU_DEP_2)
	v_cmp_gt_u32_e64 s13, 0x72, v12
	v_sub_nc_u32_e32 v8, 0x71, v12
	v_cmp_eq_u32_e32 vcc_lo, 0, v12
	v_cndmask_b32_e64 v8, 0, v8, s13
	s_delay_alu instid0(VALU_DEP_1) | instskip(NEXT) | instid1(VALU_DEP_1)
	v_cndmask_b32_e64 v13, v8, 0x70, vcc_lo
	v_dual_cndmask_b32 v4, v9, v4, vcc_lo :: v_dual_add_nc_u32 v8, 21, v13
	v_add_nc_u32_e32 v14, 20, v13
	s_delay_alu instid0(VALU_DEP_2) | instskip(NEXT) | instid1(VALU_DEP_2)
	v_lshlrev_b64_e64 v[8:9], v8, -1
	v_lshlrev_b64_e64 v[14:15], v14, 1
	s_delay_alu instid0(VALU_DEP_2) | instskip(SKIP_1) | instid1(VALU_DEP_4)
	v_bfi_b32 v8, v8, 0, v4
	v_lshrrev_b64 v[4:5], v13, v[4:5]
	v_bfi_b32 v9, v9, 0, 0
	s_delay_alu instid0(VALU_DEP_1) | instskip(NEXT) | instid1(VALU_DEP_3)
	v_cmp_eq_u64_e64 s13, v[8:9], v[14:15]
	v_mov_b64_e32 v[8:9], v[4:5]
	s_and_saveexec_b32 s77, s13
; %bb.9041:                             ;   in Loop: Header=BB4_8239 Depth=3
	v_bfe_u32 v8, v4, 21, 1
	v_mov_b32_e32 v9, v3
	s_delay_alu instid0(VALU_DEP_1) | instskip(NEXT) | instid1(VALU_DEP_1)
	v_add_nc_u64_e32 v[8:9], v[4:5], v[8:9]
	v_add_nc_u64_e32 v[8:9], -1, v[8:9]
; %bb.9042:                             ;   in Loop: Header=BB4_8239 Depth=3
	s_or_b32 exec_lo, exec_lo, s77
	v_add_nc_u32_e32 v5, 0xffffff81, v12
	v_lshrrev_b32_e32 v9, 23, v4
	s_mov_b32 s13, exec_lo
	s_delay_alu instid0(VALU_DEP_2) | instskip(NEXT) | instid1(VALU_DEP_1)
	v_cndmask_b32_e64 v5, v5, 0xffffff82, vcc_lo
	v_add3_u32 v9, v13, v5, v9
	v_and_b32_e32 v5, 0x1fffff, v8
                                        ; implicit-def: $vgpr8
	s_delay_alu instid0(VALU_DEP_1) | instskip(SKIP_1) | instid1(VALU_DEP_2)
	v_dual_add_nc_u32 v12, 14, v9 :: v_dual_add_nc_u32 v4, v5, v4
	v_mov_b32_e32 v5, v3
	v_cmpx_ne_u32_e32 0, v12
	s_xor_b32 s13, exec_lo, s13
; %bb.9043:                             ;   in Loop: Header=BB4_8239 Depth=3
	s_delay_alu instid0(VALU_DEP_2) | instskip(SKIP_2) | instid1(VALU_DEP_2)
	v_cmp_lt_u64_e32 vcc_lo, 0xffffff, v[4:5]
	v_add_nc_u32_e32 v8, 15, v9
	v_cndmask_b32_e64 v9, 0, 1, vcc_lo
	v_cndmask_b32_e32 v8, v12, v8, vcc_lo
	s_delay_alu instid0(VALU_DEP_2)
	v_lshrrev_b64 v[4:5], v9, v[4:5]
; %bb.9044:                             ;   in Loop: Header=BB4_8239 Depth=3
	s_and_not1_saveexec_b32 s13, s13
; %bb.9045:                             ;   in Loop: Header=BB4_8239 Depth=3
	s_delay_alu instid0(VALU_DEP_1)
	v_bfe_u32 v8, v4, 23, 1
; %bb.9046:                             ;   in Loop: Header=BB4_8239 Depth=3
	s_or_b32 exec_lo, exec_lo, s13
	s_delay_alu instid0(VALU_DEP_2) | instskip(NEXT) | instid1(VALU_DEP_2)
	v_lshrrev_b64 v[4:5], 21, v[4:5]
	v_cmp_gt_i32_e32 vcc_lo, 32, v8
	v_min_i32_e32 v9, 31, v8
	v_cmp_eq_u32_e64 s13, 0, v8
	s_delay_alu instid0(VALU_DEP_4) | instskip(NEXT) | instid1(VALU_DEP_3)
	v_cndmask_b32_e32 v5, 0, v5, vcc_lo
	v_dual_cndmask_b32 v4, 3, v4 :: v_dual_lshlrev_b32 v9, 2, v9
	s_delay_alu instid0(VALU_DEP_1) | instskip(NEXT) | instid1(VALU_DEP_2)
	v_and_b32_e32 v9, 0xfc, v9
	v_cmp_eq_u64_e32 vcc_lo, 0, v[4:5]
	s_delay_alu instid0(VALU_DEP_2)
	v_and_or_b32 v4, v4, 3, v9
	s_and_b32 s13, s13, vcc_lo
	s_delay_alu instid0(VALU_DEP_1) | instid1(SALU_CYCLE_1)
	v_cndmask_b32_e64 v4, v4, 0, s13
	s_delay_alu instid0(VALU_DEP_1)
	v_or_b32_e32 v117, v4, v2
.LBB4_9047:                             ;   in Loop: Header=BB4_8239 Depth=3
	s_or_b32 exec_lo, exec_lo, s76
                                        ; implicit-def: $vgpr2
.LBB4_9048:                             ;   in Loop: Header=BB4_8239 Depth=3
	s_and_not1_saveexec_b32 s13, s75
; %bb.9049:                             ;   in Loop: Header=BB4_8239 Depth=3
	v_or_b32_e32 v117, 0x7b, v2
; %bb.9050:                             ;   in Loop: Header=BB4_8239 Depth=3
	s_or_b32 exec_lo, exec_lo, s13
                                        ; implicit-def: $vgpr8
                                        ; implicit-def: $vgpr4_vgpr5
                                        ; implicit-def: $vgpr2
.LBB4_9051:                             ;   in Loop: Header=BB4_8239 Depth=3
	s_and_not1_saveexec_b32 s13, s74
	s_cbranch_execz .LBB4_9057
; %bb.9052:                             ;   in Loop: Header=BB4_8239 Depth=3
	s_mov_b32 s74, exec_lo
                                        ; implicit-def: $vgpr117
	v_cmpx_ne_u64_e32 0, v[4:5]
	s_xor_b32 s74, exec_lo, s74
; %bb.9053:                             ;   in Loop: Header=BB4_8239 Depth=3
	v_or_b32_e32 v117, 0x7f, v2
                                        ; implicit-def: $vgpr8
; %bb.9054:                             ;   in Loop: Header=BB4_8239 Depth=3
	s_and_not1_saveexec_b32 s74, s74
; %bb.9055:                             ;   in Loop: Header=BB4_8239 Depth=3
	v_cmp_lt_i32_e32 vcc_lo, -1, v8
	v_cndmask_b32_e32 v117, 0xfc, v49, vcc_lo
; %bb.9056:                             ;   in Loop: Header=BB4_8239 Depth=3
	s_or_b32 exec_lo, exec_lo, s74
.LBB4_9057:                             ;   in Loop: Header=BB4_8239 Depth=3
	s_delay_alu instid0(SALU_CYCLE_1)
	s_or_b32 exec_lo, exec_lo, s13
	v_mov_b32_e32 v4, 0
	s_mov_b32 s13, exec_lo
	v_cmpx_lt_u32_e32 0xffffff, v10
	s_cbranch_execz .LBB4_9067
; %bb.9058:                             ;   in Loop: Header=BB4_8239 Depth=3
	v_lshrrev_b32_e32 v2, 24, v10
	v_bfrev_b32_e32 v4, 1
	s_mov_b32 s74, exec_lo
	s_delay_alu instid0(VALU_DEP_2)
	v_cmpx_ne_u32_e32 0x80, v2
	s_cbranch_execz .LBB4_9066
; %bb.9059:                             ;   in Loop: Header=BB4_8239 Depth=3
	v_and_b32_e32 v4, 0x7c000000, v10
	v_bfe_u32 v5, v10, 24, 2
	s_delay_alu instid0(VALU_DEP_2) | instskip(SKIP_1) | instid1(SALU_CYCLE_1)
	v_cmp_ne_u32_e32 vcc_lo, 0x7c000000, v4
                                        ; implicit-def: $vgpr4
	s_and_saveexec_b32 s75, vcc_lo
	s_xor_b32 s75, exec_lo, s75
	s_cbranch_execz .LBB4_9063
; %bb.9060:                             ;   in Loop: Header=BB4_8239 Depth=3
	v_bfe_u32 v4, v10, 26, 5
	s_mov_b32 s76, exec_lo
	s_delay_alu instid0(VALU_DEP_1)
	v_cmpx_eq_u32_e32 0, v4
; %bb.9061:                             ;   in Loop: Header=BB4_8239 Depth=3
	v_clz_i32_u32_e32 v4, v5
	s_delay_alu instid0(VALU_DEP_1) | instskip(NEXT) | instid1(VALU_DEP_1)
	v_min_u32_e32 v4, 32, v4
	v_subrev_nc_u32_e32 v5, 29, v4
	v_sub_nc_u32_e32 v4, 30, v4
	s_delay_alu instid0(VALU_DEP_2) | instskip(NEXT) | instid1(VALU_DEP_1)
	v_lshlrev_b64_e32 v[8:9], v5, v[2:3]
	v_and_b32_e32 v5, 3, v8
; %bb.9062:                             ;   in Loop: Header=BB4_8239 Depth=3
	s_or_b32 exec_lo, exec_lo, s76
	v_and_b32_e32 v2, 0x80000000, v10
	s_delay_alu instid0(VALU_DEP_1) | instskip(NEXT) | instid1(VALU_DEP_1)
	v_lshl_add_u32 v2, v4, 23, v2
	v_lshl_or_b32 v2, v5, 21, v2
                                        ; implicit-def: $vgpr5
	s_delay_alu instid0(VALU_DEP_1)
	v_add_nc_u32_e32 v4, 0x38000000, v2
.LBB4_9063:                             ;   in Loop: Header=BB4_8239 Depth=3
	s_and_not1_saveexec_b32 s75, s75
; %bb.9064:                             ;   in Loop: Header=BB4_8239 Depth=3
	v_cmp_lt_i32_e32 vcc_lo, -1, v10
	v_cndmask_b32_e32 v2, 0xff800000, v48, vcc_lo
	v_cmp_eq_u32_e32 vcc_lo, 0, v5
	s_delay_alu instid0(VALU_DEP_2)
	v_cndmask_b32_e32 v4, 0x7f800001, v2, vcc_lo
; %bb.9065:                             ;   in Loop: Header=BB4_8239 Depth=3
	s_or_b32 exec_lo, exec_lo, s75
.LBB4_9066:                             ;   in Loop: Header=BB4_8239 Depth=3
	s_delay_alu instid0(SALU_CYCLE_1)
	s_or_b32 exec_lo, exec_lo, s74
.LBB4_9067:                             ;   in Loop: Header=BB4_8239 Depth=3
	s_delay_alu instid0(SALU_CYCLE_1) | instskip(NEXT) | instid1(VALU_DEP_1)
	s_or_b32 exec_lo, exec_lo, s13
	v_dual_mul_f32 v8, s73, v4 :: v_dual_mov_b32 v13, v3
	v_mov_b32_e32 v5, v3
                                        ; implicit-def: $vgpr66
	s_mov_b32 s13, exec_lo
	s_delay_alu instid0(VALU_DEP_2) | instskip(SKIP_2) | instid1(VALU_DEP_3)
	v_and_b32_e32 v12, 0x7f800000, v8
	v_and_b32_e32 v4, 0x7fffff, v8
	v_lshrrev_b32_e32 v2, 24, v8
	v_cmpx_ne_u64_e32 0x7f800000, v[12:13]
	s_xor_b32 s74, exec_lo, s13
	s_cbranch_execz .LBB4_9081
; %bb.9068:                             ;   in Loop: Header=BB4_8239 Depth=3
	v_and_b32_e32 v12, 0x7fffffff, v8
	v_mov_b32_e32 v13, v3
	v_and_b32_e32 v2, 0x80, v2
                                        ; implicit-def: $vgpr66
	s_mov_b32 s13, exec_lo
	s_delay_alu instid0(VALU_DEP_2)
	v_cmpx_gt_u64_e32 0x47600001, v[12:13]
	s_xor_b32 s75, exec_lo, s13
	s_cbranch_execz .LBB4_9078
; %bb.9069:                             ;   in Loop: Header=BB4_8239 Depth=3
	v_mov_b32_e32 v66, 0
	s_mov_b32 s76, exec_lo
	v_cmpx_ne_u32_e32 0, v8
	s_cbranch_execz .LBB4_9077
; %bb.9070:                             ;   in Loop: Header=BB4_8239 Depth=3
	v_bfe_u32 v12, v8, 23, 8
	v_or_b32_e32 v9, 0x800000, v4
	s_delay_alu instid0(VALU_DEP_2) | instskip(SKIP_2) | instid1(VALU_DEP_2)
	v_cmp_gt_u32_e64 s13, 0x72, v12
	v_sub_nc_u32_e32 v8, 0x71, v12
	v_cmp_eq_u32_e32 vcc_lo, 0, v12
	v_cndmask_b32_e64 v8, 0, v8, s13
	s_delay_alu instid0(VALU_DEP_1) | instskip(NEXT) | instid1(VALU_DEP_1)
	v_cndmask_b32_e64 v13, v8, 0x70, vcc_lo
	v_dual_cndmask_b32 v4, v9, v4, vcc_lo :: v_dual_add_nc_u32 v8, 21, v13
	v_add_nc_u32_e32 v14, 20, v13
	s_delay_alu instid0(VALU_DEP_2) | instskip(NEXT) | instid1(VALU_DEP_2)
	v_lshlrev_b64_e64 v[8:9], v8, -1
	v_lshlrev_b64_e64 v[14:15], v14, 1
	s_delay_alu instid0(VALU_DEP_2) | instskip(SKIP_1) | instid1(VALU_DEP_4)
	v_bfi_b32 v8, v8, 0, v4
	v_lshrrev_b64 v[4:5], v13, v[4:5]
	v_bfi_b32 v9, v9, 0, 0
	s_delay_alu instid0(VALU_DEP_1) | instskip(NEXT) | instid1(VALU_DEP_3)
	v_cmp_eq_u64_e64 s13, v[8:9], v[14:15]
	v_mov_b64_e32 v[8:9], v[4:5]
	s_and_saveexec_b32 s77, s13
; %bb.9071:                             ;   in Loop: Header=BB4_8239 Depth=3
	v_bfe_u32 v8, v4, 21, 1
	v_mov_b32_e32 v9, v3
	s_delay_alu instid0(VALU_DEP_1) | instskip(NEXT) | instid1(VALU_DEP_1)
	v_add_nc_u64_e32 v[8:9], v[4:5], v[8:9]
	v_add_nc_u64_e32 v[8:9], -1, v[8:9]
; %bb.9072:                             ;   in Loop: Header=BB4_8239 Depth=3
	s_or_b32 exec_lo, exec_lo, s77
	v_add_nc_u32_e32 v5, 0xffffff81, v12
	v_lshrrev_b32_e32 v9, 23, v4
	s_mov_b32 s13, exec_lo
	s_delay_alu instid0(VALU_DEP_2) | instskip(NEXT) | instid1(VALU_DEP_1)
	v_cndmask_b32_e64 v5, v5, 0xffffff82, vcc_lo
	v_add3_u32 v12, v13, v5, v9
	v_and_b32_e32 v5, 0x1fffff, v8
                                        ; implicit-def: $vgpr8
	s_delay_alu instid0(VALU_DEP_2) | instskip(NEXT) | instid1(VALU_DEP_2)
	v_add_nc_u32_e32 v9, 14, v12
	v_dual_mov_b32 v5, v3 :: v_dual_add_nc_u32 v4, v5, v4
	s_delay_alu instid0(VALU_DEP_2)
	v_cmpx_ne_u32_e32 0, v9
	s_xor_b32 s13, exec_lo, s13
; %bb.9073:                             ;   in Loop: Header=BB4_8239 Depth=3
	s_delay_alu instid0(VALU_DEP_2) | instskip(SKIP_1) | instid1(VALU_DEP_1)
	v_cmp_lt_u64_e32 vcc_lo, 0xffffff, v[4:5]
	v_add_nc_u32_e32 v8, 15, v12
	v_cndmask_b32_e32 v8, v9, v8, vcc_lo
	v_cndmask_b32_e64 v9, 0, 1, vcc_lo
	s_delay_alu instid0(VALU_DEP_1)
	v_lshrrev_b64 v[4:5], v9, v[4:5]
; %bb.9074:                             ;   in Loop: Header=BB4_8239 Depth=3
	s_and_not1_saveexec_b32 s13, s13
; %bb.9075:                             ;   in Loop: Header=BB4_8239 Depth=3
	s_delay_alu instid0(VALU_DEP_1)
	v_bfe_u32 v8, v4, 23, 1
; %bb.9076:                             ;   in Loop: Header=BB4_8239 Depth=3
	s_or_b32 exec_lo, exec_lo, s13
	s_delay_alu instid0(VALU_DEP_2) | instskip(NEXT) | instid1(VALU_DEP_2)
	v_lshrrev_b64 v[4:5], 21, v[4:5]
	v_cmp_gt_i32_e32 vcc_lo, 32, v8
	v_min_i32_e32 v9, 31, v8
	v_cmp_eq_u32_e64 s13, 0, v8
	s_delay_alu instid0(VALU_DEP_4) | instskip(NEXT) | instid1(VALU_DEP_3)
	v_cndmask_b32_e32 v5, 0, v5, vcc_lo
	v_dual_cndmask_b32 v4, 3, v4 :: v_dual_lshlrev_b32 v9, 2, v9
	s_delay_alu instid0(VALU_DEP_1) | instskip(NEXT) | instid1(VALU_DEP_2)
	v_and_b32_e32 v9, 0xfc, v9
	v_cmp_eq_u64_e32 vcc_lo, 0, v[4:5]
	s_delay_alu instid0(VALU_DEP_2)
	v_and_or_b32 v4, v4, 3, v9
	s_and_b32 s13, s13, vcc_lo
	s_delay_alu instid0(VALU_DEP_1) | instid1(SALU_CYCLE_1)
	v_cndmask_b32_e64 v4, v4, 0, s13
	s_delay_alu instid0(VALU_DEP_1)
	v_or_b32_e32 v66, v4, v2
.LBB4_9077:                             ;   in Loop: Header=BB4_8239 Depth=3
	s_or_b32 exec_lo, exec_lo, s76
                                        ; implicit-def: $vgpr2
.LBB4_9078:                             ;   in Loop: Header=BB4_8239 Depth=3
	s_and_not1_saveexec_b32 s13, s75
; %bb.9079:                             ;   in Loop: Header=BB4_8239 Depth=3
	v_or_b32_e32 v66, 0x7b, v2
; %bb.9080:                             ;   in Loop: Header=BB4_8239 Depth=3
	s_or_b32 exec_lo, exec_lo, s13
                                        ; implicit-def: $vgpr8
                                        ; implicit-def: $vgpr4_vgpr5
                                        ; implicit-def: $vgpr2
.LBB4_9081:                             ;   in Loop: Header=BB4_8239 Depth=3
	s_and_not1_saveexec_b32 s13, s74
	s_cbranch_execz .LBB4_9087
; %bb.9082:                             ;   in Loop: Header=BB4_8239 Depth=3
	s_mov_b32 s74, exec_lo
                                        ; implicit-def: $vgpr66
	v_cmpx_ne_u64_e32 0, v[4:5]
	s_xor_b32 s74, exec_lo, s74
; %bb.9083:                             ;   in Loop: Header=BB4_8239 Depth=3
	v_or_b32_e32 v66, 0x7f, v2
                                        ; implicit-def: $vgpr8
; %bb.9084:                             ;   in Loop: Header=BB4_8239 Depth=3
	s_and_not1_saveexec_b32 s74, s74
; %bb.9085:                             ;   in Loop: Header=BB4_8239 Depth=3
	v_cmp_lt_i32_e32 vcc_lo, -1, v8
	v_cndmask_b32_e32 v66, 0xfc, v49, vcc_lo
; %bb.9086:                             ;   in Loop: Header=BB4_8239 Depth=3
	s_or_b32 exec_lo, exec_lo, s74
.LBB4_9087:                             ;   in Loop: Header=BB4_8239 Depth=3
	s_delay_alu instid0(SALU_CYCLE_1) | instskip(SKIP_4) | instid1(VALU_DEP_3)
	s_or_b32 exec_lo, exec_lo, s13
	v_and_b32_e32 v2, 0xff, v11
	v_dual_mov_b32 v4, v11 :: v_dual_mov_b32 v5, v3
	v_mov_b32_e32 v8, 0
	s_mov_b32 s13, exec_lo
	v_cmpx_ne_u16_e32 0, v2
	s_cbranch_execz .LBB4_9097
; %bb.9088:                             ;   in Loop: Header=BB4_8239 Depth=3
	v_bfrev_b32_e32 v8, 1
	s_mov_b32 s74, exec_lo
	v_cmpx_ne_u16_e32 0x80, v2
	s_cbranch_execz .LBB4_9096
; %bb.9089:                             ;   in Loop: Header=BB4_8239 Depth=3
	v_and_b32_e32 v8, 0x7c, v11
	v_and_b32_e32 v2, 3, v11
	s_delay_alu instid0(VALU_DEP_2) | instskip(SKIP_1) | instid1(SALU_CYCLE_1)
	v_cmp_ne_u32_e32 vcc_lo, 0x7c, v8
                                        ; implicit-def: $vgpr8
	s_and_saveexec_b32 s75, vcc_lo
	s_xor_b32 s75, exec_lo, s75
	s_cbranch_execz .LBB4_9093
; %bb.9090:                             ;   in Loop: Header=BB4_8239 Depth=3
	v_bfe_u32 v8, v11, 2, 5
	s_mov_b32 s76, exec_lo
	s_delay_alu instid0(VALU_DEP_1)
	v_cmpx_eq_u32_e32 0, v8
; %bb.9091:                             ;   in Loop: Header=BB4_8239 Depth=3
	v_clz_i32_u32_e32 v2, v2
	s_delay_alu instid0(VALU_DEP_1) | instskip(NEXT) | instid1(VALU_DEP_1)
	v_min_u32_e32 v2, 32, v2
	v_subrev_nc_u32_e32 v8, 29, v2
	s_delay_alu instid0(VALU_DEP_1) | instskip(NEXT) | instid1(VALU_DEP_1)
	v_lshlrev_b64_e32 v[12:13], v8, v[4:5]
	v_dual_sub_nc_u32 v8, 30, v2 :: v_dual_bitop2_b32 v2, 3, v12 bitop3:0x40
; %bb.9092:                             ;   in Loop: Header=BB4_8239 Depth=3
	s_or_b32 exec_lo, exec_lo, s76
	v_lshlrev_b32_e32 v5, 24, v11
	s_delay_alu instid0(VALU_DEP_1) | instskip(NEXT) | instid1(VALU_DEP_1)
	v_and_b32_e32 v5, 0x80000000, v5
	v_lshl_add_u32 v5, v8, 23, v5
	s_delay_alu instid0(VALU_DEP_1) | instskip(NEXT) | instid1(VALU_DEP_1)
	v_lshl_or_b32 v2, v2, 21, v5
	v_add_nc_u32_e32 v8, 0x38000000, v2
                                        ; implicit-def: $vgpr2
.LBB4_9093:                             ;   in Loop: Header=BB4_8239 Depth=3
	s_and_not1_saveexec_b32 s75, s75
; %bb.9094:                             ;   in Loop: Header=BB4_8239 Depth=3
	v_bfe_i32 v5, v11, 0, 8
	s_delay_alu instid0(VALU_DEP_1) | instskip(SKIP_2) | instid1(VALU_DEP_2)
	v_cmp_lt_i16_e32 vcc_lo, -1, v5
	v_cndmask_b32_e32 v5, 0xff800000, v48, vcc_lo
	v_cmp_eq_u32_e32 vcc_lo, 0, v2
	v_cndmask_b32_e32 v8, 0x7f800001, v5, vcc_lo
; %bb.9095:                             ;   in Loop: Header=BB4_8239 Depth=3
	s_or_b32 exec_lo, exec_lo, s75
.LBB4_9096:                             ;   in Loop: Header=BB4_8239 Depth=3
	s_delay_alu instid0(SALU_CYCLE_1)
	s_or_b32 exec_lo, exec_lo, s74
.LBB4_9097:                             ;   in Loop: Header=BB4_8239 Depth=3
	s_delay_alu instid0(SALU_CYCLE_1) | instskip(NEXT) | instid1(VALU_DEP_1)
	s_or_b32 exec_lo, exec_lo, s13
	v_dual_mul_f32 v5, s73, v8 :: v_dual_mov_b32 v13, v3
	v_mov_b32_e32 v9, v3
                                        ; implicit-def: $vgpr31
	s_mov_b32 s13, exec_lo
	s_delay_alu instid0(VALU_DEP_2) | instskip(SKIP_2) | instid1(VALU_DEP_3)
	v_and_b32_e32 v12, 0x7f800000, v5
	v_and_b32_e32 v8, 0x7fffff, v5
	v_lshrrev_b32_e32 v2, 24, v5
	v_cmpx_ne_u64_e32 0x7f800000, v[12:13]
	s_xor_b32 s74, exec_lo, s13
	s_cbranch_execz .LBB4_9111
; %bb.9098:                             ;   in Loop: Header=BB4_8239 Depth=3
	v_and_b32_e32 v12, 0x7fffffff, v5
	v_mov_b32_e32 v13, v3
	v_and_b32_e32 v2, 0x80, v2
                                        ; implicit-def: $vgpr31
	s_mov_b32 s13, exec_lo
	s_delay_alu instid0(VALU_DEP_2)
	v_cmpx_gt_u64_e32 0x47600001, v[12:13]
	s_xor_b32 s75, exec_lo, s13
	s_cbranch_execz .LBB4_9108
; %bb.9099:                             ;   in Loop: Header=BB4_8239 Depth=3
	v_mov_b32_e32 v31, 0
	s_mov_b32 s76, exec_lo
	v_cmpx_ne_u32_e32 0, v5
	s_cbranch_execz .LBB4_9107
; %bb.9100:                             ;   in Loop: Header=BB4_8239 Depth=3
	v_bfe_u32 v5, v5, 23, 8
	v_or_b32_e32 v13, 0x800000, v8
	s_delay_alu instid0(VALU_DEP_2) | instskip(SKIP_2) | instid1(VALU_DEP_2)
	v_cmp_gt_u32_e64 s13, 0x72, v5
	v_sub_nc_u32_e32 v12, 0x71, v5
	v_cmp_eq_u32_e32 vcc_lo, 0, v5
	v_cndmask_b32_e64 v12, 0, v12, s13
	s_delay_alu instid0(VALU_DEP_1) | instskip(NEXT) | instid1(VALU_DEP_1)
	v_cndmask_b32_e64 v14, v12, 0x70, vcc_lo
	v_dual_cndmask_b32 v8, v13, v8, vcc_lo :: v_dual_add_nc_u32 v12, 21, v14
	v_add_nc_u32_e32 v15, 20, v14
	s_delay_alu instid0(VALU_DEP_2) | instskip(NEXT) | instid1(VALU_DEP_2)
	v_lshlrev_b64_e64 v[12:13], v12, -1
	v_lshlrev_b64_e64 v[30:31], v15, 1
	s_delay_alu instid0(VALU_DEP_2) | instskip(SKIP_1) | instid1(VALU_DEP_4)
	v_bfi_b32 v12, v12, 0, v8
	v_lshrrev_b64 v[8:9], v14, v[8:9]
	v_bfi_b32 v13, v13, 0, 0
	s_delay_alu instid0(VALU_DEP_1) | instskip(NEXT) | instid1(VALU_DEP_3)
	v_cmp_eq_u64_e64 s13, v[12:13], v[30:31]
	v_mov_b64_e32 v[12:13], v[8:9]
	s_and_saveexec_b32 s77, s13
; %bb.9101:                             ;   in Loop: Header=BB4_8239 Depth=3
	v_bfe_u32 v12, v8, 21, 1
	v_mov_b32_e32 v13, v3
	s_delay_alu instid0(VALU_DEP_1) | instskip(NEXT) | instid1(VALU_DEP_1)
	v_add_nc_u64_e32 v[12:13], v[8:9], v[12:13]
	v_add_nc_u64_e32 v[12:13], -1, v[12:13]
; %bb.9102:                             ;   in Loop: Header=BB4_8239 Depth=3
	s_or_b32 exec_lo, exec_lo, s77
	v_add_nc_u32_e32 v5, 0xffffff81, v5
	v_lshrrev_b32_e32 v9, 23, v8
	s_mov_b32 s13, exec_lo
	s_delay_alu instid0(VALU_DEP_2) | instskip(NEXT) | instid1(VALU_DEP_1)
	v_cndmask_b32_e64 v5, v5, 0xffffff82, vcc_lo
	v_add3_u32 v13, v14, v5, v9
	v_and_b32_e32 v5, 0x1fffff, v12
	s_delay_alu instid0(VALU_DEP_2) | instskip(NEXT) | instid1(VALU_DEP_2)
	v_dual_mov_b32 v9, v3 :: v_dual_add_nc_u32 v12, 14, v13
	v_add_nc_u32_e32 v8, v5, v8
                                        ; implicit-def: $vgpr5
	s_delay_alu instid0(VALU_DEP_2)
	v_cmpx_ne_u32_e32 0, v12
	s_xor_b32 s13, exec_lo, s13
; %bb.9103:                             ;   in Loop: Header=BB4_8239 Depth=3
	s_delay_alu instid0(VALU_DEP_2) | instskip(SKIP_1) | instid1(VALU_DEP_1)
	v_cmp_lt_u64_e32 vcc_lo, 0xffffff, v[8:9]
	v_add_nc_u32_e32 v5, 15, v13
	v_cndmask_b32_e32 v5, v12, v5, vcc_lo
	v_cndmask_b32_e64 v12, 0, 1, vcc_lo
	s_delay_alu instid0(VALU_DEP_1)
	v_lshrrev_b64 v[8:9], v12, v[8:9]
; %bb.9104:                             ;   in Loop: Header=BB4_8239 Depth=3
	s_and_not1_saveexec_b32 s13, s13
; %bb.9105:                             ;   in Loop: Header=BB4_8239 Depth=3
	s_delay_alu instid0(VALU_DEP_1)
	v_bfe_u32 v5, v8, 23, 1
; %bb.9106:                             ;   in Loop: Header=BB4_8239 Depth=3
	s_or_b32 exec_lo, exec_lo, s13
	s_delay_alu instid0(VALU_DEP_2) | instskip(NEXT) | instid1(VALU_DEP_2)
	v_lshrrev_b64 v[8:9], 21, v[8:9]
	v_cmp_gt_i32_e32 vcc_lo, 32, v5
	v_min_i32_e32 v12, 31, v5
	v_cmp_eq_u32_e64 s13, 0, v5
	s_delay_alu instid0(VALU_DEP_4) | instskip(NEXT) | instid1(VALU_DEP_3)
	v_cndmask_b32_e32 v8, 3, v8, vcc_lo
	v_dual_cndmask_b32 v9, 0, v9 :: v_dual_lshlrev_b32 v12, 2, v12
	s_delay_alu instid0(VALU_DEP_1) | instskip(NEXT) | instid1(VALU_DEP_2)
	v_and_b32_e32 v12, 0xfc, v12
	v_cmp_eq_u64_e32 vcc_lo, 0, v[8:9]
	s_delay_alu instid0(VALU_DEP_2)
	v_and_or_b32 v5, v8, 3, v12
	s_and_b32 s13, s13, vcc_lo
	s_delay_alu instid0(VALU_DEP_1) | instid1(SALU_CYCLE_1)
	v_cndmask_b32_e64 v5, v5, 0, s13
	s_delay_alu instid0(VALU_DEP_1)
	v_or_b32_e32 v31, v5, v2
.LBB4_9107:                             ;   in Loop: Header=BB4_8239 Depth=3
	s_or_b32 exec_lo, exec_lo, s76
                                        ; implicit-def: $vgpr2
.LBB4_9108:                             ;   in Loop: Header=BB4_8239 Depth=3
	s_and_not1_saveexec_b32 s13, s75
; %bb.9109:                             ;   in Loop: Header=BB4_8239 Depth=3
	v_or_b32_e32 v31, 0x7b, v2
; %bb.9110:                             ;   in Loop: Header=BB4_8239 Depth=3
	s_or_b32 exec_lo, exec_lo, s13
                                        ; implicit-def: $vgpr5
                                        ; implicit-def: $vgpr8_vgpr9
                                        ; implicit-def: $vgpr2
.LBB4_9111:                             ;   in Loop: Header=BB4_8239 Depth=3
	s_and_not1_saveexec_b32 s13, s74
	s_cbranch_execz .LBB4_9117
; %bb.9112:                             ;   in Loop: Header=BB4_8239 Depth=3
	s_mov_b32 s74, exec_lo
                                        ; implicit-def: $vgpr31
	v_cmpx_ne_u64_e32 0, v[8:9]
	s_xor_b32 s74, exec_lo, s74
; %bb.9113:                             ;   in Loop: Header=BB4_8239 Depth=3
	v_or_b32_e32 v31, 0x7f, v2
                                        ; implicit-def: $vgpr5
; %bb.9114:                             ;   in Loop: Header=BB4_8239 Depth=3
	s_and_not1_saveexec_b32 s74, s74
; %bb.9115:                             ;   in Loop: Header=BB4_8239 Depth=3
	v_cmp_lt_i32_e32 vcc_lo, -1, v5
	v_cndmask_b32_e32 v31, 0xfc, v49, vcc_lo
; %bb.9116:                             ;   in Loop: Header=BB4_8239 Depth=3
	s_or_b32 exec_lo, exec_lo, s74
.LBB4_9117:                             ;   in Loop: Header=BB4_8239 Depth=3
	s_delay_alu instid0(SALU_CYCLE_1) | instskip(SKIP_3) | instid1(VALU_DEP_2)
	s_or_b32 exec_lo, exec_lo, s13
	v_lshrrev_b16 v8, 8, v4
	v_mov_b32_e32 v9, 0
	s_mov_b32 s13, exec_lo
	v_cmpx_ne_u16_e32 0, v8
	s_cbranch_execz .LBB4_9127
; %bb.9118:                             ;   in Loop: Header=BB4_8239 Depth=3
	v_bfrev_b32_e32 v9, 1
	s_mov_b32 s74, exec_lo
	v_cmpx_ne_u16_e32 0x80, v8
	s_cbranch_execz .LBB4_9126
; %bb.9119:                             ;   in Loop: Header=BB4_8239 Depth=3
	v_and_b32_e32 v5, 0xffff, v8
	s_delay_alu instid0(VALU_DEP_1) | instskip(SKIP_1) | instid1(VALU_DEP_2)
	v_and_b32_e32 v9, 0x7c, v5
	v_and_b32_e32 v2, 3, v5
	v_cmp_ne_u32_e32 vcc_lo, 0x7c, v9
                                        ; implicit-def: $vgpr9
	s_and_saveexec_b32 s75, vcc_lo
	s_delay_alu instid0(SALU_CYCLE_1)
	s_xor_b32 s75, exec_lo, s75
	s_cbranch_execz .LBB4_9123
; %bb.9120:                             ;   in Loop: Header=BB4_8239 Depth=3
	v_bfe_u32 v5, v5, 2, 5
	s_mov_b32 s76, exec_lo
	s_delay_alu instid0(VALU_DEP_1)
	v_cmpx_eq_u32_e32 0, v5
; %bb.9121:                             ;   in Loop: Header=BB4_8239 Depth=3
	v_clz_i32_u32_e32 v2, v2
	s_delay_alu instid0(VALU_DEP_1) | instskip(SKIP_1) | instid1(VALU_DEP_2)
	v_min_u32_e32 v2, 32, v2
	v_mov_b32_e32 v9, v3
	v_subrev_nc_u32_e32 v5, 29, v2
	s_delay_alu instid0(VALU_DEP_1) | instskip(NEXT) | instid1(VALU_DEP_1)
	v_lshlrev_b64_e32 v[8:9], v5, v[8:9]
	v_dual_sub_nc_u32 v5, 30, v2 :: v_dual_bitop2_b32 v2, 3, v8 bitop3:0x40
; %bb.9122:                             ;   in Loop: Header=BB4_8239 Depth=3
	s_or_b32 exec_lo, exec_lo, s76
	v_lshlrev_b32_e32 v4, 16, v4
	s_delay_alu instid0(VALU_DEP_1) | instskip(NEXT) | instid1(VALU_DEP_1)
	v_and_b32_e32 v4, 0x80000000, v4
	v_lshl_add_u32 v4, v5, 23, v4
	s_delay_alu instid0(VALU_DEP_1) | instskip(NEXT) | instid1(VALU_DEP_1)
	v_lshl_or_b32 v2, v2, 21, v4
                                        ; implicit-def: $vgpr4_vgpr5
	v_add_nc_u32_e32 v9, 0x38000000, v2
                                        ; implicit-def: $vgpr2
.LBB4_9123:                             ;   in Loop: Header=BB4_8239 Depth=3
	s_and_not1_saveexec_b32 s75, s75
; %bb.9124:                             ;   in Loop: Header=BB4_8239 Depth=3
	v_cmp_lt_i16_e32 vcc_lo, -1, v4
	v_cndmask_b32_e32 v4, 0xff800000, v48, vcc_lo
	v_cmp_eq_u32_e32 vcc_lo, 0, v2
	s_delay_alu instid0(VALU_DEP_2)
	v_cndmask_b32_e32 v9, 0x7f800001, v4, vcc_lo
; %bb.9125:                             ;   in Loop: Header=BB4_8239 Depth=3
	s_or_b32 exec_lo, exec_lo, s75
.LBB4_9126:                             ;   in Loop: Header=BB4_8239 Depth=3
	s_delay_alu instid0(SALU_CYCLE_1)
	s_or_b32 exec_lo, exec_lo, s74
.LBB4_9127:                             ;   in Loop: Header=BB4_8239 Depth=3
	s_delay_alu instid0(SALU_CYCLE_1) | instskip(NEXT) | instid1(VALU_DEP_1)
	s_or_b32 exec_lo, exec_lo, s13
	v_dual_mul_f32 v8, s73, v9 :: v_dual_mov_b32 v13, v3
	v_mov_b32_e32 v5, v3
                                        ; implicit-def: $vgpr64
	s_mov_b32 s13, exec_lo
	s_delay_alu instid0(VALU_DEP_2) | instskip(SKIP_2) | instid1(VALU_DEP_3)
	v_and_b32_e32 v12, 0x7f800000, v8
	v_and_b32_e32 v4, 0x7fffff, v8
	v_lshrrev_b32_e32 v2, 24, v8
	v_cmpx_ne_u64_e32 0x7f800000, v[12:13]
	s_xor_b32 s74, exec_lo, s13
	s_cbranch_execz .LBB4_9141
; %bb.9128:                             ;   in Loop: Header=BB4_8239 Depth=3
	v_and_b32_e32 v12, 0x7fffffff, v8
	v_mov_b32_e32 v13, v3
	v_and_b32_e32 v2, 0x80, v2
                                        ; implicit-def: $vgpr64
	s_mov_b32 s13, exec_lo
	s_delay_alu instid0(VALU_DEP_2)
	v_cmpx_gt_u64_e32 0x47600001, v[12:13]
	s_xor_b32 s75, exec_lo, s13
	s_cbranch_execz .LBB4_9138
; %bb.9129:                             ;   in Loop: Header=BB4_8239 Depth=3
	v_mov_b32_e32 v64, 0
	s_mov_b32 s76, exec_lo
	v_cmpx_ne_u32_e32 0, v8
	s_cbranch_execz .LBB4_9137
; %bb.9130:                             ;   in Loop: Header=BB4_8239 Depth=3
	v_bfe_u32 v12, v8, 23, 8
	v_or_b32_e32 v9, 0x800000, v4
	s_delay_alu instid0(VALU_DEP_2) | instskip(SKIP_2) | instid1(VALU_DEP_2)
	v_cmp_gt_u32_e64 s13, 0x72, v12
	v_sub_nc_u32_e32 v8, 0x71, v12
	v_cmp_eq_u32_e32 vcc_lo, 0, v12
	v_cndmask_b32_e64 v8, 0, v8, s13
	s_delay_alu instid0(VALU_DEP_1) | instskip(NEXT) | instid1(VALU_DEP_1)
	v_cndmask_b32_e64 v13, v8, 0x70, vcc_lo
	v_dual_cndmask_b32 v4, v9, v4, vcc_lo :: v_dual_add_nc_u32 v8, 21, v13
	v_add_nc_u32_e32 v14, 20, v13
	s_delay_alu instid0(VALU_DEP_2) | instskip(NEXT) | instid1(VALU_DEP_2)
	v_lshlrev_b64_e64 v[8:9], v8, -1
	v_lshlrev_b64_e64 v[14:15], v14, 1
	s_delay_alu instid0(VALU_DEP_2) | instskip(SKIP_1) | instid1(VALU_DEP_4)
	v_bfi_b32 v8, v8, 0, v4
	v_lshrrev_b64 v[4:5], v13, v[4:5]
	v_bfi_b32 v9, v9, 0, 0
	s_delay_alu instid0(VALU_DEP_1) | instskip(NEXT) | instid1(VALU_DEP_3)
	v_cmp_eq_u64_e64 s13, v[8:9], v[14:15]
	v_mov_b64_e32 v[8:9], v[4:5]
	s_and_saveexec_b32 s77, s13
; %bb.9131:                             ;   in Loop: Header=BB4_8239 Depth=3
	v_bfe_u32 v8, v4, 21, 1
	v_mov_b32_e32 v9, v3
	s_delay_alu instid0(VALU_DEP_1) | instskip(NEXT) | instid1(VALU_DEP_1)
	v_add_nc_u64_e32 v[8:9], v[4:5], v[8:9]
	v_add_nc_u64_e32 v[8:9], -1, v[8:9]
; %bb.9132:                             ;   in Loop: Header=BB4_8239 Depth=3
	s_or_b32 exec_lo, exec_lo, s77
	v_add_nc_u32_e32 v5, 0xffffff81, v12
	v_lshrrev_b32_e32 v9, 23, v4
	s_mov_b32 s13, exec_lo
	s_delay_alu instid0(VALU_DEP_2) | instskip(NEXT) | instid1(VALU_DEP_1)
	v_cndmask_b32_e64 v5, v5, 0xffffff82, vcc_lo
	v_add3_u32 v12, v13, v5, v9
	v_and_b32_e32 v5, 0x1fffff, v8
                                        ; implicit-def: $vgpr8
	s_delay_alu instid0(VALU_DEP_2) | instskip(NEXT) | instid1(VALU_DEP_2)
	v_add_nc_u32_e32 v9, 14, v12
	v_dual_mov_b32 v5, v3 :: v_dual_add_nc_u32 v4, v5, v4
	s_delay_alu instid0(VALU_DEP_2)
	v_cmpx_ne_u32_e32 0, v9
	s_xor_b32 s13, exec_lo, s13
; %bb.9133:                             ;   in Loop: Header=BB4_8239 Depth=3
	s_delay_alu instid0(VALU_DEP_2) | instskip(SKIP_1) | instid1(VALU_DEP_1)
	v_cmp_lt_u64_e32 vcc_lo, 0xffffff, v[4:5]
	v_add_nc_u32_e32 v8, 15, v12
	v_cndmask_b32_e32 v8, v9, v8, vcc_lo
	v_cndmask_b32_e64 v9, 0, 1, vcc_lo
	s_delay_alu instid0(VALU_DEP_1)
	v_lshrrev_b64 v[4:5], v9, v[4:5]
; %bb.9134:                             ;   in Loop: Header=BB4_8239 Depth=3
	s_and_not1_saveexec_b32 s13, s13
; %bb.9135:                             ;   in Loop: Header=BB4_8239 Depth=3
	s_delay_alu instid0(VALU_DEP_1)
	v_bfe_u32 v8, v4, 23, 1
; %bb.9136:                             ;   in Loop: Header=BB4_8239 Depth=3
	s_or_b32 exec_lo, exec_lo, s13
	s_delay_alu instid0(VALU_DEP_2) | instskip(NEXT) | instid1(VALU_DEP_2)
	v_lshrrev_b64 v[4:5], 21, v[4:5]
	v_cmp_gt_i32_e32 vcc_lo, 32, v8
	v_min_i32_e32 v9, 31, v8
	v_cmp_eq_u32_e64 s13, 0, v8
	s_delay_alu instid0(VALU_DEP_4) | instskip(NEXT) | instid1(VALU_DEP_3)
	v_cndmask_b32_e32 v5, 0, v5, vcc_lo
	v_dual_cndmask_b32 v4, 3, v4 :: v_dual_lshlrev_b32 v9, 2, v9
	s_delay_alu instid0(VALU_DEP_1) | instskip(NEXT) | instid1(VALU_DEP_2)
	v_and_b32_e32 v9, 0xfc, v9
	v_cmp_eq_u64_e32 vcc_lo, 0, v[4:5]
	s_delay_alu instid0(VALU_DEP_2)
	v_and_or_b32 v4, v4, 3, v9
	s_and_b32 s13, s13, vcc_lo
	s_delay_alu instid0(VALU_DEP_1) | instid1(SALU_CYCLE_1)
	v_cndmask_b32_e64 v4, v4, 0, s13
	s_delay_alu instid0(VALU_DEP_1)
	v_or_b32_e32 v64, v4, v2
.LBB4_9137:                             ;   in Loop: Header=BB4_8239 Depth=3
	s_or_b32 exec_lo, exec_lo, s76
                                        ; implicit-def: $vgpr2
.LBB4_9138:                             ;   in Loop: Header=BB4_8239 Depth=3
	s_and_not1_saveexec_b32 s13, s75
; %bb.9139:                             ;   in Loop: Header=BB4_8239 Depth=3
	v_or_b32_e32 v64, 0x7b, v2
; %bb.9140:                             ;   in Loop: Header=BB4_8239 Depth=3
	s_or_b32 exec_lo, exec_lo, s13
                                        ; implicit-def: $vgpr8
                                        ; implicit-def: $vgpr4_vgpr5
                                        ; implicit-def: $vgpr2
.LBB4_9141:                             ;   in Loop: Header=BB4_8239 Depth=3
	s_and_not1_saveexec_b32 s13, s74
	s_cbranch_execz .LBB4_9147
; %bb.9142:                             ;   in Loop: Header=BB4_8239 Depth=3
	s_mov_b32 s74, exec_lo
                                        ; implicit-def: $vgpr64
	v_cmpx_ne_u64_e32 0, v[4:5]
	s_xor_b32 s74, exec_lo, s74
; %bb.9143:                             ;   in Loop: Header=BB4_8239 Depth=3
	v_or_b32_e32 v64, 0x7f, v2
                                        ; implicit-def: $vgpr8
; %bb.9144:                             ;   in Loop: Header=BB4_8239 Depth=3
	s_and_not1_saveexec_b32 s74, s74
; %bb.9145:                             ;   in Loop: Header=BB4_8239 Depth=3
	v_cmp_lt_i32_e32 vcc_lo, -1, v8
	v_cndmask_b32_e32 v64, 0xfc, v49, vcc_lo
; %bb.9146:                             ;   in Loop: Header=BB4_8239 Depth=3
	s_or_b32 exec_lo, exec_lo, s74
.LBB4_9147:                             ;   in Loop: Header=BB4_8239 Depth=3
	s_delay_alu instid0(SALU_CYCLE_1) | instskip(SKIP_2) | instid1(VALU_DEP_1)
	s_or_b32 exec_lo, exec_lo, s13
	v_dual_lshrrev_b32 v2, 16, v11 :: v_dual_mov_b32 v4, 0
	s_mov_b32 s74, exec_lo
	v_and_b32_e32 v5, 0xff, v2
	s_delay_alu instid0(VALU_DEP_1)
	v_cmpx_ne_u16_e32 0, v5
	s_cbranch_execz .LBB4_9157
; %bb.9148:                             ;   in Loop: Header=BB4_8239 Depth=3
	v_bfrev_b32_e32 v4, 1
	s_mov_b32 s75, exec_lo
	v_cmpx_ne_u16_e32 0x80, v5
	s_cbranch_execz .LBB4_9156
; %bb.9149:                             ;   in Loop: Header=BB4_8239 Depth=3
	v_and_b32_e32 v4, 0x7c0000, v11
	v_bfe_u32 v5, v11, 16, 2
	s_delay_alu instid0(VALU_DEP_2) | instskip(SKIP_1) | instid1(SALU_CYCLE_1)
	v_cmp_ne_u32_e32 vcc_lo, 0x7c0000, v4
                                        ; implicit-def: $vgpr4
	s_and_saveexec_b32 s13, vcc_lo
	s_xor_b32 s13, exec_lo, s13
	s_cbranch_execz .LBB4_9153
; %bb.9150:                             ;   in Loop: Header=BB4_8239 Depth=3
	v_bfe_u32 v4, v11, 18, 5
	s_mov_b32 s76, exec_lo
	s_delay_alu instid0(VALU_DEP_1)
	v_cmpx_eq_u32_e32 0, v4
; %bb.9151:                             ;   in Loop: Header=BB4_8239 Depth=3
	v_clz_i32_u32_e32 v4, v5
	s_delay_alu instid0(VALU_DEP_1) | instskip(NEXT) | instid1(VALU_DEP_1)
	v_min_u32_e32 v4, 32, v4
	v_subrev_nc_u32_e32 v5, 29, v4
	v_sub_nc_u32_e32 v4, 30, v4
	s_delay_alu instid0(VALU_DEP_2) | instskip(NEXT) | instid1(VALU_DEP_1)
	v_lshlrev_b64_e32 v[8:9], v5, v[2:3]
	v_and_b32_e32 v5, 3, v8
; %bb.9152:                             ;   in Loop: Header=BB4_8239 Depth=3
	s_or_b32 exec_lo, exec_lo, s76
	v_lshlrev_b32_e32 v2, 24, v2
	s_delay_alu instid0(VALU_DEP_1) | instskip(NEXT) | instid1(VALU_DEP_1)
	v_and_b32_e32 v2, 0x80000000, v2
	v_lshl_add_u32 v2, v4, 23, v2
	s_delay_alu instid0(VALU_DEP_1) | instskip(NEXT) | instid1(VALU_DEP_1)
	v_lshl_or_b32 v2, v5, 21, v2
                                        ; implicit-def: $vgpr5
	v_add_nc_u32_e32 v4, 0x38000000, v2
                                        ; implicit-def: $vgpr2
.LBB4_9153:                             ;   in Loop: Header=BB4_8239 Depth=3
	s_and_not1_saveexec_b32 s76, s13
; %bb.9154:                             ;   in Loop: Header=BB4_8239 Depth=3
	v_bfe_i32 v2, v2, 0, 8
	v_cmp_eq_u32_e32 vcc_lo, 0, v5
	s_delay_alu instid0(VALU_DEP_2) | instskip(NEXT) | instid1(VALU_DEP_1)
	v_cmp_lt_i16_e64 s13, -1, v2
	v_cndmask_b32_e64 v2, 0xff800000, v48, s13
	s_delay_alu instid0(VALU_DEP_1)
	v_cndmask_b32_e32 v4, 0x7f800001, v2, vcc_lo
; %bb.9155:                             ;   in Loop: Header=BB4_8239 Depth=3
	s_or_b32 exec_lo, exec_lo, s76
.LBB4_9156:                             ;   in Loop: Header=BB4_8239 Depth=3
	s_delay_alu instid0(SALU_CYCLE_1)
	s_or_b32 exec_lo, exec_lo, s75
.LBB4_9157:                             ;   in Loop: Header=BB4_8239 Depth=3
	s_delay_alu instid0(SALU_CYCLE_1) | instskip(NEXT) | instid1(VALU_DEP_1)
	s_or_b32 exec_lo, exec_lo, s74
	v_dual_mul_f32 v8, s73, v4 :: v_dual_mov_b32 v13, v3
	v_mov_b32_e32 v5, v3
                                        ; implicit-def: $vgpr100
	s_mov_b32 s13, exec_lo
	s_delay_alu instid0(VALU_DEP_2) | instskip(SKIP_2) | instid1(VALU_DEP_3)
	v_and_b32_e32 v12, 0x7f800000, v8
	v_and_b32_e32 v4, 0x7fffff, v8
	v_lshrrev_b32_e32 v2, 24, v8
	v_cmpx_ne_u64_e32 0x7f800000, v[12:13]
	s_xor_b32 s74, exec_lo, s13
	s_cbranch_execz .LBB4_9171
; %bb.9158:                             ;   in Loop: Header=BB4_8239 Depth=3
	v_and_b32_e32 v12, 0x7fffffff, v8
	v_mov_b32_e32 v13, v3
	v_and_b32_e32 v2, 0x80, v2
                                        ; implicit-def: $vgpr100
	s_mov_b32 s13, exec_lo
	s_delay_alu instid0(VALU_DEP_2)
	v_cmpx_gt_u64_e32 0x47600001, v[12:13]
	s_xor_b32 s75, exec_lo, s13
	s_cbranch_execz .LBB4_9168
; %bb.9159:                             ;   in Loop: Header=BB4_8239 Depth=3
	v_mov_b32_e32 v100, 0
	s_mov_b32 s76, exec_lo
	v_cmpx_ne_u32_e32 0, v8
	s_cbranch_execz .LBB4_9167
; %bb.9160:                             ;   in Loop: Header=BB4_8239 Depth=3
	v_bfe_u32 v12, v8, 23, 8
	v_or_b32_e32 v9, 0x800000, v4
	s_delay_alu instid0(VALU_DEP_2) | instskip(SKIP_2) | instid1(VALU_DEP_2)
	v_cmp_gt_u32_e64 s13, 0x72, v12
	v_sub_nc_u32_e32 v8, 0x71, v12
	v_cmp_eq_u32_e32 vcc_lo, 0, v12
	v_cndmask_b32_e64 v8, 0, v8, s13
	s_delay_alu instid0(VALU_DEP_1) | instskip(NEXT) | instid1(VALU_DEP_1)
	v_cndmask_b32_e64 v13, v8, 0x70, vcc_lo
	v_dual_cndmask_b32 v4, v9, v4, vcc_lo :: v_dual_add_nc_u32 v8, 21, v13
	v_add_nc_u32_e32 v14, 20, v13
	s_delay_alu instid0(VALU_DEP_2) | instskip(NEXT) | instid1(VALU_DEP_2)
	v_lshlrev_b64_e64 v[8:9], v8, -1
	v_lshlrev_b64_e64 v[14:15], v14, 1
	s_delay_alu instid0(VALU_DEP_2) | instskip(SKIP_1) | instid1(VALU_DEP_4)
	v_bfi_b32 v8, v8, 0, v4
	v_lshrrev_b64 v[4:5], v13, v[4:5]
	v_bfi_b32 v9, v9, 0, 0
	s_delay_alu instid0(VALU_DEP_1) | instskip(NEXT) | instid1(VALU_DEP_3)
	v_cmp_eq_u64_e64 s13, v[8:9], v[14:15]
	v_mov_b64_e32 v[8:9], v[4:5]
	s_and_saveexec_b32 s77, s13
; %bb.9161:                             ;   in Loop: Header=BB4_8239 Depth=3
	v_bfe_u32 v8, v4, 21, 1
	v_mov_b32_e32 v9, v3
	s_delay_alu instid0(VALU_DEP_1) | instskip(NEXT) | instid1(VALU_DEP_1)
	v_add_nc_u64_e32 v[8:9], v[4:5], v[8:9]
	v_add_nc_u64_e32 v[8:9], -1, v[8:9]
; %bb.9162:                             ;   in Loop: Header=BB4_8239 Depth=3
	s_or_b32 exec_lo, exec_lo, s77
	v_add_nc_u32_e32 v5, 0xffffff81, v12
	v_lshrrev_b32_e32 v9, 23, v4
	s_mov_b32 s13, exec_lo
	s_delay_alu instid0(VALU_DEP_2) | instskip(NEXT) | instid1(VALU_DEP_1)
	v_cndmask_b32_e64 v5, v5, 0xffffff82, vcc_lo
	v_add3_u32 v12, v13, v5, v9
	v_and_b32_e32 v5, 0x1fffff, v8
                                        ; implicit-def: $vgpr8
	s_delay_alu instid0(VALU_DEP_2) | instskip(NEXT) | instid1(VALU_DEP_2)
	v_add_nc_u32_e32 v9, 14, v12
	v_dual_mov_b32 v5, v3 :: v_dual_add_nc_u32 v4, v5, v4
	s_delay_alu instid0(VALU_DEP_2)
	v_cmpx_ne_u32_e32 0, v9
	s_xor_b32 s13, exec_lo, s13
; %bb.9163:                             ;   in Loop: Header=BB4_8239 Depth=3
	s_delay_alu instid0(VALU_DEP_2) | instskip(SKIP_1) | instid1(VALU_DEP_1)
	v_cmp_lt_u64_e32 vcc_lo, 0xffffff, v[4:5]
	v_add_nc_u32_e32 v8, 15, v12
	v_cndmask_b32_e32 v8, v9, v8, vcc_lo
	v_cndmask_b32_e64 v9, 0, 1, vcc_lo
	s_delay_alu instid0(VALU_DEP_1)
	v_lshrrev_b64 v[4:5], v9, v[4:5]
; %bb.9164:                             ;   in Loop: Header=BB4_8239 Depth=3
	s_and_not1_saveexec_b32 s13, s13
; %bb.9165:                             ;   in Loop: Header=BB4_8239 Depth=3
	s_delay_alu instid0(VALU_DEP_1)
	v_bfe_u32 v8, v4, 23, 1
; %bb.9166:                             ;   in Loop: Header=BB4_8239 Depth=3
	s_or_b32 exec_lo, exec_lo, s13
	s_delay_alu instid0(VALU_DEP_2) | instskip(NEXT) | instid1(VALU_DEP_2)
	v_lshrrev_b64 v[4:5], 21, v[4:5]
	v_cmp_gt_i32_e32 vcc_lo, 32, v8
	v_min_i32_e32 v9, 31, v8
	v_cmp_eq_u32_e64 s13, 0, v8
	s_delay_alu instid0(VALU_DEP_4) | instskip(NEXT) | instid1(VALU_DEP_3)
	v_cndmask_b32_e32 v5, 0, v5, vcc_lo
	v_dual_cndmask_b32 v4, 3, v4 :: v_dual_lshlrev_b32 v9, 2, v9
	s_delay_alu instid0(VALU_DEP_1) | instskip(NEXT) | instid1(VALU_DEP_2)
	v_and_b32_e32 v9, 0xfc, v9
	v_cmp_eq_u64_e32 vcc_lo, 0, v[4:5]
	s_delay_alu instid0(VALU_DEP_2)
	v_and_or_b32 v4, v4, 3, v9
	s_and_b32 s13, s13, vcc_lo
	s_delay_alu instid0(VALU_DEP_1) | instid1(SALU_CYCLE_1)
	v_cndmask_b32_e64 v4, v4, 0, s13
	s_delay_alu instid0(VALU_DEP_1)
	v_or_b32_e32 v100, v4, v2
.LBB4_9167:                             ;   in Loop: Header=BB4_8239 Depth=3
	s_or_b32 exec_lo, exec_lo, s76
                                        ; implicit-def: $vgpr2
.LBB4_9168:                             ;   in Loop: Header=BB4_8239 Depth=3
	s_and_not1_saveexec_b32 s13, s75
; %bb.9169:                             ;   in Loop: Header=BB4_8239 Depth=3
	v_or_b32_e32 v100, 0x7b, v2
; %bb.9170:                             ;   in Loop: Header=BB4_8239 Depth=3
	s_or_b32 exec_lo, exec_lo, s13
                                        ; implicit-def: $vgpr8
                                        ; implicit-def: $vgpr4_vgpr5
                                        ; implicit-def: $vgpr2
.LBB4_9171:                             ;   in Loop: Header=BB4_8239 Depth=3
	s_and_not1_saveexec_b32 s13, s74
	s_cbranch_execz .LBB4_9177
; %bb.9172:                             ;   in Loop: Header=BB4_8239 Depth=3
	s_mov_b32 s74, exec_lo
                                        ; implicit-def: $vgpr100
	v_cmpx_ne_u64_e32 0, v[4:5]
	s_xor_b32 s74, exec_lo, s74
; %bb.9173:                             ;   in Loop: Header=BB4_8239 Depth=3
	v_or_b32_e32 v100, 0x7f, v2
                                        ; implicit-def: $vgpr8
; %bb.9174:                             ;   in Loop: Header=BB4_8239 Depth=3
	s_and_not1_saveexec_b32 s74, s74
; %bb.9175:                             ;   in Loop: Header=BB4_8239 Depth=3
	v_cmp_lt_i32_e32 vcc_lo, -1, v8
	v_cndmask_b32_e32 v100, 0xfc, v49, vcc_lo
; %bb.9176:                             ;   in Loop: Header=BB4_8239 Depth=3
	s_or_b32 exec_lo, exec_lo, s74
.LBB4_9177:                             ;   in Loop: Header=BB4_8239 Depth=3
	s_delay_alu instid0(SALU_CYCLE_1)
	s_or_b32 exec_lo, exec_lo, s13
	v_mov_b32_e32 v4, 0
	s_mov_b32 s13, exec_lo
	v_cmpx_lt_u64_e64 s[22:23], v[10:11]
	s_cbranch_execz .LBB4_9187
; %bb.9178:                             ;   in Loop: Header=BB4_8239 Depth=3
	v_lshrrev_b32_e32 v2, 24, v11
	v_bfrev_b32_e32 v4, 1
	s_mov_b32 s74, exec_lo
	s_delay_alu instid0(VALU_DEP_2)
	v_cmpx_ne_u32_e32 0x80, v2
	s_cbranch_execz .LBB4_9186
; %bb.9179:                             ;   in Loop: Header=BB4_8239 Depth=3
	v_and_b32_e32 v4, 0x7c000000, v11
	v_bfe_u32 v5, v11, 24, 2
	s_delay_alu instid0(VALU_DEP_2) | instskip(SKIP_1) | instid1(SALU_CYCLE_1)
	v_cmp_ne_u32_e32 vcc_lo, 0x7c000000, v4
                                        ; implicit-def: $vgpr4
	s_and_saveexec_b32 s75, vcc_lo
	s_xor_b32 s75, exec_lo, s75
	s_cbranch_execz .LBB4_9183
; %bb.9180:                             ;   in Loop: Header=BB4_8239 Depth=3
	v_bfe_u32 v4, v11, 26, 5
	s_mov_b32 s76, exec_lo
	s_delay_alu instid0(VALU_DEP_1)
	v_cmpx_eq_u32_e32 0, v4
; %bb.9181:                             ;   in Loop: Header=BB4_8239 Depth=3
	v_clz_i32_u32_e32 v4, v5
	s_delay_alu instid0(VALU_DEP_1) | instskip(NEXT) | instid1(VALU_DEP_1)
	v_min_u32_e32 v4, 32, v4
	v_subrev_nc_u32_e32 v5, 29, v4
	v_sub_nc_u32_e32 v4, 30, v4
	s_delay_alu instid0(VALU_DEP_2) | instskip(NEXT) | instid1(VALU_DEP_1)
	v_lshlrev_b64_e32 v[8:9], v5, v[2:3]
	v_and_b32_e32 v5, 3, v8
; %bb.9182:                             ;   in Loop: Header=BB4_8239 Depth=3
	s_or_b32 exec_lo, exec_lo, s76
	v_and_b32_e32 v2, 0x80000000, v11
                                        ; implicit-def: $vgpr10_vgpr11
	s_delay_alu instid0(VALU_DEP_1) | instskip(NEXT) | instid1(VALU_DEP_1)
	v_lshl_add_u32 v2, v4, 23, v2
	v_lshl_or_b32 v2, v5, 21, v2
                                        ; implicit-def: $vgpr5
	s_delay_alu instid0(VALU_DEP_1)
	v_add_nc_u32_e32 v4, 0x38000000, v2
.LBB4_9183:                             ;   in Loop: Header=BB4_8239 Depth=3
	s_and_not1_saveexec_b32 s75, s75
; %bb.9184:                             ;   in Loop: Header=BB4_8239 Depth=3
	v_cmp_lt_i64_e32 vcc_lo, -1, v[10:11]
	v_cndmask_b32_e32 v2, 0xff800000, v48, vcc_lo
	v_cmp_eq_u32_e32 vcc_lo, 0, v5
	s_delay_alu instid0(VALU_DEP_2)
	v_cndmask_b32_e32 v4, 0x7f800001, v2, vcc_lo
; %bb.9185:                             ;   in Loop: Header=BB4_8239 Depth=3
	s_or_b32 exec_lo, exec_lo, s75
.LBB4_9186:                             ;   in Loop: Header=BB4_8239 Depth=3
	s_delay_alu instid0(SALU_CYCLE_1)
	s_or_b32 exec_lo, exec_lo, s74
.LBB4_9187:                             ;   in Loop: Header=BB4_8239 Depth=3
	s_delay_alu instid0(SALU_CYCLE_1) | instskip(NEXT) | instid1(VALU_DEP_1)
	s_or_b32 exec_lo, exec_lo, s13
	v_dual_mul_f32 v8, s73, v4 :: v_dual_mov_b32 v11, v3
	v_mov_b32_e32 v5, v3
                                        ; implicit-def: $vgpr115
	s_mov_b32 s13, exec_lo
	s_delay_alu instid0(VALU_DEP_2) | instskip(SKIP_2) | instid1(VALU_DEP_3)
	v_and_b32_e32 v10, 0x7f800000, v8
	v_and_b32_e32 v4, 0x7fffff, v8
	v_lshrrev_b32_e32 v2, 24, v8
	v_cmpx_ne_u64_e32 0x7f800000, v[10:11]
	s_xor_b32 s73, exec_lo, s13
	s_cbranch_execz .LBB4_9201
; %bb.9188:                             ;   in Loop: Header=BB4_8239 Depth=3
	v_and_b32_e32 v10, 0x7fffffff, v8
	v_mov_b32_e32 v11, v3
	v_and_b32_e32 v2, 0x80, v2
                                        ; implicit-def: $vgpr115
	s_mov_b32 s13, exec_lo
	s_delay_alu instid0(VALU_DEP_2)
	v_cmpx_gt_u64_e32 0x47600001, v[10:11]
	s_xor_b32 s74, exec_lo, s13
	s_cbranch_execz .LBB4_9198
; %bb.9189:                             ;   in Loop: Header=BB4_8239 Depth=3
	v_mov_b32_e32 v115, 0
	s_mov_b32 s75, exec_lo
	v_cmpx_ne_u32_e32 0, v8
	s_cbranch_execz .LBB4_9197
; %bb.9190:                             ;   in Loop: Header=BB4_8239 Depth=3
	v_bfe_u32 v10, v8, 23, 8
	v_or_b32_e32 v9, 0x800000, v4
	s_delay_alu instid0(VALU_DEP_2) | instskip(SKIP_2) | instid1(VALU_DEP_2)
	v_cmp_gt_u32_e64 s13, 0x72, v10
	v_sub_nc_u32_e32 v8, 0x71, v10
	v_cmp_eq_u32_e32 vcc_lo, 0, v10
	v_cndmask_b32_e64 v8, 0, v8, s13
	s_delay_alu instid0(VALU_DEP_1) | instskip(NEXT) | instid1(VALU_DEP_1)
	v_cndmask_b32_e64 v11, v8, 0x70, vcc_lo
	v_dual_cndmask_b32 v4, v9, v4, vcc_lo :: v_dual_add_nc_u32 v8, 21, v11
	v_add_nc_u32_e32 v12, 20, v11
	s_delay_alu instid0(VALU_DEP_2) | instskip(NEXT) | instid1(VALU_DEP_2)
	v_lshlrev_b64_e64 v[8:9], v8, -1
	v_lshlrev_b64_e64 v[12:13], v12, 1
	s_delay_alu instid0(VALU_DEP_2) | instskip(SKIP_1) | instid1(VALU_DEP_4)
	v_bfi_b32 v8, v8, 0, v4
	v_lshrrev_b64 v[4:5], v11, v[4:5]
	v_bfi_b32 v9, v9, 0, 0
	s_delay_alu instid0(VALU_DEP_1) | instskip(NEXT) | instid1(VALU_DEP_3)
	v_cmp_eq_u64_e64 s13, v[8:9], v[12:13]
	v_mov_b64_e32 v[8:9], v[4:5]
	s_and_saveexec_b32 s76, s13
; %bb.9191:                             ;   in Loop: Header=BB4_8239 Depth=3
	v_bfe_u32 v8, v4, 21, 1
	v_mov_b32_e32 v9, v3
	s_delay_alu instid0(VALU_DEP_1) | instskip(NEXT) | instid1(VALU_DEP_1)
	v_add_nc_u64_e32 v[8:9], v[4:5], v[8:9]
	v_add_nc_u64_e32 v[8:9], -1, v[8:9]
; %bb.9192:                             ;   in Loop: Header=BB4_8239 Depth=3
	s_or_b32 exec_lo, exec_lo, s76
	v_add_nc_u32_e32 v5, 0xffffff81, v10
	v_lshrrev_b32_e32 v9, 23, v4
	s_mov_b32 s13, exec_lo
	s_delay_alu instid0(VALU_DEP_2) | instskip(NEXT) | instid1(VALU_DEP_1)
	v_cndmask_b32_e64 v5, v5, 0xffffff82, vcc_lo
	v_add3_u32 v10, v11, v5, v9
	v_and_b32_e32 v5, 0x1fffff, v8
                                        ; implicit-def: $vgpr8
	s_delay_alu instid0(VALU_DEP_1) | instskip(SKIP_1) | instid1(VALU_DEP_2)
	v_dual_add_nc_u32 v9, 14, v10 :: v_dual_add_nc_u32 v4, v5, v4
	v_mov_b32_e32 v5, v3
	v_cmpx_ne_u32_e32 0, v9
	s_xor_b32 s13, exec_lo, s13
; %bb.9193:                             ;   in Loop: Header=BB4_8239 Depth=3
	s_delay_alu instid0(VALU_DEP_2) | instskip(SKIP_1) | instid1(VALU_DEP_1)
	v_cmp_lt_u64_e32 vcc_lo, 0xffffff, v[4:5]
	v_add_nc_u32_e32 v8, 15, v10
	v_cndmask_b32_e32 v8, v9, v8, vcc_lo
	v_cndmask_b32_e64 v9, 0, 1, vcc_lo
	s_delay_alu instid0(VALU_DEP_1)
	v_lshrrev_b64 v[4:5], v9, v[4:5]
; %bb.9194:                             ;   in Loop: Header=BB4_8239 Depth=3
	s_and_not1_saveexec_b32 s13, s13
; %bb.9195:                             ;   in Loop: Header=BB4_8239 Depth=3
	s_delay_alu instid0(VALU_DEP_1)
	v_bfe_u32 v8, v4, 23, 1
; %bb.9196:                             ;   in Loop: Header=BB4_8239 Depth=3
	s_or_b32 exec_lo, exec_lo, s13
	s_delay_alu instid0(VALU_DEP_2) | instskip(NEXT) | instid1(VALU_DEP_2)
	v_lshrrev_b64 v[4:5], 21, v[4:5]
	v_cmp_gt_i32_e32 vcc_lo, 32, v8
	v_min_i32_e32 v9, 31, v8
	v_cmp_eq_u32_e64 s13, 0, v8
	s_delay_alu instid0(VALU_DEP_4) | instskip(NEXT) | instid1(VALU_DEP_3)
	v_cndmask_b32_e32 v5, 0, v5, vcc_lo
	v_dual_cndmask_b32 v4, 3, v4 :: v_dual_lshlrev_b32 v9, 2, v9
	s_delay_alu instid0(VALU_DEP_1) | instskip(NEXT) | instid1(VALU_DEP_2)
	v_and_b32_e32 v9, 0xfc, v9
	v_cmp_eq_u64_e32 vcc_lo, 0, v[4:5]
	s_delay_alu instid0(VALU_DEP_2)
	v_and_or_b32 v4, v4, 3, v9
	s_and_b32 s13, s13, vcc_lo
	s_delay_alu instid0(VALU_DEP_1) | instid1(SALU_CYCLE_1)
	v_cndmask_b32_e64 v4, v4, 0, s13
	s_delay_alu instid0(VALU_DEP_1)
	v_or_b32_e32 v115, v4, v2
.LBB4_9197:                             ;   in Loop: Header=BB4_8239 Depth=3
	s_or_b32 exec_lo, exec_lo, s75
                                        ; implicit-def: $vgpr2
.LBB4_9198:                             ;   in Loop: Header=BB4_8239 Depth=3
	s_and_not1_saveexec_b32 s13, s74
; %bb.9199:                             ;   in Loop: Header=BB4_8239 Depth=3
	v_or_b32_e32 v115, 0x7b, v2
; %bb.9200:                             ;   in Loop: Header=BB4_8239 Depth=3
	s_or_b32 exec_lo, exec_lo, s13
                                        ; implicit-def: $vgpr8
                                        ; implicit-def: $vgpr4_vgpr5
                                        ; implicit-def: $vgpr2
.LBB4_9201:                             ;   in Loop: Header=BB4_8239 Depth=3
	s_and_not1_saveexec_b32 s13, s73
	s_cbranch_execz .LBB4_9207
; %bb.9202:                             ;   in Loop: Header=BB4_8239 Depth=3
	s_mov_b32 s73, exec_lo
                                        ; implicit-def: $vgpr115
	v_cmpx_ne_u64_e32 0, v[4:5]
	s_xor_b32 s73, exec_lo, s73
; %bb.9203:                             ;   in Loop: Header=BB4_8239 Depth=3
	v_or_b32_e32 v115, 0x7f, v2
                                        ; implicit-def: $vgpr8
; %bb.9204:                             ;   in Loop: Header=BB4_8239 Depth=3
	s_and_not1_saveexec_b32 s73, s73
; %bb.9205:                             ;   in Loop: Header=BB4_8239 Depth=3
	v_cmp_lt_i32_e32 vcc_lo, -1, v8
	v_cndmask_b32_e32 v115, 0xfc, v49, vcc_lo
; %bb.9206:                             ;   in Loop: Header=BB4_8239 Depth=3
	s_or_b32 exec_lo, exec_lo, s73
.LBB4_9207:                             ;   in Loop: Header=BB4_8239 Depth=3
	s_delay_alu instid0(SALU_CYCLE_1)
	s_or_b32 exec_lo, exec_lo, s13
	s_clause 0x1
	global_load_b128 v[12:15], v[58:59], off th:TH_LOAD_NT
	global_load_b128 v[8:11], v[58:59], off offset:512 th:TH_LOAD_NT
	v_lshl_or_b32 v2, v17, 8, v16
	v_dual_lshlrev_b32 v4, 16, v18 :: v_dual_lshlrev_b32 v5, 24, v19
	v_dual_mov_b32 v18, 0 :: v_dual_mov_b32 v17, 0
	s_mov_b32 s73, exec_lo
	s_delay_alu instid0(VALU_DEP_2)
	v_or3_b32 v4, v4, v5, v2
	v_mov_b32_e32 v5, v3
	s_wait_xcnt 0x0
	v_cmpx_ne_u32_e32 0, v16
	s_cbranch_execz .LBB4_9217
; %bb.9208:                             ;   in Loop: Header=BB4_8239 Depth=3
	v_bfrev_b32_e32 v18, 1
	s_mov_b32 s74, exec_lo
	v_cmpx_ne_u32_e32 0x80, v16
	s_cbranch_execz .LBB4_9216
; %bb.9209:                             ;   in Loop: Header=BB4_8239 Depth=3
	v_and_b32_e32 v18, 0x7c, v16
	v_and_b32_e32 v19, 3, v16
	s_delay_alu instid0(VALU_DEP_2) | instskip(SKIP_1) | instid1(SALU_CYCLE_1)
	v_cmp_ne_u32_e32 vcc_lo, 0x7c, v18
                                        ; implicit-def: $vgpr18
	s_and_saveexec_b32 s13, vcc_lo
	s_xor_b32 s13, exec_lo, s13
	s_cbranch_execz .LBB4_9213
; %bb.9210:                             ;   in Loop: Header=BB4_8239 Depth=3
	v_bfe_u32 v18, v16, 2, 5
	s_mov_b32 s75, exec_lo
	s_delay_alu instid0(VALU_DEP_1)
	v_cmpx_eq_u32_e32 0, v18
; %bb.9211:                             ;   in Loop: Header=BB4_8239 Depth=3
	v_clz_i32_u32_e32 v18, v19
	s_delay_alu instid0(VALU_DEP_1) | instskip(NEXT) | instid1(VALU_DEP_1)
	v_min_u32_e32 v18, 32, v18
	v_subrev_nc_u32_e32 v19, 29, v18
	v_sub_nc_u32_e32 v18, 30, v18
	s_delay_alu instid0(VALU_DEP_2) | instskip(NEXT) | instid1(VALU_DEP_1)
	v_lshlrev_b64_e32 v[86:87], v19, v[4:5]
	v_and_b32_e32 v19, 3, v86
; %bb.9212:                             ;   in Loop: Header=BB4_8239 Depth=3
	s_or_b32 exec_lo, exec_lo, s75
	v_lshlrev_b32_e32 v5, 24, v16
                                        ; implicit-def: $vgpr16
	s_delay_alu instid0(VALU_DEP_1) | instskip(NEXT) | instid1(VALU_DEP_1)
	v_and_b32_e32 v5, 0x80000000, v5
	v_lshl_add_u32 v5, v18, 23, v5
	s_delay_alu instid0(VALU_DEP_1) | instskip(NEXT) | instid1(VALU_DEP_1)
	v_lshl_or_b32 v5, v19, 21, v5
                                        ; implicit-def: $vgpr19
	v_add_nc_u32_e32 v18, 0x38000000, v5
.LBB4_9213:                             ;   in Loop: Header=BB4_8239 Depth=3
	s_and_not1_saveexec_b32 s75, s13
; %bb.9214:                             ;   in Loop: Header=BB4_8239 Depth=3
	v_and_b32_e32 v5, 0x80, v16
	v_cmp_eq_u32_e32 vcc_lo, 0, v19
	s_delay_alu instid0(VALU_DEP_2) | instskip(NEXT) | instid1(VALU_DEP_1)
	v_cmp_eq_u32_e64 s13, 0, v5
	v_cndmask_b32_e64 v5, 0xff800000, v48, s13
	s_delay_alu instid0(VALU_DEP_1)
	v_cndmask_b32_e32 v18, 0x7f800001, v5, vcc_lo
; %bb.9215:                             ;   in Loop: Header=BB4_8239 Depth=3
	s_or_b32 exec_lo, exec_lo, s75
.LBB4_9216:                             ;   in Loop: Header=BB4_8239 Depth=3
	s_delay_alu instid0(SALU_CYCLE_1)
	s_or_b32 exec_lo, exec_lo, s74
.LBB4_9217:                             ;   in Loop: Header=BB4_8239 Depth=3
	s_delay_alu instid0(SALU_CYCLE_1) | instskip(SKIP_3) | instid1(VALU_DEP_1)
	s_or_b32 exec_lo, exec_lo, s73
	s_wait_loadcnt 0x1
	v_and_b32_e32 v5, 0xff, v12
	s_mov_b32 s73, exec_lo
	v_cmpx_ne_u16_e32 0, v5
	s_cbranch_execz .LBB4_9227
; %bb.9218:                             ;   in Loop: Header=BB4_8239 Depth=3
	v_bfe_i32 v16, v12, 0, 8
	v_bfrev_b32_e32 v17, 1
	s_mov_b32 s74, exec_lo
	s_delay_alu instid0(VALU_DEP_2)
	v_cmpx_ne_u16_e32 0xff80, v16
	s_cbranch_execz .LBB4_9226
; %bb.9219:                             ;   in Loop: Header=BB4_8239 Depth=3
	v_and_b32_e32 v17, 0x7c, v12
	v_and_b32_e32 v5, 3, v12
	s_delay_alu instid0(VALU_DEP_2) | instskip(SKIP_1) | instid1(SALU_CYCLE_1)
	v_cmp_ne_u32_e32 vcc_lo, 0x7c, v17
                                        ; implicit-def: $vgpr17
	s_and_saveexec_b32 s13, vcc_lo
	s_xor_b32 s13, exec_lo, s13
	s_cbranch_execz .LBB4_9223
; %bb.9220:                             ;   in Loop: Header=BB4_8239 Depth=3
	v_bfe_u32 v16, v12, 2, 5
	s_mov_b32 s75, exec_lo
	s_delay_alu instid0(VALU_DEP_1)
	v_cmpx_eq_u32_e32 0, v16
; %bb.9221:                             ;   in Loop: Header=BB4_8239 Depth=3
	v_clz_i32_u32_e32 v5, v5
	s_delay_alu instid0(VALU_DEP_1) | instskip(NEXT) | instid1(VALU_DEP_1)
	v_min_u32_e32 v5, 32, v5
	v_subrev_nc_u32_e32 v16, 29, v5
	s_delay_alu instid0(VALU_DEP_1) | instskip(NEXT) | instid1(VALU_DEP_1)
	v_lshlrev_b64_e32 v[86:87], v16, v[12:13]
	v_dual_sub_nc_u32 v16, 30, v5 :: v_dual_bitop2_b32 v5, 3, v86 bitop3:0x40
; %bb.9222:                             ;   in Loop: Header=BB4_8239 Depth=3
	s_or_b32 exec_lo, exec_lo, s75
	v_lshlrev_b32_e32 v17, 24, v12
	s_delay_alu instid0(VALU_DEP_1) | instskip(NEXT) | instid1(VALU_DEP_1)
	v_and_b32_e32 v17, 0x80000000, v17
	v_lshl_add_u32 v16, v16, 23, v17
	s_delay_alu instid0(VALU_DEP_1) | instskip(NEXT) | instid1(VALU_DEP_1)
	v_lshl_or_b32 v5, v5, 21, v16
                                        ; implicit-def: $vgpr16
	v_add_nc_u32_e32 v17, 0x38000000, v5
                                        ; implicit-def: $vgpr5
.LBB4_9223:                             ;   in Loop: Header=BB4_8239 Depth=3
	s_and_not1_saveexec_b32 s75, s13
; %bb.9224:                             ;   in Loop: Header=BB4_8239 Depth=3
	v_cmp_lt_i16_e64 s13, -1, v16
	v_cmp_eq_u32_e32 vcc_lo, 0, v5
	s_delay_alu instid0(VALU_DEP_2) | instskip(NEXT) | instid1(VALU_DEP_1)
	v_cndmask_b32_e64 v5, 0xff800000, v48, s13
	v_cndmask_b32_e32 v17, 0x7f800001, v5, vcc_lo
; %bb.9225:                             ;   in Loop: Header=BB4_8239 Depth=3
	s_or_b32 exec_lo, exec_lo, s75
.LBB4_9226:                             ;   in Loop: Header=BB4_8239 Depth=3
	s_delay_alu instid0(SALU_CYCLE_1)
	s_or_b32 exec_lo, exec_lo, s74
.LBB4_9227:                             ;   in Loop: Header=BB4_8239 Depth=3
	s_delay_alu instid0(SALU_CYCLE_1) | instskip(NEXT) | instid1(VALU_DEP_1)
	s_or_b32 exec_lo, exec_lo, s73
	v_dual_add_f32 v18, v18, v17 :: v_dual_mov_b32 v87, v3
	v_mov_b32_e32 v17, v3
                                        ; implicit-def: $vgpr30
	s_mov_b32 s13, exec_lo
	s_delay_alu instid0(VALU_DEP_2) | instskip(SKIP_2) | instid1(VALU_DEP_3)
	v_and_b32_e32 v86, 0x7f800000, v18
	v_and_b32_e32 v16, 0x7fffff, v18
	v_lshrrev_b32_e32 v5, 24, v18
	v_cmpx_ne_u64_e32 0x7f800000, v[86:87]
	s_xor_b32 s73, exec_lo, s13
	s_cbranch_execz .LBB4_9241
; %bb.9228:                             ;   in Loop: Header=BB4_8239 Depth=3
	v_and_b32_e32 v86, 0x7fffffff, v18
	v_mov_b32_e32 v87, v3
	v_and_b32_e32 v5, 0x80, v5
                                        ; implicit-def: $vgpr30
	s_mov_b32 s13, exec_lo
	s_delay_alu instid0(VALU_DEP_2)
	v_cmpx_gt_u64_e32 0x47600001, v[86:87]
	s_xor_b32 s74, exec_lo, s13
	s_cbranch_execz .LBB4_9238
; %bb.9229:                             ;   in Loop: Header=BB4_8239 Depth=3
	v_mov_b32_e32 v30, 0
	s_mov_b32 s75, exec_lo
	v_cmpx_ne_u32_e32 0, v18
	s_cbranch_execz .LBB4_9237
; %bb.9230:                             ;   in Loop: Header=BB4_8239 Depth=3
	v_bfe_u32 v30, v18, 23, 8
	v_or_b32_e32 v19, 0x800000, v16
	s_delay_alu instid0(VALU_DEP_2) | instskip(SKIP_2) | instid1(VALU_DEP_2)
	v_cmp_gt_u32_e64 s13, 0x72, v30
	v_sub_nc_u32_e32 v18, 0x71, v30
	v_cmp_eq_u32_e32 vcc_lo, 0, v30
	v_dual_cndmask_b32 v18, 0, v18, s13 :: v_dual_cndmask_b32 v16, v19, v16, vcc_lo
	s_delay_alu instid0(VALU_DEP_1) | instskip(NEXT) | instid1(VALU_DEP_1)
	v_cndmask_b32_e64 v50, v18, 0x70, vcc_lo
	v_dual_add_nc_u32 v18, 21, v50 :: v_dual_add_nc_u32 v65, 20, v50
	s_delay_alu instid0(VALU_DEP_1) | instskip(NEXT) | instid1(VALU_DEP_2)
	v_lshlrev_b64_e64 v[18:19], v18, -1
	v_lshlrev_b64_e64 v[86:87], v65, 1
	s_delay_alu instid0(VALU_DEP_2) | instskip(SKIP_1) | instid1(VALU_DEP_4)
	v_bfi_b32 v18, v18, 0, v16
	v_lshrrev_b64 v[16:17], v50, v[16:17]
	v_bfi_b32 v19, v19, 0, 0
	s_delay_alu instid0(VALU_DEP_1) | instskip(NEXT) | instid1(VALU_DEP_3)
	v_cmp_eq_u64_e64 s13, v[18:19], v[86:87]
	v_mov_b64_e32 v[18:19], v[16:17]
	s_and_saveexec_b32 s76, s13
; %bb.9231:                             ;   in Loop: Header=BB4_8239 Depth=3
	v_bfe_u32 v18, v16, 21, 1
	v_mov_b32_e32 v19, v3
	s_delay_alu instid0(VALU_DEP_1) | instskip(NEXT) | instid1(VALU_DEP_1)
	v_add_nc_u64_e32 v[18:19], v[16:17], v[18:19]
	v_add_nc_u64_e32 v[18:19], -1, v[18:19]
; %bb.9232:                             ;   in Loop: Header=BB4_8239 Depth=3
	s_or_b32 exec_lo, exec_lo, s76
	v_add_nc_u32_e32 v17, 0xffffff81, v30
	v_lshrrev_b32_e32 v19, 23, v16
	s_mov_b32 s13, exec_lo
	s_delay_alu instid0(VALU_DEP_2) | instskip(NEXT) | instid1(VALU_DEP_1)
	v_cndmask_b32_e64 v17, v17, 0xffffff82, vcc_lo
	v_add3_u32 v30, v50, v17, v19
	v_and_b32_e32 v17, 0x1fffff, v18
                                        ; implicit-def: $vgpr18
	s_delay_alu instid0(VALU_DEP_1) | instskip(SKIP_1) | instid1(VALU_DEP_2)
	v_dual_add_nc_u32 v19, 14, v30 :: v_dual_add_nc_u32 v16, v17, v16
	v_mov_b32_e32 v17, v3
	v_cmpx_ne_u32_e32 0, v19
	s_xor_b32 s13, exec_lo, s13
; %bb.9233:                             ;   in Loop: Header=BB4_8239 Depth=3
	s_delay_alu instid0(VALU_DEP_2) | instskip(SKIP_1) | instid1(VALU_DEP_1)
	v_cmp_lt_u64_e32 vcc_lo, 0xffffff, v[16:17]
	v_add_nc_u32_e32 v18, 15, v30
	v_cndmask_b32_e32 v18, v19, v18, vcc_lo
	v_cndmask_b32_e64 v19, 0, 1, vcc_lo
	s_delay_alu instid0(VALU_DEP_1)
	v_lshrrev_b64 v[16:17], v19, v[16:17]
; %bb.9234:                             ;   in Loop: Header=BB4_8239 Depth=3
	s_and_not1_saveexec_b32 s13, s13
; %bb.9235:                             ;   in Loop: Header=BB4_8239 Depth=3
	s_delay_alu instid0(VALU_DEP_1)
	v_bfe_u32 v18, v16, 23, 1
; %bb.9236:                             ;   in Loop: Header=BB4_8239 Depth=3
	s_or_b32 exec_lo, exec_lo, s13
	s_delay_alu instid0(VALU_DEP_2) | instskip(NEXT) | instid1(VALU_DEP_2)
	v_lshrrev_b64 v[16:17], 21, v[16:17]
	v_cmp_gt_i32_e32 vcc_lo, 32, v18
	v_min_i32_e32 v19, 31, v18
	v_cmp_eq_u32_e64 s13, 0, v18
	s_delay_alu instid0(VALU_DEP_2) | instskip(SKIP_1) | instid1(VALU_DEP_2)
	v_dual_cndmask_b32 v17, 0, v17, vcc_lo :: v_dual_lshlrev_b32 v19, 2, v19
	v_cndmask_b32_e32 v16, 3, v16, vcc_lo
	v_and_b32_e32 v19, 0xfc, v19
	s_delay_alu instid0(VALU_DEP_2) | instskip(NEXT) | instid1(VALU_DEP_2)
	v_cmp_eq_u64_e32 vcc_lo, 0, v[16:17]
	v_and_or_b32 v16, v16, 3, v19
	s_and_b32 s13, s13, vcc_lo
	s_delay_alu instid0(VALU_DEP_1) | instid1(SALU_CYCLE_1)
	v_cndmask_b32_e64 v16, v16, 0, s13
	s_delay_alu instid0(VALU_DEP_1)
	v_or_b32_e32 v30, v16, v5
.LBB4_9237:                             ;   in Loop: Header=BB4_8239 Depth=3
	s_or_b32 exec_lo, exec_lo, s75
                                        ; implicit-def: $vgpr5
.LBB4_9238:                             ;   in Loop: Header=BB4_8239 Depth=3
	s_and_not1_saveexec_b32 s13, s74
; %bb.9239:                             ;   in Loop: Header=BB4_8239 Depth=3
	v_or_b32_e32 v30, 0x7b, v5
; %bb.9240:                             ;   in Loop: Header=BB4_8239 Depth=3
	s_or_b32 exec_lo, exec_lo, s13
                                        ; implicit-def: $vgpr18
                                        ; implicit-def: $vgpr16_vgpr17
                                        ; implicit-def: $vgpr5
.LBB4_9241:                             ;   in Loop: Header=BB4_8239 Depth=3
	s_and_not1_saveexec_b32 s13, s73
	s_cbranch_execz .LBB4_9247
; %bb.9242:                             ;   in Loop: Header=BB4_8239 Depth=3
	s_mov_b32 s73, exec_lo
                                        ; implicit-def: $vgpr30
	v_cmpx_ne_u64_e32 0, v[16:17]
	s_xor_b32 s73, exec_lo, s73
; %bb.9243:                             ;   in Loop: Header=BB4_8239 Depth=3
	v_or_b32_e32 v30, 0x7f, v5
                                        ; implicit-def: $vgpr18
; %bb.9244:                             ;   in Loop: Header=BB4_8239 Depth=3
	s_and_not1_saveexec_b32 s73, s73
; %bb.9245:                             ;   in Loop: Header=BB4_8239 Depth=3
	v_cmp_lt_i32_e32 vcc_lo, -1, v18
	v_cndmask_b32_e32 v30, 0xfc, v49, vcc_lo
; %bb.9246:                             ;   in Loop: Header=BB4_8239 Depth=3
	s_or_b32 exec_lo, exec_lo, s73
.LBB4_9247:                             ;   in Loop: Header=BB4_8239 Depth=3
	s_delay_alu instid0(SALU_CYCLE_1) | instskip(SKIP_3) | instid1(VALU_DEP_2)
	s_or_b32 exec_lo, exec_lo, s13
	v_lshrrev_b16 v16, 8, v2
	v_dual_mov_b32 v5, 0 :: v_dual_mov_b32 v18, 0
	s_mov_b32 s73, exec_lo
	v_cmpx_ne_u16_e32 0, v16
	s_cbranch_execz .LBB4_9257
; %bb.9248:                             ;   in Loop: Header=BB4_8239 Depth=3
	v_bfrev_b32_e32 v18, 1
	s_mov_b32 s74, exec_lo
	v_cmpx_ne_u16_e32 0x80, v16
	s_cbranch_execz .LBB4_9256
; %bb.9249:                             ;   in Loop: Header=BB4_8239 Depth=3
	v_and_b32_e32 v19, 0xffff, v16
	s_delay_alu instid0(VALU_DEP_1) | instskip(SKIP_1) | instid1(VALU_DEP_2)
	v_and_b32_e32 v18, 0x7c, v19
	v_and_b32_e32 v17, 3, v19
	v_cmp_ne_u32_e32 vcc_lo, 0x7c, v18
                                        ; implicit-def: $vgpr18
	s_and_saveexec_b32 s13, vcc_lo
	s_delay_alu instid0(SALU_CYCLE_1)
	s_xor_b32 s13, exec_lo, s13
	s_cbranch_execz .LBB4_9253
; %bb.9250:                             ;   in Loop: Header=BB4_8239 Depth=3
	v_bfe_u32 v18, v19, 2, 5
	s_mov_b32 s75, exec_lo
	s_delay_alu instid0(VALU_DEP_1)
	v_cmpx_eq_u32_e32 0, v18
	s_cbranch_execz .LBB4_9252
; %bb.9251:                             ;   in Loop: Header=BB4_8239 Depth=3
	v_clz_i32_u32_e32 v17, v17
	s_delay_alu instid0(VALU_DEP_1) | instskip(SKIP_1) | instid1(VALU_DEP_2)
	v_min_u32_e32 v18, 32, v17
	v_mov_b32_e32 v17, v3
	v_subrev_nc_u32_e32 v19, 29, v18
	v_sub_nc_u32_e32 v18, 30, v18
	s_delay_alu instid0(VALU_DEP_2) | instskip(NEXT) | instid1(VALU_DEP_1)
	v_lshlrev_b64_e32 v[16:17], v19, v[16:17]
	v_and_b32_e32 v17, 3, v16
.LBB4_9252:                             ;   in Loop: Header=BB4_8239 Depth=3
	s_or_b32 exec_lo, exec_lo, s75
	v_lshlrev_b32_e32 v2, 16, v2
	s_delay_alu instid0(VALU_DEP_1) | instskip(NEXT) | instid1(VALU_DEP_1)
	v_and_b32_e32 v2, 0x80000000, v2
	v_lshl_add_u32 v2, v18, 23, v2
	s_delay_alu instid0(VALU_DEP_1) | instskip(NEXT) | instid1(VALU_DEP_1)
	v_lshl_or_b32 v2, v17, 21, v2
                                        ; implicit-def: $vgpr17
	v_add_nc_u32_e32 v18, 0x38000000, v2
                                        ; implicit-def: $vgpr2
.LBB4_9253:                             ;   in Loop: Header=BB4_8239 Depth=3
	s_and_not1_saveexec_b32 s75, s13
; %bb.9254:                             ;   in Loop: Header=BB4_8239 Depth=3
	v_cmp_lt_i16_e64 s13, -1, v2
	v_cmp_eq_u32_e32 vcc_lo, 0, v17
	s_delay_alu instid0(VALU_DEP_2) | instskip(NEXT) | instid1(VALU_DEP_1)
	v_cndmask_b32_e64 v2, 0xff800000, v48, s13
	v_cndmask_b32_e32 v18, 0x7f800001, v2, vcc_lo
; %bb.9255:                             ;   in Loop: Header=BB4_8239 Depth=3
	s_or_b32 exec_lo, exec_lo, s75
.LBB4_9256:                             ;   in Loop: Header=BB4_8239 Depth=3
	s_delay_alu instid0(SALU_CYCLE_1)
	s_or_b32 exec_lo, exec_lo, s74
.LBB4_9257:                             ;   in Loop: Header=BB4_8239 Depth=3
	s_delay_alu instid0(SALU_CYCLE_1) | instskip(SKIP_2) | instid1(VALU_DEP_1)
	s_or_b32 exec_lo, exec_lo, s73
	v_lshrrev_b16 v16, 8, v12
	s_mov_b32 s73, exec_lo
	v_cmpx_ne_u16_e32 0, v16
	s_cbranch_execz .LBB4_9267
; %bb.9258:                             ;   in Loop: Header=BB4_8239 Depth=3
	v_bfrev_b32_e32 v5, 1
	s_mov_b32 s74, exec_lo
	v_cmpx_ne_u16_e32 0x80, v16
	s_cbranch_execz .LBB4_9266
; %bb.9259:                             ;   in Loop: Header=BB4_8239 Depth=3
	v_and_b32_e32 v17, 0xffff, v16
	s_delay_alu instid0(VALU_DEP_1) | instskip(SKIP_1) | instid1(VALU_DEP_2)
	v_and_b32_e32 v5, 0x7c, v17
	v_and_b32_e32 v2, 3, v17
	v_cmp_ne_u32_e32 vcc_lo, 0x7c, v5
                                        ; implicit-def: $vgpr5
	s_and_saveexec_b32 s13, vcc_lo
	s_delay_alu instid0(SALU_CYCLE_1)
	s_xor_b32 s13, exec_lo, s13
	s_cbranch_execz .LBB4_9263
; %bb.9260:                             ;   in Loop: Header=BB4_8239 Depth=3
	v_bfe_u32 v5, v17, 2, 5
	s_mov_b32 s75, exec_lo
	s_delay_alu instid0(VALU_DEP_1)
	v_cmpx_eq_u32_e32 0, v5
; %bb.9261:                             ;   in Loop: Header=BB4_8239 Depth=3
	v_clz_i32_u32_e32 v2, v2
	s_delay_alu instid0(VALU_DEP_1) | instskip(SKIP_1) | instid1(VALU_DEP_2)
	v_min_u32_e32 v2, 32, v2
	v_mov_b32_e32 v17, v3
	v_subrev_nc_u32_e32 v5, 29, v2
	s_delay_alu instid0(VALU_DEP_1) | instskip(NEXT) | instid1(VALU_DEP_1)
	v_lshlrev_b64_e32 v[16:17], v5, v[16:17]
	v_dual_sub_nc_u32 v5, 30, v2 :: v_dual_bitop2_b32 v2, 3, v16 bitop3:0x40
; %bb.9262:                             ;   in Loop: Header=BB4_8239 Depth=3
	s_or_b32 exec_lo, exec_lo, s75
	v_lshlrev_b32_e32 v16, 16, v12
	s_delay_alu instid0(VALU_DEP_1) | instskip(NEXT) | instid1(VALU_DEP_1)
	v_and_b32_e32 v16, 0x80000000, v16
	v_lshl_add_u32 v5, v5, 23, v16
	s_delay_alu instid0(VALU_DEP_1) | instskip(NEXT) | instid1(VALU_DEP_1)
	v_lshl_or_b32 v2, v2, 21, v5
	v_add_nc_u32_e32 v5, 0x38000000, v2
                                        ; implicit-def: $vgpr2
.LBB4_9263:                             ;   in Loop: Header=BB4_8239 Depth=3
	s_and_not1_saveexec_b32 s75, s13
; %bb.9264:                             ;   in Loop: Header=BB4_8239 Depth=3
	v_cmp_lt_i16_e64 s13, -1, v12
	v_cmp_eq_u32_e32 vcc_lo, 0, v2
	s_delay_alu instid0(VALU_DEP_2) | instskip(NEXT) | instid1(VALU_DEP_1)
	v_cndmask_b32_e64 v2, 0xff800000, v48, s13
	v_cndmask_b32_e32 v5, 0x7f800001, v2, vcc_lo
; %bb.9265:                             ;   in Loop: Header=BB4_8239 Depth=3
	s_or_b32 exec_lo, exec_lo, s75
.LBB4_9266:                             ;   in Loop: Header=BB4_8239 Depth=3
	s_delay_alu instid0(SALU_CYCLE_1)
	s_or_b32 exec_lo, exec_lo, s74
.LBB4_9267:                             ;   in Loop: Header=BB4_8239 Depth=3
	s_delay_alu instid0(SALU_CYCLE_1) | instskip(NEXT) | instid1(VALU_DEP_1)
	s_or_b32 exec_lo, exec_lo, s73
	v_dual_add_f32 v5, v18, v5 :: v_dual_mov_b32 v19, v3
	v_mov_b32_e32 v17, v3
                                        ; implicit-def: $vgpr50
	s_mov_b32 s13, exec_lo
	s_delay_alu instid0(VALU_DEP_2) | instskip(SKIP_2) | instid1(VALU_DEP_3)
	v_and_b32_e32 v18, 0x7f800000, v5
	v_and_b32_e32 v16, 0x7fffff, v5
	v_lshrrev_b32_e32 v2, 24, v5
	v_cmpx_ne_u64_e32 0x7f800000, v[18:19]
	s_xor_b32 s73, exec_lo, s13
	s_cbranch_execz .LBB4_9281
; %bb.9268:                             ;   in Loop: Header=BB4_8239 Depth=3
	v_and_b32_e32 v18, 0x7fffffff, v5
	v_mov_b32_e32 v19, v3
	v_and_b32_e32 v2, 0x80, v2
                                        ; implicit-def: $vgpr50
	s_mov_b32 s13, exec_lo
	s_delay_alu instid0(VALU_DEP_2)
	v_cmpx_gt_u64_e32 0x47600001, v[18:19]
	s_xor_b32 s74, exec_lo, s13
	s_cbranch_execz .LBB4_9278
; %bb.9269:                             ;   in Loop: Header=BB4_8239 Depth=3
	v_mov_b32_e32 v50, 0
	s_mov_b32 s75, exec_lo
	v_cmpx_ne_u32_e32 0, v5
	s_cbranch_execz .LBB4_9277
; %bb.9270:                             ;   in Loop: Header=BB4_8239 Depth=3
	v_bfe_u32 v5, v5, 23, 8
	v_or_b32_e32 v19, 0x800000, v16
	s_delay_alu instid0(VALU_DEP_2) | instskip(SKIP_2) | instid1(VALU_DEP_2)
	v_cmp_gt_u32_e64 s13, 0x72, v5
	v_sub_nc_u32_e32 v18, 0x71, v5
	v_cmp_eq_u32_e32 vcc_lo, 0, v5
	v_dual_cndmask_b32 v18, 0, v18, s13 :: v_dual_cndmask_b32 v16, v19, v16, vcc_lo
	s_delay_alu instid0(VALU_DEP_1) | instskip(NEXT) | instid1(VALU_DEP_1)
	v_cndmask_b32_e64 v50, v18, 0x70, vcc_lo
	v_dual_add_nc_u32 v18, 21, v50 :: v_dual_add_nc_u32 v65, 20, v50
	s_delay_alu instid0(VALU_DEP_1) | instskip(NEXT) | instid1(VALU_DEP_2)
	v_lshlrev_b64_e64 v[18:19], v18, -1
	v_lshlrev_b64_e64 v[86:87], v65, 1
	s_delay_alu instid0(VALU_DEP_2) | instskip(SKIP_1) | instid1(VALU_DEP_4)
	v_bfi_b32 v18, v18, 0, v16
	v_lshrrev_b64 v[16:17], v50, v[16:17]
	v_bfi_b32 v19, v19, 0, 0
	s_delay_alu instid0(VALU_DEP_1) | instskip(NEXT) | instid1(VALU_DEP_3)
	v_cmp_eq_u64_e64 s13, v[18:19], v[86:87]
	v_mov_b64_e32 v[18:19], v[16:17]
	s_and_saveexec_b32 s76, s13
; %bb.9271:                             ;   in Loop: Header=BB4_8239 Depth=3
	v_bfe_u32 v18, v16, 21, 1
	v_mov_b32_e32 v19, v3
	s_delay_alu instid0(VALU_DEP_1) | instskip(NEXT) | instid1(VALU_DEP_1)
	v_add_nc_u64_e32 v[18:19], v[16:17], v[18:19]
	v_add_nc_u64_e32 v[18:19], -1, v[18:19]
; %bb.9272:                             ;   in Loop: Header=BB4_8239 Depth=3
	s_or_b32 exec_lo, exec_lo, s76
	v_add_nc_u32_e32 v5, 0xffffff81, v5
	v_lshrrev_b32_e32 v17, 23, v16
	s_mov_b32 s13, exec_lo
	s_delay_alu instid0(VALU_DEP_2) | instskip(NEXT) | instid1(VALU_DEP_1)
	v_cndmask_b32_e64 v5, v5, 0xffffff82, vcc_lo
	v_add3_u32 v19, v50, v5, v17
	v_and_b32_e32 v5, 0x1fffff, v18
	s_delay_alu instid0(VALU_DEP_2) | instskip(NEXT) | instid1(VALU_DEP_2)
	v_dual_mov_b32 v17, v3 :: v_dual_add_nc_u32 v18, 14, v19
	v_add_nc_u32_e32 v16, v5, v16
                                        ; implicit-def: $vgpr5
	s_delay_alu instid0(VALU_DEP_2)
	v_cmpx_ne_u32_e32 0, v18
	s_xor_b32 s13, exec_lo, s13
; %bb.9273:                             ;   in Loop: Header=BB4_8239 Depth=3
	s_delay_alu instid0(VALU_DEP_2) | instskip(SKIP_1) | instid1(VALU_DEP_1)
	v_cmp_lt_u64_e32 vcc_lo, 0xffffff, v[16:17]
	v_add_nc_u32_e32 v5, 15, v19
	v_cndmask_b32_e32 v5, v18, v5, vcc_lo
	v_cndmask_b32_e64 v18, 0, 1, vcc_lo
	s_delay_alu instid0(VALU_DEP_1)
	v_lshrrev_b64 v[16:17], v18, v[16:17]
; %bb.9274:                             ;   in Loop: Header=BB4_8239 Depth=3
	s_and_not1_saveexec_b32 s13, s13
; %bb.9275:                             ;   in Loop: Header=BB4_8239 Depth=3
	s_delay_alu instid0(VALU_DEP_1)
	v_bfe_u32 v5, v16, 23, 1
; %bb.9276:                             ;   in Loop: Header=BB4_8239 Depth=3
	s_or_b32 exec_lo, exec_lo, s13
	s_delay_alu instid0(VALU_DEP_2) | instskip(NEXT) | instid1(VALU_DEP_2)
	v_lshrrev_b64 v[16:17], 21, v[16:17]
	v_cmp_gt_i32_e32 vcc_lo, 32, v5
	v_min_i32_e32 v18, 31, v5
	v_cmp_eq_u32_e64 s13, 0, v5
	s_delay_alu instid0(VALU_DEP_2) | instskip(SKIP_1) | instid1(VALU_DEP_2)
	v_dual_cndmask_b32 v16, 3, v16, vcc_lo :: v_dual_lshlrev_b32 v18, 2, v18
	v_cndmask_b32_e32 v17, 0, v17, vcc_lo
	v_and_b32_e32 v18, 0xfc, v18
	s_delay_alu instid0(VALU_DEP_2) | instskip(NEXT) | instid1(VALU_DEP_2)
	v_cmp_eq_u64_e32 vcc_lo, 0, v[16:17]
	v_and_or_b32 v5, v16, 3, v18
	s_and_b32 s13, s13, vcc_lo
	s_delay_alu instid0(VALU_DEP_1) | instid1(SALU_CYCLE_1)
	v_cndmask_b32_e64 v5, v5, 0, s13
	s_delay_alu instid0(VALU_DEP_1)
	v_or_b32_e32 v50, v5, v2
.LBB4_9277:                             ;   in Loop: Header=BB4_8239 Depth=3
	s_or_b32 exec_lo, exec_lo, s75
                                        ; implicit-def: $vgpr2
.LBB4_9278:                             ;   in Loop: Header=BB4_8239 Depth=3
	s_and_not1_saveexec_b32 s13, s74
; %bb.9279:                             ;   in Loop: Header=BB4_8239 Depth=3
	v_or_b32_e32 v50, 0x7b, v2
; %bb.9280:                             ;   in Loop: Header=BB4_8239 Depth=3
	s_or_b32 exec_lo, exec_lo, s13
                                        ; implicit-def: $vgpr5
                                        ; implicit-def: $vgpr16_vgpr17
                                        ; implicit-def: $vgpr2
.LBB4_9281:                             ;   in Loop: Header=BB4_8239 Depth=3
	s_and_not1_saveexec_b32 s13, s73
	s_cbranch_execz .LBB4_9287
; %bb.9282:                             ;   in Loop: Header=BB4_8239 Depth=3
	s_mov_b32 s73, exec_lo
                                        ; implicit-def: $vgpr50
	v_cmpx_ne_u64_e32 0, v[16:17]
	s_xor_b32 s73, exec_lo, s73
; %bb.9283:                             ;   in Loop: Header=BB4_8239 Depth=3
	v_or_b32_e32 v50, 0x7f, v2
                                        ; implicit-def: $vgpr5
; %bb.9284:                             ;   in Loop: Header=BB4_8239 Depth=3
	s_and_not1_saveexec_b32 s73, s73
; %bb.9285:                             ;   in Loop: Header=BB4_8239 Depth=3
	v_cmp_lt_i32_e32 vcc_lo, -1, v5
	v_cndmask_b32_e32 v50, 0xfc, v49, vcc_lo
; %bb.9286:                             ;   in Loop: Header=BB4_8239 Depth=3
	s_or_b32 exec_lo, exec_lo, s73
.LBB4_9287:                             ;   in Loop: Header=BB4_8239 Depth=3
	s_delay_alu instid0(SALU_CYCLE_1) | instskip(SKIP_3) | instid1(VALU_DEP_2)
	s_or_b32 exec_lo, exec_lo, s13
	v_dual_mov_b32 v5, 0 :: v_dual_lshrrev_b32 v2, 16, v4
	v_mov_b32_e32 v16, 0
	s_mov_b32 s73, exec_lo
	v_and_b32_e32 v17, 0xff, v2
	s_delay_alu instid0(VALU_DEP_1)
	v_cmpx_ne_u16_e32 0, v17
	s_cbranch_execz .LBB4_9297
; %bb.9288:                             ;   in Loop: Header=BB4_8239 Depth=3
	v_bfrev_b32_e32 v16, 1
	s_mov_b32 s74, exec_lo
	v_cmpx_ne_u16_e32 0x80, v17
	s_cbranch_execz .LBB4_9296
; %bb.9289:                             ;   in Loop: Header=BB4_8239 Depth=3
	v_and_b32_e32 v16, 0x7c0000, v4
	v_bfe_u32 v17, v4, 16, 2
	s_delay_alu instid0(VALU_DEP_2) | instskip(SKIP_1) | instid1(SALU_CYCLE_1)
	v_cmp_ne_u32_e32 vcc_lo, 0x7c0000, v16
                                        ; implicit-def: $vgpr16
	s_and_saveexec_b32 s13, vcc_lo
	s_xor_b32 s13, exec_lo, s13
	s_cbranch_execz .LBB4_9293
; %bb.9290:                             ;   in Loop: Header=BB4_8239 Depth=3
	v_bfe_u32 v16, v4, 18, 5
	s_mov_b32 s75, exec_lo
	s_delay_alu instid0(VALU_DEP_1)
	v_cmpx_eq_u32_e32 0, v16
; %bb.9291:                             ;   in Loop: Header=BB4_8239 Depth=3
	v_clz_i32_u32_e32 v16, v17
	s_delay_alu instid0(VALU_DEP_1) | instskip(NEXT) | instid1(VALU_DEP_1)
	v_min_u32_e32 v16, 32, v16
	v_subrev_nc_u32_e32 v17, 29, v16
	s_delay_alu instid0(VALU_DEP_1) | instskip(NEXT) | instid1(VALU_DEP_1)
	v_lshlrev_b64_e32 v[18:19], v17, v[2:3]
	v_dual_sub_nc_u32 v16, 30, v16 :: v_dual_bitop2_b32 v17, 3, v18 bitop3:0x40
; %bb.9292:                             ;   in Loop: Header=BB4_8239 Depth=3
	s_or_b32 exec_lo, exec_lo, s75
	v_lshlrev_b32_e32 v2, 24, v2
	s_delay_alu instid0(VALU_DEP_1) | instskip(NEXT) | instid1(VALU_DEP_1)
	v_and_b32_e32 v2, 0x80000000, v2
	v_lshl_add_u32 v2, v16, 23, v2
	s_delay_alu instid0(VALU_DEP_1) | instskip(NEXT) | instid1(VALU_DEP_1)
	v_lshl_or_b32 v2, v17, 21, v2
                                        ; implicit-def: $vgpr17
	v_add_nc_u32_e32 v16, 0x38000000, v2
                                        ; implicit-def: $vgpr2
.LBB4_9293:                             ;   in Loop: Header=BB4_8239 Depth=3
	s_and_not1_saveexec_b32 s75, s13
; %bb.9294:                             ;   in Loop: Header=BB4_8239 Depth=3
	v_bfe_i32 v2, v2, 0, 8
	v_cmp_eq_u32_e32 vcc_lo, 0, v17
	s_delay_alu instid0(VALU_DEP_2) | instskip(NEXT) | instid1(VALU_DEP_1)
	v_cmp_lt_i16_e64 s13, -1, v2
	v_cndmask_b32_e64 v2, 0xff800000, v48, s13
	s_delay_alu instid0(VALU_DEP_1)
	v_cndmask_b32_e32 v16, 0x7f800001, v2, vcc_lo
; %bb.9295:                             ;   in Loop: Header=BB4_8239 Depth=3
	s_or_b32 exec_lo, exec_lo, s75
.LBB4_9296:                             ;   in Loop: Header=BB4_8239 Depth=3
	s_delay_alu instid0(SALU_CYCLE_1)
	s_or_b32 exec_lo, exec_lo, s74
.LBB4_9297:                             ;   in Loop: Header=BB4_8239 Depth=3
	s_delay_alu instid0(SALU_CYCLE_1) | instskip(SKIP_2) | instid1(VALU_DEP_1)
	s_or_b32 exec_lo, exec_lo, s73
	v_lshrrev_b32_e32 v2, 16, v12
	s_mov_b32 s73, exec_lo
	v_and_b32_e32 v17, 0xff, v2
	s_delay_alu instid0(VALU_DEP_1)
	v_cmpx_ne_u16_e32 0, v17
	s_cbranch_execz .LBB4_9307
; %bb.9298:                             ;   in Loop: Header=BB4_8239 Depth=3
	v_bfrev_b32_e32 v5, 1
	s_mov_b32 s74, exec_lo
	v_cmpx_ne_u16_e32 0x80, v17
	s_cbranch_execz .LBB4_9306
; %bb.9299:                             ;   in Loop: Header=BB4_8239 Depth=3
	v_and_b32_e32 v5, 0x7c0000, v12
	v_bfe_u32 v17, v12, 16, 2
	s_delay_alu instid0(VALU_DEP_2) | instskip(SKIP_1) | instid1(SALU_CYCLE_1)
	v_cmp_ne_u32_e32 vcc_lo, 0x7c0000, v5
                                        ; implicit-def: $vgpr5
	s_and_saveexec_b32 s13, vcc_lo
	s_xor_b32 s13, exec_lo, s13
	s_cbranch_execz .LBB4_9303
; %bb.9300:                             ;   in Loop: Header=BB4_8239 Depth=3
	v_bfe_u32 v5, v12, 18, 5
	s_mov_b32 s75, exec_lo
	s_delay_alu instid0(VALU_DEP_1)
	v_cmpx_eq_u32_e32 0, v5
; %bb.9301:                             ;   in Loop: Header=BB4_8239 Depth=3
	v_clz_i32_u32_e32 v5, v17
	s_delay_alu instid0(VALU_DEP_1) | instskip(NEXT) | instid1(VALU_DEP_1)
	v_min_u32_e32 v5, 32, v5
	v_subrev_nc_u32_e32 v17, 29, v5
	s_delay_alu instid0(VALU_DEP_1) | instskip(NEXT) | instid1(VALU_DEP_1)
	v_lshlrev_b64_e32 v[18:19], v17, v[2:3]
	v_dual_sub_nc_u32 v5, 30, v5 :: v_dual_bitop2_b32 v17, 3, v18 bitop3:0x40
; %bb.9302:                             ;   in Loop: Header=BB4_8239 Depth=3
	s_or_b32 exec_lo, exec_lo, s75
	v_lshlrev_b32_e32 v2, 24, v2
	s_delay_alu instid0(VALU_DEP_1) | instskip(NEXT) | instid1(VALU_DEP_1)
	v_and_b32_e32 v2, 0x80000000, v2
	v_lshl_add_u32 v2, v5, 23, v2
	s_delay_alu instid0(VALU_DEP_1) | instskip(NEXT) | instid1(VALU_DEP_1)
	v_lshl_or_b32 v2, v17, 21, v2
                                        ; implicit-def: $vgpr17
	v_add_nc_u32_e32 v5, 0x38000000, v2
                                        ; implicit-def: $vgpr2
.LBB4_9303:                             ;   in Loop: Header=BB4_8239 Depth=3
	s_and_not1_saveexec_b32 s75, s13
; %bb.9304:                             ;   in Loop: Header=BB4_8239 Depth=3
	v_bfe_i32 v2, v2, 0, 8
	v_cmp_eq_u32_e32 vcc_lo, 0, v17
	s_delay_alu instid0(VALU_DEP_2) | instskip(NEXT) | instid1(VALU_DEP_1)
	v_cmp_lt_i16_e64 s13, -1, v2
	v_cndmask_b32_e64 v2, 0xff800000, v48, s13
	s_delay_alu instid0(VALU_DEP_1)
	v_cndmask_b32_e32 v5, 0x7f800001, v2, vcc_lo
; %bb.9305:                             ;   in Loop: Header=BB4_8239 Depth=3
	s_or_b32 exec_lo, exec_lo, s75
.LBB4_9306:                             ;   in Loop: Header=BB4_8239 Depth=3
	s_delay_alu instid0(SALU_CYCLE_1)
	s_or_b32 exec_lo, exec_lo, s74
.LBB4_9307:                             ;   in Loop: Header=BB4_8239 Depth=3
	s_delay_alu instid0(SALU_CYCLE_1) | instskip(NEXT) | instid1(VALU_DEP_1)
	s_or_b32 exec_lo, exec_lo, s73
	v_dual_add_f32 v5, v16, v5 :: v_dual_mov_b32 v19, v3
	v_mov_b32_e32 v17, v3
                                        ; implicit-def: $vgpr65
	s_mov_b32 s13, exec_lo
	s_delay_alu instid0(VALU_DEP_2) | instskip(SKIP_2) | instid1(VALU_DEP_3)
	v_and_b32_e32 v18, 0x7f800000, v5
	v_and_b32_e32 v16, 0x7fffff, v5
	v_lshrrev_b32_e32 v2, 24, v5
	v_cmpx_ne_u64_e32 0x7f800000, v[18:19]
	s_xor_b32 s73, exec_lo, s13
	s_cbranch_execz .LBB4_9321
; %bb.9308:                             ;   in Loop: Header=BB4_8239 Depth=3
	v_and_b32_e32 v18, 0x7fffffff, v5
	v_mov_b32_e32 v19, v3
	v_and_b32_e32 v2, 0x80, v2
                                        ; implicit-def: $vgpr65
	s_mov_b32 s13, exec_lo
	s_delay_alu instid0(VALU_DEP_2)
	v_cmpx_gt_u64_e32 0x47600001, v[18:19]
	s_xor_b32 s74, exec_lo, s13
	s_cbranch_execz .LBB4_9318
; %bb.9309:                             ;   in Loop: Header=BB4_8239 Depth=3
	v_mov_b32_e32 v65, 0
	s_mov_b32 s75, exec_lo
	v_cmpx_ne_u32_e32 0, v5
	s_cbranch_execz .LBB4_9317
; %bb.9310:                             ;   in Loop: Header=BB4_8239 Depth=3
	v_bfe_u32 v5, v5, 23, 8
	v_or_b32_e32 v19, 0x800000, v16
	s_delay_alu instid0(VALU_DEP_2) | instskip(SKIP_2) | instid1(VALU_DEP_2)
	v_cmp_gt_u32_e64 s13, 0x72, v5
	v_sub_nc_u32_e32 v18, 0x71, v5
	v_cmp_eq_u32_e32 vcc_lo, 0, v5
	v_dual_cndmask_b32 v18, 0, v18, s13 :: v_dual_cndmask_b32 v16, v19, v16, vcc_lo
	s_delay_alu instid0(VALU_DEP_1) | instskip(NEXT) | instid1(VALU_DEP_1)
	v_cndmask_b32_e64 v65, v18, 0x70, vcc_lo
	v_dual_add_nc_u32 v18, 21, v65 :: v_dual_add_nc_u32 v86, 20, v65
	s_delay_alu instid0(VALU_DEP_1) | instskip(NEXT) | instid1(VALU_DEP_2)
	v_lshlrev_b64_e64 v[18:19], v18, -1
	v_lshlrev_b64_e64 v[86:87], v86, 1
	s_delay_alu instid0(VALU_DEP_2) | instskip(SKIP_1) | instid1(VALU_DEP_4)
	v_bfi_b32 v18, v18, 0, v16
	v_lshrrev_b64 v[16:17], v65, v[16:17]
	v_bfi_b32 v19, v19, 0, 0
	s_delay_alu instid0(VALU_DEP_1) | instskip(NEXT) | instid1(VALU_DEP_3)
	v_cmp_eq_u64_e64 s13, v[18:19], v[86:87]
	v_mov_b64_e32 v[18:19], v[16:17]
	s_and_saveexec_b32 s76, s13
; %bb.9311:                             ;   in Loop: Header=BB4_8239 Depth=3
	v_bfe_u32 v18, v16, 21, 1
	v_mov_b32_e32 v19, v3
	s_delay_alu instid0(VALU_DEP_1) | instskip(NEXT) | instid1(VALU_DEP_1)
	v_add_nc_u64_e32 v[18:19], v[16:17], v[18:19]
	v_add_nc_u64_e32 v[18:19], -1, v[18:19]
; %bb.9312:                             ;   in Loop: Header=BB4_8239 Depth=3
	s_or_b32 exec_lo, exec_lo, s76
	v_add_nc_u32_e32 v5, 0xffffff81, v5
	v_lshrrev_b32_e32 v17, 23, v16
	s_mov_b32 s13, exec_lo
	s_delay_alu instid0(VALU_DEP_2) | instskip(NEXT) | instid1(VALU_DEP_1)
	v_cndmask_b32_e64 v5, v5, 0xffffff82, vcc_lo
	v_add3_u32 v19, v65, v5, v17
	v_and_b32_e32 v5, 0x1fffff, v18
	s_delay_alu instid0(VALU_DEP_2) | instskip(NEXT) | instid1(VALU_DEP_2)
	v_dual_mov_b32 v17, v3 :: v_dual_add_nc_u32 v18, 14, v19
	v_add_nc_u32_e32 v16, v5, v16
                                        ; implicit-def: $vgpr5
	s_delay_alu instid0(VALU_DEP_2)
	v_cmpx_ne_u32_e32 0, v18
	s_xor_b32 s13, exec_lo, s13
; %bb.9313:                             ;   in Loop: Header=BB4_8239 Depth=3
	s_delay_alu instid0(VALU_DEP_2) | instskip(SKIP_1) | instid1(VALU_DEP_1)
	v_cmp_lt_u64_e32 vcc_lo, 0xffffff, v[16:17]
	v_add_nc_u32_e32 v5, 15, v19
	v_cndmask_b32_e32 v5, v18, v5, vcc_lo
	v_cndmask_b32_e64 v18, 0, 1, vcc_lo
	s_delay_alu instid0(VALU_DEP_1)
	v_lshrrev_b64 v[16:17], v18, v[16:17]
; %bb.9314:                             ;   in Loop: Header=BB4_8239 Depth=3
	s_and_not1_saveexec_b32 s13, s13
; %bb.9315:                             ;   in Loop: Header=BB4_8239 Depth=3
	s_delay_alu instid0(VALU_DEP_1)
	v_bfe_u32 v5, v16, 23, 1
; %bb.9316:                             ;   in Loop: Header=BB4_8239 Depth=3
	s_or_b32 exec_lo, exec_lo, s13
	s_delay_alu instid0(VALU_DEP_2) | instskip(NEXT) | instid1(VALU_DEP_2)
	v_lshrrev_b64 v[16:17], 21, v[16:17]
	v_cmp_gt_i32_e32 vcc_lo, 32, v5
	v_min_i32_e32 v18, 31, v5
	v_cmp_eq_u32_e64 s13, 0, v5
	s_delay_alu instid0(VALU_DEP_2) | instskip(SKIP_1) | instid1(VALU_DEP_2)
	v_dual_cndmask_b32 v16, 3, v16, vcc_lo :: v_dual_lshlrev_b32 v18, 2, v18
	v_cndmask_b32_e32 v17, 0, v17, vcc_lo
	v_and_b32_e32 v18, 0xfc, v18
	s_delay_alu instid0(VALU_DEP_2) | instskip(NEXT) | instid1(VALU_DEP_2)
	v_cmp_eq_u64_e32 vcc_lo, 0, v[16:17]
	v_and_or_b32 v5, v16, 3, v18
	s_and_b32 s13, s13, vcc_lo
	s_delay_alu instid0(VALU_DEP_1) | instid1(SALU_CYCLE_1)
	v_cndmask_b32_e64 v5, v5, 0, s13
	s_delay_alu instid0(VALU_DEP_1)
	v_or_b32_e32 v65, v5, v2
.LBB4_9317:                             ;   in Loop: Header=BB4_8239 Depth=3
	s_or_b32 exec_lo, exec_lo, s75
                                        ; implicit-def: $vgpr2
.LBB4_9318:                             ;   in Loop: Header=BB4_8239 Depth=3
	s_and_not1_saveexec_b32 s13, s74
; %bb.9319:                             ;   in Loop: Header=BB4_8239 Depth=3
	v_or_b32_e32 v65, 0x7b, v2
; %bb.9320:                             ;   in Loop: Header=BB4_8239 Depth=3
	s_or_b32 exec_lo, exec_lo, s13
                                        ; implicit-def: $vgpr5
                                        ; implicit-def: $vgpr16_vgpr17
                                        ; implicit-def: $vgpr2
.LBB4_9321:                             ;   in Loop: Header=BB4_8239 Depth=3
	s_and_not1_saveexec_b32 s13, s73
	s_cbranch_execz .LBB4_9327
; %bb.9322:                             ;   in Loop: Header=BB4_8239 Depth=3
	s_mov_b32 s73, exec_lo
                                        ; implicit-def: $vgpr65
	v_cmpx_ne_u64_e32 0, v[16:17]
	s_xor_b32 s73, exec_lo, s73
; %bb.9323:                             ;   in Loop: Header=BB4_8239 Depth=3
	v_or_b32_e32 v65, 0x7f, v2
                                        ; implicit-def: $vgpr5
; %bb.9324:                             ;   in Loop: Header=BB4_8239 Depth=3
	s_and_not1_saveexec_b32 s73, s73
; %bb.9325:                             ;   in Loop: Header=BB4_8239 Depth=3
	v_cmp_lt_i32_e32 vcc_lo, -1, v5
	v_cndmask_b32_e32 v65, 0xfc, v49, vcc_lo
; %bb.9326:                             ;   in Loop: Header=BB4_8239 Depth=3
	s_or_b32 exec_lo, exec_lo, s73
.LBB4_9327:                             ;   in Loop: Header=BB4_8239 Depth=3
	s_delay_alu instid0(SALU_CYCLE_1)
	s_or_b32 exec_lo, exec_lo, s13
	v_dual_mov_b32 v16, 0 :: v_dual_mov_b32 v17, 0
	s_mov_b32 s73, exec_lo
	v_cmpx_lt_u32_e32 0xffffff, v4
	s_cbranch_execz .LBB4_9337
; %bb.9328:                             ;   in Loop: Header=BB4_8239 Depth=3
	v_lshrrev_b32_e32 v2, 24, v4
	v_bfrev_b32_e32 v17, 1
	s_mov_b32 s74, exec_lo
	s_delay_alu instid0(VALU_DEP_2)
	v_cmpx_ne_u32_e32 0x80, v2
	s_cbranch_execz .LBB4_9336
; %bb.9329:                             ;   in Loop: Header=BB4_8239 Depth=3
	v_and_b32_e32 v5, 0x7c000000, v4
	v_bfe_u32 v18, v4, 24, 2
	s_mov_b32 s13, exec_lo
                                        ; implicit-def: $vgpr17
	s_delay_alu instid0(VALU_DEP_2)
	v_cmpx_ne_u32_e32 0x7c000000, v5
	s_xor_b32 s13, exec_lo, s13
	s_cbranch_execz .LBB4_9333
; %bb.9330:                             ;   in Loop: Header=BB4_8239 Depth=3
	v_bfe_u32 v5, v4, 26, 5
	s_mov_b32 s75, exec_lo
	s_delay_alu instid0(VALU_DEP_1)
	v_cmpx_eq_u32_e32 0, v5
; %bb.9331:                             ;   in Loop: Header=BB4_8239 Depth=3
	v_clz_i32_u32_e32 v5, v18
	s_delay_alu instid0(VALU_DEP_1) | instskip(NEXT) | instid1(VALU_DEP_1)
	v_min_u32_e32 v5, 32, v5
	v_subrev_nc_u32_e32 v17, 29, v5
	s_delay_alu instid0(VALU_DEP_1) | instskip(NEXT) | instid1(VALU_DEP_1)
	v_lshlrev_b64_e32 v[18:19], v17, v[2:3]
	v_dual_sub_nc_u32 v5, 30, v5 :: v_dual_bitop2_b32 v18, 3, v18 bitop3:0x40
; %bb.9332:                             ;   in Loop: Header=BB4_8239 Depth=3
	s_or_b32 exec_lo, exec_lo, s75
	v_and_b32_e32 v2, 0x80000000, v4
	s_delay_alu instid0(VALU_DEP_1) | instskip(NEXT) | instid1(VALU_DEP_1)
	v_lshl_add_u32 v2, v5, 23, v2
                                        ; implicit-def: $vgpr4_vgpr5
	v_lshl_or_b32 v2, v18, 21, v2
                                        ; implicit-def: $vgpr18
	s_delay_alu instid0(VALU_DEP_1)
	v_add_nc_u32_e32 v17, 0x38000000, v2
.LBB4_9333:                             ;   in Loop: Header=BB4_8239 Depth=3
	s_and_not1_saveexec_b32 s75, s13
; %bb.9334:                             ;   in Loop: Header=BB4_8239 Depth=3
	v_cmp_lt_i32_e64 s13, -1, v4
	v_cmp_eq_u32_e32 vcc_lo, 0, v18
	s_delay_alu instid0(VALU_DEP_2) | instskip(NEXT) | instid1(VALU_DEP_1)
	v_cndmask_b32_e64 v2, 0xff800000, v48, s13
	v_cndmask_b32_e32 v17, 0x7f800001, v2, vcc_lo
; %bb.9335:                             ;   in Loop: Header=BB4_8239 Depth=3
	s_or_b32 exec_lo, exec_lo, s75
.LBB4_9336:                             ;   in Loop: Header=BB4_8239 Depth=3
	s_delay_alu instid0(SALU_CYCLE_1)
	s_or_b32 exec_lo, exec_lo, s74
.LBB4_9337:                             ;   in Loop: Header=BB4_8239 Depth=3
	s_delay_alu instid0(SALU_CYCLE_1) | instskip(NEXT) | instid1(SALU_CYCLE_1)
	s_or_b32 exec_lo, exec_lo, s73
	s_mov_b32 s73, exec_lo
	v_cmpx_lt_u32_e32 0xffffff, v12
	s_cbranch_execz .LBB4_9347
; %bb.9338:                             ;   in Loop: Header=BB4_8239 Depth=3
	v_lshrrev_b32_e32 v2, 24, v12
	v_bfrev_b32_e32 v16, 1
	s_mov_b32 s74, exec_lo
	s_delay_alu instid0(VALU_DEP_2)
	v_cmpx_ne_u32_e32 0x80, v2
	s_cbranch_execz .LBB4_9346
; %bb.9339:                             ;   in Loop: Header=BB4_8239 Depth=3
	v_and_b32_e32 v5, 0x7c000000, v12
	v_bfe_u32 v4, v12, 24, 2
	s_mov_b32 s13, exec_lo
                                        ; implicit-def: $vgpr16
	s_delay_alu instid0(VALU_DEP_2)
	v_cmpx_ne_u32_e32 0x7c000000, v5
	s_xor_b32 s13, exec_lo, s13
	s_cbranch_execz .LBB4_9343
; %bb.9340:                             ;   in Loop: Header=BB4_8239 Depth=3
	v_bfe_u32 v5, v12, 26, 5
	s_mov_b32 s75, exec_lo
	s_delay_alu instid0(VALU_DEP_1)
	v_cmpx_eq_u32_e32 0, v5
; %bb.9341:                             ;   in Loop: Header=BB4_8239 Depth=3
	v_clz_i32_u32_e32 v4, v4
	s_delay_alu instid0(VALU_DEP_1) | instskip(NEXT) | instid1(VALU_DEP_1)
	v_min_u32_e32 v16, 32, v4
	v_subrev_nc_u32_e32 v4, 29, v16
	s_delay_alu instid0(VALU_DEP_1) | instskip(SKIP_1) | instid1(VALU_DEP_2)
	v_lshlrev_b64_e32 v[4:5], v4, v[2:3]
	v_sub_nc_u32_e32 v5, 30, v16
	v_and_b32_e32 v4, 3, v4
; %bb.9342:                             ;   in Loop: Header=BB4_8239 Depth=3
	s_or_b32 exec_lo, exec_lo, s75
	v_and_b32_e32 v2, 0x80000000, v12
	s_delay_alu instid0(VALU_DEP_1) | instskip(NEXT) | instid1(VALU_DEP_1)
	v_lshl_add_u32 v2, v5, 23, v2
	v_lshl_or_b32 v2, v4, 21, v2
                                        ; implicit-def: $vgpr4
	s_delay_alu instid0(VALU_DEP_1)
	v_add_nc_u32_e32 v16, 0x38000000, v2
.LBB4_9343:                             ;   in Loop: Header=BB4_8239 Depth=3
	s_and_not1_saveexec_b32 s75, s13
; %bb.9344:                             ;   in Loop: Header=BB4_8239 Depth=3
	v_cmp_lt_i32_e64 s13, -1, v12
	v_cmp_eq_u32_e32 vcc_lo, 0, v4
	s_delay_alu instid0(VALU_DEP_2) | instskip(NEXT) | instid1(VALU_DEP_1)
	v_cndmask_b32_e64 v2, 0xff800000, v48, s13
	v_cndmask_b32_e32 v16, 0x7f800001, v2, vcc_lo
; %bb.9345:                             ;   in Loop: Header=BB4_8239 Depth=3
	s_or_b32 exec_lo, exec_lo, s75
.LBB4_9346:                             ;   in Loop: Header=BB4_8239 Depth=3
	s_delay_alu instid0(SALU_CYCLE_1)
	s_or_b32 exec_lo, exec_lo, s74
.LBB4_9347:                             ;   in Loop: Header=BB4_8239 Depth=3
	s_delay_alu instid0(SALU_CYCLE_1) | instskip(NEXT) | instid1(VALU_DEP_1)
	s_or_b32 exec_lo, exec_lo, s73
	v_dual_add_f32 v16, v17, v16 :: v_dual_mov_b32 v19, v3
	v_mov_b32_e32 v5, v3
                                        ; implicit-def: $vgpr116
	s_mov_b32 s13, exec_lo
	s_delay_alu instid0(VALU_DEP_2) | instskip(SKIP_2) | instid1(VALU_DEP_3)
	v_and_b32_e32 v18, 0x7f800000, v16
	v_and_b32_e32 v4, 0x7fffff, v16
	v_lshrrev_b32_e32 v2, 24, v16
	v_cmpx_ne_u64_e32 0x7f800000, v[18:19]
	s_xor_b32 s73, exec_lo, s13
	s_cbranch_execz .LBB4_9361
; %bb.9348:                             ;   in Loop: Header=BB4_8239 Depth=3
	v_and_b32_e32 v18, 0x7fffffff, v16
	v_mov_b32_e32 v19, v3
	v_and_b32_e32 v2, 0x80, v2
                                        ; implicit-def: $vgpr116
	s_mov_b32 s13, exec_lo
	s_delay_alu instid0(VALU_DEP_2)
	v_cmpx_gt_u64_e32 0x47600001, v[18:19]
	s_xor_b32 s74, exec_lo, s13
	s_cbranch_execz .LBB4_9358
; %bb.9349:                             ;   in Loop: Header=BB4_8239 Depth=3
	v_mov_b32_e32 v116, 0
	s_mov_b32 s75, exec_lo
	v_cmpx_ne_u32_e32 0, v16
	s_cbranch_execz .LBB4_9357
; %bb.9350:                             ;   in Loop: Header=BB4_8239 Depth=3
	v_bfe_u32 v18, v16, 23, 8
	v_or_b32_e32 v17, 0x800000, v4
	s_delay_alu instid0(VALU_DEP_2) | instskip(SKIP_2) | instid1(VALU_DEP_2)
	v_cmp_gt_u32_e64 s13, 0x72, v18
	v_sub_nc_u32_e32 v16, 0x71, v18
	v_cmp_eq_u32_e32 vcc_lo, 0, v18
	v_cndmask_b32_e64 v16, 0, v16, s13
	s_delay_alu instid0(VALU_DEP_1) | instskip(NEXT) | instid1(VALU_DEP_1)
	v_cndmask_b32_e64 v19, v16, 0x70, vcc_lo
	v_dual_cndmask_b32 v4, v17, v4, vcc_lo :: v_dual_add_nc_u32 v16, 21, v19
	v_add_nc_u32_e32 v86, 20, v19
	s_delay_alu instid0(VALU_DEP_2) | instskip(NEXT) | instid1(VALU_DEP_2)
	v_lshlrev_b64_e64 v[16:17], v16, -1
	v_lshlrev_b64_e64 v[86:87], v86, 1
	s_delay_alu instid0(VALU_DEP_2) | instskip(SKIP_1) | instid1(VALU_DEP_4)
	v_bfi_b32 v16, v16, 0, v4
	v_lshrrev_b64 v[4:5], v19, v[4:5]
	v_bfi_b32 v17, v17, 0, 0
	s_delay_alu instid0(VALU_DEP_1) | instskip(NEXT) | instid1(VALU_DEP_3)
	v_cmp_eq_u64_e64 s13, v[16:17], v[86:87]
	v_mov_b64_e32 v[16:17], v[4:5]
	s_and_saveexec_b32 s76, s13
; %bb.9351:                             ;   in Loop: Header=BB4_8239 Depth=3
	v_bfe_u32 v16, v4, 21, 1
	v_mov_b32_e32 v17, v3
	s_delay_alu instid0(VALU_DEP_1) | instskip(NEXT) | instid1(VALU_DEP_1)
	v_add_nc_u64_e32 v[16:17], v[4:5], v[16:17]
	v_add_nc_u64_e32 v[16:17], -1, v[16:17]
; %bb.9352:                             ;   in Loop: Header=BB4_8239 Depth=3
	s_or_b32 exec_lo, exec_lo, s76
	v_add_nc_u32_e32 v5, 0xffffff81, v18
	v_lshrrev_b32_e32 v17, 23, v4
	s_mov_b32 s13, exec_lo
	s_delay_alu instid0(VALU_DEP_2) | instskip(NEXT) | instid1(VALU_DEP_1)
	v_cndmask_b32_e64 v5, v5, 0xffffff82, vcc_lo
	v_add3_u32 v18, v19, v5, v17
	v_and_b32_e32 v5, 0x1fffff, v16
                                        ; implicit-def: $vgpr16
	s_delay_alu instid0(VALU_DEP_1) | instskip(SKIP_1) | instid1(VALU_DEP_2)
	v_dual_add_nc_u32 v17, 14, v18 :: v_dual_add_nc_u32 v4, v5, v4
	v_mov_b32_e32 v5, v3
	v_cmpx_ne_u32_e32 0, v17
	s_xor_b32 s13, exec_lo, s13
; %bb.9353:                             ;   in Loop: Header=BB4_8239 Depth=3
	s_delay_alu instid0(VALU_DEP_2) | instskip(SKIP_1) | instid1(VALU_DEP_1)
	v_cmp_lt_u64_e32 vcc_lo, 0xffffff, v[4:5]
	v_add_nc_u32_e32 v16, 15, v18
	v_cndmask_b32_e32 v16, v17, v16, vcc_lo
	v_cndmask_b32_e64 v17, 0, 1, vcc_lo
	s_delay_alu instid0(VALU_DEP_1)
	v_lshrrev_b64 v[4:5], v17, v[4:5]
; %bb.9354:                             ;   in Loop: Header=BB4_8239 Depth=3
	s_and_not1_saveexec_b32 s13, s13
; %bb.9355:                             ;   in Loop: Header=BB4_8239 Depth=3
	s_delay_alu instid0(VALU_DEP_1)
	v_bfe_u32 v16, v4, 23, 1
; %bb.9356:                             ;   in Loop: Header=BB4_8239 Depth=3
	s_or_b32 exec_lo, exec_lo, s13
	s_delay_alu instid0(VALU_DEP_2) | instskip(NEXT) | instid1(VALU_DEP_2)
	v_lshrrev_b64 v[4:5], 21, v[4:5]
	v_cmp_gt_i32_e32 vcc_lo, 32, v16
	v_min_i32_e32 v17, 31, v16
	v_cmp_eq_u32_e64 s13, 0, v16
	s_delay_alu instid0(VALU_DEP_4) | instskip(NEXT) | instid1(VALU_DEP_3)
	v_cndmask_b32_e32 v5, 0, v5, vcc_lo
	v_dual_cndmask_b32 v4, 3, v4 :: v_dual_lshlrev_b32 v17, 2, v17
	s_delay_alu instid0(VALU_DEP_1) | instskip(NEXT) | instid1(VALU_DEP_2)
	v_and_b32_e32 v17, 0xfc, v17
	v_cmp_eq_u64_e32 vcc_lo, 0, v[4:5]
	s_delay_alu instid0(VALU_DEP_2)
	v_and_or_b32 v4, v4, 3, v17
	s_and_b32 s13, s13, vcc_lo
	s_delay_alu instid0(VALU_DEP_1) | instid1(SALU_CYCLE_1)
	v_cndmask_b32_e64 v4, v4, 0, s13
	s_delay_alu instid0(VALU_DEP_1)
	v_or_b32_e32 v116, v4, v2
.LBB4_9357:                             ;   in Loop: Header=BB4_8239 Depth=3
	s_or_b32 exec_lo, exec_lo, s75
                                        ; implicit-def: $vgpr2
.LBB4_9358:                             ;   in Loop: Header=BB4_8239 Depth=3
	s_and_not1_saveexec_b32 s13, s74
; %bb.9359:                             ;   in Loop: Header=BB4_8239 Depth=3
	v_or_b32_e32 v116, 0x7b, v2
; %bb.9360:                             ;   in Loop: Header=BB4_8239 Depth=3
	s_or_b32 exec_lo, exec_lo, s13
                                        ; implicit-def: $vgpr16
                                        ; implicit-def: $vgpr4_vgpr5
                                        ; implicit-def: $vgpr2
.LBB4_9361:                             ;   in Loop: Header=BB4_8239 Depth=3
	s_and_not1_saveexec_b32 s13, s73
	s_cbranch_execz .LBB4_9367
; %bb.9362:                             ;   in Loop: Header=BB4_8239 Depth=3
	s_mov_b32 s73, exec_lo
                                        ; implicit-def: $vgpr116
	v_cmpx_ne_u64_e32 0, v[4:5]
	s_xor_b32 s73, exec_lo, s73
; %bb.9363:                             ;   in Loop: Header=BB4_8239 Depth=3
	v_or_b32_e32 v116, 0x7f, v2
                                        ; implicit-def: $vgpr16
; %bb.9364:                             ;   in Loop: Header=BB4_8239 Depth=3
	s_and_not1_saveexec_b32 s73, s73
; %bb.9365:                             ;   in Loop: Header=BB4_8239 Depth=3
	v_cmp_lt_i32_e32 vcc_lo, -1, v16
	v_cndmask_b32_e32 v116, 0xfc, v49, vcc_lo
; %bb.9366:                             ;   in Loop: Header=BB4_8239 Depth=3
	s_or_b32 exec_lo, exec_lo, s73
.LBB4_9367:                             ;   in Loop: Header=BB4_8239 Depth=3
	s_delay_alu instid0(SALU_CYCLE_1) | instskip(SKIP_4) | instid1(VALU_DEP_2)
	s_or_b32 exec_lo, exec_lo, s13
	v_lshl_or_b32 v2, v62, 8, v119
	v_dual_lshlrev_b32 v4, 16, v79 :: v_dual_lshlrev_b32 v16, 24, v88
	v_dual_mov_b32 v5, v3 :: v_dual_mov_b32 v17, 0
	s_mov_b32 s73, exec_lo
	v_or3_b32 v4, v4, v16, v2
	v_mov_b32_e32 v16, 0
	v_cmpx_ne_u32_e32 0, v119
	s_cbranch_execz .LBB4_9377
; %bb.9368:                             ;   in Loop: Header=BB4_8239 Depth=3
	v_bfrev_b32_e32 v16, 1
	s_mov_b32 s74, exec_lo
	v_cmpx_ne_u32_e32 0x80, v119
	s_cbranch_execz .LBB4_9376
; %bb.9369:                             ;   in Loop: Header=BB4_8239 Depth=3
	v_and_b32_e32 v16, 0x7c, v119
	v_and_b32_e32 v18, 3, v119
	s_delay_alu instid0(VALU_DEP_2) | instskip(SKIP_1) | instid1(SALU_CYCLE_1)
	v_cmp_ne_u32_e32 vcc_lo, 0x7c, v16
                                        ; implicit-def: $vgpr16
	s_and_saveexec_b32 s13, vcc_lo
	s_xor_b32 s13, exec_lo, s13
	s_cbranch_execz .LBB4_9373
; %bb.9370:                             ;   in Loop: Header=BB4_8239 Depth=3
	v_bfe_u32 v16, v119, 2, 5
	s_mov_b32 s75, exec_lo
	s_delay_alu instid0(VALU_DEP_1)
	v_cmpx_eq_u32_e32 0, v16
; %bb.9371:                             ;   in Loop: Header=BB4_8239 Depth=3
	v_clz_i32_u32_e32 v16, v18
	s_delay_alu instid0(VALU_DEP_1) | instskip(NEXT) | instid1(VALU_DEP_1)
	v_min_u32_e32 v16, 32, v16
	v_subrev_nc_u32_e32 v18, 29, v16
	s_delay_alu instid0(VALU_DEP_1) | instskip(NEXT) | instid1(VALU_DEP_1)
	v_lshlrev_b64_e32 v[18:19], v18, v[4:5]
	v_dual_sub_nc_u32 v16, 30, v16 :: v_dual_bitop2_b32 v18, 3, v18 bitop3:0x40
; %bb.9372:                             ;   in Loop: Header=BB4_8239 Depth=3
	s_or_b32 exec_lo, exec_lo, s75
	v_lshlrev_b32_e32 v5, 24, v119
                                        ; implicit-def: $vgpr119
	s_delay_alu instid0(VALU_DEP_1) | instskip(NEXT) | instid1(VALU_DEP_1)
	v_and_b32_e32 v5, 0x80000000, v5
	v_lshl_add_u32 v5, v16, 23, v5
	s_delay_alu instid0(VALU_DEP_1) | instskip(NEXT) | instid1(VALU_DEP_1)
	v_lshl_or_b32 v5, v18, 21, v5
                                        ; implicit-def: $vgpr18
	v_add_nc_u32_e32 v16, 0x38000000, v5
.LBB4_9373:                             ;   in Loop: Header=BB4_8239 Depth=3
	s_and_not1_saveexec_b32 s75, s13
; %bb.9374:                             ;   in Loop: Header=BB4_8239 Depth=3
	v_and_b32_e32 v5, 0x80, v119
	v_cmp_eq_u32_e32 vcc_lo, 0, v18
	s_delay_alu instid0(VALU_DEP_2) | instskip(NEXT) | instid1(VALU_DEP_1)
	v_cmp_eq_u32_e64 s13, 0, v5
	v_cndmask_b32_e64 v5, 0xff800000, v48, s13
	s_delay_alu instid0(VALU_DEP_1)
	v_cndmask_b32_e32 v16, 0x7f800001, v5, vcc_lo
; %bb.9375:                             ;   in Loop: Header=BB4_8239 Depth=3
	s_or_b32 exec_lo, exec_lo, s75
.LBB4_9376:                             ;   in Loop: Header=BB4_8239 Depth=3
	s_delay_alu instid0(SALU_CYCLE_1)
	s_or_b32 exec_lo, exec_lo, s74
.LBB4_9377:                             ;   in Loop: Header=BB4_8239 Depth=3
	s_delay_alu instid0(SALU_CYCLE_1) | instskip(SKIP_2) | instid1(VALU_DEP_1)
	s_or_b32 exec_lo, exec_lo, s73
	v_and_b32_e32 v5, 0xff, v13
	s_mov_b32 s73, exec_lo
	v_cmpx_ne_u16_e32 0, v5
	s_cbranch_execz .LBB4_9387
; %bb.9378:                             ;   in Loop: Header=BB4_8239 Depth=3
	v_bfrev_b32_e32 v17, 1
	s_mov_b32 s74, exec_lo
	v_cmpx_ne_u16_e32 0x80, v5
	s_cbranch_execz .LBB4_9386
; %bb.9379:                             ;   in Loop: Header=BB4_8239 Depth=3
	v_and_b32_e32 v17, 0x7c, v13
	v_and_b32_e32 v5, 3, v13
	s_delay_alu instid0(VALU_DEP_2) | instskip(SKIP_1) | instid1(SALU_CYCLE_1)
	v_cmp_ne_u32_e32 vcc_lo, 0x7c, v17
                                        ; implicit-def: $vgpr17
	s_and_saveexec_b32 s13, vcc_lo
	s_xor_b32 s13, exec_lo, s13
	s_cbranch_execz .LBB4_9383
; %bb.9380:                             ;   in Loop: Header=BB4_8239 Depth=3
	v_bfe_u32 v17, v13, 2, 5
	s_mov_b32 s75, exec_lo
	s_delay_alu instid0(VALU_DEP_1)
	v_cmpx_eq_u32_e32 0, v17
; %bb.9381:                             ;   in Loop: Header=BB4_8239 Depth=3
	v_clz_i32_u32_e32 v5, v5
	v_dual_mov_b32 v18, v13 :: v_dual_mov_b32 v19, v3
	s_delay_alu instid0(VALU_DEP_2) | instskip(NEXT) | instid1(VALU_DEP_1)
	v_min_u32_e32 v5, 32, v5
	v_subrev_nc_u32_e32 v17, 29, v5
	s_delay_alu instid0(VALU_DEP_1) | instskip(NEXT) | instid1(VALU_DEP_1)
	v_lshlrev_b64_e32 v[18:19], v17, v[18:19]
	v_dual_sub_nc_u32 v17, 30, v5 :: v_dual_bitop2_b32 v5, 3, v18 bitop3:0x40
; %bb.9382:                             ;   in Loop: Header=BB4_8239 Depth=3
	s_or_b32 exec_lo, exec_lo, s75
	v_lshlrev_b32_e32 v18, 24, v13
	s_delay_alu instid0(VALU_DEP_1) | instskip(NEXT) | instid1(VALU_DEP_1)
	v_and_b32_e32 v18, 0x80000000, v18
	v_lshl_add_u32 v17, v17, 23, v18
	s_delay_alu instid0(VALU_DEP_1) | instskip(NEXT) | instid1(VALU_DEP_1)
	v_lshl_or_b32 v5, v5, 21, v17
	v_add_nc_u32_e32 v17, 0x38000000, v5
                                        ; implicit-def: $vgpr5
.LBB4_9383:                             ;   in Loop: Header=BB4_8239 Depth=3
	s_and_not1_saveexec_b32 s75, s13
; %bb.9384:                             ;   in Loop: Header=BB4_8239 Depth=3
	v_bfe_i32 v17, v13, 0, 8
	v_cmp_eq_u32_e32 vcc_lo, 0, v5
	s_delay_alu instid0(VALU_DEP_2) | instskip(NEXT) | instid1(VALU_DEP_1)
	v_cmp_lt_i16_e64 s13, -1, v17
	v_cndmask_b32_e64 v5, 0xff800000, v48, s13
	s_delay_alu instid0(VALU_DEP_1)
	v_cndmask_b32_e32 v17, 0x7f800001, v5, vcc_lo
; %bb.9385:                             ;   in Loop: Header=BB4_8239 Depth=3
	s_or_b32 exec_lo, exec_lo, s75
.LBB4_9386:                             ;   in Loop: Header=BB4_8239 Depth=3
	s_delay_alu instid0(SALU_CYCLE_1)
	s_or_b32 exec_lo, exec_lo, s74
.LBB4_9387:                             ;   in Loop: Header=BB4_8239 Depth=3
	s_delay_alu instid0(SALU_CYCLE_1) | instskip(NEXT) | instid1(VALU_DEP_1)
	s_or_b32 exec_lo, exec_lo, s73
	v_dual_add_f32 v18, v16, v17 :: v_dual_mov_b32 v87, v3
	v_mov_b32_e32 v17, v3
                                        ; implicit-def: $vgpr119
	s_mov_b32 s13, exec_lo
	s_delay_alu instid0(VALU_DEP_2) | instskip(SKIP_2) | instid1(VALU_DEP_3)
	v_and_b32_e32 v86, 0x7f800000, v18
	v_and_b32_e32 v16, 0x7fffff, v18
	v_lshrrev_b32_e32 v5, 24, v18
	v_cmpx_ne_u64_e32 0x7f800000, v[86:87]
	s_xor_b32 s73, exec_lo, s13
	s_cbranch_execz .LBB4_9401
; %bb.9388:                             ;   in Loop: Header=BB4_8239 Depth=3
	v_and_b32_e32 v86, 0x7fffffff, v18
	v_mov_b32_e32 v87, v3
	v_and_b32_e32 v5, 0x80, v5
                                        ; implicit-def: $vgpr119
	s_mov_b32 s13, exec_lo
	s_delay_alu instid0(VALU_DEP_2)
	v_cmpx_gt_u64_e32 0x47600001, v[86:87]
	s_xor_b32 s74, exec_lo, s13
	s_cbranch_execz .LBB4_9398
; %bb.9389:                             ;   in Loop: Header=BB4_8239 Depth=3
	v_mov_b32_e32 v119, 0
	s_mov_b32 s75, exec_lo
	v_cmpx_ne_u32_e32 0, v18
	s_cbranch_execz .LBB4_9397
; %bb.9390:                             ;   in Loop: Header=BB4_8239 Depth=3
	v_bfe_u32 v119, v18, 23, 8
	v_or_b32_e32 v19, 0x800000, v16
	s_delay_alu instid0(VALU_DEP_2) | instskip(SKIP_2) | instid1(VALU_DEP_2)
	v_cmp_gt_u32_e64 s13, 0x72, v119
	v_sub_nc_u32_e32 v18, 0x71, v119
	v_cmp_eq_u32_e32 vcc_lo, 0, v119
	v_dual_cndmask_b32 v18, 0, v18, s13 :: v_dual_cndmask_b32 v16, v19, v16, vcc_lo
	s_delay_alu instid0(VALU_DEP_1) | instskip(NEXT) | instid1(VALU_DEP_1)
	v_cndmask_b32_e64 v86, v18, 0x70, vcc_lo
	v_dual_add_nc_u32 v18, 21, v86 :: v_dual_add_nc_u32 v87, 20, v86
	s_delay_alu instid0(VALU_DEP_1) | instskip(NEXT) | instid1(VALU_DEP_2)
	v_lshlrev_b64_e64 v[18:19], v18, -1
	v_lshlrev_b64_e64 v[96:97], v87, 1
	s_delay_alu instid0(VALU_DEP_2) | instskip(SKIP_1) | instid1(VALU_DEP_4)
	v_bfi_b32 v18, v18, 0, v16
	v_lshrrev_b64 v[16:17], v86, v[16:17]
	v_bfi_b32 v19, v19, 0, 0
	s_delay_alu instid0(VALU_DEP_1) | instskip(NEXT) | instid1(VALU_DEP_3)
	v_cmp_eq_u64_e64 s13, v[18:19], v[96:97]
	v_mov_b64_e32 v[18:19], v[16:17]
	s_and_saveexec_b32 s76, s13
; %bb.9391:                             ;   in Loop: Header=BB4_8239 Depth=3
	v_bfe_u32 v18, v16, 21, 1
	v_mov_b32_e32 v19, v3
	s_delay_alu instid0(VALU_DEP_1) | instskip(NEXT) | instid1(VALU_DEP_1)
	v_add_nc_u64_e32 v[18:19], v[16:17], v[18:19]
	v_add_nc_u64_e32 v[18:19], -1, v[18:19]
; %bb.9392:                             ;   in Loop: Header=BB4_8239 Depth=3
	s_or_b32 exec_lo, exec_lo, s76
	v_add_nc_u32_e32 v17, 0xffffff81, v119
	v_lshrrev_b32_e32 v19, 23, v16
	s_mov_b32 s13, exec_lo
	s_delay_alu instid0(VALU_DEP_2) | instskip(NEXT) | instid1(VALU_DEP_1)
	v_cndmask_b32_e64 v17, v17, 0xffffff82, vcc_lo
	v_add3_u32 v86, v86, v17, v19
	v_and_b32_e32 v17, 0x1fffff, v18
                                        ; implicit-def: $vgpr18
	s_delay_alu instid0(VALU_DEP_1) | instskip(SKIP_1) | instid1(VALU_DEP_2)
	v_dual_add_nc_u32 v19, 14, v86 :: v_dual_add_nc_u32 v16, v17, v16
	v_mov_b32_e32 v17, v3
	v_cmpx_ne_u32_e32 0, v19
	s_xor_b32 s13, exec_lo, s13
; %bb.9393:                             ;   in Loop: Header=BB4_8239 Depth=3
	s_delay_alu instid0(VALU_DEP_2) | instskip(SKIP_1) | instid1(VALU_DEP_1)
	v_cmp_lt_u64_e32 vcc_lo, 0xffffff, v[16:17]
	v_add_nc_u32_e32 v18, 15, v86
	v_cndmask_b32_e32 v18, v19, v18, vcc_lo
	v_cndmask_b32_e64 v19, 0, 1, vcc_lo
	s_delay_alu instid0(VALU_DEP_1)
	v_lshrrev_b64 v[16:17], v19, v[16:17]
; %bb.9394:                             ;   in Loop: Header=BB4_8239 Depth=3
	s_and_not1_saveexec_b32 s13, s13
; %bb.9395:                             ;   in Loop: Header=BB4_8239 Depth=3
	s_delay_alu instid0(VALU_DEP_1)
	v_bfe_u32 v18, v16, 23, 1
; %bb.9396:                             ;   in Loop: Header=BB4_8239 Depth=3
	s_or_b32 exec_lo, exec_lo, s13
	s_delay_alu instid0(VALU_DEP_2) | instskip(NEXT) | instid1(VALU_DEP_2)
	v_lshrrev_b64 v[16:17], 21, v[16:17]
	v_cmp_gt_i32_e32 vcc_lo, 32, v18
	v_min_i32_e32 v19, 31, v18
	v_cmp_eq_u32_e64 s13, 0, v18
	s_delay_alu instid0(VALU_DEP_2) | instskip(SKIP_1) | instid1(VALU_DEP_2)
	v_dual_cndmask_b32 v17, 0, v17, vcc_lo :: v_dual_lshlrev_b32 v19, 2, v19
	v_cndmask_b32_e32 v16, 3, v16, vcc_lo
	v_and_b32_e32 v19, 0xfc, v19
	s_delay_alu instid0(VALU_DEP_2) | instskip(NEXT) | instid1(VALU_DEP_2)
	v_cmp_eq_u64_e32 vcc_lo, 0, v[16:17]
	v_and_or_b32 v16, v16, 3, v19
	s_and_b32 s13, s13, vcc_lo
	s_delay_alu instid0(VALU_DEP_1) | instid1(SALU_CYCLE_1)
	v_cndmask_b32_e64 v16, v16, 0, s13
	s_delay_alu instid0(VALU_DEP_1)
	v_or_b32_e32 v119, v16, v5
.LBB4_9397:                             ;   in Loop: Header=BB4_8239 Depth=3
	s_or_b32 exec_lo, exec_lo, s75
                                        ; implicit-def: $vgpr5
.LBB4_9398:                             ;   in Loop: Header=BB4_8239 Depth=3
	s_and_not1_saveexec_b32 s13, s74
; %bb.9399:                             ;   in Loop: Header=BB4_8239 Depth=3
	v_or_b32_e32 v119, 0x7b, v5
; %bb.9400:                             ;   in Loop: Header=BB4_8239 Depth=3
	s_or_b32 exec_lo, exec_lo, s13
                                        ; implicit-def: $vgpr18
                                        ; implicit-def: $vgpr16_vgpr17
                                        ; implicit-def: $vgpr5
.LBB4_9401:                             ;   in Loop: Header=BB4_8239 Depth=3
	s_and_not1_saveexec_b32 s13, s73
	s_cbranch_execz .LBB4_9407
; %bb.9402:                             ;   in Loop: Header=BB4_8239 Depth=3
	s_mov_b32 s73, exec_lo
                                        ; implicit-def: $vgpr119
	v_cmpx_ne_u64_e32 0, v[16:17]
	s_xor_b32 s73, exec_lo, s73
; %bb.9403:                             ;   in Loop: Header=BB4_8239 Depth=3
	v_or_b32_e32 v119, 0x7f, v5
                                        ; implicit-def: $vgpr18
; %bb.9404:                             ;   in Loop: Header=BB4_8239 Depth=3
	s_and_not1_saveexec_b32 s73, s73
; %bb.9405:                             ;   in Loop: Header=BB4_8239 Depth=3
	v_cmp_lt_i32_e32 vcc_lo, -1, v18
	v_cndmask_b32_e32 v119, 0xfc, v49, vcc_lo
; %bb.9406:                             ;   in Loop: Header=BB4_8239 Depth=3
	s_or_b32 exec_lo, exec_lo, s73
.LBB4_9407:                             ;   in Loop: Header=BB4_8239 Depth=3
	s_delay_alu instid0(SALU_CYCLE_1) | instskip(SKIP_3) | instid1(VALU_DEP_2)
	s_or_b32 exec_lo, exec_lo, s13
	v_lshrrev_b16 v16, 8, v2
	v_dual_mov_b32 v5, 0 :: v_dual_mov_b32 v18, 0
	s_mov_b32 s73, exec_lo
	v_cmpx_ne_u16_e32 0, v16
	s_cbranch_execz .LBB4_9417
; %bb.9408:                             ;   in Loop: Header=BB4_8239 Depth=3
	v_bfrev_b32_e32 v18, 1
	s_mov_b32 s74, exec_lo
	v_cmpx_ne_u16_e32 0x80, v16
	s_cbranch_execz .LBB4_9416
; %bb.9409:                             ;   in Loop: Header=BB4_8239 Depth=3
	v_and_b32_e32 v19, 0xffff, v16
	s_delay_alu instid0(VALU_DEP_1) | instskip(SKIP_1) | instid1(VALU_DEP_2)
	v_and_b32_e32 v18, 0x7c, v19
	v_and_b32_e32 v17, 3, v19
	v_cmp_ne_u32_e32 vcc_lo, 0x7c, v18
                                        ; implicit-def: $vgpr18
	s_and_saveexec_b32 s13, vcc_lo
	s_delay_alu instid0(SALU_CYCLE_1)
	s_xor_b32 s13, exec_lo, s13
	s_cbranch_execz .LBB4_9413
; %bb.9410:                             ;   in Loop: Header=BB4_8239 Depth=3
	v_bfe_u32 v18, v19, 2, 5
	s_mov_b32 s75, exec_lo
	s_delay_alu instid0(VALU_DEP_1)
	v_cmpx_eq_u32_e32 0, v18
	s_cbranch_execz .LBB4_9412
; %bb.9411:                             ;   in Loop: Header=BB4_8239 Depth=3
	v_clz_i32_u32_e32 v17, v17
	s_delay_alu instid0(VALU_DEP_1) | instskip(SKIP_1) | instid1(VALU_DEP_2)
	v_min_u32_e32 v18, 32, v17
	v_mov_b32_e32 v17, v3
	v_subrev_nc_u32_e32 v19, 29, v18
	v_sub_nc_u32_e32 v18, 30, v18
	s_delay_alu instid0(VALU_DEP_2) | instskip(NEXT) | instid1(VALU_DEP_1)
	v_lshlrev_b64_e32 v[16:17], v19, v[16:17]
	v_and_b32_e32 v17, 3, v16
.LBB4_9412:                             ;   in Loop: Header=BB4_8239 Depth=3
	s_or_b32 exec_lo, exec_lo, s75
	v_lshlrev_b32_e32 v2, 16, v2
	s_delay_alu instid0(VALU_DEP_1) | instskip(NEXT) | instid1(VALU_DEP_1)
	v_and_b32_e32 v2, 0x80000000, v2
	v_lshl_add_u32 v2, v18, 23, v2
	s_delay_alu instid0(VALU_DEP_1) | instskip(NEXT) | instid1(VALU_DEP_1)
	v_lshl_or_b32 v2, v17, 21, v2
                                        ; implicit-def: $vgpr17
	v_add_nc_u32_e32 v18, 0x38000000, v2
                                        ; implicit-def: $vgpr2
.LBB4_9413:                             ;   in Loop: Header=BB4_8239 Depth=3
	s_and_not1_saveexec_b32 s75, s13
; %bb.9414:                             ;   in Loop: Header=BB4_8239 Depth=3
	v_cmp_lt_i16_e64 s13, -1, v2
	v_cmp_eq_u32_e32 vcc_lo, 0, v17
	s_delay_alu instid0(VALU_DEP_2) | instskip(NEXT) | instid1(VALU_DEP_1)
	v_cndmask_b32_e64 v2, 0xff800000, v48, s13
	v_cndmask_b32_e32 v18, 0x7f800001, v2, vcc_lo
; %bb.9415:                             ;   in Loop: Header=BB4_8239 Depth=3
	s_or_b32 exec_lo, exec_lo, s75
.LBB4_9416:                             ;   in Loop: Header=BB4_8239 Depth=3
	s_delay_alu instid0(SALU_CYCLE_1)
	s_or_b32 exec_lo, exec_lo, s74
.LBB4_9417:                             ;   in Loop: Header=BB4_8239 Depth=3
	s_delay_alu instid0(SALU_CYCLE_1) | instskip(SKIP_2) | instid1(VALU_DEP_1)
	s_or_b32 exec_lo, exec_lo, s73
	v_lshrrev_b16 v16, 8, v13
	s_mov_b32 s73, exec_lo
	v_cmpx_ne_u16_e32 0, v16
	s_cbranch_execz .LBB4_9427
; %bb.9418:                             ;   in Loop: Header=BB4_8239 Depth=3
	v_bfrev_b32_e32 v5, 1
	s_mov_b32 s74, exec_lo
	v_cmpx_ne_u16_e32 0x80, v16
	s_cbranch_execz .LBB4_9426
; %bb.9419:                             ;   in Loop: Header=BB4_8239 Depth=3
	v_and_b32_e32 v17, 0xffff, v16
	s_delay_alu instid0(VALU_DEP_1) | instskip(SKIP_1) | instid1(VALU_DEP_2)
	v_and_b32_e32 v5, 0x7c, v17
	v_and_b32_e32 v2, 3, v17
	v_cmp_ne_u32_e32 vcc_lo, 0x7c, v5
                                        ; implicit-def: $vgpr5
	s_and_saveexec_b32 s13, vcc_lo
	s_delay_alu instid0(SALU_CYCLE_1)
	s_xor_b32 s13, exec_lo, s13
	s_cbranch_execz .LBB4_9423
; %bb.9420:                             ;   in Loop: Header=BB4_8239 Depth=3
	v_bfe_u32 v5, v17, 2, 5
	s_mov_b32 s75, exec_lo
	s_delay_alu instid0(VALU_DEP_1)
	v_cmpx_eq_u32_e32 0, v5
; %bb.9421:                             ;   in Loop: Header=BB4_8239 Depth=3
	v_clz_i32_u32_e32 v2, v2
	s_delay_alu instid0(VALU_DEP_1) | instskip(SKIP_1) | instid1(VALU_DEP_2)
	v_min_u32_e32 v2, 32, v2
	v_mov_b32_e32 v17, v3
	v_subrev_nc_u32_e32 v5, 29, v2
	s_delay_alu instid0(VALU_DEP_1) | instskip(NEXT) | instid1(VALU_DEP_1)
	v_lshlrev_b64_e32 v[16:17], v5, v[16:17]
	v_dual_sub_nc_u32 v5, 30, v2 :: v_dual_bitop2_b32 v2, 3, v16 bitop3:0x40
; %bb.9422:                             ;   in Loop: Header=BB4_8239 Depth=3
	s_or_b32 exec_lo, exec_lo, s75
	v_lshlrev_b32_e32 v16, 16, v13
	s_delay_alu instid0(VALU_DEP_1) | instskip(NEXT) | instid1(VALU_DEP_1)
	v_and_b32_e32 v16, 0x80000000, v16
	v_lshl_add_u32 v5, v5, 23, v16
	s_delay_alu instid0(VALU_DEP_1) | instskip(NEXT) | instid1(VALU_DEP_1)
	v_lshl_or_b32 v2, v2, 21, v5
	v_add_nc_u32_e32 v5, 0x38000000, v2
                                        ; implicit-def: $vgpr2
.LBB4_9423:                             ;   in Loop: Header=BB4_8239 Depth=3
	s_and_not1_saveexec_b32 s75, s13
; %bb.9424:                             ;   in Loop: Header=BB4_8239 Depth=3
	v_cmp_lt_i16_e64 s13, -1, v13
	v_cmp_eq_u32_e32 vcc_lo, 0, v2
	s_delay_alu instid0(VALU_DEP_2) | instskip(NEXT) | instid1(VALU_DEP_1)
	v_cndmask_b32_e64 v2, 0xff800000, v48, s13
	v_cndmask_b32_e32 v5, 0x7f800001, v2, vcc_lo
; %bb.9425:                             ;   in Loop: Header=BB4_8239 Depth=3
	s_or_b32 exec_lo, exec_lo, s75
.LBB4_9426:                             ;   in Loop: Header=BB4_8239 Depth=3
	s_delay_alu instid0(SALU_CYCLE_1)
	s_or_b32 exec_lo, exec_lo, s74
.LBB4_9427:                             ;   in Loop: Header=BB4_8239 Depth=3
	s_delay_alu instid0(SALU_CYCLE_1) | instskip(NEXT) | instid1(VALU_DEP_1)
	s_or_b32 exec_lo, exec_lo, s73
	v_dual_add_f32 v5, v18, v5 :: v_dual_mov_b32 v19, v3
	v_mov_b32_e32 v17, v3
                                        ; implicit-def: $vgpr62
	s_mov_b32 s13, exec_lo
	s_delay_alu instid0(VALU_DEP_2) | instskip(SKIP_2) | instid1(VALU_DEP_3)
	v_and_b32_e32 v18, 0x7f800000, v5
	v_and_b32_e32 v16, 0x7fffff, v5
	v_lshrrev_b32_e32 v2, 24, v5
	v_cmpx_ne_u64_e32 0x7f800000, v[18:19]
	s_xor_b32 s73, exec_lo, s13
	s_cbranch_execz .LBB4_9441
; %bb.9428:                             ;   in Loop: Header=BB4_8239 Depth=3
	v_and_b32_e32 v18, 0x7fffffff, v5
	v_mov_b32_e32 v19, v3
	v_and_b32_e32 v2, 0x80, v2
                                        ; implicit-def: $vgpr62
	s_mov_b32 s13, exec_lo
	s_delay_alu instid0(VALU_DEP_2)
	v_cmpx_gt_u64_e32 0x47600001, v[18:19]
	s_xor_b32 s74, exec_lo, s13
	s_cbranch_execz .LBB4_9438
; %bb.9429:                             ;   in Loop: Header=BB4_8239 Depth=3
	v_mov_b32_e32 v62, 0
	s_mov_b32 s75, exec_lo
	v_cmpx_ne_u32_e32 0, v5
	s_cbranch_execz .LBB4_9437
; %bb.9430:                             ;   in Loop: Header=BB4_8239 Depth=3
	v_bfe_u32 v5, v5, 23, 8
	v_or_b32_e32 v19, 0x800000, v16
	s_delay_alu instid0(VALU_DEP_2) | instskip(SKIP_2) | instid1(VALU_DEP_2)
	v_cmp_gt_u32_e64 s13, 0x72, v5
	v_sub_nc_u32_e32 v18, 0x71, v5
	v_cmp_eq_u32_e32 vcc_lo, 0, v5
	v_dual_cndmask_b32 v18, 0, v18, s13 :: v_dual_cndmask_b32 v16, v19, v16, vcc_lo
	s_delay_alu instid0(VALU_DEP_1) | instskip(NEXT) | instid1(VALU_DEP_1)
	v_cndmask_b32_e64 v86, v18, 0x70, vcc_lo
	v_dual_add_nc_u32 v18, 21, v86 :: v_dual_add_nc_u32 v87, 20, v86
	s_delay_alu instid0(VALU_DEP_1) | instskip(NEXT) | instid1(VALU_DEP_2)
	v_lshlrev_b64_e64 v[18:19], v18, -1
	v_lshlrev_b64_e64 v[96:97], v87, 1
	s_delay_alu instid0(VALU_DEP_2) | instskip(SKIP_1) | instid1(VALU_DEP_4)
	v_bfi_b32 v18, v18, 0, v16
	v_lshrrev_b64 v[16:17], v86, v[16:17]
	v_bfi_b32 v19, v19, 0, 0
	s_delay_alu instid0(VALU_DEP_1) | instskip(NEXT) | instid1(VALU_DEP_3)
	v_cmp_eq_u64_e64 s13, v[18:19], v[96:97]
	v_mov_b64_e32 v[18:19], v[16:17]
	s_and_saveexec_b32 s76, s13
; %bb.9431:                             ;   in Loop: Header=BB4_8239 Depth=3
	v_bfe_u32 v18, v16, 21, 1
	v_mov_b32_e32 v19, v3
	s_delay_alu instid0(VALU_DEP_1) | instskip(NEXT) | instid1(VALU_DEP_1)
	v_add_nc_u64_e32 v[18:19], v[16:17], v[18:19]
	v_add_nc_u64_e32 v[18:19], -1, v[18:19]
; %bb.9432:                             ;   in Loop: Header=BB4_8239 Depth=3
	s_or_b32 exec_lo, exec_lo, s76
	v_add_nc_u32_e32 v5, 0xffffff81, v5
	v_lshrrev_b32_e32 v17, 23, v16
	s_mov_b32 s13, exec_lo
	s_delay_alu instid0(VALU_DEP_2) | instskip(NEXT) | instid1(VALU_DEP_1)
	v_cndmask_b32_e64 v5, v5, 0xffffff82, vcc_lo
	v_add3_u32 v19, v86, v5, v17
	v_and_b32_e32 v5, 0x1fffff, v18
	s_delay_alu instid0(VALU_DEP_2) | instskip(NEXT) | instid1(VALU_DEP_2)
	v_dual_mov_b32 v17, v3 :: v_dual_add_nc_u32 v18, 14, v19
	v_add_nc_u32_e32 v16, v5, v16
                                        ; implicit-def: $vgpr5
	s_delay_alu instid0(VALU_DEP_2)
	v_cmpx_ne_u32_e32 0, v18
	s_xor_b32 s13, exec_lo, s13
; %bb.9433:                             ;   in Loop: Header=BB4_8239 Depth=3
	s_delay_alu instid0(VALU_DEP_2) | instskip(SKIP_1) | instid1(VALU_DEP_1)
	v_cmp_lt_u64_e32 vcc_lo, 0xffffff, v[16:17]
	v_add_nc_u32_e32 v5, 15, v19
	v_cndmask_b32_e32 v5, v18, v5, vcc_lo
	v_cndmask_b32_e64 v18, 0, 1, vcc_lo
	s_delay_alu instid0(VALU_DEP_1)
	v_lshrrev_b64 v[16:17], v18, v[16:17]
; %bb.9434:                             ;   in Loop: Header=BB4_8239 Depth=3
	s_and_not1_saveexec_b32 s13, s13
; %bb.9435:                             ;   in Loop: Header=BB4_8239 Depth=3
	s_delay_alu instid0(VALU_DEP_1)
	v_bfe_u32 v5, v16, 23, 1
; %bb.9436:                             ;   in Loop: Header=BB4_8239 Depth=3
	s_or_b32 exec_lo, exec_lo, s13
	s_delay_alu instid0(VALU_DEP_2) | instskip(NEXT) | instid1(VALU_DEP_2)
	v_lshrrev_b64 v[16:17], 21, v[16:17]
	v_cmp_gt_i32_e32 vcc_lo, 32, v5
	v_min_i32_e32 v18, 31, v5
	v_cmp_eq_u32_e64 s13, 0, v5
	s_delay_alu instid0(VALU_DEP_2) | instskip(SKIP_1) | instid1(VALU_DEP_2)
	v_dual_cndmask_b32 v16, 3, v16, vcc_lo :: v_dual_lshlrev_b32 v18, 2, v18
	v_cndmask_b32_e32 v17, 0, v17, vcc_lo
	v_and_b32_e32 v18, 0xfc, v18
	s_delay_alu instid0(VALU_DEP_2) | instskip(NEXT) | instid1(VALU_DEP_2)
	v_cmp_eq_u64_e32 vcc_lo, 0, v[16:17]
	v_and_or_b32 v5, v16, 3, v18
	s_and_b32 s13, s13, vcc_lo
	s_delay_alu instid0(VALU_DEP_1) | instid1(SALU_CYCLE_1)
	v_cndmask_b32_e64 v5, v5, 0, s13
	s_delay_alu instid0(VALU_DEP_1)
	v_or_b32_e32 v62, v5, v2
.LBB4_9437:                             ;   in Loop: Header=BB4_8239 Depth=3
	s_or_b32 exec_lo, exec_lo, s75
                                        ; implicit-def: $vgpr2
.LBB4_9438:                             ;   in Loop: Header=BB4_8239 Depth=3
	s_and_not1_saveexec_b32 s13, s74
; %bb.9439:                             ;   in Loop: Header=BB4_8239 Depth=3
	v_or_b32_e32 v62, 0x7b, v2
; %bb.9440:                             ;   in Loop: Header=BB4_8239 Depth=3
	s_or_b32 exec_lo, exec_lo, s13
                                        ; implicit-def: $vgpr5
                                        ; implicit-def: $vgpr16_vgpr17
                                        ; implicit-def: $vgpr2
.LBB4_9441:                             ;   in Loop: Header=BB4_8239 Depth=3
	s_and_not1_saveexec_b32 s13, s73
	s_cbranch_execz .LBB4_9447
; %bb.9442:                             ;   in Loop: Header=BB4_8239 Depth=3
	s_mov_b32 s73, exec_lo
                                        ; implicit-def: $vgpr62
	v_cmpx_ne_u64_e32 0, v[16:17]
	s_xor_b32 s73, exec_lo, s73
; %bb.9443:                             ;   in Loop: Header=BB4_8239 Depth=3
	v_or_b32_e32 v62, 0x7f, v2
                                        ; implicit-def: $vgpr5
; %bb.9444:                             ;   in Loop: Header=BB4_8239 Depth=3
	s_and_not1_saveexec_b32 s73, s73
; %bb.9445:                             ;   in Loop: Header=BB4_8239 Depth=3
	v_cmp_lt_i32_e32 vcc_lo, -1, v5
	v_cndmask_b32_e32 v62, 0xfc, v49, vcc_lo
; %bb.9446:                             ;   in Loop: Header=BB4_8239 Depth=3
	s_or_b32 exec_lo, exec_lo, s73
.LBB4_9447:                             ;   in Loop: Header=BB4_8239 Depth=3
	s_delay_alu instid0(SALU_CYCLE_1) | instskip(SKIP_3) | instid1(VALU_DEP_2)
	s_or_b32 exec_lo, exec_lo, s13
	v_dual_mov_b32 v5, 0 :: v_dual_lshrrev_b32 v2, 16, v4
	v_mov_b32_e32 v16, 0
	s_mov_b32 s73, exec_lo
	v_and_b32_e32 v17, 0xff, v2
	s_delay_alu instid0(VALU_DEP_1)
	v_cmpx_ne_u16_e32 0, v17
	s_cbranch_execz .LBB4_9457
; %bb.9448:                             ;   in Loop: Header=BB4_8239 Depth=3
	v_bfrev_b32_e32 v16, 1
	s_mov_b32 s74, exec_lo
	v_cmpx_ne_u16_e32 0x80, v17
	s_cbranch_execz .LBB4_9456
; %bb.9449:                             ;   in Loop: Header=BB4_8239 Depth=3
	v_and_b32_e32 v16, 0x7c0000, v4
	v_bfe_u32 v17, v4, 16, 2
	s_delay_alu instid0(VALU_DEP_2) | instskip(SKIP_1) | instid1(SALU_CYCLE_1)
	v_cmp_ne_u32_e32 vcc_lo, 0x7c0000, v16
                                        ; implicit-def: $vgpr16
	s_and_saveexec_b32 s13, vcc_lo
	s_xor_b32 s13, exec_lo, s13
	s_cbranch_execz .LBB4_9453
; %bb.9450:                             ;   in Loop: Header=BB4_8239 Depth=3
	v_bfe_u32 v16, v4, 18, 5
	s_mov_b32 s75, exec_lo
	s_delay_alu instid0(VALU_DEP_1)
	v_cmpx_eq_u32_e32 0, v16
; %bb.9451:                             ;   in Loop: Header=BB4_8239 Depth=3
	v_clz_i32_u32_e32 v16, v17
	s_delay_alu instid0(VALU_DEP_1) | instskip(NEXT) | instid1(VALU_DEP_1)
	v_min_u32_e32 v16, 32, v16
	v_subrev_nc_u32_e32 v17, 29, v16
	s_delay_alu instid0(VALU_DEP_1) | instskip(NEXT) | instid1(VALU_DEP_1)
	v_lshlrev_b64_e32 v[18:19], v17, v[2:3]
	v_dual_sub_nc_u32 v16, 30, v16 :: v_dual_bitop2_b32 v17, 3, v18 bitop3:0x40
; %bb.9452:                             ;   in Loop: Header=BB4_8239 Depth=3
	s_or_b32 exec_lo, exec_lo, s75
	v_lshlrev_b32_e32 v2, 24, v2
	s_delay_alu instid0(VALU_DEP_1) | instskip(NEXT) | instid1(VALU_DEP_1)
	v_and_b32_e32 v2, 0x80000000, v2
	v_lshl_add_u32 v2, v16, 23, v2
	s_delay_alu instid0(VALU_DEP_1) | instskip(NEXT) | instid1(VALU_DEP_1)
	v_lshl_or_b32 v2, v17, 21, v2
                                        ; implicit-def: $vgpr17
	v_add_nc_u32_e32 v16, 0x38000000, v2
                                        ; implicit-def: $vgpr2
.LBB4_9453:                             ;   in Loop: Header=BB4_8239 Depth=3
	s_and_not1_saveexec_b32 s75, s13
; %bb.9454:                             ;   in Loop: Header=BB4_8239 Depth=3
	v_bfe_i32 v2, v2, 0, 8
	v_cmp_eq_u32_e32 vcc_lo, 0, v17
	s_delay_alu instid0(VALU_DEP_2) | instskip(NEXT) | instid1(VALU_DEP_1)
	v_cmp_lt_i16_e64 s13, -1, v2
	v_cndmask_b32_e64 v2, 0xff800000, v48, s13
	s_delay_alu instid0(VALU_DEP_1)
	v_cndmask_b32_e32 v16, 0x7f800001, v2, vcc_lo
; %bb.9455:                             ;   in Loop: Header=BB4_8239 Depth=3
	s_or_b32 exec_lo, exec_lo, s75
.LBB4_9456:                             ;   in Loop: Header=BB4_8239 Depth=3
	s_delay_alu instid0(SALU_CYCLE_1)
	s_or_b32 exec_lo, exec_lo, s74
.LBB4_9457:                             ;   in Loop: Header=BB4_8239 Depth=3
	s_delay_alu instid0(SALU_CYCLE_1) | instskip(SKIP_2) | instid1(VALU_DEP_1)
	s_or_b32 exec_lo, exec_lo, s73
	v_lshrrev_b32_e32 v2, 16, v13
	s_mov_b32 s73, exec_lo
	v_and_b32_e32 v17, 0xff, v2
	s_delay_alu instid0(VALU_DEP_1)
	v_cmpx_ne_u16_e32 0, v17
	s_cbranch_execz .LBB4_9467
; %bb.9458:                             ;   in Loop: Header=BB4_8239 Depth=3
	v_bfrev_b32_e32 v5, 1
	s_mov_b32 s74, exec_lo
	v_cmpx_ne_u16_e32 0x80, v17
	s_cbranch_execz .LBB4_9466
; %bb.9459:                             ;   in Loop: Header=BB4_8239 Depth=3
	v_and_b32_e32 v5, 0x7c0000, v13
	v_bfe_u32 v17, v13, 16, 2
	s_delay_alu instid0(VALU_DEP_2) | instskip(SKIP_1) | instid1(SALU_CYCLE_1)
	v_cmp_ne_u32_e32 vcc_lo, 0x7c0000, v5
                                        ; implicit-def: $vgpr5
	s_and_saveexec_b32 s13, vcc_lo
	s_xor_b32 s13, exec_lo, s13
	s_cbranch_execz .LBB4_9463
; %bb.9460:                             ;   in Loop: Header=BB4_8239 Depth=3
	v_bfe_u32 v5, v13, 18, 5
	s_mov_b32 s75, exec_lo
	s_delay_alu instid0(VALU_DEP_1)
	v_cmpx_eq_u32_e32 0, v5
; %bb.9461:                             ;   in Loop: Header=BB4_8239 Depth=3
	v_clz_i32_u32_e32 v5, v17
	s_delay_alu instid0(VALU_DEP_1) | instskip(NEXT) | instid1(VALU_DEP_1)
	v_min_u32_e32 v5, 32, v5
	v_subrev_nc_u32_e32 v17, 29, v5
	s_delay_alu instid0(VALU_DEP_1) | instskip(NEXT) | instid1(VALU_DEP_1)
	v_lshlrev_b64_e32 v[18:19], v17, v[2:3]
	v_dual_sub_nc_u32 v5, 30, v5 :: v_dual_bitop2_b32 v17, 3, v18 bitop3:0x40
; %bb.9462:                             ;   in Loop: Header=BB4_8239 Depth=3
	s_or_b32 exec_lo, exec_lo, s75
	v_lshlrev_b32_e32 v2, 24, v2
	s_delay_alu instid0(VALU_DEP_1) | instskip(NEXT) | instid1(VALU_DEP_1)
	v_and_b32_e32 v2, 0x80000000, v2
	v_lshl_add_u32 v2, v5, 23, v2
	s_delay_alu instid0(VALU_DEP_1) | instskip(NEXT) | instid1(VALU_DEP_1)
	v_lshl_or_b32 v2, v17, 21, v2
                                        ; implicit-def: $vgpr17
	v_add_nc_u32_e32 v5, 0x38000000, v2
                                        ; implicit-def: $vgpr2
.LBB4_9463:                             ;   in Loop: Header=BB4_8239 Depth=3
	s_and_not1_saveexec_b32 s75, s13
; %bb.9464:                             ;   in Loop: Header=BB4_8239 Depth=3
	v_bfe_i32 v2, v2, 0, 8
	v_cmp_eq_u32_e32 vcc_lo, 0, v17
	s_delay_alu instid0(VALU_DEP_2) | instskip(NEXT) | instid1(VALU_DEP_1)
	v_cmp_lt_i16_e64 s13, -1, v2
	v_cndmask_b32_e64 v2, 0xff800000, v48, s13
	s_delay_alu instid0(VALU_DEP_1)
	v_cndmask_b32_e32 v5, 0x7f800001, v2, vcc_lo
; %bb.9465:                             ;   in Loop: Header=BB4_8239 Depth=3
	s_or_b32 exec_lo, exec_lo, s75
.LBB4_9466:                             ;   in Loop: Header=BB4_8239 Depth=3
	s_delay_alu instid0(SALU_CYCLE_1)
	s_or_b32 exec_lo, exec_lo, s74
.LBB4_9467:                             ;   in Loop: Header=BB4_8239 Depth=3
	s_delay_alu instid0(SALU_CYCLE_1) | instskip(NEXT) | instid1(VALU_DEP_1)
	s_or_b32 exec_lo, exec_lo, s73
	v_dual_add_f32 v5, v16, v5 :: v_dual_mov_b32 v19, v3
	s_delay_alu instid0(VALU_DEP_1) | instskip(SKIP_2) | instid1(VALU_DEP_2)
	v_dual_mov_b32 v17, v3 :: v_dual_lshrrev_b32 v2, 24, v5
	v_and_b32_e32 v18, 0x7f800000, v5
	v_and_b32_e32 v16, 0x7fffff, v5
	v_cmp_ne_u64_e32 vcc_lo, 0x7f800000, v[18:19]
                                        ; implicit-def: $vgpr18
	s_and_saveexec_b32 s13, vcc_lo
	s_delay_alu instid0(SALU_CYCLE_1)
	s_xor_b32 s73, exec_lo, s13
	s_cbranch_execz .LBB4_9481
; %bb.9468:                             ;   in Loop: Header=BB4_8239 Depth=3
	v_and_b32_e32 v18, 0x7fffffff, v5
	v_mov_b32_e32 v19, v3
	v_and_b32_e32 v2, 0x80, v2
	s_delay_alu instid0(VALU_DEP_2) | instskip(SKIP_1) | instid1(SALU_CYCLE_1)
	v_cmp_gt_u64_e32 vcc_lo, 0x47600001, v[18:19]
                                        ; implicit-def: $vgpr18
	s_and_saveexec_b32 s13, vcc_lo
	s_xor_b32 s74, exec_lo, s13
	s_cbranch_execz .LBB4_9478
; %bb.9469:                             ;   in Loop: Header=BB4_8239 Depth=3
	v_mov_b32_e32 v18, 0
	s_mov_b32 s75, exec_lo
	v_cmpx_ne_u32_e32 0, v5
	s_cbranch_execz .LBB4_9477
; %bb.9470:                             ;   in Loop: Header=BB4_8239 Depth=3
	v_bfe_u32 v5, v5, 23, 8
	v_or_b32_e32 v19, 0x800000, v16
	s_delay_alu instid0(VALU_DEP_2) | instskip(SKIP_2) | instid1(VALU_DEP_2)
	v_cmp_gt_u32_e64 s13, 0x72, v5
	v_sub_nc_u32_e32 v18, 0x71, v5
	v_cmp_eq_u32_e32 vcc_lo, 0, v5
	v_dual_cndmask_b32 v18, 0, v18, s13 :: v_dual_cndmask_b32 v16, v19, v16, vcc_lo
	s_delay_alu instid0(VALU_DEP_1) | instskip(NEXT) | instid1(VALU_DEP_1)
	v_cndmask_b32_e64 v86, v18, 0x70, vcc_lo
	v_dual_add_nc_u32 v18, 21, v86 :: v_dual_add_nc_u32 v87, 20, v86
	s_delay_alu instid0(VALU_DEP_1) | instskip(NEXT) | instid1(VALU_DEP_2)
	v_lshlrev_b64_e64 v[18:19], v18, -1
	v_lshlrev_b64_e64 v[96:97], v87, 1
	s_delay_alu instid0(VALU_DEP_2) | instskip(SKIP_1) | instid1(VALU_DEP_4)
	v_bfi_b32 v18, v18, 0, v16
	v_lshrrev_b64 v[16:17], v86, v[16:17]
	v_bfi_b32 v19, v19, 0, 0
	s_delay_alu instid0(VALU_DEP_1) | instskip(NEXT) | instid1(VALU_DEP_3)
	v_cmp_eq_u64_e64 s13, v[18:19], v[96:97]
	v_mov_b64_e32 v[18:19], v[16:17]
	s_and_saveexec_b32 s76, s13
; %bb.9471:                             ;   in Loop: Header=BB4_8239 Depth=3
	v_bfe_u32 v18, v16, 21, 1
	v_mov_b32_e32 v19, v3
	s_delay_alu instid0(VALU_DEP_1) | instskip(NEXT) | instid1(VALU_DEP_1)
	v_add_nc_u64_e32 v[18:19], v[16:17], v[18:19]
	v_add_nc_u64_e32 v[18:19], -1, v[18:19]
; %bb.9472:                             ;   in Loop: Header=BB4_8239 Depth=3
	s_or_b32 exec_lo, exec_lo, s76
	v_add_nc_u32_e32 v5, 0xffffff81, v5
	v_lshrrev_b32_e32 v17, 23, v16
	s_mov_b32 s13, exec_lo
	s_delay_alu instid0(VALU_DEP_2) | instskip(NEXT) | instid1(VALU_DEP_1)
	v_cndmask_b32_e64 v5, v5, 0xffffff82, vcc_lo
	v_add3_u32 v19, v86, v5, v17
	v_and_b32_e32 v5, 0x1fffff, v18
	s_delay_alu instid0(VALU_DEP_2) | instskip(NEXT) | instid1(VALU_DEP_2)
	v_dual_mov_b32 v17, v3 :: v_dual_add_nc_u32 v18, 14, v19
	v_add_nc_u32_e32 v16, v5, v16
                                        ; implicit-def: $vgpr5
	s_delay_alu instid0(VALU_DEP_2)
	v_cmpx_ne_u32_e32 0, v18
	s_xor_b32 s13, exec_lo, s13
; %bb.9473:                             ;   in Loop: Header=BB4_8239 Depth=3
	s_delay_alu instid0(VALU_DEP_2) | instskip(SKIP_1) | instid1(VALU_DEP_1)
	v_cmp_lt_u64_e32 vcc_lo, 0xffffff, v[16:17]
	v_add_nc_u32_e32 v5, 15, v19
	v_cndmask_b32_e32 v5, v18, v5, vcc_lo
	v_cndmask_b32_e64 v18, 0, 1, vcc_lo
	s_delay_alu instid0(VALU_DEP_1)
	v_lshrrev_b64 v[16:17], v18, v[16:17]
; %bb.9474:                             ;   in Loop: Header=BB4_8239 Depth=3
	s_and_not1_saveexec_b32 s13, s13
; %bb.9475:                             ;   in Loop: Header=BB4_8239 Depth=3
	s_delay_alu instid0(VALU_DEP_1)
	v_bfe_u32 v5, v16, 23, 1
; %bb.9476:                             ;   in Loop: Header=BB4_8239 Depth=3
	s_or_b32 exec_lo, exec_lo, s13
	s_delay_alu instid0(VALU_DEP_2) | instskip(NEXT) | instid1(VALU_DEP_2)
	v_lshrrev_b64 v[16:17], 21, v[16:17]
	v_cmp_gt_i32_e32 vcc_lo, 32, v5
	v_min_i32_e32 v18, 31, v5
	v_cmp_eq_u32_e64 s13, 0, v5
	s_delay_alu instid0(VALU_DEP_2) | instskip(SKIP_1) | instid1(VALU_DEP_2)
	v_dual_cndmask_b32 v16, 3, v16, vcc_lo :: v_dual_lshlrev_b32 v18, 2, v18
	v_cndmask_b32_e32 v17, 0, v17, vcc_lo
	v_and_b32_e32 v18, 0xfc, v18
	s_delay_alu instid0(VALU_DEP_2) | instskip(NEXT) | instid1(VALU_DEP_2)
	v_cmp_eq_u64_e32 vcc_lo, 0, v[16:17]
	v_and_or_b32 v5, v16, 3, v18
	s_and_b32 s13, s13, vcc_lo
	s_delay_alu instid0(VALU_DEP_1) | instid1(SALU_CYCLE_1)
	v_cndmask_b32_e64 v5, v5, 0, s13
	s_delay_alu instid0(VALU_DEP_1)
	v_or_b32_e32 v18, v5, v2
.LBB4_9477:                             ;   in Loop: Header=BB4_8239 Depth=3
	s_or_b32 exec_lo, exec_lo, s75
                                        ; implicit-def: $vgpr2
.LBB4_9478:                             ;   in Loop: Header=BB4_8239 Depth=3
	s_and_not1_saveexec_b32 s13, s74
; %bb.9479:                             ;   in Loop: Header=BB4_8239 Depth=3
	v_or_b32_e32 v18, 0x7b, v2
; %bb.9480:                             ;   in Loop: Header=BB4_8239 Depth=3
	s_or_b32 exec_lo, exec_lo, s13
                                        ; implicit-def: $vgpr5
                                        ; implicit-def: $vgpr16_vgpr17
                                        ; implicit-def: $vgpr2
.LBB4_9481:                             ;   in Loop: Header=BB4_8239 Depth=3
	s_and_not1_saveexec_b32 s13, s73
	s_cbranch_execz .LBB4_9487
; %bb.9482:                             ;   in Loop: Header=BB4_8239 Depth=3
	s_mov_b32 s73, exec_lo
                                        ; implicit-def: $vgpr18
	v_cmpx_ne_u64_e32 0, v[16:17]
	s_xor_b32 s73, exec_lo, s73
; %bb.9483:                             ;   in Loop: Header=BB4_8239 Depth=3
	v_or_b32_e32 v18, 0x7f, v2
                                        ; implicit-def: $vgpr5
; %bb.9484:                             ;   in Loop: Header=BB4_8239 Depth=3
	s_and_not1_saveexec_b32 s73, s73
; %bb.9485:                             ;   in Loop: Header=BB4_8239 Depth=3
	v_cmp_lt_i32_e32 vcc_lo, -1, v5
	v_cndmask_b32_e32 v18, 0xfc, v49, vcc_lo
; %bb.9486:                             ;   in Loop: Header=BB4_8239 Depth=3
	s_or_b32 exec_lo, exec_lo, s73
.LBB4_9487:                             ;   in Loop: Header=BB4_8239 Depth=3
	s_delay_alu instid0(SALU_CYCLE_1)
	s_or_b32 exec_lo, exec_lo, s13
	v_dual_mov_b32 v16, 0 :: v_dual_mov_b32 v17, 0
	s_mov_b32 s73, exec_lo
	v_cmpx_lt_u32_e32 0xffffff, v4
	s_cbranch_execz .LBB4_9497
; %bb.9488:                             ;   in Loop: Header=BB4_8239 Depth=3
	v_lshrrev_b32_e32 v2, 24, v4
	v_bfrev_b32_e32 v17, 1
	s_mov_b32 s74, exec_lo
	s_delay_alu instid0(VALU_DEP_2)
	v_cmpx_ne_u32_e32 0x80, v2
	s_cbranch_execz .LBB4_9496
; %bb.9489:                             ;   in Loop: Header=BB4_8239 Depth=3
	v_and_b32_e32 v5, 0x7c000000, v4
	v_bfe_u32 v19, v4, 24, 2
	s_mov_b32 s13, exec_lo
                                        ; implicit-def: $vgpr17
	s_delay_alu instid0(VALU_DEP_2)
	v_cmpx_ne_u32_e32 0x7c000000, v5
	s_xor_b32 s13, exec_lo, s13
	s_cbranch_execz .LBB4_9493
; %bb.9490:                             ;   in Loop: Header=BB4_8239 Depth=3
	v_bfe_u32 v5, v4, 26, 5
	s_mov_b32 s75, exec_lo
	s_delay_alu instid0(VALU_DEP_1)
	v_cmpx_eq_u32_e32 0, v5
; %bb.9491:                             ;   in Loop: Header=BB4_8239 Depth=3
	v_clz_i32_u32_e32 v5, v19
	s_delay_alu instid0(VALU_DEP_1) | instskip(NEXT) | instid1(VALU_DEP_1)
	v_min_u32_e32 v5, 32, v5
	v_subrev_nc_u32_e32 v17, 29, v5
	s_delay_alu instid0(VALU_DEP_1) | instskip(NEXT) | instid1(VALU_DEP_1)
	v_lshlrev_b64_e32 v[86:87], v17, v[2:3]
	v_dual_sub_nc_u32 v5, 30, v5 :: v_dual_bitop2_b32 v19, 3, v86 bitop3:0x40
; %bb.9492:                             ;   in Loop: Header=BB4_8239 Depth=3
	s_or_b32 exec_lo, exec_lo, s75
	v_and_b32_e32 v2, 0x80000000, v4
	s_delay_alu instid0(VALU_DEP_1) | instskip(NEXT) | instid1(VALU_DEP_1)
	v_lshl_add_u32 v2, v5, 23, v2
                                        ; implicit-def: $vgpr4_vgpr5
	v_lshl_or_b32 v2, v19, 21, v2
                                        ; implicit-def: $vgpr19
	s_delay_alu instid0(VALU_DEP_1)
	v_add_nc_u32_e32 v17, 0x38000000, v2
.LBB4_9493:                             ;   in Loop: Header=BB4_8239 Depth=3
	s_and_not1_saveexec_b32 s75, s13
; %bb.9494:                             ;   in Loop: Header=BB4_8239 Depth=3
	v_cmp_lt_i32_e64 s13, -1, v4
	v_cmp_eq_u32_e32 vcc_lo, 0, v19
	s_delay_alu instid0(VALU_DEP_2) | instskip(NEXT) | instid1(VALU_DEP_1)
	v_cndmask_b32_e64 v2, 0xff800000, v48, s13
	v_cndmask_b32_e32 v17, 0x7f800001, v2, vcc_lo
; %bb.9495:                             ;   in Loop: Header=BB4_8239 Depth=3
	s_or_b32 exec_lo, exec_lo, s75
.LBB4_9496:                             ;   in Loop: Header=BB4_8239 Depth=3
	s_delay_alu instid0(SALU_CYCLE_1)
	s_or_b32 exec_lo, exec_lo, s74
.LBB4_9497:                             ;   in Loop: Header=BB4_8239 Depth=3
	s_delay_alu instid0(SALU_CYCLE_1) | instskip(NEXT) | instid1(SALU_CYCLE_1)
	s_or_b32 exec_lo, exec_lo, s73
	s_mov_b32 s73, exec_lo
	v_cmpx_lt_u64_e64 s[22:23], v[12:13]
	s_cbranch_execz .LBB4_9507
; %bb.9498:                             ;   in Loop: Header=BB4_8239 Depth=3
	v_lshrrev_b32_e32 v2, 24, v13
	v_bfrev_b32_e32 v16, 1
	s_mov_b32 s74, exec_lo
	s_delay_alu instid0(VALU_DEP_2)
	v_cmpx_ne_u32_e32 0x80, v2
	s_cbranch_execz .LBB4_9506
; %bb.9499:                             ;   in Loop: Header=BB4_8239 Depth=3
	v_and_b32_e32 v5, 0x7c000000, v13
	v_bfe_u32 v4, v13, 24, 2
	s_mov_b32 s13, exec_lo
                                        ; implicit-def: $vgpr16
	s_delay_alu instid0(VALU_DEP_2)
	v_cmpx_ne_u32_e32 0x7c000000, v5
	s_xor_b32 s13, exec_lo, s13
	s_cbranch_execz .LBB4_9503
; %bb.9500:                             ;   in Loop: Header=BB4_8239 Depth=3
	v_bfe_u32 v5, v13, 26, 5
	s_mov_b32 s75, exec_lo
	s_delay_alu instid0(VALU_DEP_1)
	v_cmpx_eq_u32_e32 0, v5
; %bb.9501:                             ;   in Loop: Header=BB4_8239 Depth=3
	v_clz_i32_u32_e32 v4, v4
	s_delay_alu instid0(VALU_DEP_1) | instskip(NEXT) | instid1(VALU_DEP_1)
	v_min_u32_e32 v16, 32, v4
	v_subrev_nc_u32_e32 v4, 29, v16
	s_delay_alu instid0(VALU_DEP_1) | instskip(SKIP_1) | instid1(VALU_DEP_2)
	v_lshlrev_b64_e32 v[4:5], v4, v[2:3]
	v_sub_nc_u32_e32 v5, 30, v16
	v_and_b32_e32 v4, 3, v4
; %bb.9502:                             ;   in Loop: Header=BB4_8239 Depth=3
	s_or_b32 exec_lo, exec_lo, s75
	v_and_b32_e32 v2, 0x80000000, v13
	s_delay_alu instid0(VALU_DEP_1) | instskip(NEXT) | instid1(VALU_DEP_1)
	v_lshl_add_u32 v2, v5, 23, v2
	v_lshl_or_b32 v2, v4, 21, v2
                                        ; implicit-def: $vgpr4
	s_delay_alu instid0(VALU_DEP_1)
	v_add_nc_u32_e32 v16, 0x38000000, v2
.LBB4_9503:                             ;   in Loop: Header=BB4_8239 Depth=3
	s_and_not1_saveexec_b32 s75, s13
; %bb.9504:                             ;   in Loop: Header=BB4_8239 Depth=3
	v_cmp_lt_i64_e64 s13, -1, v[12:13]
	v_cmp_eq_u32_e32 vcc_lo, 0, v4
	s_delay_alu instid0(VALU_DEP_2) | instskip(NEXT) | instid1(VALU_DEP_1)
	v_cndmask_b32_e64 v2, 0xff800000, v48, s13
	v_cndmask_b32_e32 v16, 0x7f800001, v2, vcc_lo
; %bb.9505:                             ;   in Loop: Header=BB4_8239 Depth=3
	s_or_b32 exec_lo, exec_lo, s75
.LBB4_9506:                             ;   in Loop: Header=BB4_8239 Depth=3
	s_delay_alu instid0(SALU_CYCLE_1)
	s_or_b32 exec_lo, exec_lo, s74
.LBB4_9507:                             ;   in Loop: Header=BB4_8239 Depth=3
	s_delay_alu instid0(SALU_CYCLE_1) | instskip(NEXT) | instid1(VALU_DEP_1)
	s_or_b32 exec_lo, exec_lo, s73
	v_dual_add_f32 v12, v17, v16 :: v_dual_mov_b32 v17, v3
	v_mov_b32_e32 v5, v3
                                        ; implicit-def: $vgpr19
	s_mov_b32 s13, exec_lo
	s_delay_alu instid0(VALU_DEP_2) | instskip(SKIP_2) | instid1(VALU_DEP_3)
	v_and_b32_e32 v16, 0x7f800000, v12
	v_and_b32_e32 v4, 0x7fffff, v12
	v_lshrrev_b32_e32 v2, 24, v12
	v_cmpx_ne_u64_e32 0x7f800000, v[16:17]
	s_xor_b32 s73, exec_lo, s13
	s_cbranch_execz .LBB4_9521
; %bb.9508:                             ;   in Loop: Header=BB4_8239 Depth=3
	v_and_b32_e32 v16, 0x7fffffff, v12
	v_mov_b32_e32 v17, v3
	v_and_b32_e32 v2, 0x80, v2
                                        ; implicit-def: $vgpr19
	s_mov_b32 s13, exec_lo
	s_delay_alu instid0(VALU_DEP_2)
	v_cmpx_gt_u64_e32 0x47600001, v[16:17]
	s_xor_b32 s74, exec_lo, s13
	s_cbranch_execz .LBB4_9518
; %bb.9509:                             ;   in Loop: Header=BB4_8239 Depth=3
	v_mov_b32_e32 v19, 0
	s_mov_b32 s75, exec_lo
	v_cmpx_ne_u32_e32 0, v12
	s_cbranch_execz .LBB4_9517
; %bb.9510:                             ;   in Loop: Header=BB4_8239 Depth=3
	v_bfe_u32 v16, v12, 23, 8
	v_or_b32_e32 v13, 0x800000, v4
	s_delay_alu instid0(VALU_DEP_2) | instskip(SKIP_2) | instid1(VALU_DEP_2)
	v_cmp_gt_u32_e64 s13, 0x72, v16
	v_sub_nc_u32_e32 v12, 0x71, v16
	v_cmp_eq_u32_e32 vcc_lo, 0, v16
	v_cndmask_b32_e64 v12, 0, v12, s13
	s_delay_alu instid0(VALU_DEP_1) | instskip(NEXT) | instid1(VALU_DEP_1)
	v_cndmask_b32_e64 v17, v12, 0x70, vcc_lo
	v_dual_cndmask_b32 v4, v13, v4, vcc_lo :: v_dual_add_nc_u32 v12, 21, v17
	v_add_nc_u32_e32 v19, 20, v17
	s_delay_alu instid0(VALU_DEP_2) | instskip(NEXT) | instid1(VALU_DEP_2)
	v_lshlrev_b64_e64 v[12:13], v12, -1
	v_lshlrev_b64_e64 v[86:87], v19, 1
	s_delay_alu instid0(VALU_DEP_2) | instskip(SKIP_1) | instid1(VALU_DEP_4)
	v_bfi_b32 v12, v12, 0, v4
	v_lshrrev_b64 v[4:5], v17, v[4:5]
	v_bfi_b32 v13, v13, 0, 0
	s_delay_alu instid0(VALU_DEP_1) | instskip(NEXT) | instid1(VALU_DEP_3)
	v_cmp_eq_u64_e64 s13, v[12:13], v[86:87]
	v_mov_b64_e32 v[12:13], v[4:5]
	s_and_saveexec_b32 s76, s13
; %bb.9511:                             ;   in Loop: Header=BB4_8239 Depth=3
	v_bfe_u32 v12, v4, 21, 1
	v_mov_b32_e32 v13, v3
	s_delay_alu instid0(VALU_DEP_1) | instskip(NEXT) | instid1(VALU_DEP_1)
	v_add_nc_u64_e32 v[12:13], v[4:5], v[12:13]
	v_add_nc_u64_e32 v[12:13], -1, v[12:13]
; %bb.9512:                             ;   in Loop: Header=BB4_8239 Depth=3
	s_or_b32 exec_lo, exec_lo, s76
	v_add_nc_u32_e32 v5, 0xffffff81, v16
	v_lshrrev_b32_e32 v13, 23, v4
	s_mov_b32 s13, exec_lo
	s_delay_alu instid0(VALU_DEP_2) | instskip(NEXT) | instid1(VALU_DEP_1)
	v_cndmask_b32_e64 v5, v5, 0xffffff82, vcc_lo
	v_add3_u32 v16, v17, v5, v13
	v_and_b32_e32 v5, 0x1fffff, v12
                                        ; implicit-def: $vgpr12
	s_delay_alu instid0(VALU_DEP_2) | instskip(NEXT) | instid1(VALU_DEP_2)
	v_add_nc_u32_e32 v13, 14, v16
	v_dual_mov_b32 v5, v3 :: v_dual_add_nc_u32 v4, v5, v4
	s_delay_alu instid0(VALU_DEP_2)
	v_cmpx_ne_u32_e32 0, v13
	s_xor_b32 s13, exec_lo, s13
; %bb.9513:                             ;   in Loop: Header=BB4_8239 Depth=3
	s_delay_alu instid0(VALU_DEP_2) | instskip(SKIP_1) | instid1(VALU_DEP_1)
	v_cmp_lt_u64_e32 vcc_lo, 0xffffff, v[4:5]
	v_add_nc_u32_e32 v12, 15, v16
	v_cndmask_b32_e32 v12, v13, v12, vcc_lo
	v_cndmask_b32_e64 v13, 0, 1, vcc_lo
	s_delay_alu instid0(VALU_DEP_1)
	v_lshrrev_b64 v[4:5], v13, v[4:5]
; %bb.9514:                             ;   in Loop: Header=BB4_8239 Depth=3
	s_and_not1_saveexec_b32 s13, s13
; %bb.9515:                             ;   in Loop: Header=BB4_8239 Depth=3
	s_delay_alu instid0(VALU_DEP_1)
	v_bfe_u32 v12, v4, 23, 1
; %bb.9516:                             ;   in Loop: Header=BB4_8239 Depth=3
	s_or_b32 exec_lo, exec_lo, s13
	s_delay_alu instid0(VALU_DEP_2) | instskip(NEXT) | instid1(VALU_DEP_2)
	v_lshrrev_b64 v[4:5], 21, v[4:5]
	v_cmp_gt_i32_e32 vcc_lo, 32, v12
	v_min_i32_e32 v13, 31, v12
	v_cmp_eq_u32_e64 s13, 0, v12
	s_delay_alu instid0(VALU_DEP_4) | instskip(NEXT) | instid1(VALU_DEP_3)
	v_cndmask_b32_e32 v5, 0, v5, vcc_lo
	v_dual_cndmask_b32 v4, 3, v4 :: v_dual_lshlrev_b32 v13, 2, v13
	s_delay_alu instid0(VALU_DEP_1) | instskip(NEXT) | instid1(VALU_DEP_2)
	v_and_b32_e32 v13, 0xfc, v13
	v_cmp_eq_u64_e32 vcc_lo, 0, v[4:5]
	s_delay_alu instid0(VALU_DEP_2)
	v_and_or_b32 v4, v4, 3, v13
	s_and_b32 s13, s13, vcc_lo
	s_delay_alu instid0(VALU_DEP_1) | instid1(SALU_CYCLE_1)
	v_cndmask_b32_e64 v4, v4, 0, s13
	s_delay_alu instid0(VALU_DEP_1)
	v_or_b32_e32 v19, v4, v2
.LBB4_9517:                             ;   in Loop: Header=BB4_8239 Depth=3
	s_or_b32 exec_lo, exec_lo, s75
                                        ; implicit-def: $vgpr2
.LBB4_9518:                             ;   in Loop: Header=BB4_8239 Depth=3
	s_and_not1_saveexec_b32 s13, s74
; %bb.9519:                             ;   in Loop: Header=BB4_8239 Depth=3
	v_or_b32_e32 v19, 0x7b, v2
; %bb.9520:                             ;   in Loop: Header=BB4_8239 Depth=3
	s_or_b32 exec_lo, exec_lo, s13
                                        ; implicit-def: $vgpr12
                                        ; implicit-def: $vgpr4_vgpr5
                                        ; implicit-def: $vgpr2
.LBB4_9521:                             ;   in Loop: Header=BB4_8239 Depth=3
	s_and_not1_saveexec_b32 s13, s73
	s_cbranch_execz .LBB4_9527
; %bb.9522:                             ;   in Loop: Header=BB4_8239 Depth=3
	s_mov_b32 s73, exec_lo
                                        ; implicit-def: $vgpr19
	v_cmpx_ne_u64_e32 0, v[4:5]
	s_xor_b32 s73, exec_lo, s73
; %bb.9523:                             ;   in Loop: Header=BB4_8239 Depth=3
	v_or_b32_e32 v19, 0x7f, v2
                                        ; implicit-def: $vgpr12
; %bb.9524:                             ;   in Loop: Header=BB4_8239 Depth=3
	s_and_not1_saveexec_b32 s73, s73
; %bb.9525:                             ;   in Loop: Header=BB4_8239 Depth=3
	v_cmp_lt_i32_e32 vcc_lo, -1, v12
	v_cndmask_b32_e32 v19, 0xfc, v49, vcc_lo
; %bb.9526:                             ;   in Loop: Header=BB4_8239 Depth=3
	s_or_b32 exec_lo, exec_lo, s73
.LBB4_9527:                             ;   in Loop: Header=BB4_8239 Depth=3
	s_delay_alu instid0(SALU_CYCLE_1) | instskip(SKIP_4) | instid1(VALU_DEP_2)
	s_or_b32 exec_lo, exec_lo, s13
	v_lshl_or_b32 v2, v75, 8, v73
	v_dual_lshlrev_b32 v4, 16, v77 :: v_dual_lshlrev_b32 v12, 24, v78
	v_dual_mov_b32 v5, v3 :: v_dual_mov_b32 v13, 0
	s_mov_b32 s73, exec_lo
	v_or3_b32 v4, v4, v12, v2
	v_mov_b32_e32 v12, 0
	v_cmpx_ne_u32_e32 0, v73
	s_cbranch_execz .LBB4_9537
; %bb.9528:                             ;   in Loop: Header=BB4_8239 Depth=3
	v_bfrev_b32_e32 v13, 1
	s_mov_b32 s74, exec_lo
	v_cmpx_ne_u32_e32 0x80, v73
	s_cbranch_execz .LBB4_9536
; %bb.9529:                             ;   in Loop: Header=BB4_8239 Depth=3
	v_and_b32_e32 v13, 0x7c, v73
	v_and_b32_e32 v16, 3, v73
	s_delay_alu instid0(VALU_DEP_2) | instskip(SKIP_1) | instid1(SALU_CYCLE_1)
	v_cmp_ne_u32_e32 vcc_lo, 0x7c, v13
                                        ; implicit-def: $vgpr13
	s_and_saveexec_b32 s13, vcc_lo
	s_xor_b32 s13, exec_lo, s13
	s_cbranch_execz .LBB4_9533
; %bb.9530:                             ;   in Loop: Header=BB4_8239 Depth=3
	v_bfe_u32 v13, v73, 2, 5
	s_mov_b32 s75, exec_lo
	s_delay_alu instid0(VALU_DEP_1)
	v_cmpx_eq_u32_e32 0, v13
; %bb.9531:                             ;   in Loop: Header=BB4_8239 Depth=3
	v_clz_i32_u32_e32 v13, v16
	s_delay_alu instid0(VALU_DEP_1) | instskip(NEXT) | instid1(VALU_DEP_1)
	v_min_u32_e32 v13, 32, v13
	v_subrev_nc_u32_e32 v16, 29, v13
	s_delay_alu instid0(VALU_DEP_1) | instskip(NEXT) | instid1(VALU_DEP_1)
	v_lshlrev_b64_e32 v[16:17], v16, v[4:5]
	v_dual_sub_nc_u32 v13, 30, v13 :: v_dual_bitop2_b32 v16, 3, v16 bitop3:0x40
; %bb.9532:                             ;   in Loop: Header=BB4_8239 Depth=3
	s_or_b32 exec_lo, exec_lo, s75
	v_lshlrev_b32_e32 v5, 24, v73
                                        ; implicit-def: $vgpr73
	s_delay_alu instid0(VALU_DEP_1) | instskip(NEXT) | instid1(VALU_DEP_1)
	v_and_b32_e32 v5, 0x80000000, v5
	v_lshl_add_u32 v5, v13, 23, v5
	s_delay_alu instid0(VALU_DEP_1) | instskip(NEXT) | instid1(VALU_DEP_1)
	v_lshl_or_b32 v5, v16, 21, v5
                                        ; implicit-def: $vgpr16
	v_add_nc_u32_e32 v13, 0x38000000, v5
.LBB4_9533:                             ;   in Loop: Header=BB4_8239 Depth=3
	s_and_not1_saveexec_b32 s75, s13
; %bb.9534:                             ;   in Loop: Header=BB4_8239 Depth=3
	v_and_b32_e32 v5, 0x80, v73
	v_cmp_eq_u32_e32 vcc_lo, 0, v16
	s_delay_alu instid0(VALU_DEP_2) | instskip(NEXT) | instid1(VALU_DEP_1)
	v_cmp_eq_u32_e64 s13, 0, v5
	v_cndmask_b32_e64 v5, 0xff800000, v48, s13
	s_delay_alu instid0(VALU_DEP_1)
	v_cndmask_b32_e32 v13, 0x7f800001, v5, vcc_lo
; %bb.9535:                             ;   in Loop: Header=BB4_8239 Depth=3
	s_or_b32 exec_lo, exec_lo, s75
.LBB4_9536:                             ;   in Loop: Header=BB4_8239 Depth=3
	s_delay_alu instid0(SALU_CYCLE_1)
	s_or_b32 exec_lo, exec_lo, s74
.LBB4_9537:                             ;   in Loop: Header=BB4_8239 Depth=3
	s_delay_alu instid0(SALU_CYCLE_1) | instskip(SKIP_2) | instid1(VALU_DEP_1)
	s_or_b32 exec_lo, exec_lo, s73
	v_and_b32_e32 v5, 0xff, v14
	s_mov_b32 s73, exec_lo
	v_cmpx_ne_u16_e32 0, v5
	s_cbranch_execz .LBB4_9547
; %bb.9538:                             ;   in Loop: Header=BB4_8239 Depth=3
	v_bfe_i32 v16, v14, 0, 8
	v_bfrev_b32_e32 v12, 1
	s_mov_b32 s74, exec_lo
	s_delay_alu instid0(VALU_DEP_2)
	v_cmpx_ne_u16_e32 0xff80, v16
	s_cbranch_execz .LBB4_9546
; %bb.9539:                             ;   in Loop: Header=BB4_8239 Depth=3
	v_and_b32_e32 v12, 0x7c, v14
	v_and_b32_e32 v5, 3, v14
	s_delay_alu instid0(VALU_DEP_2) | instskip(SKIP_1) | instid1(SALU_CYCLE_1)
	v_cmp_ne_u32_e32 vcc_lo, 0x7c, v12
                                        ; implicit-def: $vgpr12
	s_and_saveexec_b32 s13, vcc_lo
	s_xor_b32 s13, exec_lo, s13
	s_cbranch_execz .LBB4_9543
; %bb.9540:                             ;   in Loop: Header=BB4_8239 Depth=3
	v_bfe_u32 v12, v14, 2, 5
	s_mov_b32 s75, exec_lo
	s_delay_alu instid0(VALU_DEP_1)
	v_cmpx_eq_u32_e32 0, v12
; %bb.9541:                             ;   in Loop: Header=BB4_8239 Depth=3
	v_clz_i32_u32_e32 v5, v5
	s_delay_alu instid0(VALU_DEP_1) | instskip(NEXT) | instid1(VALU_DEP_1)
	v_min_u32_e32 v5, 32, v5
	v_subrev_nc_u32_e32 v12, 29, v5
	s_delay_alu instid0(VALU_DEP_1) | instskip(NEXT) | instid1(VALU_DEP_1)
	v_lshlrev_b64_e32 v[16:17], v12, v[14:15]
	v_dual_sub_nc_u32 v12, 30, v5 :: v_dual_bitop2_b32 v5, 3, v16 bitop3:0x40
; %bb.9542:                             ;   in Loop: Header=BB4_8239 Depth=3
	s_or_b32 exec_lo, exec_lo, s75
	v_lshlrev_b32_e32 v16, 24, v14
	s_delay_alu instid0(VALU_DEP_1) | instskip(NEXT) | instid1(VALU_DEP_1)
	v_and_b32_e32 v16, 0x80000000, v16
	v_lshl_add_u32 v12, v12, 23, v16
                                        ; implicit-def: $vgpr16
	s_delay_alu instid0(VALU_DEP_1) | instskip(NEXT) | instid1(VALU_DEP_1)
	v_lshl_or_b32 v5, v5, 21, v12
	v_add_nc_u32_e32 v12, 0x38000000, v5
                                        ; implicit-def: $vgpr5
.LBB4_9543:                             ;   in Loop: Header=BB4_8239 Depth=3
	s_and_not1_saveexec_b32 s75, s13
; %bb.9544:                             ;   in Loop: Header=BB4_8239 Depth=3
	v_cmp_lt_i16_e64 s13, -1, v16
	v_cmp_eq_u32_e32 vcc_lo, 0, v5
	s_delay_alu instid0(VALU_DEP_2) | instskip(NEXT) | instid1(VALU_DEP_1)
	v_cndmask_b32_e64 v5, 0xff800000, v48, s13
	v_cndmask_b32_e32 v12, 0x7f800001, v5, vcc_lo
; %bb.9545:                             ;   in Loop: Header=BB4_8239 Depth=3
	s_or_b32 exec_lo, exec_lo, s75
.LBB4_9546:                             ;   in Loop: Header=BB4_8239 Depth=3
	s_delay_alu instid0(SALU_CYCLE_1)
	s_or_b32 exec_lo, exec_lo, s74
.LBB4_9547:                             ;   in Loop: Header=BB4_8239 Depth=3
	s_delay_alu instid0(SALU_CYCLE_1) | instskip(NEXT) | instid1(VALU_DEP_1)
	s_or_b32 exec_lo, exec_lo, s73
	v_dual_add_f32 v16, v13, v12 :: v_dual_mov_b32 v87, v3
	v_mov_b32_e32 v13, v3
                                        ; implicit-def: $vgpr73
	s_mov_b32 s13, exec_lo
	s_delay_alu instid0(VALU_DEP_2) | instskip(SKIP_2) | instid1(VALU_DEP_3)
	v_and_b32_e32 v86, 0x7f800000, v16
	v_and_b32_e32 v12, 0x7fffff, v16
	v_lshrrev_b32_e32 v5, 24, v16
	v_cmpx_ne_u64_e32 0x7f800000, v[86:87]
	s_xor_b32 s73, exec_lo, s13
	s_cbranch_execz .LBB4_9561
; %bb.9548:                             ;   in Loop: Header=BB4_8239 Depth=3
	v_and_b32_e32 v86, 0x7fffffff, v16
	v_mov_b32_e32 v87, v3
	v_and_b32_e32 v5, 0x80, v5
                                        ; implicit-def: $vgpr73
	s_mov_b32 s13, exec_lo
	s_delay_alu instid0(VALU_DEP_2)
	v_cmpx_gt_u64_e32 0x47600001, v[86:87]
	s_xor_b32 s74, exec_lo, s13
	s_cbranch_execz .LBB4_9558
; %bb.9549:                             ;   in Loop: Header=BB4_8239 Depth=3
	v_mov_b32_e32 v73, 0
	s_mov_b32 s75, exec_lo
	v_cmpx_ne_u32_e32 0, v16
	s_cbranch_execz .LBB4_9557
; %bb.9550:                             ;   in Loop: Header=BB4_8239 Depth=3
	v_bfe_u32 v73, v16, 23, 8
	v_or_b32_e32 v17, 0x800000, v12
	s_delay_alu instid0(VALU_DEP_2) | instskip(SKIP_2) | instid1(VALU_DEP_2)
	v_cmp_gt_u32_e64 s13, 0x72, v73
	v_sub_nc_u32_e32 v16, 0x71, v73
	v_cmp_eq_u32_e32 vcc_lo, 0, v73
	v_cndmask_b32_e64 v16, 0, v16, s13
	s_delay_alu instid0(VALU_DEP_1) | instskip(NEXT) | instid1(VALU_DEP_1)
	v_cndmask_b32_e64 v86, v16, 0x70, vcc_lo
	v_dual_cndmask_b32 v12, v17, v12, vcc_lo :: v_dual_add_nc_u32 v16, 21, v86
	v_add_nc_u32_e32 v87, 20, v86
	s_delay_alu instid0(VALU_DEP_2) | instskip(NEXT) | instid1(VALU_DEP_2)
	v_lshlrev_b64_e64 v[16:17], v16, -1
	v_lshlrev_b64_e64 v[96:97], v87, 1
	s_delay_alu instid0(VALU_DEP_2) | instskip(SKIP_1) | instid1(VALU_DEP_4)
	v_bfi_b32 v16, v16, 0, v12
	v_lshrrev_b64 v[12:13], v86, v[12:13]
	v_bfi_b32 v17, v17, 0, 0
	s_delay_alu instid0(VALU_DEP_1) | instskip(NEXT) | instid1(VALU_DEP_3)
	v_cmp_eq_u64_e64 s13, v[16:17], v[96:97]
	v_mov_b64_e32 v[16:17], v[12:13]
	s_and_saveexec_b32 s76, s13
; %bb.9551:                             ;   in Loop: Header=BB4_8239 Depth=3
	v_bfe_u32 v16, v12, 21, 1
	v_mov_b32_e32 v17, v3
	s_delay_alu instid0(VALU_DEP_1) | instskip(NEXT) | instid1(VALU_DEP_1)
	v_add_nc_u64_e32 v[16:17], v[12:13], v[16:17]
	v_add_nc_u64_e32 v[16:17], -1, v[16:17]
; %bb.9552:                             ;   in Loop: Header=BB4_8239 Depth=3
	s_or_b32 exec_lo, exec_lo, s76
	v_add_nc_u32_e32 v13, 0xffffff81, v73
	v_lshrrev_b32_e32 v17, 23, v12
	s_mov_b32 s13, exec_lo
	s_delay_alu instid0(VALU_DEP_2) | instskip(NEXT) | instid1(VALU_DEP_1)
	v_cndmask_b32_e64 v13, v13, 0xffffff82, vcc_lo
	v_add3_u32 v86, v86, v13, v17
	v_and_b32_e32 v13, 0x1fffff, v16
                                        ; implicit-def: $vgpr16
	s_delay_alu instid0(VALU_DEP_1) | instskip(SKIP_1) | instid1(VALU_DEP_2)
	v_dual_add_nc_u32 v17, 14, v86 :: v_dual_add_nc_u32 v12, v13, v12
	v_mov_b32_e32 v13, v3
	v_cmpx_ne_u32_e32 0, v17
	s_xor_b32 s13, exec_lo, s13
; %bb.9553:                             ;   in Loop: Header=BB4_8239 Depth=3
	s_delay_alu instid0(VALU_DEP_2) | instskip(SKIP_1) | instid1(VALU_DEP_1)
	v_cmp_lt_u64_e32 vcc_lo, 0xffffff, v[12:13]
	v_add_nc_u32_e32 v16, 15, v86
	v_cndmask_b32_e32 v16, v17, v16, vcc_lo
	v_cndmask_b32_e64 v17, 0, 1, vcc_lo
	s_delay_alu instid0(VALU_DEP_1)
	v_lshrrev_b64 v[12:13], v17, v[12:13]
; %bb.9554:                             ;   in Loop: Header=BB4_8239 Depth=3
	s_and_not1_saveexec_b32 s13, s13
; %bb.9555:                             ;   in Loop: Header=BB4_8239 Depth=3
	s_delay_alu instid0(VALU_DEP_1)
	v_bfe_u32 v16, v12, 23, 1
; %bb.9556:                             ;   in Loop: Header=BB4_8239 Depth=3
	s_or_b32 exec_lo, exec_lo, s13
	s_delay_alu instid0(VALU_DEP_2) | instskip(NEXT) | instid1(VALU_DEP_2)
	v_lshrrev_b64 v[12:13], 21, v[12:13]
	v_cmp_gt_i32_e32 vcc_lo, 32, v16
	v_min_i32_e32 v17, 31, v16
	v_cmp_eq_u32_e64 s13, 0, v16
	s_delay_alu instid0(VALU_DEP_4) | instskip(NEXT) | instid1(VALU_DEP_3)
	v_cndmask_b32_e32 v13, 0, v13, vcc_lo
	v_dual_cndmask_b32 v12, 3, v12 :: v_dual_lshlrev_b32 v17, 2, v17
	s_delay_alu instid0(VALU_DEP_1) | instskip(NEXT) | instid1(VALU_DEP_2)
	v_and_b32_e32 v17, 0xfc, v17
	v_cmp_eq_u64_e32 vcc_lo, 0, v[12:13]
	s_delay_alu instid0(VALU_DEP_2)
	v_and_or_b32 v12, v12, 3, v17
	s_and_b32 s13, s13, vcc_lo
	s_delay_alu instid0(VALU_DEP_1) | instid1(SALU_CYCLE_1)
	v_cndmask_b32_e64 v12, v12, 0, s13
	s_delay_alu instid0(VALU_DEP_1)
	v_or_b32_e32 v73, v12, v5
.LBB4_9557:                             ;   in Loop: Header=BB4_8239 Depth=3
	s_or_b32 exec_lo, exec_lo, s75
                                        ; implicit-def: $vgpr5
.LBB4_9558:                             ;   in Loop: Header=BB4_8239 Depth=3
	s_and_not1_saveexec_b32 s13, s74
; %bb.9559:                             ;   in Loop: Header=BB4_8239 Depth=3
	v_or_b32_e32 v73, 0x7b, v5
; %bb.9560:                             ;   in Loop: Header=BB4_8239 Depth=3
	s_or_b32 exec_lo, exec_lo, s13
                                        ; implicit-def: $vgpr16
                                        ; implicit-def: $vgpr12_vgpr13
                                        ; implicit-def: $vgpr5
.LBB4_9561:                             ;   in Loop: Header=BB4_8239 Depth=3
	s_and_not1_saveexec_b32 s13, s73
	s_cbranch_execz .LBB4_9567
; %bb.9562:                             ;   in Loop: Header=BB4_8239 Depth=3
	s_mov_b32 s73, exec_lo
                                        ; implicit-def: $vgpr73
	v_cmpx_ne_u64_e32 0, v[12:13]
	s_xor_b32 s73, exec_lo, s73
; %bb.9563:                             ;   in Loop: Header=BB4_8239 Depth=3
	v_or_b32_e32 v73, 0x7f, v5
                                        ; implicit-def: $vgpr16
; %bb.9564:                             ;   in Loop: Header=BB4_8239 Depth=3
	s_and_not1_saveexec_b32 s73, s73
; %bb.9565:                             ;   in Loop: Header=BB4_8239 Depth=3
	v_cmp_lt_i32_e32 vcc_lo, -1, v16
	v_cndmask_b32_e32 v73, 0xfc, v49, vcc_lo
; %bb.9566:                             ;   in Loop: Header=BB4_8239 Depth=3
	s_or_b32 exec_lo, exec_lo, s73
.LBB4_9567:                             ;   in Loop: Header=BB4_8239 Depth=3
	s_delay_alu instid0(SALU_CYCLE_1) | instskip(SKIP_3) | instid1(VALU_DEP_2)
	s_or_b32 exec_lo, exec_lo, s13
	v_lshrrev_b16 v12, 8, v2
	v_dual_mov_b32 v5, 0 :: v_dual_mov_b32 v16, 0
	s_mov_b32 s73, exec_lo
	v_cmpx_ne_u16_e32 0, v12
	s_cbranch_execz .LBB4_9577
; %bb.9568:                             ;   in Loop: Header=BB4_8239 Depth=3
	v_bfrev_b32_e32 v16, 1
	s_mov_b32 s74, exec_lo
	v_cmpx_ne_u16_e32 0x80, v12
	s_cbranch_execz .LBB4_9576
; %bb.9569:                             ;   in Loop: Header=BB4_8239 Depth=3
	v_and_b32_e32 v17, 0xffff, v12
	s_delay_alu instid0(VALU_DEP_1) | instskip(SKIP_1) | instid1(VALU_DEP_2)
	v_and_b32_e32 v16, 0x7c, v17
	v_and_b32_e32 v13, 3, v17
	v_cmp_ne_u32_e32 vcc_lo, 0x7c, v16
                                        ; implicit-def: $vgpr16
	s_and_saveexec_b32 s13, vcc_lo
	s_delay_alu instid0(SALU_CYCLE_1)
	s_xor_b32 s13, exec_lo, s13
	s_cbranch_execz .LBB4_9573
; %bb.9570:                             ;   in Loop: Header=BB4_8239 Depth=3
	v_bfe_u32 v16, v17, 2, 5
	s_mov_b32 s75, exec_lo
	s_delay_alu instid0(VALU_DEP_1)
	v_cmpx_eq_u32_e32 0, v16
	s_cbranch_execz .LBB4_9572
; %bb.9571:                             ;   in Loop: Header=BB4_8239 Depth=3
	v_clz_i32_u32_e32 v13, v13
	s_delay_alu instid0(VALU_DEP_1) | instskip(SKIP_1) | instid1(VALU_DEP_2)
	v_min_u32_e32 v16, 32, v13
	v_mov_b32_e32 v13, v3
	v_subrev_nc_u32_e32 v17, 29, v16
	v_sub_nc_u32_e32 v16, 30, v16
	s_delay_alu instid0(VALU_DEP_2) | instskip(NEXT) | instid1(VALU_DEP_1)
	v_lshlrev_b64_e32 v[12:13], v17, v[12:13]
	v_and_b32_e32 v13, 3, v12
.LBB4_9572:                             ;   in Loop: Header=BB4_8239 Depth=3
	s_or_b32 exec_lo, exec_lo, s75
	v_lshlrev_b32_e32 v2, 16, v2
	s_delay_alu instid0(VALU_DEP_1) | instskip(NEXT) | instid1(VALU_DEP_1)
	v_and_b32_e32 v2, 0x80000000, v2
	v_lshl_add_u32 v2, v16, 23, v2
	s_delay_alu instid0(VALU_DEP_1) | instskip(NEXT) | instid1(VALU_DEP_1)
	v_lshl_or_b32 v2, v13, 21, v2
                                        ; implicit-def: $vgpr13
	v_add_nc_u32_e32 v16, 0x38000000, v2
                                        ; implicit-def: $vgpr2
.LBB4_9573:                             ;   in Loop: Header=BB4_8239 Depth=3
	s_and_not1_saveexec_b32 s75, s13
; %bb.9574:                             ;   in Loop: Header=BB4_8239 Depth=3
	v_cmp_lt_i16_e64 s13, -1, v2
	v_cmp_eq_u32_e32 vcc_lo, 0, v13
	s_delay_alu instid0(VALU_DEP_2) | instskip(NEXT) | instid1(VALU_DEP_1)
	v_cndmask_b32_e64 v2, 0xff800000, v48, s13
	v_cndmask_b32_e32 v16, 0x7f800001, v2, vcc_lo
; %bb.9575:                             ;   in Loop: Header=BB4_8239 Depth=3
	s_or_b32 exec_lo, exec_lo, s75
.LBB4_9576:                             ;   in Loop: Header=BB4_8239 Depth=3
	s_delay_alu instid0(SALU_CYCLE_1)
	s_or_b32 exec_lo, exec_lo, s74
.LBB4_9577:                             ;   in Loop: Header=BB4_8239 Depth=3
	s_delay_alu instid0(SALU_CYCLE_1) | instskip(SKIP_2) | instid1(VALU_DEP_1)
	s_or_b32 exec_lo, exec_lo, s73
	v_lshrrev_b16 v12, 8, v14
	s_mov_b32 s73, exec_lo
	v_cmpx_ne_u16_e32 0, v12
	s_cbranch_execz .LBB4_9587
; %bb.9578:                             ;   in Loop: Header=BB4_8239 Depth=3
	v_bfrev_b32_e32 v5, 1
	s_mov_b32 s74, exec_lo
	v_cmpx_ne_u16_e32 0x80, v12
	s_cbranch_execz .LBB4_9586
; %bb.9579:                             ;   in Loop: Header=BB4_8239 Depth=3
	v_and_b32_e32 v13, 0xffff, v12
	s_delay_alu instid0(VALU_DEP_1) | instskip(SKIP_1) | instid1(VALU_DEP_2)
	v_and_b32_e32 v5, 0x7c, v13
	v_and_b32_e32 v2, 3, v13
	v_cmp_ne_u32_e32 vcc_lo, 0x7c, v5
                                        ; implicit-def: $vgpr5
	s_and_saveexec_b32 s13, vcc_lo
	s_delay_alu instid0(SALU_CYCLE_1)
	s_xor_b32 s13, exec_lo, s13
	s_cbranch_execz .LBB4_9583
; %bb.9580:                             ;   in Loop: Header=BB4_8239 Depth=3
	v_bfe_u32 v5, v13, 2, 5
	s_mov_b32 s75, exec_lo
	s_delay_alu instid0(VALU_DEP_1)
	v_cmpx_eq_u32_e32 0, v5
; %bb.9581:                             ;   in Loop: Header=BB4_8239 Depth=3
	v_clz_i32_u32_e32 v2, v2
	s_delay_alu instid0(VALU_DEP_1) | instskip(SKIP_1) | instid1(VALU_DEP_2)
	v_min_u32_e32 v2, 32, v2
	v_mov_b32_e32 v13, v3
	v_subrev_nc_u32_e32 v5, 29, v2
	s_delay_alu instid0(VALU_DEP_1) | instskip(NEXT) | instid1(VALU_DEP_1)
	v_lshlrev_b64_e32 v[12:13], v5, v[12:13]
	v_dual_sub_nc_u32 v5, 30, v2 :: v_dual_bitop2_b32 v2, 3, v12 bitop3:0x40
; %bb.9582:                             ;   in Loop: Header=BB4_8239 Depth=3
	s_or_b32 exec_lo, exec_lo, s75
	v_lshlrev_b32_e32 v12, 16, v14
	s_delay_alu instid0(VALU_DEP_1) | instskip(NEXT) | instid1(VALU_DEP_1)
	v_and_b32_e32 v12, 0x80000000, v12
	v_lshl_add_u32 v5, v5, 23, v12
	s_delay_alu instid0(VALU_DEP_1) | instskip(NEXT) | instid1(VALU_DEP_1)
	v_lshl_or_b32 v2, v2, 21, v5
	v_add_nc_u32_e32 v5, 0x38000000, v2
                                        ; implicit-def: $vgpr2
.LBB4_9583:                             ;   in Loop: Header=BB4_8239 Depth=3
	s_and_not1_saveexec_b32 s75, s13
; %bb.9584:                             ;   in Loop: Header=BB4_8239 Depth=3
	v_cmp_lt_i16_e64 s13, -1, v14
	v_cmp_eq_u32_e32 vcc_lo, 0, v2
	s_delay_alu instid0(VALU_DEP_2) | instskip(NEXT) | instid1(VALU_DEP_1)
	v_cndmask_b32_e64 v2, 0xff800000, v48, s13
	v_cndmask_b32_e32 v5, 0x7f800001, v2, vcc_lo
; %bb.9585:                             ;   in Loop: Header=BB4_8239 Depth=3
	s_or_b32 exec_lo, exec_lo, s75
.LBB4_9586:                             ;   in Loop: Header=BB4_8239 Depth=3
	s_delay_alu instid0(SALU_CYCLE_1)
	s_or_b32 exec_lo, exec_lo, s74
.LBB4_9587:                             ;   in Loop: Header=BB4_8239 Depth=3
	s_delay_alu instid0(SALU_CYCLE_1) | instskip(NEXT) | instid1(VALU_DEP_1)
	s_or_b32 exec_lo, exec_lo, s73
	v_dual_add_f32 v5, v16, v5 :: v_dual_mov_b32 v17, v3
	v_mov_b32_e32 v13, v3
                                        ; implicit-def: $vgpr75
	s_mov_b32 s13, exec_lo
	s_delay_alu instid0(VALU_DEP_2) | instskip(SKIP_2) | instid1(VALU_DEP_3)
	v_and_b32_e32 v16, 0x7f800000, v5
	v_and_b32_e32 v12, 0x7fffff, v5
	v_lshrrev_b32_e32 v2, 24, v5
	v_cmpx_ne_u64_e32 0x7f800000, v[16:17]
	s_xor_b32 s73, exec_lo, s13
	s_cbranch_execz .LBB4_9601
; %bb.9588:                             ;   in Loop: Header=BB4_8239 Depth=3
	v_and_b32_e32 v16, 0x7fffffff, v5
	v_mov_b32_e32 v17, v3
	v_and_b32_e32 v2, 0x80, v2
                                        ; implicit-def: $vgpr75
	s_mov_b32 s13, exec_lo
	s_delay_alu instid0(VALU_DEP_2)
	v_cmpx_gt_u64_e32 0x47600001, v[16:17]
	s_xor_b32 s74, exec_lo, s13
	s_cbranch_execz .LBB4_9598
; %bb.9589:                             ;   in Loop: Header=BB4_8239 Depth=3
	v_mov_b32_e32 v75, 0
	s_mov_b32 s75, exec_lo
	v_cmpx_ne_u32_e32 0, v5
	s_cbranch_execz .LBB4_9597
; %bb.9590:                             ;   in Loop: Header=BB4_8239 Depth=3
	v_bfe_u32 v5, v5, 23, 8
	v_or_b32_e32 v17, 0x800000, v12
	s_delay_alu instid0(VALU_DEP_2) | instskip(SKIP_2) | instid1(VALU_DEP_2)
	v_cmp_gt_u32_e64 s13, 0x72, v5
	v_sub_nc_u32_e32 v16, 0x71, v5
	v_cmp_eq_u32_e32 vcc_lo, 0, v5
	v_cndmask_b32_e64 v16, 0, v16, s13
	s_delay_alu instid0(VALU_DEP_1) | instskip(NEXT) | instid1(VALU_DEP_1)
	v_cndmask_b32_e64 v86, v16, 0x70, vcc_lo
	v_dual_cndmask_b32 v12, v17, v12, vcc_lo :: v_dual_add_nc_u32 v16, 21, v86
	v_add_nc_u32_e32 v87, 20, v86
	s_delay_alu instid0(VALU_DEP_2) | instskip(NEXT) | instid1(VALU_DEP_2)
	v_lshlrev_b64_e64 v[16:17], v16, -1
	v_lshlrev_b64_e64 v[96:97], v87, 1
	s_delay_alu instid0(VALU_DEP_2) | instskip(SKIP_1) | instid1(VALU_DEP_4)
	v_bfi_b32 v16, v16, 0, v12
	v_lshrrev_b64 v[12:13], v86, v[12:13]
	v_bfi_b32 v17, v17, 0, 0
	s_delay_alu instid0(VALU_DEP_1) | instskip(NEXT) | instid1(VALU_DEP_3)
	v_cmp_eq_u64_e64 s13, v[16:17], v[96:97]
	v_mov_b64_e32 v[16:17], v[12:13]
	s_and_saveexec_b32 s76, s13
; %bb.9591:                             ;   in Loop: Header=BB4_8239 Depth=3
	v_bfe_u32 v16, v12, 21, 1
	v_mov_b32_e32 v17, v3
	s_delay_alu instid0(VALU_DEP_1) | instskip(NEXT) | instid1(VALU_DEP_1)
	v_add_nc_u64_e32 v[16:17], v[12:13], v[16:17]
	v_add_nc_u64_e32 v[16:17], -1, v[16:17]
; %bb.9592:                             ;   in Loop: Header=BB4_8239 Depth=3
	s_or_b32 exec_lo, exec_lo, s76
	v_add_nc_u32_e32 v5, 0xffffff81, v5
	v_lshrrev_b32_e32 v13, 23, v12
	s_mov_b32 s13, exec_lo
	s_delay_alu instid0(VALU_DEP_2) | instskip(NEXT) | instid1(VALU_DEP_1)
	v_cndmask_b32_e64 v5, v5, 0xffffff82, vcc_lo
	v_add3_u32 v17, v86, v5, v13
	v_and_b32_e32 v5, 0x1fffff, v16
	s_delay_alu instid0(VALU_DEP_2) | instskip(NEXT) | instid1(VALU_DEP_2)
	v_dual_mov_b32 v13, v3 :: v_dual_add_nc_u32 v16, 14, v17
	v_add_nc_u32_e32 v12, v5, v12
                                        ; implicit-def: $vgpr5
	s_delay_alu instid0(VALU_DEP_2)
	v_cmpx_ne_u32_e32 0, v16
	s_xor_b32 s13, exec_lo, s13
; %bb.9593:                             ;   in Loop: Header=BB4_8239 Depth=3
	s_delay_alu instid0(VALU_DEP_2) | instskip(SKIP_1) | instid1(VALU_DEP_1)
	v_cmp_lt_u64_e32 vcc_lo, 0xffffff, v[12:13]
	v_add_nc_u32_e32 v5, 15, v17
	v_cndmask_b32_e32 v5, v16, v5, vcc_lo
	v_cndmask_b32_e64 v16, 0, 1, vcc_lo
	s_delay_alu instid0(VALU_DEP_1)
	v_lshrrev_b64 v[12:13], v16, v[12:13]
; %bb.9594:                             ;   in Loop: Header=BB4_8239 Depth=3
	s_and_not1_saveexec_b32 s13, s13
; %bb.9595:                             ;   in Loop: Header=BB4_8239 Depth=3
	s_delay_alu instid0(VALU_DEP_1)
	v_bfe_u32 v5, v12, 23, 1
; %bb.9596:                             ;   in Loop: Header=BB4_8239 Depth=3
	s_or_b32 exec_lo, exec_lo, s13
	s_delay_alu instid0(VALU_DEP_2) | instskip(NEXT) | instid1(VALU_DEP_2)
	v_lshrrev_b64 v[12:13], 21, v[12:13]
	v_cmp_gt_i32_e32 vcc_lo, 32, v5
	v_min_i32_e32 v16, 31, v5
	v_cmp_eq_u32_e64 s13, 0, v5
	s_delay_alu instid0(VALU_DEP_4) | instskip(NEXT) | instid1(VALU_DEP_3)
	v_cndmask_b32_e32 v12, 3, v12, vcc_lo
	v_dual_cndmask_b32 v13, 0, v13 :: v_dual_lshlrev_b32 v16, 2, v16
	s_delay_alu instid0(VALU_DEP_1) | instskip(NEXT) | instid1(VALU_DEP_2)
	v_and_b32_e32 v16, 0xfc, v16
	v_cmp_eq_u64_e32 vcc_lo, 0, v[12:13]
	s_delay_alu instid0(VALU_DEP_2)
	v_and_or_b32 v5, v12, 3, v16
	s_and_b32 s13, s13, vcc_lo
	s_delay_alu instid0(VALU_DEP_1) | instid1(SALU_CYCLE_1)
	v_cndmask_b32_e64 v5, v5, 0, s13
	s_delay_alu instid0(VALU_DEP_1)
	v_or_b32_e32 v75, v5, v2
.LBB4_9597:                             ;   in Loop: Header=BB4_8239 Depth=3
	s_or_b32 exec_lo, exec_lo, s75
                                        ; implicit-def: $vgpr2
.LBB4_9598:                             ;   in Loop: Header=BB4_8239 Depth=3
	s_and_not1_saveexec_b32 s13, s74
; %bb.9599:                             ;   in Loop: Header=BB4_8239 Depth=3
	v_or_b32_e32 v75, 0x7b, v2
; %bb.9600:                             ;   in Loop: Header=BB4_8239 Depth=3
	s_or_b32 exec_lo, exec_lo, s13
                                        ; implicit-def: $vgpr5
                                        ; implicit-def: $vgpr12_vgpr13
                                        ; implicit-def: $vgpr2
.LBB4_9601:                             ;   in Loop: Header=BB4_8239 Depth=3
	s_and_not1_saveexec_b32 s13, s73
	s_cbranch_execz .LBB4_9607
; %bb.9602:                             ;   in Loop: Header=BB4_8239 Depth=3
	s_mov_b32 s73, exec_lo
                                        ; implicit-def: $vgpr75
	v_cmpx_ne_u64_e32 0, v[12:13]
	s_xor_b32 s73, exec_lo, s73
; %bb.9603:                             ;   in Loop: Header=BB4_8239 Depth=3
	v_or_b32_e32 v75, 0x7f, v2
                                        ; implicit-def: $vgpr5
; %bb.9604:                             ;   in Loop: Header=BB4_8239 Depth=3
	s_and_not1_saveexec_b32 s73, s73
; %bb.9605:                             ;   in Loop: Header=BB4_8239 Depth=3
	v_cmp_lt_i32_e32 vcc_lo, -1, v5
	v_cndmask_b32_e32 v75, 0xfc, v49, vcc_lo
; %bb.9606:                             ;   in Loop: Header=BB4_8239 Depth=3
	s_or_b32 exec_lo, exec_lo, s73
.LBB4_9607:                             ;   in Loop: Header=BB4_8239 Depth=3
	s_delay_alu instid0(SALU_CYCLE_1) | instskip(SKIP_3) | instid1(VALU_DEP_2)
	s_or_b32 exec_lo, exec_lo, s13
	v_dual_mov_b32 v5, 0 :: v_dual_lshrrev_b32 v2, 16, v4
	v_mov_b32_e32 v12, 0
	s_mov_b32 s73, exec_lo
	v_and_b32_e32 v13, 0xff, v2
	s_delay_alu instid0(VALU_DEP_1)
	v_cmpx_ne_u16_e32 0, v13
	s_cbranch_execz .LBB4_9617
; %bb.9608:                             ;   in Loop: Header=BB4_8239 Depth=3
	v_bfrev_b32_e32 v12, 1
	s_mov_b32 s74, exec_lo
	v_cmpx_ne_u16_e32 0x80, v13
	s_cbranch_execz .LBB4_9616
; %bb.9609:                             ;   in Loop: Header=BB4_8239 Depth=3
	v_and_b32_e32 v12, 0x7c0000, v4
	v_bfe_u32 v13, v4, 16, 2
	s_delay_alu instid0(VALU_DEP_2) | instskip(SKIP_1) | instid1(SALU_CYCLE_1)
	v_cmp_ne_u32_e32 vcc_lo, 0x7c0000, v12
                                        ; implicit-def: $vgpr12
	s_and_saveexec_b32 s13, vcc_lo
	s_xor_b32 s13, exec_lo, s13
	s_cbranch_execz .LBB4_9613
; %bb.9610:                             ;   in Loop: Header=BB4_8239 Depth=3
	v_bfe_u32 v12, v4, 18, 5
	s_mov_b32 s75, exec_lo
	s_delay_alu instid0(VALU_DEP_1)
	v_cmpx_eq_u32_e32 0, v12
; %bb.9611:                             ;   in Loop: Header=BB4_8239 Depth=3
	v_clz_i32_u32_e32 v12, v13
	s_delay_alu instid0(VALU_DEP_1) | instskip(NEXT) | instid1(VALU_DEP_1)
	v_min_u32_e32 v12, 32, v12
	v_subrev_nc_u32_e32 v13, 29, v12
	v_sub_nc_u32_e32 v12, 30, v12
	s_delay_alu instid0(VALU_DEP_2) | instskip(NEXT) | instid1(VALU_DEP_1)
	v_lshlrev_b64_e32 v[16:17], v13, v[2:3]
	v_and_b32_e32 v13, 3, v16
; %bb.9612:                             ;   in Loop: Header=BB4_8239 Depth=3
	s_or_b32 exec_lo, exec_lo, s75
	v_lshlrev_b32_e32 v2, 24, v2
	s_delay_alu instid0(VALU_DEP_1) | instskip(NEXT) | instid1(VALU_DEP_1)
	v_and_b32_e32 v2, 0x80000000, v2
	v_lshl_add_u32 v2, v12, 23, v2
	s_delay_alu instid0(VALU_DEP_1) | instskip(NEXT) | instid1(VALU_DEP_1)
	v_lshl_or_b32 v2, v13, 21, v2
                                        ; implicit-def: $vgpr13
	v_add_nc_u32_e32 v12, 0x38000000, v2
                                        ; implicit-def: $vgpr2
.LBB4_9613:                             ;   in Loop: Header=BB4_8239 Depth=3
	s_and_not1_saveexec_b32 s75, s13
; %bb.9614:                             ;   in Loop: Header=BB4_8239 Depth=3
	v_bfe_i32 v2, v2, 0, 8
	v_cmp_eq_u32_e32 vcc_lo, 0, v13
	s_delay_alu instid0(VALU_DEP_2) | instskip(NEXT) | instid1(VALU_DEP_1)
	v_cmp_lt_i16_e64 s13, -1, v2
	v_cndmask_b32_e64 v2, 0xff800000, v48, s13
	s_delay_alu instid0(VALU_DEP_1)
	v_cndmask_b32_e32 v12, 0x7f800001, v2, vcc_lo
; %bb.9615:                             ;   in Loop: Header=BB4_8239 Depth=3
	s_or_b32 exec_lo, exec_lo, s75
.LBB4_9616:                             ;   in Loop: Header=BB4_8239 Depth=3
	s_delay_alu instid0(SALU_CYCLE_1)
	s_or_b32 exec_lo, exec_lo, s74
.LBB4_9617:                             ;   in Loop: Header=BB4_8239 Depth=3
	s_delay_alu instid0(SALU_CYCLE_1) | instskip(SKIP_2) | instid1(VALU_DEP_1)
	s_or_b32 exec_lo, exec_lo, s73
	v_lshrrev_b32_e32 v2, 16, v14
	s_mov_b32 s73, exec_lo
	v_and_b32_e32 v13, 0xff, v2
	s_delay_alu instid0(VALU_DEP_1)
	v_cmpx_ne_u16_e32 0, v13
	s_cbranch_execz .LBB4_9627
; %bb.9618:                             ;   in Loop: Header=BB4_8239 Depth=3
	v_bfrev_b32_e32 v5, 1
	s_mov_b32 s74, exec_lo
	v_cmpx_ne_u16_e32 0x80, v13
	s_cbranch_execz .LBB4_9626
; %bb.9619:                             ;   in Loop: Header=BB4_8239 Depth=3
	v_and_b32_e32 v5, 0x7c0000, v14
	v_bfe_u32 v13, v14, 16, 2
	s_delay_alu instid0(VALU_DEP_2) | instskip(SKIP_1) | instid1(SALU_CYCLE_1)
	v_cmp_ne_u32_e32 vcc_lo, 0x7c0000, v5
                                        ; implicit-def: $vgpr5
	s_and_saveexec_b32 s13, vcc_lo
	s_xor_b32 s13, exec_lo, s13
	s_cbranch_execz .LBB4_9623
; %bb.9620:                             ;   in Loop: Header=BB4_8239 Depth=3
	v_bfe_u32 v5, v14, 18, 5
	s_mov_b32 s75, exec_lo
	s_delay_alu instid0(VALU_DEP_1)
	v_cmpx_eq_u32_e32 0, v5
; %bb.9621:                             ;   in Loop: Header=BB4_8239 Depth=3
	v_clz_i32_u32_e32 v5, v13
	s_delay_alu instid0(VALU_DEP_1) | instskip(NEXT) | instid1(VALU_DEP_1)
	v_min_u32_e32 v5, 32, v5
	v_subrev_nc_u32_e32 v13, 29, v5
	s_delay_alu instid0(VALU_DEP_1) | instskip(NEXT) | instid1(VALU_DEP_1)
	v_lshlrev_b64_e32 v[16:17], v13, v[2:3]
	v_dual_sub_nc_u32 v5, 30, v5 :: v_dual_bitop2_b32 v13, 3, v16 bitop3:0x40
; %bb.9622:                             ;   in Loop: Header=BB4_8239 Depth=3
	s_or_b32 exec_lo, exec_lo, s75
	v_lshlrev_b32_e32 v2, 24, v2
	s_delay_alu instid0(VALU_DEP_1) | instskip(NEXT) | instid1(VALU_DEP_1)
	v_and_b32_e32 v2, 0x80000000, v2
	v_lshl_add_u32 v2, v5, 23, v2
	s_delay_alu instid0(VALU_DEP_1) | instskip(NEXT) | instid1(VALU_DEP_1)
	v_lshl_or_b32 v2, v13, 21, v2
                                        ; implicit-def: $vgpr13
	v_add_nc_u32_e32 v5, 0x38000000, v2
                                        ; implicit-def: $vgpr2
.LBB4_9623:                             ;   in Loop: Header=BB4_8239 Depth=3
	s_and_not1_saveexec_b32 s75, s13
; %bb.9624:                             ;   in Loop: Header=BB4_8239 Depth=3
	v_bfe_i32 v2, v2, 0, 8
	v_cmp_eq_u32_e32 vcc_lo, 0, v13
	s_delay_alu instid0(VALU_DEP_2) | instskip(NEXT) | instid1(VALU_DEP_1)
	v_cmp_lt_i16_e64 s13, -1, v2
	v_cndmask_b32_e64 v2, 0xff800000, v48, s13
	s_delay_alu instid0(VALU_DEP_1)
	v_cndmask_b32_e32 v5, 0x7f800001, v2, vcc_lo
; %bb.9625:                             ;   in Loop: Header=BB4_8239 Depth=3
	s_or_b32 exec_lo, exec_lo, s75
.LBB4_9626:                             ;   in Loop: Header=BB4_8239 Depth=3
	s_delay_alu instid0(SALU_CYCLE_1)
	s_or_b32 exec_lo, exec_lo, s74
.LBB4_9627:                             ;   in Loop: Header=BB4_8239 Depth=3
	s_delay_alu instid0(SALU_CYCLE_1) | instskip(NEXT) | instid1(VALU_DEP_1)
	s_or_b32 exec_lo, exec_lo, s73
	v_dual_add_f32 v5, v12, v5 :: v_dual_mov_b32 v17, v3
	v_mov_b32_e32 v13, v3
                                        ; implicit-def: $vgpr77
	s_mov_b32 s13, exec_lo
	s_delay_alu instid0(VALU_DEP_2) | instskip(SKIP_2) | instid1(VALU_DEP_3)
	v_and_b32_e32 v16, 0x7f800000, v5
	v_and_b32_e32 v12, 0x7fffff, v5
	v_lshrrev_b32_e32 v2, 24, v5
	v_cmpx_ne_u64_e32 0x7f800000, v[16:17]
	s_xor_b32 s73, exec_lo, s13
	s_cbranch_execz .LBB4_9641
; %bb.9628:                             ;   in Loop: Header=BB4_8239 Depth=3
	v_and_b32_e32 v16, 0x7fffffff, v5
	v_mov_b32_e32 v17, v3
	v_and_b32_e32 v2, 0x80, v2
                                        ; implicit-def: $vgpr77
	s_mov_b32 s13, exec_lo
	s_delay_alu instid0(VALU_DEP_2)
	v_cmpx_gt_u64_e32 0x47600001, v[16:17]
	s_xor_b32 s74, exec_lo, s13
	s_cbranch_execz .LBB4_9638
; %bb.9629:                             ;   in Loop: Header=BB4_8239 Depth=3
	v_mov_b32_e32 v77, 0
	s_mov_b32 s75, exec_lo
	v_cmpx_ne_u32_e32 0, v5
	s_cbranch_execz .LBB4_9637
; %bb.9630:                             ;   in Loop: Header=BB4_8239 Depth=3
	v_bfe_u32 v5, v5, 23, 8
	v_or_b32_e32 v17, 0x800000, v12
	s_delay_alu instid0(VALU_DEP_2) | instskip(SKIP_2) | instid1(VALU_DEP_2)
	v_cmp_gt_u32_e64 s13, 0x72, v5
	v_sub_nc_u32_e32 v16, 0x71, v5
	v_cmp_eq_u32_e32 vcc_lo, 0, v5
	v_cndmask_b32_e64 v16, 0, v16, s13
	s_delay_alu instid0(VALU_DEP_1) | instskip(NEXT) | instid1(VALU_DEP_1)
	v_cndmask_b32_e64 v86, v16, 0x70, vcc_lo
	v_dual_cndmask_b32 v12, v17, v12, vcc_lo :: v_dual_add_nc_u32 v16, 21, v86
	v_add_nc_u32_e32 v87, 20, v86
	s_delay_alu instid0(VALU_DEP_2) | instskip(NEXT) | instid1(VALU_DEP_2)
	v_lshlrev_b64_e64 v[16:17], v16, -1
	v_lshlrev_b64_e64 v[96:97], v87, 1
	s_delay_alu instid0(VALU_DEP_2) | instskip(SKIP_1) | instid1(VALU_DEP_4)
	v_bfi_b32 v16, v16, 0, v12
	v_lshrrev_b64 v[12:13], v86, v[12:13]
	v_bfi_b32 v17, v17, 0, 0
	s_delay_alu instid0(VALU_DEP_1) | instskip(NEXT) | instid1(VALU_DEP_3)
	v_cmp_eq_u64_e64 s13, v[16:17], v[96:97]
	v_mov_b64_e32 v[16:17], v[12:13]
	s_and_saveexec_b32 s76, s13
; %bb.9631:                             ;   in Loop: Header=BB4_8239 Depth=3
	v_bfe_u32 v16, v12, 21, 1
	v_mov_b32_e32 v17, v3
	s_delay_alu instid0(VALU_DEP_1) | instskip(NEXT) | instid1(VALU_DEP_1)
	v_add_nc_u64_e32 v[16:17], v[12:13], v[16:17]
	v_add_nc_u64_e32 v[16:17], -1, v[16:17]
; %bb.9632:                             ;   in Loop: Header=BB4_8239 Depth=3
	s_or_b32 exec_lo, exec_lo, s76
	v_add_nc_u32_e32 v5, 0xffffff81, v5
	v_lshrrev_b32_e32 v13, 23, v12
	s_mov_b32 s13, exec_lo
	s_delay_alu instid0(VALU_DEP_2) | instskip(NEXT) | instid1(VALU_DEP_1)
	v_cndmask_b32_e64 v5, v5, 0xffffff82, vcc_lo
	v_add3_u32 v17, v86, v5, v13
	v_and_b32_e32 v5, 0x1fffff, v16
	s_delay_alu instid0(VALU_DEP_2) | instskip(NEXT) | instid1(VALU_DEP_2)
	v_dual_mov_b32 v13, v3 :: v_dual_add_nc_u32 v16, 14, v17
	v_add_nc_u32_e32 v12, v5, v12
                                        ; implicit-def: $vgpr5
	s_delay_alu instid0(VALU_DEP_2)
	v_cmpx_ne_u32_e32 0, v16
	s_xor_b32 s13, exec_lo, s13
; %bb.9633:                             ;   in Loop: Header=BB4_8239 Depth=3
	s_delay_alu instid0(VALU_DEP_2) | instskip(SKIP_1) | instid1(VALU_DEP_1)
	v_cmp_lt_u64_e32 vcc_lo, 0xffffff, v[12:13]
	v_add_nc_u32_e32 v5, 15, v17
	v_cndmask_b32_e32 v5, v16, v5, vcc_lo
	v_cndmask_b32_e64 v16, 0, 1, vcc_lo
	s_delay_alu instid0(VALU_DEP_1)
	v_lshrrev_b64 v[12:13], v16, v[12:13]
; %bb.9634:                             ;   in Loop: Header=BB4_8239 Depth=3
	s_and_not1_saveexec_b32 s13, s13
; %bb.9635:                             ;   in Loop: Header=BB4_8239 Depth=3
	s_delay_alu instid0(VALU_DEP_1)
	v_bfe_u32 v5, v12, 23, 1
; %bb.9636:                             ;   in Loop: Header=BB4_8239 Depth=3
	s_or_b32 exec_lo, exec_lo, s13
	s_delay_alu instid0(VALU_DEP_2) | instskip(NEXT) | instid1(VALU_DEP_2)
	v_lshrrev_b64 v[12:13], 21, v[12:13]
	v_cmp_gt_i32_e32 vcc_lo, 32, v5
	v_min_i32_e32 v16, 31, v5
	v_cmp_eq_u32_e64 s13, 0, v5
	s_delay_alu instid0(VALU_DEP_4) | instskip(NEXT) | instid1(VALU_DEP_3)
	v_cndmask_b32_e32 v12, 3, v12, vcc_lo
	v_dual_cndmask_b32 v13, 0, v13 :: v_dual_lshlrev_b32 v16, 2, v16
	s_delay_alu instid0(VALU_DEP_1) | instskip(NEXT) | instid1(VALU_DEP_2)
	v_and_b32_e32 v16, 0xfc, v16
	v_cmp_eq_u64_e32 vcc_lo, 0, v[12:13]
	s_delay_alu instid0(VALU_DEP_2)
	v_and_or_b32 v5, v12, 3, v16
	s_and_b32 s13, s13, vcc_lo
	s_delay_alu instid0(VALU_DEP_1) | instid1(SALU_CYCLE_1)
	v_cndmask_b32_e64 v5, v5, 0, s13
	s_delay_alu instid0(VALU_DEP_1)
	v_or_b32_e32 v77, v5, v2
.LBB4_9637:                             ;   in Loop: Header=BB4_8239 Depth=3
	s_or_b32 exec_lo, exec_lo, s75
                                        ; implicit-def: $vgpr2
.LBB4_9638:                             ;   in Loop: Header=BB4_8239 Depth=3
	s_and_not1_saveexec_b32 s13, s74
; %bb.9639:                             ;   in Loop: Header=BB4_8239 Depth=3
	v_or_b32_e32 v77, 0x7b, v2
; %bb.9640:                             ;   in Loop: Header=BB4_8239 Depth=3
	s_or_b32 exec_lo, exec_lo, s13
                                        ; implicit-def: $vgpr5
                                        ; implicit-def: $vgpr12_vgpr13
                                        ; implicit-def: $vgpr2
.LBB4_9641:                             ;   in Loop: Header=BB4_8239 Depth=3
	s_and_not1_saveexec_b32 s13, s73
	s_cbranch_execz .LBB4_9647
; %bb.9642:                             ;   in Loop: Header=BB4_8239 Depth=3
	s_mov_b32 s73, exec_lo
                                        ; implicit-def: $vgpr77
	v_cmpx_ne_u64_e32 0, v[12:13]
	s_xor_b32 s73, exec_lo, s73
; %bb.9643:                             ;   in Loop: Header=BB4_8239 Depth=3
	v_or_b32_e32 v77, 0x7f, v2
                                        ; implicit-def: $vgpr5
; %bb.9644:                             ;   in Loop: Header=BB4_8239 Depth=3
	s_and_not1_saveexec_b32 s73, s73
; %bb.9645:                             ;   in Loop: Header=BB4_8239 Depth=3
	v_cmp_lt_i32_e32 vcc_lo, -1, v5
	v_cndmask_b32_e32 v77, 0xfc, v49, vcc_lo
; %bb.9646:                             ;   in Loop: Header=BB4_8239 Depth=3
	s_or_b32 exec_lo, exec_lo, s73
.LBB4_9647:                             ;   in Loop: Header=BB4_8239 Depth=3
	s_delay_alu instid0(SALU_CYCLE_1)
	s_or_b32 exec_lo, exec_lo, s13
	v_dual_mov_b32 v12, 0 :: v_dual_mov_b32 v13, 0
	s_mov_b32 s73, exec_lo
	v_cmpx_lt_u32_e32 0xffffff, v4
	s_cbranch_execz .LBB4_9657
; %bb.9648:                             ;   in Loop: Header=BB4_8239 Depth=3
	v_lshrrev_b32_e32 v2, 24, v4
	v_bfrev_b32_e32 v13, 1
	s_mov_b32 s74, exec_lo
	s_delay_alu instid0(VALU_DEP_2)
	v_cmpx_ne_u32_e32 0x80, v2
	s_cbranch_execz .LBB4_9656
; %bb.9649:                             ;   in Loop: Header=BB4_8239 Depth=3
	v_and_b32_e32 v5, 0x7c000000, v4
	v_bfe_u32 v16, v4, 24, 2
	s_mov_b32 s13, exec_lo
                                        ; implicit-def: $vgpr13
	s_delay_alu instid0(VALU_DEP_2)
	v_cmpx_ne_u32_e32 0x7c000000, v5
	s_xor_b32 s13, exec_lo, s13
	s_cbranch_execz .LBB4_9653
; %bb.9650:                             ;   in Loop: Header=BB4_8239 Depth=3
	v_bfe_u32 v5, v4, 26, 5
	s_mov_b32 s75, exec_lo
	s_delay_alu instid0(VALU_DEP_1)
	v_cmpx_eq_u32_e32 0, v5
; %bb.9651:                             ;   in Loop: Header=BB4_8239 Depth=3
	v_clz_i32_u32_e32 v5, v16
	s_delay_alu instid0(VALU_DEP_1) | instskip(NEXT) | instid1(VALU_DEP_1)
	v_min_u32_e32 v5, 32, v5
	v_subrev_nc_u32_e32 v13, 29, v5
	s_delay_alu instid0(VALU_DEP_1) | instskip(NEXT) | instid1(VALU_DEP_1)
	v_lshlrev_b64_e32 v[16:17], v13, v[2:3]
	v_dual_sub_nc_u32 v5, 30, v5 :: v_dual_bitop2_b32 v16, 3, v16 bitop3:0x40
; %bb.9652:                             ;   in Loop: Header=BB4_8239 Depth=3
	s_or_b32 exec_lo, exec_lo, s75
	v_and_b32_e32 v2, 0x80000000, v4
	s_delay_alu instid0(VALU_DEP_1) | instskip(NEXT) | instid1(VALU_DEP_1)
	v_lshl_add_u32 v2, v5, 23, v2
                                        ; implicit-def: $vgpr4_vgpr5
	v_lshl_or_b32 v2, v16, 21, v2
                                        ; implicit-def: $vgpr16
	s_delay_alu instid0(VALU_DEP_1)
	v_add_nc_u32_e32 v13, 0x38000000, v2
.LBB4_9653:                             ;   in Loop: Header=BB4_8239 Depth=3
	s_and_not1_saveexec_b32 s75, s13
; %bb.9654:                             ;   in Loop: Header=BB4_8239 Depth=3
	v_cmp_lt_i32_e64 s13, -1, v4
	v_cmp_eq_u32_e32 vcc_lo, 0, v16
	s_delay_alu instid0(VALU_DEP_2) | instskip(NEXT) | instid1(VALU_DEP_1)
	v_cndmask_b32_e64 v2, 0xff800000, v48, s13
	v_cndmask_b32_e32 v13, 0x7f800001, v2, vcc_lo
; %bb.9655:                             ;   in Loop: Header=BB4_8239 Depth=3
	s_or_b32 exec_lo, exec_lo, s75
.LBB4_9656:                             ;   in Loop: Header=BB4_8239 Depth=3
	s_delay_alu instid0(SALU_CYCLE_1)
	s_or_b32 exec_lo, exec_lo, s74
.LBB4_9657:                             ;   in Loop: Header=BB4_8239 Depth=3
	s_delay_alu instid0(SALU_CYCLE_1) | instskip(NEXT) | instid1(SALU_CYCLE_1)
	s_or_b32 exec_lo, exec_lo, s73
	s_mov_b32 s73, exec_lo
	v_cmpx_lt_u32_e32 0xffffff, v14
	s_cbranch_execz .LBB4_9667
; %bb.9658:                             ;   in Loop: Header=BB4_8239 Depth=3
	v_lshrrev_b32_e32 v2, 24, v14
	v_bfrev_b32_e32 v12, 1
	s_mov_b32 s74, exec_lo
	s_delay_alu instid0(VALU_DEP_2)
	v_cmpx_ne_u32_e32 0x80, v2
	s_cbranch_execz .LBB4_9666
; %bb.9659:                             ;   in Loop: Header=BB4_8239 Depth=3
	v_and_b32_e32 v5, 0x7c000000, v14
	v_bfe_u32 v4, v14, 24, 2
	s_mov_b32 s13, exec_lo
                                        ; implicit-def: $vgpr12
	s_delay_alu instid0(VALU_DEP_2)
	v_cmpx_ne_u32_e32 0x7c000000, v5
	s_xor_b32 s13, exec_lo, s13
	s_cbranch_execz .LBB4_9663
; %bb.9660:                             ;   in Loop: Header=BB4_8239 Depth=3
	v_bfe_u32 v5, v14, 26, 5
	s_mov_b32 s75, exec_lo
	s_delay_alu instid0(VALU_DEP_1)
	v_cmpx_eq_u32_e32 0, v5
; %bb.9661:                             ;   in Loop: Header=BB4_8239 Depth=3
	v_clz_i32_u32_e32 v4, v4
	s_delay_alu instid0(VALU_DEP_1) | instskip(NEXT) | instid1(VALU_DEP_1)
	v_min_u32_e32 v12, 32, v4
	v_subrev_nc_u32_e32 v4, 29, v12
	s_delay_alu instid0(VALU_DEP_1) | instskip(SKIP_1) | instid1(VALU_DEP_2)
	v_lshlrev_b64_e32 v[4:5], v4, v[2:3]
	v_sub_nc_u32_e32 v5, 30, v12
	v_and_b32_e32 v4, 3, v4
; %bb.9662:                             ;   in Loop: Header=BB4_8239 Depth=3
	s_or_b32 exec_lo, exec_lo, s75
	v_and_b32_e32 v2, 0x80000000, v14
	s_delay_alu instid0(VALU_DEP_1) | instskip(NEXT) | instid1(VALU_DEP_1)
	v_lshl_add_u32 v2, v5, 23, v2
	v_lshl_or_b32 v2, v4, 21, v2
                                        ; implicit-def: $vgpr4
	s_delay_alu instid0(VALU_DEP_1)
	v_add_nc_u32_e32 v12, 0x38000000, v2
.LBB4_9663:                             ;   in Loop: Header=BB4_8239 Depth=3
	s_and_not1_saveexec_b32 s75, s13
; %bb.9664:                             ;   in Loop: Header=BB4_8239 Depth=3
	v_cmp_lt_i32_e64 s13, -1, v14
	v_cmp_eq_u32_e32 vcc_lo, 0, v4
	s_delay_alu instid0(VALU_DEP_2) | instskip(NEXT) | instid1(VALU_DEP_1)
	v_cndmask_b32_e64 v2, 0xff800000, v48, s13
	v_cndmask_b32_e32 v12, 0x7f800001, v2, vcc_lo
; %bb.9665:                             ;   in Loop: Header=BB4_8239 Depth=3
	s_or_b32 exec_lo, exec_lo, s75
.LBB4_9666:                             ;   in Loop: Header=BB4_8239 Depth=3
	s_delay_alu instid0(SALU_CYCLE_1)
	s_or_b32 exec_lo, exec_lo, s74
.LBB4_9667:                             ;   in Loop: Header=BB4_8239 Depth=3
	s_delay_alu instid0(SALU_CYCLE_1) | instskip(NEXT) | instid1(VALU_DEP_1)
	s_or_b32 exec_lo, exec_lo, s73
	v_dual_add_f32 v12, v13, v12 :: v_dual_mov_b32 v17, v3
	v_mov_b32_e32 v5, v3
                                        ; implicit-def: $vgpr78
	s_mov_b32 s13, exec_lo
	s_delay_alu instid0(VALU_DEP_2) | instskip(SKIP_2) | instid1(VALU_DEP_3)
	v_and_b32_e32 v16, 0x7f800000, v12
	v_and_b32_e32 v4, 0x7fffff, v12
	v_lshrrev_b32_e32 v2, 24, v12
	v_cmpx_ne_u64_e32 0x7f800000, v[16:17]
	s_xor_b32 s73, exec_lo, s13
	s_cbranch_execz .LBB4_9681
; %bb.9668:                             ;   in Loop: Header=BB4_8239 Depth=3
	v_and_b32_e32 v16, 0x7fffffff, v12
	v_mov_b32_e32 v17, v3
	v_and_b32_e32 v2, 0x80, v2
                                        ; implicit-def: $vgpr78
	s_mov_b32 s13, exec_lo
	s_delay_alu instid0(VALU_DEP_2)
	v_cmpx_gt_u64_e32 0x47600001, v[16:17]
	s_xor_b32 s74, exec_lo, s13
	s_cbranch_execz .LBB4_9678
; %bb.9669:                             ;   in Loop: Header=BB4_8239 Depth=3
	v_mov_b32_e32 v78, 0
	s_mov_b32 s75, exec_lo
	v_cmpx_ne_u32_e32 0, v12
	s_cbranch_execz .LBB4_9677
; %bb.9670:                             ;   in Loop: Header=BB4_8239 Depth=3
	v_bfe_u32 v16, v12, 23, 8
	v_or_b32_e32 v13, 0x800000, v4
	s_delay_alu instid0(VALU_DEP_2) | instskip(SKIP_2) | instid1(VALU_DEP_2)
	v_cmp_gt_u32_e64 s13, 0x72, v16
	v_sub_nc_u32_e32 v12, 0x71, v16
	v_cmp_eq_u32_e32 vcc_lo, 0, v16
	v_cndmask_b32_e64 v12, 0, v12, s13
	s_delay_alu instid0(VALU_DEP_1) | instskip(NEXT) | instid1(VALU_DEP_1)
	v_cndmask_b32_e64 v17, v12, 0x70, vcc_lo
	v_dual_cndmask_b32 v4, v13, v4, vcc_lo :: v_dual_add_nc_u32 v12, 21, v17
	v_add_nc_u32_e32 v86, 20, v17
	s_delay_alu instid0(VALU_DEP_2) | instskip(NEXT) | instid1(VALU_DEP_2)
	v_lshlrev_b64_e64 v[12:13], v12, -1
	v_lshlrev_b64_e64 v[86:87], v86, 1
	s_delay_alu instid0(VALU_DEP_2) | instskip(SKIP_1) | instid1(VALU_DEP_4)
	v_bfi_b32 v12, v12, 0, v4
	v_lshrrev_b64 v[4:5], v17, v[4:5]
	v_bfi_b32 v13, v13, 0, 0
	s_delay_alu instid0(VALU_DEP_1) | instskip(NEXT) | instid1(VALU_DEP_3)
	v_cmp_eq_u64_e64 s13, v[12:13], v[86:87]
	v_mov_b64_e32 v[12:13], v[4:5]
	s_and_saveexec_b32 s76, s13
; %bb.9671:                             ;   in Loop: Header=BB4_8239 Depth=3
	v_bfe_u32 v12, v4, 21, 1
	v_mov_b32_e32 v13, v3
	s_delay_alu instid0(VALU_DEP_1) | instskip(NEXT) | instid1(VALU_DEP_1)
	v_add_nc_u64_e32 v[12:13], v[4:5], v[12:13]
	v_add_nc_u64_e32 v[12:13], -1, v[12:13]
; %bb.9672:                             ;   in Loop: Header=BB4_8239 Depth=3
	s_or_b32 exec_lo, exec_lo, s76
	v_add_nc_u32_e32 v5, 0xffffff81, v16
	v_lshrrev_b32_e32 v13, 23, v4
	s_mov_b32 s13, exec_lo
	s_delay_alu instid0(VALU_DEP_2) | instskip(NEXT) | instid1(VALU_DEP_1)
	v_cndmask_b32_e64 v5, v5, 0xffffff82, vcc_lo
	v_add3_u32 v16, v17, v5, v13
	v_and_b32_e32 v5, 0x1fffff, v12
                                        ; implicit-def: $vgpr12
	s_delay_alu instid0(VALU_DEP_2) | instskip(NEXT) | instid1(VALU_DEP_2)
	v_add_nc_u32_e32 v13, 14, v16
	v_dual_mov_b32 v5, v3 :: v_dual_add_nc_u32 v4, v5, v4
	s_delay_alu instid0(VALU_DEP_2)
	v_cmpx_ne_u32_e32 0, v13
	s_xor_b32 s13, exec_lo, s13
; %bb.9673:                             ;   in Loop: Header=BB4_8239 Depth=3
	s_delay_alu instid0(VALU_DEP_2) | instskip(SKIP_1) | instid1(VALU_DEP_1)
	v_cmp_lt_u64_e32 vcc_lo, 0xffffff, v[4:5]
	v_add_nc_u32_e32 v12, 15, v16
	v_cndmask_b32_e32 v12, v13, v12, vcc_lo
	v_cndmask_b32_e64 v13, 0, 1, vcc_lo
	s_delay_alu instid0(VALU_DEP_1)
	v_lshrrev_b64 v[4:5], v13, v[4:5]
; %bb.9674:                             ;   in Loop: Header=BB4_8239 Depth=3
	s_and_not1_saveexec_b32 s13, s13
; %bb.9675:                             ;   in Loop: Header=BB4_8239 Depth=3
	s_delay_alu instid0(VALU_DEP_1)
	v_bfe_u32 v12, v4, 23, 1
; %bb.9676:                             ;   in Loop: Header=BB4_8239 Depth=3
	s_or_b32 exec_lo, exec_lo, s13
	s_delay_alu instid0(VALU_DEP_2) | instskip(NEXT) | instid1(VALU_DEP_2)
	v_lshrrev_b64 v[4:5], 21, v[4:5]
	v_cmp_gt_i32_e32 vcc_lo, 32, v12
	v_min_i32_e32 v13, 31, v12
	v_cmp_eq_u32_e64 s13, 0, v12
	s_delay_alu instid0(VALU_DEP_4) | instskip(NEXT) | instid1(VALU_DEP_3)
	v_cndmask_b32_e32 v5, 0, v5, vcc_lo
	v_dual_cndmask_b32 v4, 3, v4 :: v_dual_lshlrev_b32 v13, 2, v13
	s_delay_alu instid0(VALU_DEP_1) | instskip(NEXT) | instid1(VALU_DEP_2)
	v_and_b32_e32 v13, 0xfc, v13
	v_cmp_eq_u64_e32 vcc_lo, 0, v[4:5]
	s_delay_alu instid0(VALU_DEP_2)
	v_and_or_b32 v4, v4, 3, v13
	s_and_b32 s13, s13, vcc_lo
	s_delay_alu instid0(VALU_DEP_1) | instid1(SALU_CYCLE_1)
	v_cndmask_b32_e64 v4, v4, 0, s13
	s_delay_alu instid0(VALU_DEP_1)
	v_or_b32_e32 v78, v4, v2
.LBB4_9677:                             ;   in Loop: Header=BB4_8239 Depth=3
	s_or_b32 exec_lo, exec_lo, s75
                                        ; implicit-def: $vgpr2
.LBB4_9678:                             ;   in Loop: Header=BB4_8239 Depth=3
	s_and_not1_saveexec_b32 s13, s74
; %bb.9679:                             ;   in Loop: Header=BB4_8239 Depth=3
	v_or_b32_e32 v78, 0x7b, v2
; %bb.9680:                             ;   in Loop: Header=BB4_8239 Depth=3
	s_or_b32 exec_lo, exec_lo, s13
                                        ; implicit-def: $vgpr12
                                        ; implicit-def: $vgpr4_vgpr5
                                        ; implicit-def: $vgpr2
.LBB4_9681:                             ;   in Loop: Header=BB4_8239 Depth=3
	s_and_not1_saveexec_b32 s13, s73
	s_cbranch_execz .LBB4_9687
; %bb.9682:                             ;   in Loop: Header=BB4_8239 Depth=3
	s_mov_b32 s73, exec_lo
                                        ; implicit-def: $vgpr78
	v_cmpx_ne_u64_e32 0, v[4:5]
	s_xor_b32 s73, exec_lo, s73
; %bb.9683:                             ;   in Loop: Header=BB4_8239 Depth=3
	v_or_b32_e32 v78, 0x7f, v2
                                        ; implicit-def: $vgpr12
; %bb.9684:                             ;   in Loop: Header=BB4_8239 Depth=3
	s_and_not1_saveexec_b32 s73, s73
; %bb.9685:                             ;   in Loop: Header=BB4_8239 Depth=3
	v_cmp_lt_i32_e32 vcc_lo, -1, v12
	v_cndmask_b32_e32 v78, 0xfc, v49, vcc_lo
; %bb.9686:                             ;   in Loop: Header=BB4_8239 Depth=3
	s_or_b32 exec_lo, exec_lo, s73
.LBB4_9687:                             ;   in Loop: Header=BB4_8239 Depth=3
	s_delay_alu instid0(SALU_CYCLE_1) | instskip(SKIP_4) | instid1(VALU_DEP_2)
	s_or_b32 exec_lo, exec_lo, s13
	v_dual_lshlrev_b32 v4, 24, v76 :: v_dual_lshlrev_b32 v12, 16, v74
	v_lshl_or_b32 v2, v63, 8, v41
	v_dual_mov_b32 v5, v3 :: v_dual_mov_b32 v13, 0
	s_mov_b32 s73, exec_lo
	v_or3_b32 v4, v12, v4, v2
	v_mov_b32_e32 v12, 0
	v_cmpx_ne_u32_e32 0, v41
	s_cbranch_execz .LBB4_9697
; %bb.9688:                             ;   in Loop: Header=BB4_8239 Depth=3
	v_bfrev_b32_e32 v12, 1
	s_mov_b32 s74, exec_lo
	v_cmpx_ne_u32_e32 0x80, v41
	s_cbranch_execz .LBB4_9696
; %bb.9689:                             ;   in Loop: Header=BB4_8239 Depth=3
	v_and_b32_e32 v12, 0x7c, v41
	v_and_b32_e32 v16, 3, v41
	s_delay_alu instid0(VALU_DEP_2) | instskip(SKIP_1) | instid1(SALU_CYCLE_1)
	v_cmp_ne_u32_e32 vcc_lo, 0x7c, v12
                                        ; implicit-def: $vgpr12
	s_and_saveexec_b32 s13, vcc_lo
	s_xor_b32 s13, exec_lo, s13
	s_cbranch_execz .LBB4_9693
; %bb.9690:                             ;   in Loop: Header=BB4_8239 Depth=3
	v_bfe_u32 v12, v41, 2, 5
	s_mov_b32 s75, exec_lo
	s_delay_alu instid0(VALU_DEP_1)
	v_cmpx_eq_u32_e32 0, v12
; %bb.9691:                             ;   in Loop: Header=BB4_8239 Depth=3
	v_clz_i32_u32_e32 v12, v16
	s_delay_alu instid0(VALU_DEP_1) | instskip(NEXT) | instid1(VALU_DEP_1)
	v_min_u32_e32 v12, 32, v12
	v_subrev_nc_u32_e32 v16, 29, v12
	v_sub_nc_u32_e32 v12, 30, v12
	s_delay_alu instid0(VALU_DEP_2) | instskip(NEXT) | instid1(VALU_DEP_1)
	v_lshlrev_b64_e32 v[16:17], v16, v[4:5]
	v_and_b32_e32 v16, 3, v16
; %bb.9692:                             ;   in Loop: Header=BB4_8239 Depth=3
	s_or_b32 exec_lo, exec_lo, s75
	v_lshlrev_b32_e32 v5, 24, v41
                                        ; implicit-def: $vgpr41
	s_delay_alu instid0(VALU_DEP_1) | instskip(NEXT) | instid1(VALU_DEP_1)
	v_and_b32_e32 v5, 0x80000000, v5
	v_lshl_add_u32 v5, v12, 23, v5
	s_delay_alu instid0(VALU_DEP_1) | instskip(NEXT) | instid1(VALU_DEP_1)
	v_lshl_or_b32 v5, v16, 21, v5
                                        ; implicit-def: $vgpr16
	v_add_nc_u32_e32 v12, 0x38000000, v5
.LBB4_9693:                             ;   in Loop: Header=BB4_8239 Depth=3
	s_and_not1_saveexec_b32 s75, s13
; %bb.9694:                             ;   in Loop: Header=BB4_8239 Depth=3
	v_and_b32_e32 v5, 0x80, v41
	v_cmp_eq_u32_e32 vcc_lo, 0, v16
	s_delay_alu instid0(VALU_DEP_2) | instskip(NEXT) | instid1(VALU_DEP_1)
	v_cmp_eq_u32_e64 s13, 0, v5
	v_cndmask_b32_e64 v5, 0xff800000, v48, s13
	s_delay_alu instid0(VALU_DEP_1)
	v_cndmask_b32_e32 v12, 0x7f800001, v5, vcc_lo
; %bb.9695:                             ;   in Loop: Header=BB4_8239 Depth=3
	s_or_b32 exec_lo, exec_lo, s75
.LBB4_9696:                             ;   in Loop: Header=BB4_8239 Depth=3
	s_delay_alu instid0(SALU_CYCLE_1)
	s_or_b32 exec_lo, exec_lo, s74
.LBB4_9697:                             ;   in Loop: Header=BB4_8239 Depth=3
	s_delay_alu instid0(SALU_CYCLE_1) | instskip(SKIP_2) | instid1(VALU_DEP_1)
	s_or_b32 exec_lo, exec_lo, s73
	v_and_b32_e32 v5, 0xff, v15
	s_mov_b32 s73, exec_lo
	v_cmpx_ne_u16_e32 0, v5
	s_cbranch_execz .LBB4_9707
; %bb.9698:                             ;   in Loop: Header=BB4_8239 Depth=3
	v_bfrev_b32_e32 v13, 1
	s_mov_b32 s74, exec_lo
	v_cmpx_ne_u16_e32 0x80, v5
	s_cbranch_execz .LBB4_9706
; %bb.9699:                             ;   in Loop: Header=BB4_8239 Depth=3
	v_and_b32_e32 v13, 0x7c, v15
	v_and_b32_e32 v5, 3, v15
	s_delay_alu instid0(VALU_DEP_2) | instskip(SKIP_1) | instid1(SALU_CYCLE_1)
	v_cmp_ne_u32_e32 vcc_lo, 0x7c, v13
                                        ; implicit-def: $vgpr13
	s_and_saveexec_b32 s13, vcc_lo
	s_xor_b32 s13, exec_lo, s13
	s_cbranch_execz .LBB4_9703
; %bb.9700:                             ;   in Loop: Header=BB4_8239 Depth=3
	v_bfe_u32 v13, v15, 2, 5
	s_mov_b32 s75, exec_lo
	s_delay_alu instid0(VALU_DEP_1)
	v_cmpx_eq_u32_e32 0, v13
; %bb.9701:                             ;   in Loop: Header=BB4_8239 Depth=3
	v_clz_i32_u32_e32 v5, v5
	v_dual_mov_b32 v16, v15 :: v_dual_mov_b32 v17, v3
	s_delay_alu instid0(VALU_DEP_2) | instskip(NEXT) | instid1(VALU_DEP_1)
	v_min_u32_e32 v5, 32, v5
	v_subrev_nc_u32_e32 v13, 29, v5
	s_delay_alu instid0(VALU_DEP_1) | instskip(NEXT) | instid1(VALU_DEP_1)
	v_lshlrev_b64_e32 v[16:17], v13, v[16:17]
	v_dual_sub_nc_u32 v13, 30, v5 :: v_dual_bitop2_b32 v5, 3, v16 bitop3:0x40
; %bb.9702:                             ;   in Loop: Header=BB4_8239 Depth=3
	s_or_b32 exec_lo, exec_lo, s75
	v_lshlrev_b32_e32 v16, 24, v15
	s_delay_alu instid0(VALU_DEP_1) | instskip(NEXT) | instid1(VALU_DEP_1)
	v_and_b32_e32 v16, 0x80000000, v16
	v_lshl_add_u32 v13, v13, 23, v16
	s_delay_alu instid0(VALU_DEP_1) | instskip(NEXT) | instid1(VALU_DEP_1)
	v_lshl_or_b32 v5, v5, 21, v13
	v_add_nc_u32_e32 v13, 0x38000000, v5
                                        ; implicit-def: $vgpr5
.LBB4_9703:                             ;   in Loop: Header=BB4_8239 Depth=3
	s_and_not1_saveexec_b32 s75, s13
; %bb.9704:                             ;   in Loop: Header=BB4_8239 Depth=3
	v_bfe_i32 v13, v15, 0, 8
	v_cmp_eq_u32_e32 vcc_lo, 0, v5
	s_delay_alu instid0(VALU_DEP_2) | instskip(NEXT) | instid1(VALU_DEP_1)
	v_cmp_lt_i16_e64 s13, -1, v13
	v_cndmask_b32_e64 v5, 0xff800000, v48, s13
	s_delay_alu instid0(VALU_DEP_1)
	v_cndmask_b32_e32 v13, 0x7f800001, v5, vcc_lo
; %bb.9705:                             ;   in Loop: Header=BB4_8239 Depth=3
	s_or_b32 exec_lo, exec_lo, s75
.LBB4_9706:                             ;   in Loop: Header=BB4_8239 Depth=3
	s_delay_alu instid0(SALU_CYCLE_1)
	s_or_b32 exec_lo, exec_lo, s74
.LBB4_9707:                             ;   in Loop: Header=BB4_8239 Depth=3
	s_delay_alu instid0(SALU_CYCLE_1) | instskip(NEXT) | instid1(VALU_DEP_1)
	s_or_b32 exec_lo, exec_lo, s73
	v_dual_add_f32 v16, v12, v13 :: v_dual_mov_b32 v87, v3
	v_mov_b32_e32 v13, v3
                                        ; implicit-def: $vgpr41
	s_mov_b32 s13, exec_lo
	s_delay_alu instid0(VALU_DEP_2) | instskip(SKIP_2) | instid1(VALU_DEP_3)
	v_and_b32_e32 v86, 0x7f800000, v16
	v_and_b32_e32 v12, 0x7fffff, v16
	v_lshrrev_b32_e32 v5, 24, v16
	v_cmpx_ne_u64_e32 0x7f800000, v[86:87]
	s_xor_b32 s73, exec_lo, s13
	s_cbranch_execz .LBB4_9721
; %bb.9708:                             ;   in Loop: Header=BB4_8239 Depth=3
	v_and_b32_e32 v86, 0x7fffffff, v16
	v_mov_b32_e32 v87, v3
	v_and_b32_e32 v5, 0x80, v5
                                        ; implicit-def: $vgpr41
	s_mov_b32 s13, exec_lo
	s_delay_alu instid0(VALU_DEP_2)
	v_cmpx_gt_u64_e32 0x47600001, v[86:87]
	s_xor_b32 s74, exec_lo, s13
	s_cbranch_execz .LBB4_9718
; %bb.9709:                             ;   in Loop: Header=BB4_8239 Depth=3
	v_mov_b32_e32 v41, 0
	s_mov_b32 s75, exec_lo
	v_cmpx_ne_u32_e32 0, v16
	s_cbranch_execz .LBB4_9717
; %bb.9710:                             ;   in Loop: Header=BB4_8239 Depth=3
	v_bfe_u32 v41, v16, 23, 8
	v_or_b32_e32 v17, 0x800000, v12
	s_delay_alu instid0(VALU_DEP_2) | instskip(SKIP_2) | instid1(VALU_DEP_2)
	v_cmp_gt_u32_e64 s13, 0x72, v41
	v_sub_nc_u32_e32 v16, 0x71, v41
	v_cmp_eq_u32_e32 vcc_lo, 0, v41
	v_cndmask_b32_e64 v16, 0, v16, s13
	s_delay_alu instid0(VALU_DEP_1) | instskip(NEXT) | instid1(VALU_DEP_1)
	v_cndmask_b32_e64 v86, v16, 0x70, vcc_lo
	v_dual_cndmask_b32 v12, v17, v12, vcc_lo :: v_dual_add_nc_u32 v16, 21, v86
	v_add_nc_u32_e32 v87, 20, v86
	s_delay_alu instid0(VALU_DEP_2) | instskip(NEXT) | instid1(VALU_DEP_2)
	v_lshlrev_b64_e64 v[16:17], v16, -1
	v_lshlrev_b64_e64 v[96:97], v87, 1
	s_delay_alu instid0(VALU_DEP_2) | instskip(SKIP_1) | instid1(VALU_DEP_4)
	v_bfi_b32 v16, v16, 0, v12
	v_lshrrev_b64 v[12:13], v86, v[12:13]
	v_bfi_b32 v17, v17, 0, 0
	s_delay_alu instid0(VALU_DEP_1) | instskip(NEXT) | instid1(VALU_DEP_3)
	v_cmp_eq_u64_e64 s13, v[16:17], v[96:97]
	v_mov_b64_e32 v[16:17], v[12:13]
	s_and_saveexec_b32 s76, s13
; %bb.9711:                             ;   in Loop: Header=BB4_8239 Depth=3
	v_bfe_u32 v16, v12, 21, 1
	v_mov_b32_e32 v17, v3
	s_delay_alu instid0(VALU_DEP_1) | instskip(NEXT) | instid1(VALU_DEP_1)
	v_add_nc_u64_e32 v[16:17], v[12:13], v[16:17]
	v_add_nc_u64_e32 v[16:17], -1, v[16:17]
; %bb.9712:                             ;   in Loop: Header=BB4_8239 Depth=3
	s_or_b32 exec_lo, exec_lo, s76
	v_add_nc_u32_e32 v13, 0xffffff81, v41
	v_lshrrev_b32_e32 v17, 23, v12
	s_mov_b32 s13, exec_lo
	s_delay_alu instid0(VALU_DEP_2) | instskip(NEXT) | instid1(VALU_DEP_1)
	v_cndmask_b32_e64 v13, v13, 0xffffff82, vcc_lo
	v_add3_u32 v86, v86, v13, v17
	v_and_b32_e32 v13, 0x1fffff, v16
                                        ; implicit-def: $vgpr16
	s_delay_alu instid0(VALU_DEP_1) | instskip(SKIP_1) | instid1(VALU_DEP_2)
	v_dual_add_nc_u32 v17, 14, v86 :: v_dual_add_nc_u32 v12, v13, v12
	v_mov_b32_e32 v13, v3
	v_cmpx_ne_u32_e32 0, v17
	s_xor_b32 s13, exec_lo, s13
; %bb.9713:                             ;   in Loop: Header=BB4_8239 Depth=3
	s_delay_alu instid0(VALU_DEP_2) | instskip(SKIP_1) | instid1(VALU_DEP_1)
	v_cmp_lt_u64_e32 vcc_lo, 0xffffff, v[12:13]
	v_add_nc_u32_e32 v16, 15, v86
	v_cndmask_b32_e32 v16, v17, v16, vcc_lo
	v_cndmask_b32_e64 v17, 0, 1, vcc_lo
	s_delay_alu instid0(VALU_DEP_1)
	v_lshrrev_b64 v[12:13], v17, v[12:13]
; %bb.9714:                             ;   in Loop: Header=BB4_8239 Depth=3
	s_and_not1_saveexec_b32 s13, s13
; %bb.9715:                             ;   in Loop: Header=BB4_8239 Depth=3
	s_delay_alu instid0(VALU_DEP_1)
	v_bfe_u32 v16, v12, 23, 1
; %bb.9716:                             ;   in Loop: Header=BB4_8239 Depth=3
	s_or_b32 exec_lo, exec_lo, s13
	s_delay_alu instid0(VALU_DEP_2) | instskip(NEXT) | instid1(VALU_DEP_2)
	v_lshrrev_b64 v[12:13], 21, v[12:13]
	v_cmp_gt_i32_e32 vcc_lo, 32, v16
	v_min_i32_e32 v17, 31, v16
	v_cmp_eq_u32_e64 s13, 0, v16
	s_delay_alu instid0(VALU_DEP_4) | instskip(NEXT) | instid1(VALU_DEP_3)
	v_cndmask_b32_e32 v13, 0, v13, vcc_lo
	v_dual_cndmask_b32 v12, 3, v12 :: v_dual_lshlrev_b32 v17, 2, v17
	s_delay_alu instid0(VALU_DEP_1) | instskip(NEXT) | instid1(VALU_DEP_2)
	v_and_b32_e32 v17, 0xfc, v17
	v_cmp_eq_u64_e32 vcc_lo, 0, v[12:13]
	s_delay_alu instid0(VALU_DEP_2)
	v_and_or_b32 v12, v12, 3, v17
	s_and_b32 s13, s13, vcc_lo
	s_delay_alu instid0(VALU_DEP_1) | instid1(SALU_CYCLE_1)
	v_cndmask_b32_e64 v12, v12, 0, s13
	s_delay_alu instid0(VALU_DEP_1)
	v_or_b32_e32 v41, v12, v5
.LBB4_9717:                             ;   in Loop: Header=BB4_8239 Depth=3
	s_or_b32 exec_lo, exec_lo, s75
                                        ; implicit-def: $vgpr5
.LBB4_9718:                             ;   in Loop: Header=BB4_8239 Depth=3
	s_and_not1_saveexec_b32 s13, s74
; %bb.9719:                             ;   in Loop: Header=BB4_8239 Depth=3
	v_or_b32_e32 v41, 0x7b, v5
; %bb.9720:                             ;   in Loop: Header=BB4_8239 Depth=3
	s_or_b32 exec_lo, exec_lo, s13
                                        ; implicit-def: $vgpr16
                                        ; implicit-def: $vgpr12_vgpr13
                                        ; implicit-def: $vgpr5
.LBB4_9721:                             ;   in Loop: Header=BB4_8239 Depth=3
	s_and_not1_saveexec_b32 s13, s73
	s_cbranch_execz .LBB4_9727
; %bb.9722:                             ;   in Loop: Header=BB4_8239 Depth=3
	s_mov_b32 s73, exec_lo
                                        ; implicit-def: $vgpr41
	v_cmpx_ne_u64_e32 0, v[12:13]
	s_xor_b32 s73, exec_lo, s73
; %bb.9723:                             ;   in Loop: Header=BB4_8239 Depth=3
	v_or_b32_e32 v41, 0x7f, v5
                                        ; implicit-def: $vgpr16
; %bb.9724:                             ;   in Loop: Header=BB4_8239 Depth=3
	s_and_not1_saveexec_b32 s73, s73
; %bb.9725:                             ;   in Loop: Header=BB4_8239 Depth=3
	v_cmp_lt_i32_e32 vcc_lo, -1, v16
	v_cndmask_b32_e32 v41, 0xfc, v49, vcc_lo
; %bb.9726:                             ;   in Loop: Header=BB4_8239 Depth=3
	s_or_b32 exec_lo, exec_lo, s73
.LBB4_9727:                             ;   in Loop: Header=BB4_8239 Depth=3
	s_delay_alu instid0(SALU_CYCLE_1) | instskip(SKIP_3) | instid1(VALU_DEP_2)
	s_or_b32 exec_lo, exec_lo, s13
	v_lshrrev_b16 v12, 8, v2
	v_dual_mov_b32 v5, 0 :: v_dual_mov_b32 v16, 0
	s_mov_b32 s73, exec_lo
	v_cmpx_ne_u16_e32 0, v12
	s_cbranch_execz .LBB4_9737
; %bb.9728:                             ;   in Loop: Header=BB4_8239 Depth=3
	v_bfrev_b32_e32 v16, 1
	s_mov_b32 s74, exec_lo
	v_cmpx_ne_u16_e32 0x80, v12
	s_cbranch_execz .LBB4_9736
; %bb.9729:                             ;   in Loop: Header=BB4_8239 Depth=3
	v_and_b32_e32 v17, 0xffff, v12
	s_delay_alu instid0(VALU_DEP_1) | instskip(SKIP_1) | instid1(VALU_DEP_2)
	v_and_b32_e32 v16, 0x7c, v17
	v_and_b32_e32 v13, 3, v17
	v_cmp_ne_u32_e32 vcc_lo, 0x7c, v16
                                        ; implicit-def: $vgpr16
	s_and_saveexec_b32 s13, vcc_lo
	s_delay_alu instid0(SALU_CYCLE_1)
	s_xor_b32 s13, exec_lo, s13
	s_cbranch_execz .LBB4_9733
; %bb.9730:                             ;   in Loop: Header=BB4_8239 Depth=3
	v_bfe_u32 v16, v17, 2, 5
	s_mov_b32 s75, exec_lo
	s_delay_alu instid0(VALU_DEP_1)
	v_cmpx_eq_u32_e32 0, v16
	s_cbranch_execz .LBB4_9732
; %bb.9731:                             ;   in Loop: Header=BB4_8239 Depth=3
	v_clz_i32_u32_e32 v13, v13
	s_delay_alu instid0(VALU_DEP_1) | instskip(SKIP_1) | instid1(VALU_DEP_2)
	v_min_u32_e32 v16, 32, v13
	v_mov_b32_e32 v13, v3
	v_subrev_nc_u32_e32 v17, 29, v16
	v_sub_nc_u32_e32 v16, 30, v16
	s_delay_alu instid0(VALU_DEP_2) | instskip(NEXT) | instid1(VALU_DEP_1)
	v_lshlrev_b64_e32 v[12:13], v17, v[12:13]
	v_and_b32_e32 v13, 3, v12
.LBB4_9732:                             ;   in Loop: Header=BB4_8239 Depth=3
	s_or_b32 exec_lo, exec_lo, s75
	v_lshlrev_b32_e32 v2, 16, v2
	s_delay_alu instid0(VALU_DEP_1) | instskip(NEXT) | instid1(VALU_DEP_1)
	v_and_b32_e32 v2, 0x80000000, v2
	v_lshl_add_u32 v2, v16, 23, v2
	s_delay_alu instid0(VALU_DEP_1) | instskip(NEXT) | instid1(VALU_DEP_1)
	v_lshl_or_b32 v2, v13, 21, v2
                                        ; implicit-def: $vgpr13
	v_add_nc_u32_e32 v16, 0x38000000, v2
                                        ; implicit-def: $vgpr2
.LBB4_9733:                             ;   in Loop: Header=BB4_8239 Depth=3
	s_and_not1_saveexec_b32 s75, s13
; %bb.9734:                             ;   in Loop: Header=BB4_8239 Depth=3
	v_cmp_lt_i16_e64 s13, -1, v2
	v_cmp_eq_u32_e32 vcc_lo, 0, v13
	s_delay_alu instid0(VALU_DEP_2) | instskip(NEXT) | instid1(VALU_DEP_1)
	v_cndmask_b32_e64 v2, 0xff800000, v48, s13
	v_cndmask_b32_e32 v16, 0x7f800001, v2, vcc_lo
; %bb.9735:                             ;   in Loop: Header=BB4_8239 Depth=3
	s_or_b32 exec_lo, exec_lo, s75
.LBB4_9736:                             ;   in Loop: Header=BB4_8239 Depth=3
	s_delay_alu instid0(SALU_CYCLE_1)
	s_or_b32 exec_lo, exec_lo, s74
.LBB4_9737:                             ;   in Loop: Header=BB4_8239 Depth=3
	s_delay_alu instid0(SALU_CYCLE_1) | instskip(SKIP_2) | instid1(VALU_DEP_1)
	s_or_b32 exec_lo, exec_lo, s73
	v_lshrrev_b16 v12, 8, v15
	s_mov_b32 s73, exec_lo
	v_cmpx_ne_u16_e32 0, v12
	s_cbranch_execz .LBB4_9747
; %bb.9738:                             ;   in Loop: Header=BB4_8239 Depth=3
	v_bfrev_b32_e32 v5, 1
	s_mov_b32 s74, exec_lo
	v_cmpx_ne_u16_e32 0x80, v12
	s_cbranch_execz .LBB4_9746
; %bb.9739:                             ;   in Loop: Header=BB4_8239 Depth=3
	v_and_b32_e32 v13, 0xffff, v12
	s_delay_alu instid0(VALU_DEP_1) | instskip(SKIP_1) | instid1(VALU_DEP_2)
	v_and_b32_e32 v5, 0x7c, v13
	v_and_b32_e32 v2, 3, v13
	v_cmp_ne_u32_e32 vcc_lo, 0x7c, v5
                                        ; implicit-def: $vgpr5
	s_and_saveexec_b32 s13, vcc_lo
	s_delay_alu instid0(SALU_CYCLE_1)
	s_xor_b32 s13, exec_lo, s13
	s_cbranch_execz .LBB4_9743
; %bb.9740:                             ;   in Loop: Header=BB4_8239 Depth=3
	v_bfe_u32 v5, v13, 2, 5
	s_mov_b32 s75, exec_lo
	s_delay_alu instid0(VALU_DEP_1)
	v_cmpx_eq_u32_e32 0, v5
; %bb.9741:                             ;   in Loop: Header=BB4_8239 Depth=3
	v_clz_i32_u32_e32 v2, v2
	s_delay_alu instid0(VALU_DEP_1) | instskip(SKIP_1) | instid1(VALU_DEP_2)
	v_min_u32_e32 v2, 32, v2
	v_mov_b32_e32 v13, v3
	v_subrev_nc_u32_e32 v5, 29, v2
	s_delay_alu instid0(VALU_DEP_1) | instskip(NEXT) | instid1(VALU_DEP_1)
	v_lshlrev_b64_e32 v[12:13], v5, v[12:13]
	v_dual_sub_nc_u32 v5, 30, v2 :: v_dual_bitop2_b32 v2, 3, v12 bitop3:0x40
; %bb.9742:                             ;   in Loop: Header=BB4_8239 Depth=3
	s_or_b32 exec_lo, exec_lo, s75
	v_lshlrev_b32_e32 v12, 16, v15
	s_delay_alu instid0(VALU_DEP_1) | instskip(NEXT) | instid1(VALU_DEP_1)
	v_and_b32_e32 v12, 0x80000000, v12
	v_lshl_add_u32 v5, v5, 23, v12
	s_delay_alu instid0(VALU_DEP_1) | instskip(NEXT) | instid1(VALU_DEP_1)
	v_lshl_or_b32 v2, v2, 21, v5
	v_add_nc_u32_e32 v5, 0x38000000, v2
                                        ; implicit-def: $vgpr2
.LBB4_9743:                             ;   in Loop: Header=BB4_8239 Depth=3
	s_and_not1_saveexec_b32 s75, s13
; %bb.9744:                             ;   in Loop: Header=BB4_8239 Depth=3
	v_cmp_lt_i16_e64 s13, -1, v15
	v_cmp_eq_u32_e32 vcc_lo, 0, v2
	s_delay_alu instid0(VALU_DEP_2) | instskip(NEXT) | instid1(VALU_DEP_1)
	v_cndmask_b32_e64 v2, 0xff800000, v48, s13
	v_cndmask_b32_e32 v5, 0x7f800001, v2, vcc_lo
; %bb.9745:                             ;   in Loop: Header=BB4_8239 Depth=3
	s_or_b32 exec_lo, exec_lo, s75
.LBB4_9746:                             ;   in Loop: Header=BB4_8239 Depth=3
	s_delay_alu instid0(SALU_CYCLE_1)
	s_or_b32 exec_lo, exec_lo, s74
.LBB4_9747:                             ;   in Loop: Header=BB4_8239 Depth=3
	s_delay_alu instid0(SALU_CYCLE_1) | instskip(NEXT) | instid1(VALU_DEP_1)
	s_or_b32 exec_lo, exec_lo, s73
	v_dual_add_f32 v5, v16, v5 :: v_dual_mov_b32 v17, v3
	v_mov_b32_e32 v13, v3
                                        ; implicit-def: $vgpr63
	s_mov_b32 s13, exec_lo
	s_delay_alu instid0(VALU_DEP_2) | instskip(SKIP_2) | instid1(VALU_DEP_3)
	v_and_b32_e32 v16, 0x7f800000, v5
	v_and_b32_e32 v12, 0x7fffff, v5
	v_lshrrev_b32_e32 v2, 24, v5
	v_cmpx_ne_u64_e32 0x7f800000, v[16:17]
	s_xor_b32 s73, exec_lo, s13
	s_cbranch_execz .LBB4_9761
; %bb.9748:                             ;   in Loop: Header=BB4_8239 Depth=3
	v_and_b32_e32 v16, 0x7fffffff, v5
	v_mov_b32_e32 v17, v3
	v_and_b32_e32 v2, 0x80, v2
                                        ; implicit-def: $vgpr63
	s_mov_b32 s13, exec_lo
	s_delay_alu instid0(VALU_DEP_2)
	v_cmpx_gt_u64_e32 0x47600001, v[16:17]
	s_xor_b32 s74, exec_lo, s13
	s_cbranch_execz .LBB4_9758
; %bb.9749:                             ;   in Loop: Header=BB4_8239 Depth=3
	v_mov_b32_e32 v63, 0
	s_mov_b32 s75, exec_lo
	v_cmpx_ne_u32_e32 0, v5
	s_cbranch_execz .LBB4_9757
; %bb.9750:                             ;   in Loop: Header=BB4_8239 Depth=3
	v_bfe_u32 v5, v5, 23, 8
	v_or_b32_e32 v17, 0x800000, v12
	s_delay_alu instid0(VALU_DEP_2) | instskip(SKIP_2) | instid1(VALU_DEP_2)
	v_cmp_gt_u32_e64 s13, 0x72, v5
	v_sub_nc_u32_e32 v16, 0x71, v5
	v_cmp_eq_u32_e32 vcc_lo, 0, v5
	v_cndmask_b32_e64 v16, 0, v16, s13
	s_delay_alu instid0(VALU_DEP_1) | instskip(NEXT) | instid1(VALU_DEP_1)
	v_cndmask_b32_e64 v86, v16, 0x70, vcc_lo
	v_dual_cndmask_b32 v12, v17, v12, vcc_lo :: v_dual_add_nc_u32 v16, 21, v86
	v_add_nc_u32_e32 v87, 20, v86
	s_delay_alu instid0(VALU_DEP_2) | instskip(NEXT) | instid1(VALU_DEP_2)
	v_lshlrev_b64_e64 v[16:17], v16, -1
	v_lshlrev_b64_e64 v[96:97], v87, 1
	s_delay_alu instid0(VALU_DEP_2) | instskip(SKIP_1) | instid1(VALU_DEP_4)
	v_bfi_b32 v16, v16, 0, v12
	v_lshrrev_b64 v[12:13], v86, v[12:13]
	v_bfi_b32 v17, v17, 0, 0
	s_delay_alu instid0(VALU_DEP_1) | instskip(NEXT) | instid1(VALU_DEP_3)
	v_cmp_eq_u64_e64 s13, v[16:17], v[96:97]
	v_mov_b64_e32 v[16:17], v[12:13]
	s_and_saveexec_b32 s76, s13
; %bb.9751:                             ;   in Loop: Header=BB4_8239 Depth=3
	v_bfe_u32 v16, v12, 21, 1
	v_mov_b32_e32 v17, v3
	s_delay_alu instid0(VALU_DEP_1) | instskip(NEXT) | instid1(VALU_DEP_1)
	v_add_nc_u64_e32 v[16:17], v[12:13], v[16:17]
	v_add_nc_u64_e32 v[16:17], -1, v[16:17]
; %bb.9752:                             ;   in Loop: Header=BB4_8239 Depth=3
	s_or_b32 exec_lo, exec_lo, s76
	v_add_nc_u32_e32 v5, 0xffffff81, v5
	v_lshrrev_b32_e32 v13, 23, v12
	s_mov_b32 s13, exec_lo
	s_delay_alu instid0(VALU_DEP_2) | instskip(NEXT) | instid1(VALU_DEP_1)
	v_cndmask_b32_e64 v5, v5, 0xffffff82, vcc_lo
	v_add3_u32 v17, v86, v5, v13
	v_and_b32_e32 v5, 0x1fffff, v16
	s_delay_alu instid0(VALU_DEP_2) | instskip(NEXT) | instid1(VALU_DEP_2)
	v_dual_mov_b32 v13, v3 :: v_dual_add_nc_u32 v16, 14, v17
	v_add_nc_u32_e32 v12, v5, v12
                                        ; implicit-def: $vgpr5
	s_delay_alu instid0(VALU_DEP_2)
	v_cmpx_ne_u32_e32 0, v16
	s_xor_b32 s13, exec_lo, s13
; %bb.9753:                             ;   in Loop: Header=BB4_8239 Depth=3
	s_delay_alu instid0(VALU_DEP_2) | instskip(SKIP_1) | instid1(VALU_DEP_1)
	v_cmp_lt_u64_e32 vcc_lo, 0xffffff, v[12:13]
	v_add_nc_u32_e32 v5, 15, v17
	v_cndmask_b32_e32 v5, v16, v5, vcc_lo
	v_cndmask_b32_e64 v16, 0, 1, vcc_lo
	s_delay_alu instid0(VALU_DEP_1)
	v_lshrrev_b64 v[12:13], v16, v[12:13]
; %bb.9754:                             ;   in Loop: Header=BB4_8239 Depth=3
	s_and_not1_saveexec_b32 s13, s13
; %bb.9755:                             ;   in Loop: Header=BB4_8239 Depth=3
	s_delay_alu instid0(VALU_DEP_1)
	v_bfe_u32 v5, v12, 23, 1
; %bb.9756:                             ;   in Loop: Header=BB4_8239 Depth=3
	s_or_b32 exec_lo, exec_lo, s13
	s_delay_alu instid0(VALU_DEP_2) | instskip(NEXT) | instid1(VALU_DEP_2)
	v_lshrrev_b64 v[12:13], 21, v[12:13]
	v_cmp_gt_i32_e32 vcc_lo, 32, v5
	v_min_i32_e32 v16, 31, v5
	v_cmp_eq_u32_e64 s13, 0, v5
	s_delay_alu instid0(VALU_DEP_4) | instskip(NEXT) | instid1(VALU_DEP_3)
	v_cndmask_b32_e32 v12, 3, v12, vcc_lo
	v_dual_cndmask_b32 v13, 0, v13 :: v_dual_lshlrev_b32 v16, 2, v16
	s_delay_alu instid0(VALU_DEP_1) | instskip(NEXT) | instid1(VALU_DEP_2)
	v_and_b32_e32 v16, 0xfc, v16
	v_cmp_eq_u64_e32 vcc_lo, 0, v[12:13]
	s_delay_alu instid0(VALU_DEP_2)
	v_and_or_b32 v5, v12, 3, v16
	s_and_b32 s13, s13, vcc_lo
	s_delay_alu instid0(VALU_DEP_1) | instid1(SALU_CYCLE_1)
	v_cndmask_b32_e64 v5, v5, 0, s13
	s_delay_alu instid0(VALU_DEP_1)
	v_or_b32_e32 v63, v5, v2
.LBB4_9757:                             ;   in Loop: Header=BB4_8239 Depth=3
	s_or_b32 exec_lo, exec_lo, s75
                                        ; implicit-def: $vgpr2
.LBB4_9758:                             ;   in Loop: Header=BB4_8239 Depth=3
	s_and_not1_saveexec_b32 s13, s74
; %bb.9759:                             ;   in Loop: Header=BB4_8239 Depth=3
	v_or_b32_e32 v63, 0x7b, v2
; %bb.9760:                             ;   in Loop: Header=BB4_8239 Depth=3
	s_or_b32 exec_lo, exec_lo, s13
                                        ; implicit-def: $vgpr5
                                        ; implicit-def: $vgpr12_vgpr13
                                        ; implicit-def: $vgpr2
.LBB4_9761:                             ;   in Loop: Header=BB4_8239 Depth=3
	s_and_not1_saveexec_b32 s13, s73
	s_cbranch_execz .LBB4_9767
; %bb.9762:                             ;   in Loop: Header=BB4_8239 Depth=3
	s_mov_b32 s73, exec_lo
                                        ; implicit-def: $vgpr63
	v_cmpx_ne_u64_e32 0, v[12:13]
	s_xor_b32 s73, exec_lo, s73
; %bb.9763:                             ;   in Loop: Header=BB4_8239 Depth=3
	v_or_b32_e32 v63, 0x7f, v2
                                        ; implicit-def: $vgpr5
; %bb.9764:                             ;   in Loop: Header=BB4_8239 Depth=3
	s_and_not1_saveexec_b32 s73, s73
; %bb.9765:                             ;   in Loop: Header=BB4_8239 Depth=3
	v_cmp_lt_i32_e32 vcc_lo, -1, v5
	v_cndmask_b32_e32 v63, 0xfc, v49, vcc_lo
; %bb.9766:                             ;   in Loop: Header=BB4_8239 Depth=3
	s_or_b32 exec_lo, exec_lo, s73
.LBB4_9767:                             ;   in Loop: Header=BB4_8239 Depth=3
	s_delay_alu instid0(SALU_CYCLE_1) | instskip(SKIP_3) | instid1(VALU_DEP_2)
	s_or_b32 exec_lo, exec_lo, s13
	v_dual_mov_b32 v5, 0 :: v_dual_lshrrev_b32 v2, 16, v4
	v_mov_b32_e32 v12, 0
	s_mov_b32 s73, exec_lo
	v_and_b32_e32 v13, 0xff, v2
	s_delay_alu instid0(VALU_DEP_1)
	v_cmpx_ne_u16_e32 0, v13
	s_cbranch_execz .LBB4_9777
; %bb.9768:                             ;   in Loop: Header=BB4_8239 Depth=3
	v_bfrev_b32_e32 v12, 1
	s_mov_b32 s74, exec_lo
	v_cmpx_ne_u16_e32 0x80, v13
	s_cbranch_execz .LBB4_9776
; %bb.9769:                             ;   in Loop: Header=BB4_8239 Depth=3
	v_and_b32_e32 v12, 0x7c0000, v4
	v_bfe_u32 v13, v4, 16, 2
	s_delay_alu instid0(VALU_DEP_2) | instskip(SKIP_1) | instid1(SALU_CYCLE_1)
	v_cmp_ne_u32_e32 vcc_lo, 0x7c0000, v12
                                        ; implicit-def: $vgpr12
	s_and_saveexec_b32 s13, vcc_lo
	s_xor_b32 s13, exec_lo, s13
	s_cbranch_execz .LBB4_9773
; %bb.9770:                             ;   in Loop: Header=BB4_8239 Depth=3
	v_bfe_u32 v12, v4, 18, 5
	s_mov_b32 s75, exec_lo
	s_delay_alu instid0(VALU_DEP_1)
	v_cmpx_eq_u32_e32 0, v12
; %bb.9771:                             ;   in Loop: Header=BB4_8239 Depth=3
	v_clz_i32_u32_e32 v12, v13
	s_delay_alu instid0(VALU_DEP_1) | instskip(NEXT) | instid1(VALU_DEP_1)
	v_min_u32_e32 v12, 32, v12
	v_subrev_nc_u32_e32 v13, 29, v12
	v_sub_nc_u32_e32 v12, 30, v12
	s_delay_alu instid0(VALU_DEP_2) | instskip(NEXT) | instid1(VALU_DEP_1)
	v_lshlrev_b64_e32 v[16:17], v13, v[2:3]
	v_and_b32_e32 v13, 3, v16
; %bb.9772:                             ;   in Loop: Header=BB4_8239 Depth=3
	s_or_b32 exec_lo, exec_lo, s75
	v_lshlrev_b32_e32 v2, 24, v2
	s_delay_alu instid0(VALU_DEP_1) | instskip(NEXT) | instid1(VALU_DEP_1)
	v_and_b32_e32 v2, 0x80000000, v2
	v_lshl_add_u32 v2, v12, 23, v2
	s_delay_alu instid0(VALU_DEP_1) | instskip(NEXT) | instid1(VALU_DEP_1)
	v_lshl_or_b32 v2, v13, 21, v2
                                        ; implicit-def: $vgpr13
	v_add_nc_u32_e32 v12, 0x38000000, v2
                                        ; implicit-def: $vgpr2
.LBB4_9773:                             ;   in Loop: Header=BB4_8239 Depth=3
	s_and_not1_saveexec_b32 s75, s13
; %bb.9774:                             ;   in Loop: Header=BB4_8239 Depth=3
	v_bfe_i32 v2, v2, 0, 8
	v_cmp_eq_u32_e32 vcc_lo, 0, v13
	s_delay_alu instid0(VALU_DEP_2) | instskip(NEXT) | instid1(VALU_DEP_1)
	v_cmp_lt_i16_e64 s13, -1, v2
	v_cndmask_b32_e64 v2, 0xff800000, v48, s13
	s_delay_alu instid0(VALU_DEP_1)
	v_cndmask_b32_e32 v12, 0x7f800001, v2, vcc_lo
; %bb.9775:                             ;   in Loop: Header=BB4_8239 Depth=3
	s_or_b32 exec_lo, exec_lo, s75
.LBB4_9776:                             ;   in Loop: Header=BB4_8239 Depth=3
	s_delay_alu instid0(SALU_CYCLE_1)
	s_or_b32 exec_lo, exec_lo, s74
.LBB4_9777:                             ;   in Loop: Header=BB4_8239 Depth=3
	s_delay_alu instid0(SALU_CYCLE_1) | instskip(SKIP_2) | instid1(VALU_DEP_1)
	s_or_b32 exec_lo, exec_lo, s73
	v_lshrrev_b32_e32 v2, 16, v15
	s_mov_b32 s73, exec_lo
	v_and_b32_e32 v13, 0xff, v2
	s_delay_alu instid0(VALU_DEP_1)
	v_cmpx_ne_u16_e32 0, v13
	s_cbranch_execz .LBB4_9787
; %bb.9778:                             ;   in Loop: Header=BB4_8239 Depth=3
	v_bfrev_b32_e32 v5, 1
	s_mov_b32 s74, exec_lo
	v_cmpx_ne_u16_e32 0x80, v13
	s_cbranch_execz .LBB4_9786
; %bb.9779:                             ;   in Loop: Header=BB4_8239 Depth=3
	v_and_b32_e32 v5, 0x7c0000, v15
	v_bfe_u32 v13, v15, 16, 2
	s_delay_alu instid0(VALU_DEP_2) | instskip(SKIP_1) | instid1(SALU_CYCLE_1)
	v_cmp_ne_u32_e32 vcc_lo, 0x7c0000, v5
                                        ; implicit-def: $vgpr5
	s_and_saveexec_b32 s13, vcc_lo
	s_xor_b32 s13, exec_lo, s13
	s_cbranch_execz .LBB4_9783
; %bb.9780:                             ;   in Loop: Header=BB4_8239 Depth=3
	v_bfe_u32 v5, v15, 18, 5
	s_mov_b32 s75, exec_lo
	s_delay_alu instid0(VALU_DEP_1)
	v_cmpx_eq_u32_e32 0, v5
; %bb.9781:                             ;   in Loop: Header=BB4_8239 Depth=3
	v_clz_i32_u32_e32 v5, v13
	s_delay_alu instid0(VALU_DEP_1) | instskip(NEXT) | instid1(VALU_DEP_1)
	v_min_u32_e32 v5, 32, v5
	v_subrev_nc_u32_e32 v13, 29, v5
	s_delay_alu instid0(VALU_DEP_1) | instskip(NEXT) | instid1(VALU_DEP_1)
	v_lshlrev_b64_e32 v[16:17], v13, v[2:3]
	v_dual_sub_nc_u32 v5, 30, v5 :: v_dual_bitop2_b32 v13, 3, v16 bitop3:0x40
; %bb.9782:                             ;   in Loop: Header=BB4_8239 Depth=3
	s_or_b32 exec_lo, exec_lo, s75
	v_lshlrev_b32_e32 v2, 24, v2
	s_delay_alu instid0(VALU_DEP_1) | instskip(NEXT) | instid1(VALU_DEP_1)
	v_and_b32_e32 v2, 0x80000000, v2
	v_lshl_add_u32 v2, v5, 23, v2
	s_delay_alu instid0(VALU_DEP_1) | instskip(NEXT) | instid1(VALU_DEP_1)
	v_lshl_or_b32 v2, v13, 21, v2
                                        ; implicit-def: $vgpr13
	v_add_nc_u32_e32 v5, 0x38000000, v2
                                        ; implicit-def: $vgpr2
.LBB4_9783:                             ;   in Loop: Header=BB4_8239 Depth=3
	s_and_not1_saveexec_b32 s75, s13
; %bb.9784:                             ;   in Loop: Header=BB4_8239 Depth=3
	v_bfe_i32 v2, v2, 0, 8
	v_cmp_eq_u32_e32 vcc_lo, 0, v13
	s_delay_alu instid0(VALU_DEP_2) | instskip(NEXT) | instid1(VALU_DEP_1)
	v_cmp_lt_i16_e64 s13, -1, v2
	v_cndmask_b32_e64 v2, 0xff800000, v48, s13
	s_delay_alu instid0(VALU_DEP_1)
	v_cndmask_b32_e32 v5, 0x7f800001, v2, vcc_lo
; %bb.9785:                             ;   in Loop: Header=BB4_8239 Depth=3
	s_or_b32 exec_lo, exec_lo, s75
.LBB4_9786:                             ;   in Loop: Header=BB4_8239 Depth=3
	s_delay_alu instid0(SALU_CYCLE_1)
	s_or_b32 exec_lo, exec_lo, s74
.LBB4_9787:                             ;   in Loop: Header=BB4_8239 Depth=3
	s_delay_alu instid0(SALU_CYCLE_1) | instskip(NEXT) | instid1(VALU_DEP_1)
	s_or_b32 exec_lo, exec_lo, s73
	v_dual_add_f32 v5, v12, v5 :: v_dual_mov_b32 v17, v3
	s_delay_alu instid0(VALU_DEP_1) | instskip(SKIP_2) | instid1(VALU_DEP_2)
	v_dual_mov_b32 v13, v3 :: v_dual_lshrrev_b32 v2, 24, v5
	v_and_b32_e32 v16, 0x7f800000, v5
	v_and_b32_e32 v12, 0x7fffff, v5
	v_cmp_ne_u64_e32 vcc_lo, 0x7f800000, v[16:17]
                                        ; implicit-def: $vgpr16
	s_and_saveexec_b32 s13, vcc_lo
	s_delay_alu instid0(SALU_CYCLE_1)
	s_xor_b32 s73, exec_lo, s13
	s_cbranch_execz .LBB4_9801
; %bb.9788:                             ;   in Loop: Header=BB4_8239 Depth=3
	v_and_b32_e32 v16, 0x7fffffff, v5
	v_mov_b32_e32 v17, v3
	v_and_b32_e32 v2, 0x80, v2
	s_delay_alu instid0(VALU_DEP_2) | instskip(SKIP_1) | instid1(SALU_CYCLE_1)
	v_cmp_gt_u64_e32 vcc_lo, 0x47600001, v[16:17]
                                        ; implicit-def: $vgpr16
	s_and_saveexec_b32 s13, vcc_lo
	s_xor_b32 s74, exec_lo, s13
	s_cbranch_execz .LBB4_9798
; %bb.9789:                             ;   in Loop: Header=BB4_8239 Depth=3
	v_mov_b32_e32 v16, 0
	s_mov_b32 s75, exec_lo
	v_cmpx_ne_u32_e32 0, v5
	s_cbranch_execz .LBB4_9797
; %bb.9790:                             ;   in Loop: Header=BB4_8239 Depth=3
	v_bfe_u32 v5, v5, 23, 8
	v_or_b32_e32 v17, 0x800000, v12
	s_delay_alu instid0(VALU_DEP_2) | instskip(SKIP_2) | instid1(VALU_DEP_2)
	v_cmp_gt_u32_e64 s13, 0x72, v5
	v_sub_nc_u32_e32 v16, 0x71, v5
	v_cmp_eq_u32_e32 vcc_lo, 0, v5
	v_cndmask_b32_e64 v16, 0, v16, s13
	s_delay_alu instid0(VALU_DEP_1) | instskip(NEXT) | instid1(VALU_DEP_1)
	v_cndmask_b32_e64 v86, v16, 0x70, vcc_lo
	v_dual_cndmask_b32 v12, v17, v12, vcc_lo :: v_dual_add_nc_u32 v16, 21, v86
	v_add_nc_u32_e32 v87, 20, v86
	s_delay_alu instid0(VALU_DEP_2) | instskip(NEXT) | instid1(VALU_DEP_2)
	v_lshlrev_b64_e64 v[16:17], v16, -1
	v_lshlrev_b64_e64 v[96:97], v87, 1
	s_delay_alu instid0(VALU_DEP_2) | instskip(SKIP_1) | instid1(VALU_DEP_4)
	v_bfi_b32 v16, v16, 0, v12
	v_lshrrev_b64 v[12:13], v86, v[12:13]
	v_bfi_b32 v17, v17, 0, 0
	s_delay_alu instid0(VALU_DEP_1) | instskip(NEXT) | instid1(VALU_DEP_3)
	v_cmp_eq_u64_e64 s13, v[16:17], v[96:97]
	v_mov_b64_e32 v[16:17], v[12:13]
	s_and_saveexec_b32 s76, s13
; %bb.9791:                             ;   in Loop: Header=BB4_8239 Depth=3
	v_bfe_u32 v16, v12, 21, 1
	v_mov_b32_e32 v17, v3
	s_delay_alu instid0(VALU_DEP_1) | instskip(NEXT) | instid1(VALU_DEP_1)
	v_add_nc_u64_e32 v[16:17], v[12:13], v[16:17]
	v_add_nc_u64_e32 v[16:17], -1, v[16:17]
; %bb.9792:                             ;   in Loop: Header=BB4_8239 Depth=3
	s_or_b32 exec_lo, exec_lo, s76
	v_add_nc_u32_e32 v5, 0xffffff81, v5
	v_lshrrev_b32_e32 v13, 23, v12
	s_mov_b32 s13, exec_lo
	s_delay_alu instid0(VALU_DEP_2) | instskip(NEXT) | instid1(VALU_DEP_1)
	v_cndmask_b32_e64 v5, v5, 0xffffff82, vcc_lo
	v_add3_u32 v17, v86, v5, v13
	v_and_b32_e32 v5, 0x1fffff, v16
	s_delay_alu instid0(VALU_DEP_2) | instskip(NEXT) | instid1(VALU_DEP_2)
	v_dual_mov_b32 v13, v3 :: v_dual_add_nc_u32 v16, 14, v17
	v_add_nc_u32_e32 v12, v5, v12
                                        ; implicit-def: $vgpr5
	s_delay_alu instid0(VALU_DEP_2)
	v_cmpx_ne_u32_e32 0, v16
	s_xor_b32 s13, exec_lo, s13
; %bb.9793:                             ;   in Loop: Header=BB4_8239 Depth=3
	s_delay_alu instid0(VALU_DEP_2) | instskip(SKIP_1) | instid1(VALU_DEP_1)
	v_cmp_lt_u64_e32 vcc_lo, 0xffffff, v[12:13]
	v_add_nc_u32_e32 v5, 15, v17
	v_cndmask_b32_e32 v5, v16, v5, vcc_lo
	v_cndmask_b32_e64 v16, 0, 1, vcc_lo
	s_delay_alu instid0(VALU_DEP_1)
	v_lshrrev_b64 v[12:13], v16, v[12:13]
; %bb.9794:                             ;   in Loop: Header=BB4_8239 Depth=3
	s_and_not1_saveexec_b32 s13, s13
; %bb.9795:                             ;   in Loop: Header=BB4_8239 Depth=3
	s_delay_alu instid0(VALU_DEP_1)
	v_bfe_u32 v5, v12, 23, 1
; %bb.9796:                             ;   in Loop: Header=BB4_8239 Depth=3
	s_or_b32 exec_lo, exec_lo, s13
	s_delay_alu instid0(VALU_DEP_2) | instskip(NEXT) | instid1(VALU_DEP_2)
	v_lshrrev_b64 v[12:13], 21, v[12:13]
	v_cmp_gt_i32_e32 vcc_lo, 32, v5
	v_min_i32_e32 v16, 31, v5
	v_cmp_eq_u32_e64 s13, 0, v5
	s_delay_alu instid0(VALU_DEP_4) | instskip(NEXT) | instid1(VALU_DEP_3)
	v_cndmask_b32_e32 v12, 3, v12, vcc_lo
	v_dual_cndmask_b32 v13, 0, v13 :: v_dual_lshlrev_b32 v16, 2, v16
	s_delay_alu instid0(VALU_DEP_1) | instskip(NEXT) | instid1(VALU_DEP_2)
	v_and_b32_e32 v16, 0xfc, v16
	v_cmp_eq_u64_e32 vcc_lo, 0, v[12:13]
	s_delay_alu instid0(VALU_DEP_2)
	v_and_or_b32 v5, v12, 3, v16
	s_and_b32 s13, s13, vcc_lo
	s_delay_alu instid0(VALU_DEP_1) | instid1(SALU_CYCLE_1)
	v_cndmask_b32_e64 v5, v5, 0, s13
	s_delay_alu instid0(VALU_DEP_1)
	v_or_b32_e32 v16, v5, v2
.LBB4_9797:                             ;   in Loop: Header=BB4_8239 Depth=3
	s_or_b32 exec_lo, exec_lo, s75
                                        ; implicit-def: $vgpr2
.LBB4_9798:                             ;   in Loop: Header=BB4_8239 Depth=3
	s_and_not1_saveexec_b32 s13, s74
; %bb.9799:                             ;   in Loop: Header=BB4_8239 Depth=3
	v_or_b32_e32 v16, 0x7b, v2
; %bb.9800:                             ;   in Loop: Header=BB4_8239 Depth=3
	s_or_b32 exec_lo, exec_lo, s13
                                        ; implicit-def: $vgpr5
                                        ; implicit-def: $vgpr12_vgpr13
                                        ; implicit-def: $vgpr2
.LBB4_9801:                             ;   in Loop: Header=BB4_8239 Depth=3
	s_and_not1_saveexec_b32 s13, s73
	s_cbranch_execz .LBB4_9807
; %bb.9802:                             ;   in Loop: Header=BB4_8239 Depth=3
	s_mov_b32 s73, exec_lo
                                        ; implicit-def: $vgpr16
	v_cmpx_ne_u64_e32 0, v[12:13]
	s_xor_b32 s73, exec_lo, s73
; %bb.9803:                             ;   in Loop: Header=BB4_8239 Depth=3
	v_or_b32_e32 v16, 0x7f, v2
                                        ; implicit-def: $vgpr5
; %bb.9804:                             ;   in Loop: Header=BB4_8239 Depth=3
	s_and_not1_saveexec_b32 s73, s73
; %bb.9805:                             ;   in Loop: Header=BB4_8239 Depth=3
	v_cmp_lt_i32_e32 vcc_lo, -1, v5
	v_cndmask_b32_e32 v16, 0xfc, v49, vcc_lo
; %bb.9806:                             ;   in Loop: Header=BB4_8239 Depth=3
	s_or_b32 exec_lo, exec_lo, s73
.LBB4_9807:                             ;   in Loop: Header=BB4_8239 Depth=3
	s_delay_alu instid0(SALU_CYCLE_1)
	s_or_b32 exec_lo, exec_lo, s13
	v_dual_mov_b32 v12, 0 :: v_dual_mov_b32 v13, 0
	s_mov_b32 s73, exec_lo
	v_cmpx_lt_u32_e32 0xffffff, v4
	s_cbranch_execz .LBB4_9817
; %bb.9808:                             ;   in Loop: Header=BB4_8239 Depth=3
	v_lshrrev_b32_e32 v2, 24, v4
	v_bfrev_b32_e32 v13, 1
	s_mov_b32 s74, exec_lo
	s_delay_alu instid0(VALU_DEP_2)
	v_cmpx_ne_u32_e32 0x80, v2
	s_cbranch_execz .LBB4_9816
; %bb.9809:                             ;   in Loop: Header=BB4_8239 Depth=3
	v_and_b32_e32 v5, 0x7c000000, v4
	v_bfe_u32 v17, v4, 24, 2
	s_mov_b32 s13, exec_lo
                                        ; implicit-def: $vgpr13
	s_delay_alu instid0(VALU_DEP_2)
	v_cmpx_ne_u32_e32 0x7c000000, v5
	s_xor_b32 s13, exec_lo, s13
	s_cbranch_execz .LBB4_9813
; %bb.9810:                             ;   in Loop: Header=BB4_8239 Depth=3
	v_bfe_u32 v5, v4, 26, 5
	s_mov_b32 s75, exec_lo
	s_delay_alu instid0(VALU_DEP_1)
	v_cmpx_eq_u32_e32 0, v5
; %bb.9811:                             ;   in Loop: Header=BB4_8239 Depth=3
	v_clz_i32_u32_e32 v5, v17
	s_delay_alu instid0(VALU_DEP_1) | instskip(NEXT) | instid1(VALU_DEP_1)
	v_min_u32_e32 v5, 32, v5
	v_subrev_nc_u32_e32 v13, 29, v5
	s_delay_alu instid0(VALU_DEP_1) | instskip(NEXT) | instid1(VALU_DEP_1)
	v_lshlrev_b64_e32 v[86:87], v13, v[2:3]
	v_dual_sub_nc_u32 v5, 30, v5 :: v_dual_bitop2_b32 v17, 3, v86 bitop3:0x40
; %bb.9812:                             ;   in Loop: Header=BB4_8239 Depth=3
	s_or_b32 exec_lo, exec_lo, s75
	v_and_b32_e32 v2, 0x80000000, v4
	s_delay_alu instid0(VALU_DEP_1) | instskip(NEXT) | instid1(VALU_DEP_1)
	v_lshl_add_u32 v2, v5, 23, v2
                                        ; implicit-def: $vgpr4_vgpr5
	v_lshl_or_b32 v2, v17, 21, v2
                                        ; implicit-def: $vgpr17
	s_delay_alu instid0(VALU_DEP_1)
	v_add_nc_u32_e32 v13, 0x38000000, v2
.LBB4_9813:                             ;   in Loop: Header=BB4_8239 Depth=3
	s_and_not1_saveexec_b32 s75, s13
; %bb.9814:                             ;   in Loop: Header=BB4_8239 Depth=3
	v_cmp_lt_i32_e64 s13, -1, v4
	v_cmp_eq_u32_e32 vcc_lo, 0, v17
	s_delay_alu instid0(VALU_DEP_2) | instskip(NEXT) | instid1(VALU_DEP_1)
	v_cndmask_b32_e64 v2, 0xff800000, v48, s13
	v_cndmask_b32_e32 v13, 0x7f800001, v2, vcc_lo
; %bb.9815:                             ;   in Loop: Header=BB4_8239 Depth=3
	s_or_b32 exec_lo, exec_lo, s75
.LBB4_9816:                             ;   in Loop: Header=BB4_8239 Depth=3
	s_delay_alu instid0(SALU_CYCLE_1)
	s_or_b32 exec_lo, exec_lo, s74
.LBB4_9817:                             ;   in Loop: Header=BB4_8239 Depth=3
	s_delay_alu instid0(SALU_CYCLE_1) | instskip(NEXT) | instid1(SALU_CYCLE_1)
	s_or_b32 exec_lo, exec_lo, s73
	s_mov_b32 s73, exec_lo
	v_cmpx_lt_u64_e64 s[22:23], v[14:15]
	s_cbranch_execz .LBB4_9827
; %bb.9818:                             ;   in Loop: Header=BB4_8239 Depth=3
	v_lshrrev_b32_e32 v2, 24, v15
	v_bfrev_b32_e32 v12, 1
	s_mov_b32 s74, exec_lo
	s_delay_alu instid0(VALU_DEP_2)
	v_cmpx_ne_u32_e32 0x80, v2
	s_cbranch_execz .LBB4_9826
; %bb.9819:                             ;   in Loop: Header=BB4_8239 Depth=3
	v_and_b32_e32 v5, 0x7c000000, v15
	v_bfe_u32 v4, v15, 24, 2
	s_mov_b32 s13, exec_lo
                                        ; implicit-def: $vgpr12
	s_delay_alu instid0(VALU_DEP_2)
	v_cmpx_ne_u32_e32 0x7c000000, v5
	s_xor_b32 s13, exec_lo, s13
	s_cbranch_execz .LBB4_9823
; %bb.9820:                             ;   in Loop: Header=BB4_8239 Depth=3
	v_bfe_u32 v5, v15, 26, 5
	s_mov_b32 s75, exec_lo
	s_delay_alu instid0(VALU_DEP_1)
	v_cmpx_eq_u32_e32 0, v5
; %bb.9821:                             ;   in Loop: Header=BB4_8239 Depth=3
	v_clz_i32_u32_e32 v4, v4
	s_delay_alu instid0(VALU_DEP_1) | instskip(NEXT) | instid1(VALU_DEP_1)
	v_min_u32_e32 v12, 32, v4
	v_subrev_nc_u32_e32 v4, 29, v12
	s_delay_alu instid0(VALU_DEP_1) | instskip(SKIP_1) | instid1(VALU_DEP_2)
	v_lshlrev_b64_e32 v[4:5], v4, v[2:3]
	v_sub_nc_u32_e32 v5, 30, v12
	v_and_b32_e32 v4, 3, v4
; %bb.9822:                             ;   in Loop: Header=BB4_8239 Depth=3
	s_or_b32 exec_lo, exec_lo, s75
	v_and_b32_e32 v2, 0x80000000, v15
                                        ; implicit-def: $vgpr14_vgpr15
	s_delay_alu instid0(VALU_DEP_1) | instskip(NEXT) | instid1(VALU_DEP_1)
	v_lshl_add_u32 v2, v5, 23, v2
	v_lshl_or_b32 v2, v4, 21, v2
                                        ; implicit-def: $vgpr4
	s_delay_alu instid0(VALU_DEP_1)
	v_add_nc_u32_e32 v12, 0x38000000, v2
.LBB4_9823:                             ;   in Loop: Header=BB4_8239 Depth=3
	s_and_not1_saveexec_b32 s75, s13
; %bb.9824:                             ;   in Loop: Header=BB4_8239 Depth=3
	v_cmp_lt_i64_e64 s13, -1, v[14:15]
	v_cmp_eq_u32_e32 vcc_lo, 0, v4
	s_delay_alu instid0(VALU_DEP_2) | instskip(NEXT) | instid1(VALU_DEP_1)
	v_cndmask_b32_e64 v2, 0xff800000, v48, s13
	v_cndmask_b32_e32 v12, 0x7f800001, v2, vcc_lo
; %bb.9825:                             ;   in Loop: Header=BB4_8239 Depth=3
	s_or_b32 exec_lo, exec_lo, s75
.LBB4_9826:                             ;   in Loop: Header=BB4_8239 Depth=3
	s_delay_alu instid0(SALU_CYCLE_1)
	s_or_b32 exec_lo, exec_lo, s74
.LBB4_9827:                             ;   in Loop: Header=BB4_8239 Depth=3
	s_delay_alu instid0(SALU_CYCLE_1) | instskip(NEXT) | instid1(VALU_DEP_1)
	s_or_b32 exec_lo, exec_lo, s73
	v_dual_add_f32 v12, v13, v12 :: v_dual_mov_b32 v15, v3
	v_mov_b32_e32 v5, v3
                                        ; implicit-def: $vgpr17
	s_mov_b32 s13, exec_lo
	s_delay_alu instid0(VALU_DEP_2) | instskip(SKIP_2) | instid1(VALU_DEP_3)
	v_and_b32_e32 v14, 0x7f800000, v12
	v_and_b32_e32 v4, 0x7fffff, v12
	v_lshrrev_b32_e32 v2, 24, v12
	v_cmpx_ne_u64_e32 0x7f800000, v[14:15]
	s_xor_b32 s73, exec_lo, s13
	s_cbranch_execz .LBB4_9841
; %bb.9828:                             ;   in Loop: Header=BB4_8239 Depth=3
	v_and_b32_e32 v14, 0x7fffffff, v12
	v_mov_b32_e32 v15, v3
	v_and_b32_e32 v2, 0x80, v2
                                        ; implicit-def: $vgpr17
	s_mov_b32 s13, exec_lo
	s_delay_alu instid0(VALU_DEP_2)
	v_cmpx_gt_u64_e32 0x47600001, v[14:15]
	s_xor_b32 s74, exec_lo, s13
	s_cbranch_execz .LBB4_9838
; %bb.9829:                             ;   in Loop: Header=BB4_8239 Depth=3
	v_mov_b32_e32 v17, 0
	s_mov_b32 s75, exec_lo
	v_cmpx_ne_u32_e32 0, v12
	s_cbranch_execz .LBB4_9837
; %bb.9830:                             ;   in Loop: Header=BB4_8239 Depth=3
	v_bfe_u32 v14, v12, 23, 8
	v_or_b32_e32 v13, 0x800000, v4
	s_delay_alu instid0(VALU_DEP_2) | instskip(SKIP_2) | instid1(VALU_DEP_2)
	v_cmp_gt_u32_e64 s13, 0x72, v14
	v_sub_nc_u32_e32 v12, 0x71, v14
	v_cmp_eq_u32_e32 vcc_lo, 0, v14
	v_cndmask_b32_e64 v12, 0, v12, s13
	s_delay_alu instid0(VALU_DEP_1) | instskip(NEXT) | instid1(VALU_DEP_1)
	v_cndmask_b32_e64 v15, v12, 0x70, vcc_lo
	v_dual_cndmask_b32 v4, v13, v4, vcc_lo :: v_dual_add_nc_u32 v12, 21, v15
	v_add_nc_u32_e32 v17, 20, v15
	s_delay_alu instid0(VALU_DEP_2) | instskip(NEXT) | instid1(VALU_DEP_2)
	v_lshlrev_b64_e64 v[12:13], v12, -1
	v_lshlrev_b64_e64 v[86:87], v17, 1
	s_delay_alu instid0(VALU_DEP_2) | instskip(SKIP_1) | instid1(VALU_DEP_4)
	v_bfi_b32 v12, v12, 0, v4
	v_lshrrev_b64 v[4:5], v15, v[4:5]
	v_bfi_b32 v13, v13, 0, 0
	s_delay_alu instid0(VALU_DEP_1) | instskip(NEXT) | instid1(VALU_DEP_3)
	v_cmp_eq_u64_e64 s13, v[12:13], v[86:87]
	v_mov_b64_e32 v[12:13], v[4:5]
	s_and_saveexec_b32 s76, s13
; %bb.9831:                             ;   in Loop: Header=BB4_8239 Depth=3
	v_bfe_u32 v12, v4, 21, 1
	v_mov_b32_e32 v13, v3
	s_delay_alu instid0(VALU_DEP_1) | instskip(NEXT) | instid1(VALU_DEP_1)
	v_add_nc_u64_e32 v[12:13], v[4:5], v[12:13]
	v_add_nc_u64_e32 v[12:13], -1, v[12:13]
; %bb.9832:                             ;   in Loop: Header=BB4_8239 Depth=3
	s_or_b32 exec_lo, exec_lo, s76
	v_add_nc_u32_e32 v5, 0xffffff81, v14
	v_lshrrev_b32_e32 v13, 23, v4
	s_mov_b32 s13, exec_lo
	s_delay_alu instid0(VALU_DEP_2) | instskip(NEXT) | instid1(VALU_DEP_1)
	v_cndmask_b32_e64 v5, v5, 0xffffff82, vcc_lo
	v_add3_u32 v14, v15, v5, v13
	v_and_b32_e32 v5, 0x1fffff, v12
                                        ; implicit-def: $vgpr12
	s_delay_alu instid0(VALU_DEP_1) | instskip(SKIP_1) | instid1(VALU_DEP_2)
	v_dual_add_nc_u32 v13, 14, v14 :: v_dual_add_nc_u32 v4, v5, v4
	v_mov_b32_e32 v5, v3
	v_cmpx_ne_u32_e32 0, v13
	s_xor_b32 s13, exec_lo, s13
; %bb.9833:                             ;   in Loop: Header=BB4_8239 Depth=3
	s_delay_alu instid0(VALU_DEP_2) | instskip(SKIP_1) | instid1(VALU_DEP_1)
	v_cmp_lt_u64_e32 vcc_lo, 0xffffff, v[4:5]
	v_add_nc_u32_e32 v12, 15, v14
	v_cndmask_b32_e32 v12, v13, v12, vcc_lo
	v_cndmask_b32_e64 v13, 0, 1, vcc_lo
	s_delay_alu instid0(VALU_DEP_1)
	v_lshrrev_b64 v[4:5], v13, v[4:5]
; %bb.9834:                             ;   in Loop: Header=BB4_8239 Depth=3
	s_and_not1_saveexec_b32 s13, s13
; %bb.9835:                             ;   in Loop: Header=BB4_8239 Depth=3
	s_delay_alu instid0(VALU_DEP_1)
	v_bfe_u32 v12, v4, 23, 1
; %bb.9836:                             ;   in Loop: Header=BB4_8239 Depth=3
	s_or_b32 exec_lo, exec_lo, s13
	s_delay_alu instid0(VALU_DEP_2) | instskip(NEXT) | instid1(VALU_DEP_2)
	v_lshrrev_b64 v[4:5], 21, v[4:5]
	v_cmp_gt_i32_e32 vcc_lo, 32, v12
	v_min_i32_e32 v13, 31, v12
	v_cmp_eq_u32_e64 s13, 0, v12
	s_delay_alu instid0(VALU_DEP_4) | instskip(NEXT) | instid1(VALU_DEP_3)
	v_cndmask_b32_e32 v5, 0, v5, vcc_lo
	v_dual_cndmask_b32 v4, 3, v4 :: v_dual_lshlrev_b32 v13, 2, v13
	s_delay_alu instid0(VALU_DEP_1) | instskip(NEXT) | instid1(VALU_DEP_2)
	v_and_b32_e32 v13, 0xfc, v13
	v_cmp_eq_u64_e32 vcc_lo, 0, v[4:5]
	s_delay_alu instid0(VALU_DEP_2)
	v_and_or_b32 v4, v4, 3, v13
	s_and_b32 s13, s13, vcc_lo
	s_delay_alu instid0(VALU_DEP_1) | instid1(SALU_CYCLE_1)
	v_cndmask_b32_e64 v4, v4, 0, s13
	s_delay_alu instid0(VALU_DEP_1)
	v_or_b32_e32 v17, v4, v2
.LBB4_9837:                             ;   in Loop: Header=BB4_8239 Depth=3
	s_or_b32 exec_lo, exec_lo, s75
                                        ; implicit-def: $vgpr2
.LBB4_9838:                             ;   in Loop: Header=BB4_8239 Depth=3
	s_and_not1_saveexec_b32 s13, s74
; %bb.9839:                             ;   in Loop: Header=BB4_8239 Depth=3
	v_or_b32_e32 v17, 0x7b, v2
; %bb.9840:                             ;   in Loop: Header=BB4_8239 Depth=3
	s_or_b32 exec_lo, exec_lo, s13
                                        ; implicit-def: $vgpr12
                                        ; implicit-def: $vgpr4_vgpr5
                                        ; implicit-def: $vgpr2
.LBB4_9841:                             ;   in Loop: Header=BB4_8239 Depth=3
	s_and_not1_saveexec_b32 s13, s73
	s_cbranch_execz .LBB4_9847
; %bb.9842:                             ;   in Loop: Header=BB4_8239 Depth=3
	s_mov_b32 s73, exec_lo
                                        ; implicit-def: $vgpr17
	v_cmpx_ne_u64_e32 0, v[4:5]
	s_xor_b32 s73, exec_lo, s73
; %bb.9843:                             ;   in Loop: Header=BB4_8239 Depth=3
	v_or_b32_e32 v17, 0x7f, v2
                                        ; implicit-def: $vgpr12
; %bb.9844:                             ;   in Loop: Header=BB4_8239 Depth=3
	s_and_not1_saveexec_b32 s73, s73
; %bb.9845:                             ;   in Loop: Header=BB4_8239 Depth=3
	v_cmp_lt_i32_e32 vcc_lo, -1, v12
	v_cndmask_b32_e32 v17, 0xfc, v49, vcc_lo
; %bb.9846:                             ;   in Loop: Header=BB4_8239 Depth=3
	s_or_b32 exec_lo, exec_lo, s73
.LBB4_9847:                             ;   in Loop: Header=BB4_8239 Depth=3
	s_delay_alu instid0(SALU_CYCLE_1) | instskip(SKIP_4) | instid1(VALU_DEP_2)
	s_or_b32 exec_lo, exec_lo, s13
	v_lshl_or_b32 v2, v40, 8, v118
	v_dual_lshlrev_b32 v4, 16, v61 :: v_dual_lshlrev_b32 v12, 24, v72
	v_dual_mov_b32 v5, v3 :: v_dual_mov_b32 v13, 0
	s_mov_b32 s73, exec_lo
	v_or3_b32 v4, v4, v12, v2
	v_mov_b32_e32 v12, 0
	v_cmpx_ne_u32_e32 0, v118
	s_cbranch_execz .LBB4_9857
; %bb.9848:                             ;   in Loop: Header=BB4_8239 Depth=3
	v_bfrev_b32_e32 v13, 1
	s_mov_b32 s74, exec_lo
	v_cmpx_ne_u32_e32 0x80, v118
	s_cbranch_execz .LBB4_9856
; %bb.9849:                             ;   in Loop: Header=BB4_8239 Depth=3
	v_and_b32_e32 v13, 0x7c, v118
	v_and_b32_e32 v14, 3, v118
	s_delay_alu instid0(VALU_DEP_2) | instskip(SKIP_1) | instid1(SALU_CYCLE_1)
	v_cmp_ne_u32_e32 vcc_lo, 0x7c, v13
                                        ; implicit-def: $vgpr13
	s_and_saveexec_b32 s13, vcc_lo
	s_xor_b32 s13, exec_lo, s13
	s_cbranch_execz .LBB4_9853
; %bb.9850:                             ;   in Loop: Header=BB4_8239 Depth=3
	v_bfe_u32 v13, v118, 2, 5
	s_mov_b32 s75, exec_lo
	s_delay_alu instid0(VALU_DEP_1)
	v_cmpx_eq_u32_e32 0, v13
; %bb.9851:                             ;   in Loop: Header=BB4_8239 Depth=3
	v_clz_i32_u32_e32 v13, v14
	s_delay_alu instid0(VALU_DEP_1) | instskip(NEXT) | instid1(VALU_DEP_1)
	v_min_u32_e32 v13, 32, v13
	v_subrev_nc_u32_e32 v14, 29, v13
	s_delay_alu instid0(VALU_DEP_1) | instskip(NEXT) | instid1(VALU_DEP_1)
	v_lshlrev_b64_e32 v[14:15], v14, v[4:5]
	v_dual_sub_nc_u32 v13, 30, v13 :: v_dual_bitop2_b32 v14, 3, v14 bitop3:0x40
; %bb.9852:                             ;   in Loop: Header=BB4_8239 Depth=3
	s_or_b32 exec_lo, exec_lo, s75
	v_lshlrev_b32_e32 v5, 24, v118
                                        ; implicit-def: $vgpr118
	s_delay_alu instid0(VALU_DEP_1) | instskip(NEXT) | instid1(VALU_DEP_1)
	v_and_b32_e32 v5, 0x80000000, v5
	v_lshl_add_u32 v5, v13, 23, v5
	s_delay_alu instid0(VALU_DEP_1) | instskip(NEXT) | instid1(VALU_DEP_1)
	v_lshl_or_b32 v5, v14, 21, v5
                                        ; implicit-def: $vgpr14
	v_add_nc_u32_e32 v13, 0x38000000, v5
.LBB4_9853:                             ;   in Loop: Header=BB4_8239 Depth=3
	s_and_not1_saveexec_b32 s75, s13
; %bb.9854:                             ;   in Loop: Header=BB4_8239 Depth=3
	v_and_b32_e32 v5, 0x80, v118
	v_cmp_eq_u32_e32 vcc_lo, 0, v14
	s_delay_alu instid0(VALU_DEP_2) | instskip(NEXT) | instid1(VALU_DEP_1)
	v_cmp_eq_u32_e64 s13, 0, v5
	v_cndmask_b32_e64 v5, 0xff800000, v48, s13
	s_delay_alu instid0(VALU_DEP_1)
	v_cndmask_b32_e32 v13, 0x7f800001, v5, vcc_lo
; %bb.9855:                             ;   in Loop: Header=BB4_8239 Depth=3
	s_or_b32 exec_lo, exec_lo, s75
.LBB4_9856:                             ;   in Loop: Header=BB4_8239 Depth=3
	s_delay_alu instid0(SALU_CYCLE_1)
	s_or_b32 exec_lo, exec_lo, s74
.LBB4_9857:                             ;   in Loop: Header=BB4_8239 Depth=3
	s_delay_alu instid0(SALU_CYCLE_1) | instskip(SKIP_3) | instid1(VALU_DEP_1)
	s_or_b32 exec_lo, exec_lo, s73
	s_wait_loadcnt 0x0
	v_and_b32_e32 v5, 0xff, v8
	s_mov_b32 s73, exec_lo
	v_cmpx_ne_u16_e32 0, v5
	s_cbranch_execz .LBB4_9867
; %bb.9858:                             ;   in Loop: Header=BB4_8239 Depth=3
	v_bfe_i32 v14, v8, 0, 8
	v_bfrev_b32_e32 v12, 1
	s_mov_b32 s74, exec_lo
	s_delay_alu instid0(VALU_DEP_2)
	v_cmpx_ne_u16_e32 0xff80, v14
	s_cbranch_execz .LBB4_9866
; %bb.9859:                             ;   in Loop: Header=BB4_8239 Depth=3
	v_and_b32_e32 v12, 0x7c, v8
	v_and_b32_e32 v5, 3, v8
	s_delay_alu instid0(VALU_DEP_2) | instskip(SKIP_1) | instid1(SALU_CYCLE_1)
	v_cmp_ne_u32_e32 vcc_lo, 0x7c, v12
                                        ; implicit-def: $vgpr12
	s_and_saveexec_b32 s13, vcc_lo
	s_xor_b32 s13, exec_lo, s13
	s_cbranch_execz .LBB4_9863
; %bb.9860:                             ;   in Loop: Header=BB4_8239 Depth=3
	v_bfe_u32 v12, v8, 2, 5
	s_mov_b32 s75, exec_lo
	s_delay_alu instid0(VALU_DEP_1)
	v_cmpx_eq_u32_e32 0, v12
; %bb.9861:                             ;   in Loop: Header=BB4_8239 Depth=3
	v_clz_i32_u32_e32 v5, v5
	s_delay_alu instid0(VALU_DEP_1) | instskip(NEXT) | instid1(VALU_DEP_1)
	v_min_u32_e32 v5, 32, v5
	v_subrev_nc_u32_e32 v12, 29, v5
	s_delay_alu instid0(VALU_DEP_1) | instskip(NEXT) | instid1(VALU_DEP_1)
	v_lshlrev_b64_e32 v[14:15], v12, v[8:9]
	v_dual_sub_nc_u32 v12, 30, v5 :: v_dual_bitop2_b32 v5, 3, v14 bitop3:0x40
; %bb.9862:                             ;   in Loop: Header=BB4_8239 Depth=3
	s_or_b32 exec_lo, exec_lo, s75
	v_lshlrev_b32_e32 v14, 24, v8
	s_delay_alu instid0(VALU_DEP_1) | instskip(NEXT) | instid1(VALU_DEP_1)
	v_and_b32_e32 v14, 0x80000000, v14
	v_lshl_add_u32 v12, v12, 23, v14
                                        ; implicit-def: $vgpr14
	s_delay_alu instid0(VALU_DEP_1) | instskip(NEXT) | instid1(VALU_DEP_1)
	v_lshl_or_b32 v5, v5, 21, v12
	v_add_nc_u32_e32 v12, 0x38000000, v5
                                        ; implicit-def: $vgpr5
.LBB4_9863:                             ;   in Loop: Header=BB4_8239 Depth=3
	s_and_not1_saveexec_b32 s75, s13
; %bb.9864:                             ;   in Loop: Header=BB4_8239 Depth=3
	v_cmp_lt_i16_e64 s13, -1, v14
	v_cmp_eq_u32_e32 vcc_lo, 0, v5
	s_delay_alu instid0(VALU_DEP_2) | instskip(NEXT) | instid1(VALU_DEP_1)
	v_cndmask_b32_e64 v5, 0xff800000, v48, s13
	v_cndmask_b32_e32 v12, 0x7f800001, v5, vcc_lo
; %bb.9865:                             ;   in Loop: Header=BB4_8239 Depth=3
	s_or_b32 exec_lo, exec_lo, s75
.LBB4_9866:                             ;   in Loop: Header=BB4_8239 Depth=3
	s_delay_alu instid0(SALU_CYCLE_1)
	s_or_b32 exec_lo, exec_lo, s74
.LBB4_9867:                             ;   in Loop: Header=BB4_8239 Depth=3
	s_delay_alu instid0(SALU_CYCLE_1) | instskip(NEXT) | instid1(VALU_DEP_1)
	s_or_b32 exec_lo, exec_lo, s73
	v_dual_add_f32 v14, v13, v12 :: v_dual_mov_b32 v87, v3
	v_mov_b32_e32 v13, v3
                                        ; implicit-def: $vgpr118
	s_mov_b32 s13, exec_lo
	s_delay_alu instid0(VALU_DEP_2) | instskip(SKIP_2) | instid1(VALU_DEP_3)
	v_and_b32_e32 v86, 0x7f800000, v14
	v_and_b32_e32 v12, 0x7fffff, v14
	v_lshrrev_b32_e32 v5, 24, v14
	v_cmpx_ne_u64_e32 0x7f800000, v[86:87]
	s_xor_b32 s73, exec_lo, s13
	s_cbranch_execz .LBB4_9881
; %bb.9868:                             ;   in Loop: Header=BB4_8239 Depth=3
	v_and_b32_e32 v86, 0x7fffffff, v14
	v_mov_b32_e32 v87, v3
	v_and_b32_e32 v5, 0x80, v5
                                        ; implicit-def: $vgpr118
	s_mov_b32 s13, exec_lo
	s_delay_alu instid0(VALU_DEP_2)
	v_cmpx_gt_u64_e32 0x47600001, v[86:87]
	s_xor_b32 s74, exec_lo, s13
	s_cbranch_execz .LBB4_9878
; %bb.9869:                             ;   in Loop: Header=BB4_8239 Depth=3
	v_mov_b32_e32 v118, 0
	s_mov_b32 s75, exec_lo
	v_cmpx_ne_u32_e32 0, v14
	s_cbranch_execz .LBB4_9877
; %bb.9870:                             ;   in Loop: Header=BB4_8239 Depth=3
	v_bfe_u32 v118, v14, 23, 8
	v_or_b32_e32 v15, 0x800000, v12
	s_delay_alu instid0(VALU_DEP_2) | instskip(SKIP_2) | instid1(VALU_DEP_2)
	v_cmp_gt_u32_e64 s13, 0x72, v118
	v_sub_nc_u32_e32 v14, 0x71, v118
	v_cmp_eq_u32_e32 vcc_lo, 0, v118
	v_dual_cndmask_b32 v14, 0, v14, s13 :: v_dual_cndmask_b32 v12, v15, v12, vcc_lo
	s_delay_alu instid0(VALU_DEP_1) | instskip(NEXT) | instid1(VALU_DEP_1)
	v_cndmask_b32_e64 v86, v14, 0x70, vcc_lo
	v_dual_add_nc_u32 v14, 21, v86 :: v_dual_add_nc_u32 v87, 20, v86
	s_delay_alu instid0(VALU_DEP_1) | instskip(NEXT) | instid1(VALU_DEP_2)
	v_lshlrev_b64_e64 v[14:15], v14, -1
	v_lshlrev_b64_e64 v[96:97], v87, 1
	s_delay_alu instid0(VALU_DEP_2) | instskip(SKIP_1) | instid1(VALU_DEP_4)
	v_bfi_b32 v14, v14, 0, v12
	v_lshrrev_b64 v[12:13], v86, v[12:13]
	v_bfi_b32 v15, v15, 0, 0
	s_delay_alu instid0(VALU_DEP_1) | instskip(NEXT) | instid1(VALU_DEP_3)
	v_cmp_eq_u64_e64 s13, v[14:15], v[96:97]
	v_mov_b64_e32 v[14:15], v[12:13]
	s_and_saveexec_b32 s76, s13
; %bb.9871:                             ;   in Loop: Header=BB4_8239 Depth=3
	v_bfe_u32 v14, v12, 21, 1
	v_mov_b32_e32 v15, v3
	s_delay_alu instid0(VALU_DEP_1) | instskip(NEXT) | instid1(VALU_DEP_1)
	v_add_nc_u64_e32 v[14:15], v[12:13], v[14:15]
	v_add_nc_u64_e32 v[14:15], -1, v[14:15]
; %bb.9872:                             ;   in Loop: Header=BB4_8239 Depth=3
	s_or_b32 exec_lo, exec_lo, s76
	v_add_nc_u32_e32 v13, 0xffffff81, v118
	v_lshrrev_b32_e32 v15, 23, v12
	s_mov_b32 s13, exec_lo
	s_delay_alu instid0(VALU_DEP_2) | instskip(NEXT) | instid1(VALU_DEP_1)
	v_cndmask_b32_e64 v13, v13, 0xffffff82, vcc_lo
	v_add3_u32 v86, v86, v13, v15
	v_and_b32_e32 v13, 0x1fffff, v14
                                        ; implicit-def: $vgpr14
	s_delay_alu instid0(VALU_DEP_1) | instskip(SKIP_1) | instid1(VALU_DEP_2)
	v_dual_add_nc_u32 v15, 14, v86 :: v_dual_add_nc_u32 v12, v13, v12
	v_mov_b32_e32 v13, v3
	v_cmpx_ne_u32_e32 0, v15
	s_xor_b32 s13, exec_lo, s13
; %bb.9873:                             ;   in Loop: Header=BB4_8239 Depth=3
	s_delay_alu instid0(VALU_DEP_2) | instskip(SKIP_1) | instid1(VALU_DEP_1)
	v_cmp_lt_u64_e32 vcc_lo, 0xffffff, v[12:13]
	v_add_nc_u32_e32 v14, 15, v86
	v_cndmask_b32_e32 v14, v15, v14, vcc_lo
	v_cndmask_b32_e64 v15, 0, 1, vcc_lo
	s_delay_alu instid0(VALU_DEP_1)
	v_lshrrev_b64 v[12:13], v15, v[12:13]
; %bb.9874:                             ;   in Loop: Header=BB4_8239 Depth=3
	s_and_not1_saveexec_b32 s13, s13
; %bb.9875:                             ;   in Loop: Header=BB4_8239 Depth=3
	s_delay_alu instid0(VALU_DEP_1)
	v_bfe_u32 v14, v12, 23, 1
; %bb.9876:                             ;   in Loop: Header=BB4_8239 Depth=3
	s_or_b32 exec_lo, exec_lo, s13
	s_delay_alu instid0(VALU_DEP_2) | instskip(NEXT) | instid1(VALU_DEP_2)
	v_lshrrev_b64 v[12:13], 21, v[12:13]
	v_cmp_gt_i32_e32 vcc_lo, 32, v14
	v_min_i32_e32 v15, 31, v14
	v_cmp_eq_u32_e64 s13, 0, v14
	s_delay_alu instid0(VALU_DEP_2) | instskip(SKIP_1) | instid1(VALU_DEP_2)
	v_dual_cndmask_b32 v13, 0, v13, vcc_lo :: v_dual_lshlrev_b32 v15, 2, v15
	v_cndmask_b32_e32 v12, 3, v12, vcc_lo
	v_and_b32_e32 v15, 0xfc, v15
	s_delay_alu instid0(VALU_DEP_2) | instskip(NEXT) | instid1(VALU_DEP_2)
	v_cmp_eq_u64_e32 vcc_lo, 0, v[12:13]
	v_and_or_b32 v12, v12, 3, v15
	s_and_b32 s13, s13, vcc_lo
	s_delay_alu instid0(VALU_DEP_1) | instid1(SALU_CYCLE_1)
	v_cndmask_b32_e64 v12, v12, 0, s13
	s_delay_alu instid0(VALU_DEP_1)
	v_or_b32_e32 v118, v12, v5
.LBB4_9877:                             ;   in Loop: Header=BB4_8239 Depth=3
	s_or_b32 exec_lo, exec_lo, s75
                                        ; implicit-def: $vgpr5
.LBB4_9878:                             ;   in Loop: Header=BB4_8239 Depth=3
	s_and_not1_saveexec_b32 s13, s74
; %bb.9879:                             ;   in Loop: Header=BB4_8239 Depth=3
	v_or_b32_e32 v118, 0x7b, v5
; %bb.9880:                             ;   in Loop: Header=BB4_8239 Depth=3
	s_or_b32 exec_lo, exec_lo, s13
                                        ; implicit-def: $vgpr14
                                        ; implicit-def: $vgpr12_vgpr13
                                        ; implicit-def: $vgpr5
.LBB4_9881:                             ;   in Loop: Header=BB4_8239 Depth=3
	s_and_not1_saveexec_b32 s13, s73
	s_cbranch_execz .LBB4_9887
; %bb.9882:                             ;   in Loop: Header=BB4_8239 Depth=3
	s_mov_b32 s73, exec_lo
                                        ; implicit-def: $vgpr118
	v_cmpx_ne_u64_e32 0, v[12:13]
	s_xor_b32 s73, exec_lo, s73
; %bb.9883:                             ;   in Loop: Header=BB4_8239 Depth=3
	v_or_b32_e32 v118, 0x7f, v5
                                        ; implicit-def: $vgpr14
; %bb.9884:                             ;   in Loop: Header=BB4_8239 Depth=3
	s_and_not1_saveexec_b32 s73, s73
; %bb.9885:                             ;   in Loop: Header=BB4_8239 Depth=3
	v_cmp_lt_i32_e32 vcc_lo, -1, v14
	v_cndmask_b32_e32 v118, 0xfc, v49, vcc_lo
; %bb.9886:                             ;   in Loop: Header=BB4_8239 Depth=3
	s_or_b32 exec_lo, exec_lo, s73
.LBB4_9887:                             ;   in Loop: Header=BB4_8239 Depth=3
	s_delay_alu instid0(SALU_CYCLE_1) | instskip(SKIP_3) | instid1(VALU_DEP_2)
	s_or_b32 exec_lo, exec_lo, s13
	v_lshrrev_b16 v12, 8, v2
	v_dual_mov_b32 v5, 0 :: v_dual_mov_b32 v14, 0
	s_mov_b32 s73, exec_lo
	v_cmpx_ne_u16_e32 0, v12
	s_cbranch_execz .LBB4_9897
; %bb.9888:                             ;   in Loop: Header=BB4_8239 Depth=3
	v_bfrev_b32_e32 v14, 1
	s_mov_b32 s74, exec_lo
	v_cmpx_ne_u16_e32 0x80, v12
	s_cbranch_execz .LBB4_9896
; %bb.9889:                             ;   in Loop: Header=BB4_8239 Depth=3
	v_and_b32_e32 v15, 0xffff, v12
	s_delay_alu instid0(VALU_DEP_1) | instskip(SKIP_1) | instid1(VALU_DEP_2)
	v_and_b32_e32 v14, 0x7c, v15
	v_and_b32_e32 v13, 3, v15
	v_cmp_ne_u32_e32 vcc_lo, 0x7c, v14
                                        ; implicit-def: $vgpr14
	s_and_saveexec_b32 s13, vcc_lo
	s_delay_alu instid0(SALU_CYCLE_1)
	s_xor_b32 s13, exec_lo, s13
	s_cbranch_execz .LBB4_9893
; %bb.9890:                             ;   in Loop: Header=BB4_8239 Depth=3
	v_bfe_u32 v14, v15, 2, 5
	s_mov_b32 s75, exec_lo
	s_delay_alu instid0(VALU_DEP_1)
	v_cmpx_eq_u32_e32 0, v14
	s_cbranch_execz .LBB4_9892
; %bb.9891:                             ;   in Loop: Header=BB4_8239 Depth=3
	v_clz_i32_u32_e32 v13, v13
	s_delay_alu instid0(VALU_DEP_1) | instskip(SKIP_1) | instid1(VALU_DEP_2)
	v_min_u32_e32 v14, 32, v13
	v_mov_b32_e32 v13, v3
	v_subrev_nc_u32_e32 v15, 29, v14
	v_sub_nc_u32_e32 v14, 30, v14
	s_delay_alu instid0(VALU_DEP_2) | instskip(NEXT) | instid1(VALU_DEP_1)
	v_lshlrev_b64_e32 v[12:13], v15, v[12:13]
	v_and_b32_e32 v13, 3, v12
.LBB4_9892:                             ;   in Loop: Header=BB4_8239 Depth=3
	s_or_b32 exec_lo, exec_lo, s75
	v_lshlrev_b32_e32 v2, 16, v2
	s_delay_alu instid0(VALU_DEP_1) | instskip(NEXT) | instid1(VALU_DEP_1)
	v_and_b32_e32 v2, 0x80000000, v2
	v_lshl_add_u32 v2, v14, 23, v2
	s_delay_alu instid0(VALU_DEP_1) | instskip(NEXT) | instid1(VALU_DEP_1)
	v_lshl_or_b32 v2, v13, 21, v2
                                        ; implicit-def: $vgpr13
	v_add_nc_u32_e32 v14, 0x38000000, v2
                                        ; implicit-def: $vgpr2
.LBB4_9893:                             ;   in Loop: Header=BB4_8239 Depth=3
	s_and_not1_saveexec_b32 s75, s13
; %bb.9894:                             ;   in Loop: Header=BB4_8239 Depth=3
	v_cmp_lt_i16_e64 s13, -1, v2
	v_cmp_eq_u32_e32 vcc_lo, 0, v13
	s_delay_alu instid0(VALU_DEP_2) | instskip(NEXT) | instid1(VALU_DEP_1)
	v_cndmask_b32_e64 v2, 0xff800000, v48, s13
	v_cndmask_b32_e32 v14, 0x7f800001, v2, vcc_lo
; %bb.9895:                             ;   in Loop: Header=BB4_8239 Depth=3
	s_or_b32 exec_lo, exec_lo, s75
.LBB4_9896:                             ;   in Loop: Header=BB4_8239 Depth=3
	s_delay_alu instid0(SALU_CYCLE_1)
	s_or_b32 exec_lo, exec_lo, s74
.LBB4_9897:                             ;   in Loop: Header=BB4_8239 Depth=3
	s_delay_alu instid0(SALU_CYCLE_1) | instskip(SKIP_2) | instid1(VALU_DEP_1)
	s_or_b32 exec_lo, exec_lo, s73
	v_lshrrev_b16 v12, 8, v8
	s_mov_b32 s73, exec_lo
	v_cmpx_ne_u16_e32 0, v12
	s_cbranch_execz .LBB4_9907
; %bb.9898:                             ;   in Loop: Header=BB4_8239 Depth=3
	v_bfrev_b32_e32 v5, 1
	s_mov_b32 s74, exec_lo
	v_cmpx_ne_u16_e32 0x80, v12
	s_cbranch_execz .LBB4_9906
; %bb.9899:                             ;   in Loop: Header=BB4_8239 Depth=3
	v_and_b32_e32 v13, 0xffff, v12
	s_delay_alu instid0(VALU_DEP_1) | instskip(SKIP_1) | instid1(VALU_DEP_2)
	v_and_b32_e32 v5, 0x7c, v13
	v_and_b32_e32 v2, 3, v13
	v_cmp_ne_u32_e32 vcc_lo, 0x7c, v5
                                        ; implicit-def: $vgpr5
	s_and_saveexec_b32 s13, vcc_lo
	s_delay_alu instid0(SALU_CYCLE_1)
	s_xor_b32 s13, exec_lo, s13
	s_cbranch_execz .LBB4_9903
; %bb.9900:                             ;   in Loop: Header=BB4_8239 Depth=3
	v_bfe_u32 v5, v13, 2, 5
	s_mov_b32 s75, exec_lo
	s_delay_alu instid0(VALU_DEP_1)
	v_cmpx_eq_u32_e32 0, v5
; %bb.9901:                             ;   in Loop: Header=BB4_8239 Depth=3
	v_clz_i32_u32_e32 v2, v2
	s_delay_alu instid0(VALU_DEP_1) | instskip(SKIP_1) | instid1(VALU_DEP_2)
	v_min_u32_e32 v2, 32, v2
	v_mov_b32_e32 v13, v3
	v_subrev_nc_u32_e32 v5, 29, v2
	s_delay_alu instid0(VALU_DEP_1) | instskip(NEXT) | instid1(VALU_DEP_1)
	v_lshlrev_b64_e32 v[12:13], v5, v[12:13]
	v_dual_sub_nc_u32 v5, 30, v2 :: v_dual_bitop2_b32 v2, 3, v12 bitop3:0x40
; %bb.9902:                             ;   in Loop: Header=BB4_8239 Depth=3
	s_or_b32 exec_lo, exec_lo, s75
	v_lshlrev_b32_e32 v12, 16, v8
	s_delay_alu instid0(VALU_DEP_1) | instskip(NEXT) | instid1(VALU_DEP_1)
	v_and_b32_e32 v12, 0x80000000, v12
	v_lshl_add_u32 v5, v5, 23, v12
	s_delay_alu instid0(VALU_DEP_1) | instskip(NEXT) | instid1(VALU_DEP_1)
	v_lshl_or_b32 v2, v2, 21, v5
	v_add_nc_u32_e32 v5, 0x38000000, v2
                                        ; implicit-def: $vgpr2
.LBB4_9903:                             ;   in Loop: Header=BB4_8239 Depth=3
	s_and_not1_saveexec_b32 s75, s13
; %bb.9904:                             ;   in Loop: Header=BB4_8239 Depth=3
	v_cmp_lt_i16_e64 s13, -1, v8
	v_cmp_eq_u32_e32 vcc_lo, 0, v2
	s_delay_alu instid0(VALU_DEP_2) | instskip(NEXT) | instid1(VALU_DEP_1)
	v_cndmask_b32_e64 v2, 0xff800000, v48, s13
	v_cndmask_b32_e32 v5, 0x7f800001, v2, vcc_lo
; %bb.9905:                             ;   in Loop: Header=BB4_8239 Depth=3
	s_or_b32 exec_lo, exec_lo, s75
.LBB4_9906:                             ;   in Loop: Header=BB4_8239 Depth=3
	s_delay_alu instid0(SALU_CYCLE_1)
	s_or_b32 exec_lo, exec_lo, s74
.LBB4_9907:                             ;   in Loop: Header=BB4_8239 Depth=3
	s_delay_alu instid0(SALU_CYCLE_1) | instskip(NEXT) | instid1(VALU_DEP_1)
	s_or_b32 exec_lo, exec_lo, s73
	v_dual_add_f32 v5, v14, v5 :: v_dual_mov_b32 v15, v3
	v_mov_b32_e32 v13, v3
                                        ; implicit-def: $vgpr40
	s_mov_b32 s13, exec_lo
	s_delay_alu instid0(VALU_DEP_2) | instskip(SKIP_2) | instid1(VALU_DEP_3)
	v_and_b32_e32 v14, 0x7f800000, v5
	v_and_b32_e32 v12, 0x7fffff, v5
	v_lshrrev_b32_e32 v2, 24, v5
	v_cmpx_ne_u64_e32 0x7f800000, v[14:15]
	s_xor_b32 s73, exec_lo, s13
	s_cbranch_execz .LBB4_9921
; %bb.9908:                             ;   in Loop: Header=BB4_8239 Depth=3
	v_and_b32_e32 v14, 0x7fffffff, v5
	v_mov_b32_e32 v15, v3
	v_and_b32_e32 v2, 0x80, v2
                                        ; implicit-def: $vgpr40
	s_mov_b32 s13, exec_lo
	s_delay_alu instid0(VALU_DEP_2)
	v_cmpx_gt_u64_e32 0x47600001, v[14:15]
	s_xor_b32 s74, exec_lo, s13
	s_cbranch_execz .LBB4_9918
; %bb.9909:                             ;   in Loop: Header=BB4_8239 Depth=3
	v_mov_b32_e32 v40, 0
	s_mov_b32 s75, exec_lo
	v_cmpx_ne_u32_e32 0, v5
	s_cbranch_execz .LBB4_9917
; %bb.9910:                             ;   in Loop: Header=BB4_8239 Depth=3
	v_bfe_u32 v5, v5, 23, 8
	v_or_b32_e32 v15, 0x800000, v12
	s_delay_alu instid0(VALU_DEP_2) | instskip(SKIP_2) | instid1(VALU_DEP_2)
	v_cmp_gt_u32_e64 s13, 0x72, v5
	v_sub_nc_u32_e32 v14, 0x71, v5
	v_cmp_eq_u32_e32 vcc_lo, 0, v5
	v_dual_cndmask_b32 v14, 0, v14, s13 :: v_dual_cndmask_b32 v12, v15, v12, vcc_lo
	s_delay_alu instid0(VALU_DEP_1) | instskip(NEXT) | instid1(VALU_DEP_1)
	v_cndmask_b32_e64 v86, v14, 0x70, vcc_lo
	v_dual_add_nc_u32 v14, 21, v86 :: v_dual_add_nc_u32 v87, 20, v86
	s_delay_alu instid0(VALU_DEP_1) | instskip(NEXT) | instid1(VALU_DEP_2)
	v_lshlrev_b64_e64 v[14:15], v14, -1
	v_lshlrev_b64_e64 v[96:97], v87, 1
	s_delay_alu instid0(VALU_DEP_2) | instskip(SKIP_1) | instid1(VALU_DEP_4)
	v_bfi_b32 v14, v14, 0, v12
	v_lshrrev_b64 v[12:13], v86, v[12:13]
	v_bfi_b32 v15, v15, 0, 0
	s_delay_alu instid0(VALU_DEP_1) | instskip(NEXT) | instid1(VALU_DEP_3)
	v_cmp_eq_u64_e64 s13, v[14:15], v[96:97]
	v_mov_b64_e32 v[14:15], v[12:13]
	s_and_saveexec_b32 s76, s13
; %bb.9911:                             ;   in Loop: Header=BB4_8239 Depth=3
	v_bfe_u32 v14, v12, 21, 1
	v_mov_b32_e32 v15, v3
	s_delay_alu instid0(VALU_DEP_1) | instskip(NEXT) | instid1(VALU_DEP_1)
	v_add_nc_u64_e32 v[14:15], v[12:13], v[14:15]
	v_add_nc_u64_e32 v[14:15], -1, v[14:15]
; %bb.9912:                             ;   in Loop: Header=BB4_8239 Depth=3
	s_or_b32 exec_lo, exec_lo, s76
	v_add_nc_u32_e32 v5, 0xffffff81, v5
	v_lshrrev_b32_e32 v13, 23, v12
	s_mov_b32 s13, exec_lo
	s_delay_alu instid0(VALU_DEP_2) | instskip(NEXT) | instid1(VALU_DEP_1)
	v_cndmask_b32_e64 v5, v5, 0xffffff82, vcc_lo
	v_add3_u32 v15, v86, v5, v13
	v_and_b32_e32 v5, 0x1fffff, v14
	s_delay_alu instid0(VALU_DEP_2) | instskip(NEXT) | instid1(VALU_DEP_2)
	v_dual_mov_b32 v13, v3 :: v_dual_add_nc_u32 v14, 14, v15
	v_add_nc_u32_e32 v12, v5, v12
                                        ; implicit-def: $vgpr5
	s_delay_alu instid0(VALU_DEP_2)
	v_cmpx_ne_u32_e32 0, v14
	s_xor_b32 s13, exec_lo, s13
; %bb.9913:                             ;   in Loop: Header=BB4_8239 Depth=3
	s_delay_alu instid0(VALU_DEP_2) | instskip(SKIP_1) | instid1(VALU_DEP_1)
	v_cmp_lt_u64_e32 vcc_lo, 0xffffff, v[12:13]
	v_add_nc_u32_e32 v5, 15, v15
	v_cndmask_b32_e32 v5, v14, v5, vcc_lo
	v_cndmask_b32_e64 v14, 0, 1, vcc_lo
	s_delay_alu instid0(VALU_DEP_1)
	v_lshrrev_b64 v[12:13], v14, v[12:13]
; %bb.9914:                             ;   in Loop: Header=BB4_8239 Depth=3
	s_and_not1_saveexec_b32 s13, s13
; %bb.9915:                             ;   in Loop: Header=BB4_8239 Depth=3
	s_delay_alu instid0(VALU_DEP_1)
	v_bfe_u32 v5, v12, 23, 1
; %bb.9916:                             ;   in Loop: Header=BB4_8239 Depth=3
	s_or_b32 exec_lo, exec_lo, s13
	s_delay_alu instid0(VALU_DEP_2) | instskip(NEXT) | instid1(VALU_DEP_2)
	v_lshrrev_b64 v[12:13], 21, v[12:13]
	v_cmp_gt_i32_e32 vcc_lo, 32, v5
	v_min_i32_e32 v14, 31, v5
	v_cmp_eq_u32_e64 s13, 0, v5
	s_delay_alu instid0(VALU_DEP_2) | instskip(SKIP_1) | instid1(VALU_DEP_2)
	v_dual_cndmask_b32 v12, 3, v12, vcc_lo :: v_dual_lshlrev_b32 v14, 2, v14
	v_cndmask_b32_e32 v13, 0, v13, vcc_lo
	v_and_b32_e32 v14, 0xfc, v14
	s_delay_alu instid0(VALU_DEP_2) | instskip(NEXT) | instid1(VALU_DEP_2)
	v_cmp_eq_u64_e32 vcc_lo, 0, v[12:13]
	v_and_or_b32 v5, v12, 3, v14
	s_and_b32 s13, s13, vcc_lo
	s_delay_alu instid0(VALU_DEP_1) | instid1(SALU_CYCLE_1)
	v_cndmask_b32_e64 v5, v5, 0, s13
	s_delay_alu instid0(VALU_DEP_1)
	v_or_b32_e32 v40, v5, v2
.LBB4_9917:                             ;   in Loop: Header=BB4_8239 Depth=3
	s_or_b32 exec_lo, exec_lo, s75
                                        ; implicit-def: $vgpr2
.LBB4_9918:                             ;   in Loop: Header=BB4_8239 Depth=3
	s_and_not1_saveexec_b32 s13, s74
; %bb.9919:                             ;   in Loop: Header=BB4_8239 Depth=3
	v_or_b32_e32 v40, 0x7b, v2
; %bb.9920:                             ;   in Loop: Header=BB4_8239 Depth=3
	s_or_b32 exec_lo, exec_lo, s13
                                        ; implicit-def: $vgpr5
                                        ; implicit-def: $vgpr12_vgpr13
                                        ; implicit-def: $vgpr2
.LBB4_9921:                             ;   in Loop: Header=BB4_8239 Depth=3
	s_and_not1_saveexec_b32 s13, s73
	s_cbranch_execz .LBB4_9927
; %bb.9922:                             ;   in Loop: Header=BB4_8239 Depth=3
	s_mov_b32 s73, exec_lo
                                        ; implicit-def: $vgpr40
	v_cmpx_ne_u64_e32 0, v[12:13]
	s_xor_b32 s73, exec_lo, s73
; %bb.9923:                             ;   in Loop: Header=BB4_8239 Depth=3
	v_or_b32_e32 v40, 0x7f, v2
                                        ; implicit-def: $vgpr5
; %bb.9924:                             ;   in Loop: Header=BB4_8239 Depth=3
	s_and_not1_saveexec_b32 s73, s73
; %bb.9925:                             ;   in Loop: Header=BB4_8239 Depth=3
	v_cmp_lt_i32_e32 vcc_lo, -1, v5
	v_cndmask_b32_e32 v40, 0xfc, v49, vcc_lo
; %bb.9926:                             ;   in Loop: Header=BB4_8239 Depth=3
	s_or_b32 exec_lo, exec_lo, s73
.LBB4_9927:                             ;   in Loop: Header=BB4_8239 Depth=3
	s_delay_alu instid0(SALU_CYCLE_1) | instskip(SKIP_3) | instid1(VALU_DEP_2)
	s_or_b32 exec_lo, exec_lo, s13
	v_dual_mov_b32 v5, 0 :: v_dual_lshrrev_b32 v2, 16, v4
	v_mov_b32_e32 v12, 0
	s_mov_b32 s73, exec_lo
	v_and_b32_e32 v13, 0xff, v2
	s_delay_alu instid0(VALU_DEP_1)
	v_cmpx_ne_u16_e32 0, v13
	s_cbranch_execz .LBB4_9937
; %bb.9928:                             ;   in Loop: Header=BB4_8239 Depth=3
	v_bfrev_b32_e32 v12, 1
	s_mov_b32 s74, exec_lo
	v_cmpx_ne_u16_e32 0x80, v13
	s_cbranch_execz .LBB4_9936
; %bb.9929:                             ;   in Loop: Header=BB4_8239 Depth=3
	v_and_b32_e32 v12, 0x7c0000, v4
	v_bfe_u32 v13, v4, 16, 2
	s_delay_alu instid0(VALU_DEP_2) | instskip(SKIP_1) | instid1(SALU_CYCLE_1)
	v_cmp_ne_u32_e32 vcc_lo, 0x7c0000, v12
                                        ; implicit-def: $vgpr12
	s_and_saveexec_b32 s13, vcc_lo
	s_xor_b32 s13, exec_lo, s13
	s_cbranch_execz .LBB4_9933
; %bb.9930:                             ;   in Loop: Header=BB4_8239 Depth=3
	v_bfe_u32 v12, v4, 18, 5
	s_mov_b32 s75, exec_lo
	s_delay_alu instid0(VALU_DEP_1)
	v_cmpx_eq_u32_e32 0, v12
; %bb.9931:                             ;   in Loop: Header=BB4_8239 Depth=3
	v_clz_i32_u32_e32 v12, v13
	s_delay_alu instid0(VALU_DEP_1) | instskip(NEXT) | instid1(VALU_DEP_1)
	v_min_u32_e32 v12, 32, v12
	v_subrev_nc_u32_e32 v13, 29, v12
	s_delay_alu instid0(VALU_DEP_1) | instskip(NEXT) | instid1(VALU_DEP_1)
	v_lshlrev_b64_e32 v[14:15], v13, v[2:3]
	v_dual_sub_nc_u32 v12, 30, v12 :: v_dual_bitop2_b32 v13, 3, v14 bitop3:0x40
; %bb.9932:                             ;   in Loop: Header=BB4_8239 Depth=3
	s_or_b32 exec_lo, exec_lo, s75
	v_lshlrev_b32_e32 v2, 24, v2
	s_delay_alu instid0(VALU_DEP_1) | instskip(NEXT) | instid1(VALU_DEP_1)
	v_and_b32_e32 v2, 0x80000000, v2
	v_lshl_add_u32 v2, v12, 23, v2
	s_delay_alu instid0(VALU_DEP_1) | instskip(NEXT) | instid1(VALU_DEP_1)
	v_lshl_or_b32 v2, v13, 21, v2
                                        ; implicit-def: $vgpr13
	v_add_nc_u32_e32 v12, 0x38000000, v2
                                        ; implicit-def: $vgpr2
.LBB4_9933:                             ;   in Loop: Header=BB4_8239 Depth=3
	s_and_not1_saveexec_b32 s75, s13
; %bb.9934:                             ;   in Loop: Header=BB4_8239 Depth=3
	v_bfe_i32 v2, v2, 0, 8
	v_cmp_eq_u32_e32 vcc_lo, 0, v13
	s_delay_alu instid0(VALU_DEP_2) | instskip(NEXT) | instid1(VALU_DEP_1)
	v_cmp_lt_i16_e64 s13, -1, v2
	v_cndmask_b32_e64 v2, 0xff800000, v48, s13
	s_delay_alu instid0(VALU_DEP_1)
	v_cndmask_b32_e32 v12, 0x7f800001, v2, vcc_lo
; %bb.9935:                             ;   in Loop: Header=BB4_8239 Depth=3
	s_or_b32 exec_lo, exec_lo, s75
.LBB4_9936:                             ;   in Loop: Header=BB4_8239 Depth=3
	s_delay_alu instid0(SALU_CYCLE_1)
	s_or_b32 exec_lo, exec_lo, s74
.LBB4_9937:                             ;   in Loop: Header=BB4_8239 Depth=3
	s_delay_alu instid0(SALU_CYCLE_1) | instskip(SKIP_2) | instid1(VALU_DEP_1)
	s_or_b32 exec_lo, exec_lo, s73
	v_lshrrev_b32_e32 v2, 16, v8
	s_mov_b32 s73, exec_lo
	v_and_b32_e32 v13, 0xff, v2
	s_delay_alu instid0(VALU_DEP_1)
	v_cmpx_ne_u16_e32 0, v13
	s_cbranch_execz .LBB4_9947
; %bb.9938:                             ;   in Loop: Header=BB4_8239 Depth=3
	v_bfrev_b32_e32 v5, 1
	s_mov_b32 s74, exec_lo
	v_cmpx_ne_u16_e32 0x80, v13
	s_cbranch_execz .LBB4_9946
; %bb.9939:                             ;   in Loop: Header=BB4_8239 Depth=3
	v_and_b32_e32 v5, 0x7c0000, v8
	v_bfe_u32 v13, v8, 16, 2
	s_delay_alu instid0(VALU_DEP_2) | instskip(SKIP_1) | instid1(SALU_CYCLE_1)
	v_cmp_ne_u32_e32 vcc_lo, 0x7c0000, v5
                                        ; implicit-def: $vgpr5
	s_and_saveexec_b32 s13, vcc_lo
	s_xor_b32 s13, exec_lo, s13
	s_cbranch_execz .LBB4_9943
; %bb.9940:                             ;   in Loop: Header=BB4_8239 Depth=3
	v_bfe_u32 v5, v8, 18, 5
	s_mov_b32 s75, exec_lo
	s_delay_alu instid0(VALU_DEP_1)
	v_cmpx_eq_u32_e32 0, v5
; %bb.9941:                             ;   in Loop: Header=BB4_8239 Depth=3
	v_clz_i32_u32_e32 v5, v13
	s_delay_alu instid0(VALU_DEP_1) | instskip(NEXT) | instid1(VALU_DEP_1)
	v_min_u32_e32 v5, 32, v5
	v_subrev_nc_u32_e32 v13, 29, v5
	s_delay_alu instid0(VALU_DEP_1) | instskip(NEXT) | instid1(VALU_DEP_1)
	v_lshlrev_b64_e32 v[14:15], v13, v[2:3]
	v_dual_sub_nc_u32 v5, 30, v5 :: v_dual_bitop2_b32 v13, 3, v14 bitop3:0x40
; %bb.9942:                             ;   in Loop: Header=BB4_8239 Depth=3
	s_or_b32 exec_lo, exec_lo, s75
	v_lshlrev_b32_e32 v2, 24, v2
	s_delay_alu instid0(VALU_DEP_1) | instskip(NEXT) | instid1(VALU_DEP_1)
	v_and_b32_e32 v2, 0x80000000, v2
	v_lshl_add_u32 v2, v5, 23, v2
	s_delay_alu instid0(VALU_DEP_1) | instskip(NEXT) | instid1(VALU_DEP_1)
	v_lshl_or_b32 v2, v13, 21, v2
                                        ; implicit-def: $vgpr13
	v_add_nc_u32_e32 v5, 0x38000000, v2
                                        ; implicit-def: $vgpr2
.LBB4_9943:                             ;   in Loop: Header=BB4_8239 Depth=3
	s_and_not1_saveexec_b32 s75, s13
; %bb.9944:                             ;   in Loop: Header=BB4_8239 Depth=3
	v_bfe_i32 v2, v2, 0, 8
	v_cmp_eq_u32_e32 vcc_lo, 0, v13
	s_delay_alu instid0(VALU_DEP_2) | instskip(NEXT) | instid1(VALU_DEP_1)
	v_cmp_lt_i16_e64 s13, -1, v2
	v_cndmask_b32_e64 v2, 0xff800000, v48, s13
	s_delay_alu instid0(VALU_DEP_1)
	v_cndmask_b32_e32 v5, 0x7f800001, v2, vcc_lo
; %bb.9945:                             ;   in Loop: Header=BB4_8239 Depth=3
	s_or_b32 exec_lo, exec_lo, s75
.LBB4_9946:                             ;   in Loop: Header=BB4_8239 Depth=3
	s_delay_alu instid0(SALU_CYCLE_1)
	s_or_b32 exec_lo, exec_lo, s74
.LBB4_9947:                             ;   in Loop: Header=BB4_8239 Depth=3
	s_delay_alu instid0(SALU_CYCLE_1) | instskip(NEXT) | instid1(VALU_DEP_1)
	s_or_b32 exec_lo, exec_lo, s73
	v_dual_add_f32 v5, v12, v5 :: v_dual_mov_b32 v15, v3
	v_mov_b32_e32 v13, v3
                                        ; implicit-def: $vgpr61
	s_mov_b32 s13, exec_lo
	s_delay_alu instid0(VALU_DEP_2) | instskip(SKIP_2) | instid1(VALU_DEP_3)
	v_and_b32_e32 v14, 0x7f800000, v5
	v_and_b32_e32 v12, 0x7fffff, v5
	v_lshrrev_b32_e32 v2, 24, v5
	v_cmpx_ne_u64_e32 0x7f800000, v[14:15]
	s_xor_b32 s73, exec_lo, s13
	s_cbranch_execz .LBB4_9961
; %bb.9948:                             ;   in Loop: Header=BB4_8239 Depth=3
	v_and_b32_e32 v14, 0x7fffffff, v5
	v_mov_b32_e32 v15, v3
	v_and_b32_e32 v2, 0x80, v2
                                        ; implicit-def: $vgpr61
	s_mov_b32 s13, exec_lo
	s_delay_alu instid0(VALU_DEP_2)
	v_cmpx_gt_u64_e32 0x47600001, v[14:15]
	s_xor_b32 s74, exec_lo, s13
	s_cbranch_execz .LBB4_9958
; %bb.9949:                             ;   in Loop: Header=BB4_8239 Depth=3
	v_mov_b32_e32 v61, 0
	s_mov_b32 s75, exec_lo
	v_cmpx_ne_u32_e32 0, v5
	s_cbranch_execz .LBB4_9957
; %bb.9950:                             ;   in Loop: Header=BB4_8239 Depth=3
	v_bfe_u32 v5, v5, 23, 8
	v_or_b32_e32 v15, 0x800000, v12
	s_delay_alu instid0(VALU_DEP_2) | instskip(SKIP_2) | instid1(VALU_DEP_2)
	v_cmp_gt_u32_e64 s13, 0x72, v5
	v_sub_nc_u32_e32 v14, 0x71, v5
	v_cmp_eq_u32_e32 vcc_lo, 0, v5
	v_dual_cndmask_b32 v14, 0, v14, s13 :: v_dual_cndmask_b32 v12, v15, v12, vcc_lo
	s_delay_alu instid0(VALU_DEP_1) | instskip(NEXT) | instid1(VALU_DEP_1)
	v_cndmask_b32_e64 v86, v14, 0x70, vcc_lo
	v_dual_add_nc_u32 v14, 21, v86 :: v_dual_add_nc_u32 v87, 20, v86
	s_delay_alu instid0(VALU_DEP_1) | instskip(NEXT) | instid1(VALU_DEP_2)
	v_lshlrev_b64_e64 v[14:15], v14, -1
	v_lshlrev_b64_e64 v[96:97], v87, 1
	s_delay_alu instid0(VALU_DEP_2) | instskip(SKIP_1) | instid1(VALU_DEP_4)
	v_bfi_b32 v14, v14, 0, v12
	v_lshrrev_b64 v[12:13], v86, v[12:13]
	v_bfi_b32 v15, v15, 0, 0
	s_delay_alu instid0(VALU_DEP_1) | instskip(NEXT) | instid1(VALU_DEP_3)
	v_cmp_eq_u64_e64 s13, v[14:15], v[96:97]
	v_mov_b64_e32 v[14:15], v[12:13]
	s_and_saveexec_b32 s76, s13
; %bb.9951:                             ;   in Loop: Header=BB4_8239 Depth=3
	v_bfe_u32 v14, v12, 21, 1
	v_mov_b32_e32 v15, v3
	s_delay_alu instid0(VALU_DEP_1) | instskip(NEXT) | instid1(VALU_DEP_1)
	v_add_nc_u64_e32 v[14:15], v[12:13], v[14:15]
	v_add_nc_u64_e32 v[14:15], -1, v[14:15]
; %bb.9952:                             ;   in Loop: Header=BB4_8239 Depth=3
	s_or_b32 exec_lo, exec_lo, s76
	v_add_nc_u32_e32 v5, 0xffffff81, v5
	v_lshrrev_b32_e32 v13, 23, v12
	s_mov_b32 s13, exec_lo
	s_delay_alu instid0(VALU_DEP_2) | instskip(NEXT) | instid1(VALU_DEP_1)
	v_cndmask_b32_e64 v5, v5, 0xffffff82, vcc_lo
	v_add3_u32 v15, v86, v5, v13
	v_and_b32_e32 v5, 0x1fffff, v14
	s_delay_alu instid0(VALU_DEP_2) | instskip(NEXT) | instid1(VALU_DEP_2)
	v_dual_mov_b32 v13, v3 :: v_dual_add_nc_u32 v14, 14, v15
	v_add_nc_u32_e32 v12, v5, v12
                                        ; implicit-def: $vgpr5
	s_delay_alu instid0(VALU_DEP_2)
	v_cmpx_ne_u32_e32 0, v14
	s_xor_b32 s13, exec_lo, s13
; %bb.9953:                             ;   in Loop: Header=BB4_8239 Depth=3
	s_delay_alu instid0(VALU_DEP_2) | instskip(SKIP_1) | instid1(VALU_DEP_1)
	v_cmp_lt_u64_e32 vcc_lo, 0xffffff, v[12:13]
	v_add_nc_u32_e32 v5, 15, v15
	v_cndmask_b32_e32 v5, v14, v5, vcc_lo
	v_cndmask_b32_e64 v14, 0, 1, vcc_lo
	s_delay_alu instid0(VALU_DEP_1)
	v_lshrrev_b64 v[12:13], v14, v[12:13]
; %bb.9954:                             ;   in Loop: Header=BB4_8239 Depth=3
	s_and_not1_saveexec_b32 s13, s13
; %bb.9955:                             ;   in Loop: Header=BB4_8239 Depth=3
	s_delay_alu instid0(VALU_DEP_1)
	v_bfe_u32 v5, v12, 23, 1
; %bb.9956:                             ;   in Loop: Header=BB4_8239 Depth=3
	s_or_b32 exec_lo, exec_lo, s13
	s_delay_alu instid0(VALU_DEP_2) | instskip(NEXT) | instid1(VALU_DEP_2)
	v_lshrrev_b64 v[12:13], 21, v[12:13]
	v_cmp_gt_i32_e32 vcc_lo, 32, v5
	v_min_i32_e32 v14, 31, v5
	v_cmp_eq_u32_e64 s13, 0, v5
	s_delay_alu instid0(VALU_DEP_2) | instskip(SKIP_1) | instid1(VALU_DEP_2)
	v_dual_cndmask_b32 v12, 3, v12, vcc_lo :: v_dual_lshlrev_b32 v14, 2, v14
	v_cndmask_b32_e32 v13, 0, v13, vcc_lo
	v_and_b32_e32 v14, 0xfc, v14
	s_delay_alu instid0(VALU_DEP_2) | instskip(NEXT) | instid1(VALU_DEP_2)
	v_cmp_eq_u64_e32 vcc_lo, 0, v[12:13]
	v_and_or_b32 v5, v12, 3, v14
	s_and_b32 s13, s13, vcc_lo
	s_delay_alu instid0(VALU_DEP_1) | instid1(SALU_CYCLE_1)
	v_cndmask_b32_e64 v5, v5, 0, s13
	s_delay_alu instid0(VALU_DEP_1)
	v_or_b32_e32 v61, v5, v2
.LBB4_9957:                             ;   in Loop: Header=BB4_8239 Depth=3
	s_or_b32 exec_lo, exec_lo, s75
                                        ; implicit-def: $vgpr2
.LBB4_9958:                             ;   in Loop: Header=BB4_8239 Depth=3
	s_and_not1_saveexec_b32 s13, s74
; %bb.9959:                             ;   in Loop: Header=BB4_8239 Depth=3
	v_or_b32_e32 v61, 0x7b, v2
; %bb.9960:                             ;   in Loop: Header=BB4_8239 Depth=3
	s_or_b32 exec_lo, exec_lo, s13
                                        ; implicit-def: $vgpr5
                                        ; implicit-def: $vgpr12_vgpr13
                                        ; implicit-def: $vgpr2
.LBB4_9961:                             ;   in Loop: Header=BB4_8239 Depth=3
	s_and_not1_saveexec_b32 s13, s73
	s_cbranch_execz .LBB4_9967
; %bb.9962:                             ;   in Loop: Header=BB4_8239 Depth=3
	s_mov_b32 s73, exec_lo
                                        ; implicit-def: $vgpr61
	v_cmpx_ne_u64_e32 0, v[12:13]
	s_xor_b32 s73, exec_lo, s73
; %bb.9963:                             ;   in Loop: Header=BB4_8239 Depth=3
	v_or_b32_e32 v61, 0x7f, v2
                                        ; implicit-def: $vgpr5
; %bb.9964:                             ;   in Loop: Header=BB4_8239 Depth=3
	s_and_not1_saveexec_b32 s73, s73
; %bb.9965:                             ;   in Loop: Header=BB4_8239 Depth=3
	v_cmp_lt_i32_e32 vcc_lo, -1, v5
	v_cndmask_b32_e32 v61, 0xfc, v49, vcc_lo
; %bb.9966:                             ;   in Loop: Header=BB4_8239 Depth=3
	s_or_b32 exec_lo, exec_lo, s73
.LBB4_9967:                             ;   in Loop: Header=BB4_8239 Depth=3
	s_delay_alu instid0(SALU_CYCLE_1)
	s_or_b32 exec_lo, exec_lo, s13
	v_dual_mov_b32 v12, 0 :: v_dual_mov_b32 v13, 0
	s_mov_b32 s73, exec_lo
	v_cmpx_lt_u32_e32 0xffffff, v4
	s_cbranch_execz .LBB4_9977
; %bb.9968:                             ;   in Loop: Header=BB4_8239 Depth=3
	v_lshrrev_b32_e32 v2, 24, v4
	v_bfrev_b32_e32 v13, 1
	s_mov_b32 s74, exec_lo
	s_delay_alu instid0(VALU_DEP_2)
	v_cmpx_ne_u32_e32 0x80, v2
	s_cbranch_execz .LBB4_9976
; %bb.9969:                             ;   in Loop: Header=BB4_8239 Depth=3
	v_and_b32_e32 v5, 0x7c000000, v4
	v_bfe_u32 v14, v4, 24, 2
	s_mov_b32 s13, exec_lo
                                        ; implicit-def: $vgpr13
	s_delay_alu instid0(VALU_DEP_2)
	v_cmpx_ne_u32_e32 0x7c000000, v5
	s_xor_b32 s13, exec_lo, s13
	s_cbranch_execz .LBB4_9973
; %bb.9970:                             ;   in Loop: Header=BB4_8239 Depth=3
	v_bfe_u32 v5, v4, 26, 5
	s_mov_b32 s75, exec_lo
	s_delay_alu instid0(VALU_DEP_1)
	v_cmpx_eq_u32_e32 0, v5
; %bb.9971:                             ;   in Loop: Header=BB4_8239 Depth=3
	v_clz_i32_u32_e32 v5, v14
	s_delay_alu instid0(VALU_DEP_1) | instskip(NEXT) | instid1(VALU_DEP_1)
	v_min_u32_e32 v5, 32, v5
	v_subrev_nc_u32_e32 v13, 29, v5
	s_delay_alu instid0(VALU_DEP_1) | instskip(NEXT) | instid1(VALU_DEP_1)
	v_lshlrev_b64_e32 v[14:15], v13, v[2:3]
	v_dual_sub_nc_u32 v5, 30, v5 :: v_dual_bitop2_b32 v14, 3, v14 bitop3:0x40
; %bb.9972:                             ;   in Loop: Header=BB4_8239 Depth=3
	s_or_b32 exec_lo, exec_lo, s75
	v_and_b32_e32 v2, 0x80000000, v4
	s_delay_alu instid0(VALU_DEP_1) | instskip(NEXT) | instid1(VALU_DEP_1)
	v_lshl_add_u32 v2, v5, 23, v2
                                        ; implicit-def: $vgpr4_vgpr5
	v_lshl_or_b32 v2, v14, 21, v2
                                        ; implicit-def: $vgpr14
	s_delay_alu instid0(VALU_DEP_1)
	v_add_nc_u32_e32 v13, 0x38000000, v2
.LBB4_9973:                             ;   in Loop: Header=BB4_8239 Depth=3
	s_and_not1_saveexec_b32 s75, s13
; %bb.9974:                             ;   in Loop: Header=BB4_8239 Depth=3
	v_cmp_lt_i32_e64 s13, -1, v4
	v_cmp_eq_u32_e32 vcc_lo, 0, v14
	s_delay_alu instid0(VALU_DEP_2) | instskip(NEXT) | instid1(VALU_DEP_1)
	v_cndmask_b32_e64 v2, 0xff800000, v48, s13
	v_cndmask_b32_e32 v13, 0x7f800001, v2, vcc_lo
; %bb.9975:                             ;   in Loop: Header=BB4_8239 Depth=3
	s_or_b32 exec_lo, exec_lo, s75
.LBB4_9976:                             ;   in Loop: Header=BB4_8239 Depth=3
	s_delay_alu instid0(SALU_CYCLE_1)
	s_or_b32 exec_lo, exec_lo, s74
.LBB4_9977:                             ;   in Loop: Header=BB4_8239 Depth=3
	s_delay_alu instid0(SALU_CYCLE_1) | instskip(NEXT) | instid1(SALU_CYCLE_1)
	s_or_b32 exec_lo, exec_lo, s73
	s_mov_b32 s73, exec_lo
	v_cmpx_lt_u32_e32 0xffffff, v8
	s_cbranch_execz .LBB4_9987
; %bb.9978:                             ;   in Loop: Header=BB4_8239 Depth=3
	v_lshrrev_b32_e32 v2, 24, v8
	v_bfrev_b32_e32 v12, 1
	s_mov_b32 s74, exec_lo
	s_delay_alu instid0(VALU_DEP_2)
	v_cmpx_ne_u32_e32 0x80, v2
	s_cbranch_execz .LBB4_9986
; %bb.9979:                             ;   in Loop: Header=BB4_8239 Depth=3
	v_and_b32_e32 v5, 0x7c000000, v8
	v_bfe_u32 v4, v8, 24, 2
	s_mov_b32 s13, exec_lo
                                        ; implicit-def: $vgpr12
	s_delay_alu instid0(VALU_DEP_2)
	v_cmpx_ne_u32_e32 0x7c000000, v5
	s_xor_b32 s13, exec_lo, s13
	s_cbranch_execz .LBB4_9983
; %bb.9980:                             ;   in Loop: Header=BB4_8239 Depth=3
	v_bfe_u32 v5, v8, 26, 5
	s_mov_b32 s75, exec_lo
	s_delay_alu instid0(VALU_DEP_1)
	v_cmpx_eq_u32_e32 0, v5
; %bb.9981:                             ;   in Loop: Header=BB4_8239 Depth=3
	v_clz_i32_u32_e32 v4, v4
	s_delay_alu instid0(VALU_DEP_1) | instskip(NEXT) | instid1(VALU_DEP_1)
	v_min_u32_e32 v12, 32, v4
	v_subrev_nc_u32_e32 v4, 29, v12
	s_delay_alu instid0(VALU_DEP_1) | instskip(SKIP_1) | instid1(VALU_DEP_2)
	v_lshlrev_b64_e32 v[4:5], v4, v[2:3]
	v_sub_nc_u32_e32 v5, 30, v12
	v_and_b32_e32 v4, 3, v4
; %bb.9982:                             ;   in Loop: Header=BB4_8239 Depth=3
	s_or_b32 exec_lo, exec_lo, s75
	v_and_b32_e32 v2, 0x80000000, v8
	s_delay_alu instid0(VALU_DEP_1) | instskip(NEXT) | instid1(VALU_DEP_1)
	v_lshl_add_u32 v2, v5, 23, v2
	v_lshl_or_b32 v2, v4, 21, v2
                                        ; implicit-def: $vgpr4
	s_delay_alu instid0(VALU_DEP_1)
	v_add_nc_u32_e32 v12, 0x38000000, v2
.LBB4_9983:                             ;   in Loop: Header=BB4_8239 Depth=3
	s_and_not1_saveexec_b32 s75, s13
; %bb.9984:                             ;   in Loop: Header=BB4_8239 Depth=3
	v_cmp_lt_i32_e64 s13, -1, v8
	v_cmp_eq_u32_e32 vcc_lo, 0, v4
	s_delay_alu instid0(VALU_DEP_2) | instskip(NEXT) | instid1(VALU_DEP_1)
	v_cndmask_b32_e64 v2, 0xff800000, v48, s13
	v_cndmask_b32_e32 v12, 0x7f800001, v2, vcc_lo
; %bb.9985:                             ;   in Loop: Header=BB4_8239 Depth=3
	s_or_b32 exec_lo, exec_lo, s75
.LBB4_9986:                             ;   in Loop: Header=BB4_8239 Depth=3
	s_delay_alu instid0(SALU_CYCLE_1)
	s_or_b32 exec_lo, exec_lo, s74
.LBB4_9987:                             ;   in Loop: Header=BB4_8239 Depth=3
	s_delay_alu instid0(SALU_CYCLE_1) | instskip(NEXT) | instid1(VALU_DEP_1)
	s_or_b32 exec_lo, exec_lo, s73
	v_dual_add_f32 v12, v13, v12 :: v_dual_mov_b32 v15, v3
	v_mov_b32_e32 v5, v3
                                        ; implicit-def: $vgpr72
	s_mov_b32 s13, exec_lo
	s_delay_alu instid0(VALU_DEP_2) | instskip(SKIP_2) | instid1(VALU_DEP_3)
	v_and_b32_e32 v14, 0x7f800000, v12
	v_and_b32_e32 v4, 0x7fffff, v12
	v_lshrrev_b32_e32 v2, 24, v12
	v_cmpx_ne_u64_e32 0x7f800000, v[14:15]
	s_xor_b32 s73, exec_lo, s13
	s_cbranch_execz .LBB4_10001
; %bb.9988:                             ;   in Loop: Header=BB4_8239 Depth=3
	v_and_b32_e32 v14, 0x7fffffff, v12
	v_mov_b32_e32 v15, v3
	v_and_b32_e32 v2, 0x80, v2
                                        ; implicit-def: $vgpr72
	s_mov_b32 s13, exec_lo
	s_delay_alu instid0(VALU_DEP_2)
	v_cmpx_gt_u64_e32 0x47600001, v[14:15]
	s_xor_b32 s74, exec_lo, s13
	s_cbranch_execz .LBB4_9998
; %bb.9989:                             ;   in Loop: Header=BB4_8239 Depth=3
	v_mov_b32_e32 v72, 0
	s_mov_b32 s75, exec_lo
	v_cmpx_ne_u32_e32 0, v12
	s_cbranch_execz .LBB4_9997
; %bb.9990:                             ;   in Loop: Header=BB4_8239 Depth=3
	v_bfe_u32 v14, v12, 23, 8
	v_or_b32_e32 v13, 0x800000, v4
	s_delay_alu instid0(VALU_DEP_2) | instskip(SKIP_2) | instid1(VALU_DEP_2)
	v_cmp_gt_u32_e64 s13, 0x72, v14
	v_sub_nc_u32_e32 v12, 0x71, v14
	v_cmp_eq_u32_e32 vcc_lo, 0, v14
	v_cndmask_b32_e64 v12, 0, v12, s13
	s_delay_alu instid0(VALU_DEP_1) | instskip(NEXT) | instid1(VALU_DEP_1)
	v_cndmask_b32_e64 v15, v12, 0x70, vcc_lo
	v_dual_cndmask_b32 v4, v13, v4, vcc_lo :: v_dual_add_nc_u32 v12, 21, v15
	v_add_nc_u32_e32 v86, 20, v15
	s_delay_alu instid0(VALU_DEP_2) | instskip(NEXT) | instid1(VALU_DEP_2)
	v_lshlrev_b64_e64 v[12:13], v12, -1
	v_lshlrev_b64_e64 v[86:87], v86, 1
	s_delay_alu instid0(VALU_DEP_2) | instskip(SKIP_1) | instid1(VALU_DEP_4)
	v_bfi_b32 v12, v12, 0, v4
	v_lshrrev_b64 v[4:5], v15, v[4:5]
	v_bfi_b32 v13, v13, 0, 0
	s_delay_alu instid0(VALU_DEP_1) | instskip(NEXT) | instid1(VALU_DEP_3)
	v_cmp_eq_u64_e64 s13, v[12:13], v[86:87]
	v_mov_b64_e32 v[12:13], v[4:5]
	s_and_saveexec_b32 s76, s13
; %bb.9991:                             ;   in Loop: Header=BB4_8239 Depth=3
	v_bfe_u32 v12, v4, 21, 1
	v_mov_b32_e32 v13, v3
	s_delay_alu instid0(VALU_DEP_1) | instskip(NEXT) | instid1(VALU_DEP_1)
	v_add_nc_u64_e32 v[12:13], v[4:5], v[12:13]
	v_add_nc_u64_e32 v[12:13], -1, v[12:13]
; %bb.9992:                             ;   in Loop: Header=BB4_8239 Depth=3
	s_or_b32 exec_lo, exec_lo, s76
	v_add_nc_u32_e32 v5, 0xffffff81, v14
	v_lshrrev_b32_e32 v13, 23, v4
	s_mov_b32 s13, exec_lo
	s_delay_alu instid0(VALU_DEP_2) | instskip(NEXT) | instid1(VALU_DEP_1)
	v_cndmask_b32_e64 v5, v5, 0xffffff82, vcc_lo
	v_add3_u32 v14, v15, v5, v13
	v_and_b32_e32 v5, 0x1fffff, v12
                                        ; implicit-def: $vgpr12
	s_delay_alu instid0(VALU_DEP_1) | instskip(SKIP_1) | instid1(VALU_DEP_2)
	v_dual_add_nc_u32 v13, 14, v14 :: v_dual_add_nc_u32 v4, v5, v4
	v_mov_b32_e32 v5, v3
	v_cmpx_ne_u32_e32 0, v13
	s_xor_b32 s13, exec_lo, s13
; %bb.9993:                             ;   in Loop: Header=BB4_8239 Depth=3
	s_delay_alu instid0(VALU_DEP_2) | instskip(SKIP_1) | instid1(VALU_DEP_1)
	v_cmp_lt_u64_e32 vcc_lo, 0xffffff, v[4:5]
	v_add_nc_u32_e32 v12, 15, v14
	v_cndmask_b32_e32 v12, v13, v12, vcc_lo
	v_cndmask_b32_e64 v13, 0, 1, vcc_lo
	s_delay_alu instid0(VALU_DEP_1)
	v_lshrrev_b64 v[4:5], v13, v[4:5]
; %bb.9994:                             ;   in Loop: Header=BB4_8239 Depth=3
	s_and_not1_saveexec_b32 s13, s13
; %bb.9995:                             ;   in Loop: Header=BB4_8239 Depth=3
	s_delay_alu instid0(VALU_DEP_1)
	v_bfe_u32 v12, v4, 23, 1
; %bb.9996:                             ;   in Loop: Header=BB4_8239 Depth=3
	s_or_b32 exec_lo, exec_lo, s13
	s_delay_alu instid0(VALU_DEP_2) | instskip(NEXT) | instid1(VALU_DEP_2)
	v_lshrrev_b64 v[4:5], 21, v[4:5]
	v_cmp_gt_i32_e32 vcc_lo, 32, v12
	v_min_i32_e32 v13, 31, v12
	v_cmp_eq_u32_e64 s13, 0, v12
	s_delay_alu instid0(VALU_DEP_4) | instskip(NEXT) | instid1(VALU_DEP_3)
	v_cndmask_b32_e32 v5, 0, v5, vcc_lo
	v_dual_cndmask_b32 v4, 3, v4 :: v_dual_lshlrev_b32 v13, 2, v13
	s_delay_alu instid0(VALU_DEP_1) | instskip(NEXT) | instid1(VALU_DEP_2)
	v_and_b32_e32 v13, 0xfc, v13
	v_cmp_eq_u64_e32 vcc_lo, 0, v[4:5]
	s_delay_alu instid0(VALU_DEP_2)
	v_and_or_b32 v4, v4, 3, v13
	s_and_b32 s13, s13, vcc_lo
	s_delay_alu instid0(VALU_DEP_1) | instid1(SALU_CYCLE_1)
	v_cndmask_b32_e64 v4, v4, 0, s13
	s_delay_alu instid0(VALU_DEP_1)
	v_or_b32_e32 v72, v4, v2
.LBB4_9997:                             ;   in Loop: Header=BB4_8239 Depth=3
	s_or_b32 exec_lo, exec_lo, s75
                                        ; implicit-def: $vgpr2
.LBB4_9998:                             ;   in Loop: Header=BB4_8239 Depth=3
	s_and_not1_saveexec_b32 s13, s74
; %bb.9999:                             ;   in Loop: Header=BB4_8239 Depth=3
	v_or_b32_e32 v72, 0x7b, v2
; %bb.10000:                            ;   in Loop: Header=BB4_8239 Depth=3
	s_or_b32 exec_lo, exec_lo, s13
                                        ; implicit-def: $vgpr12
                                        ; implicit-def: $vgpr4_vgpr5
                                        ; implicit-def: $vgpr2
.LBB4_10001:                            ;   in Loop: Header=BB4_8239 Depth=3
	s_and_not1_saveexec_b32 s13, s73
	s_cbranch_execz .LBB4_10007
; %bb.10002:                            ;   in Loop: Header=BB4_8239 Depth=3
	s_mov_b32 s73, exec_lo
                                        ; implicit-def: $vgpr72
	v_cmpx_ne_u64_e32 0, v[4:5]
	s_xor_b32 s73, exec_lo, s73
; %bb.10003:                            ;   in Loop: Header=BB4_8239 Depth=3
	v_or_b32_e32 v72, 0x7f, v2
                                        ; implicit-def: $vgpr12
; %bb.10004:                            ;   in Loop: Header=BB4_8239 Depth=3
	s_and_not1_saveexec_b32 s73, s73
; %bb.10005:                            ;   in Loop: Header=BB4_8239 Depth=3
	v_cmp_lt_i32_e32 vcc_lo, -1, v12
	v_cndmask_b32_e32 v72, 0xfc, v49, vcc_lo
; %bb.10006:                            ;   in Loop: Header=BB4_8239 Depth=3
	s_or_b32 exec_lo, exec_lo, s73
.LBB4_10007:                            ;   in Loop: Header=BB4_8239 Depth=3
	s_delay_alu instid0(SALU_CYCLE_1) | instskip(SKIP_4) | instid1(VALU_DEP_2)
	s_or_b32 exec_lo, exec_lo, s13
	v_lshl_or_b32 v2, v103, 8, v101
	v_dual_lshlrev_b32 v4, 16, v67 :: v_dual_lshlrev_b32 v12, 24, v60
	v_dual_mov_b32 v5, v3 :: v_dual_mov_b32 v13, 0
	s_mov_b32 s73, exec_lo
	v_or3_b32 v4, v4, v12, v2
	v_mov_b32_e32 v12, 0
	v_cmpx_ne_u32_e32 0, v101
	s_cbranch_execz .LBB4_10017
; %bb.10008:                            ;   in Loop: Header=BB4_8239 Depth=3
	v_bfrev_b32_e32 v12, 1
	s_mov_b32 s74, exec_lo
	v_cmpx_ne_u32_e32 0x80, v101
	s_cbranch_execz .LBB4_10016
; %bb.10009:                            ;   in Loop: Header=BB4_8239 Depth=3
	v_and_b32_e32 v12, 0x7c, v101
	v_and_b32_e32 v14, 3, v101
	s_delay_alu instid0(VALU_DEP_2) | instskip(SKIP_1) | instid1(SALU_CYCLE_1)
	v_cmp_ne_u32_e32 vcc_lo, 0x7c, v12
                                        ; implicit-def: $vgpr12
	s_and_saveexec_b32 s13, vcc_lo
	s_xor_b32 s13, exec_lo, s13
	s_cbranch_execz .LBB4_10013
; %bb.10010:                            ;   in Loop: Header=BB4_8239 Depth=3
	v_bfe_u32 v12, v101, 2, 5
	s_mov_b32 s75, exec_lo
	s_delay_alu instid0(VALU_DEP_1)
	v_cmpx_eq_u32_e32 0, v12
; %bb.10011:                            ;   in Loop: Header=BB4_8239 Depth=3
	v_clz_i32_u32_e32 v12, v14
	s_delay_alu instid0(VALU_DEP_1) | instskip(NEXT) | instid1(VALU_DEP_1)
	v_min_u32_e32 v12, 32, v12
	v_subrev_nc_u32_e32 v14, 29, v12
	s_delay_alu instid0(VALU_DEP_1) | instskip(NEXT) | instid1(VALU_DEP_1)
	v_lshlrev_b64_e32 v[14:15], v14, v[4:5]
	v_dual_sub_nc_u32 v12, 30, v12 :: v_dual_bitop2_b32 v14, 3, v14 bitop3:0x40
; %bb.10012:                            ;   in Loop: Header=BB4_8239 Depth=3
	s_or_b32 exec_lo, exec_lo, s75
	v_lshlrev_b32_e32 v5, 24, v101
                                        ; implicit-def: $vgpr101
	s_delay_alu instid0(VALU_DEP_1) | instskip(NEXT) | instid1(VALU_DEP_1)
	v_and_b32_e32 v5, 0x80000000, v5
	v_lshl_add_u32 v5, v12, 23, v5
	s_delay_alu instid0(VALU_DEP_1) | instskip(NEXT) | instid1(VALU_DEP_1)
	v_lshl_or_b32 v5, v14, 21, v5
                                        ; implicit-def: $vgpr14
	v_add_nc_u32_e32 v12, 0x38000000, v5
.LBB4_10013:                            ;   in Loop: Header=BB4_8239 Depth=3
	s_and_not1_saveexec_b32 s75, s13
; %bb.10014:                            ;   in Loop: Header=BB4_8239 Depth=3
	v_and_b32_e32 v5, 0x80, v101
	v_cmp_eq_u32_e32 vcc_lo, 0, v14
	s_delay_alu instid0(VALU_DEP_2) | instskip(NEXT) | instid1(VALU_DEP_1)
	v_cmp_eq_u32_e64 s13, 0, v5
	v_cndmask_b32_e64 v5, 0xff800000, v48, s13
	s_delay_alu instid0(VALU_DEP_1)
	v_cndmask_b32_e32 v12, 0x7f800001, v5, vcc_lo
; %bb.10015:                            ;   in Loop: Header=BB4_8239 Depth=3
	s_or_b32 exec_lo, exec_lo, s75
.LBB4_10016:                            ;   in Loop: Header=BB4_8239 Depth=3
	s_delay_alu instid0(SALU_CYCLE_1)
	s_or_b32 exec_lo, exec_lo, s74
.LBB4_10017:                            ;   in Loop: Header=BB4_8239 Depth=3
	s_delay_alu instid0(SALU_CYCLE_1) | instskip(SKIP_2) | instid1(VALU_DEP_1)
	s_or_b32 exec_lo, exec_lo, s73
	v_and_b32_e32 v5, 0xff, v9
	s_mov_b32 s73, exec_lo
	v_cmpx_ne_u16_e32 0, v5
	s_cbranch_execz .LBB4_10027
; %bb.10018:                            ;   in Loop: Header=BB4_8239 Depth=3
	v_bfrev_b32_e32 v13, 1
	s_mov_b32 s74, exec_lo
	v_cmpx_ne_u16_e32 0x80, v5
	s_cbranch_execz .LBB4_10026
; %bb.10019:                            ;   in Loop: Header=BB4_8239 Depth=3
	v_and_b32_e32 v13, 0x7c, v9
	v_and_b32_e32 v5, 3, v9
	s_delay_alu instid0(VALU_DEP_2) | instskip(SKIP_1) | instid1(SALU_CYCLE_1)
	v_cmp_ne_u32_e32 vcc_lo, 0x7c, v13
                                        ; implicit-def: $vgpr13
	s_and_saveexec_b32 s13, vcc_lo
	s_xor_b32 s13, exec_lo, s13
	s_cbranch_execz .LBB4_10023
; %bb.10020:                            ;   in Loop: Header=BB4_8239 Depth=3
	v_bfe_u32 v13, v9, 2, 5
	s_mov_b32 s75, exec_lo
	s_delay_alu instid0(VALU_DEP_1)
	v_cmpx_eq_u32_e32 0, v13
; %bb.10021:                            ;   in Loop: Header=BB4_8239 Depth=3
	v_clz_i32_u32_e32 v5, v5
	v_dual_mov_b32 v14, v9 :: v_dual_mov_b32 v15, v3
	s_delay_alu instid0(VALU_DEP_2) | instskip(NEXT) | instid1(VALU_DEP_1)
	v_min_u32_e32 v5, 32, v5
	v_subrev_nc_u32_e32 v13, 29, v5
	s_delay_alu instid0(VALU_DEP_1) | instskip(NEXT) | instid1(VALU_DEP_1)
	v_lshlrev_b64_e32 v[14:15], v13, v[14:15]
	v_dual_sub_nc_u32 v13, 30, v5 :: v_dual_bitop2_b32 v5, 3, v14 bitop3:0x40
; %bb.10022:                            ;   in Loop: Header=BB4_8239 Depth=3
	s_or_b32 exec_lo, exec_lo, s75
	v_lshlrev_b32_e32 v14, 24, v9
	s_delay_alu instid0(VALU_DEP_1) | instskip(NEXT) | instid1(VALU_DEP_1)
	v_and_b32_e32 v14, 0x80000000, v14
	v_lshl_add_u32 v13, v13, 23, v14
	s_delay_alu instid0(VALU_DEP_1) | instskip(NEXT) | instid1(VALU_DEP_1)
	v_lshl_or_b32 v5, v5, 21, v13
	v_add_nc_u32_e32 v13, 0x38000000, v5
                                        ; implicit-def: $vgpr5
.LBB4_10023:                            ;   in Loop: Header=BB4_8239 Depth=3
	s_and_not1_saveexec_b32 s75, s13
; %bb.10024:                            ;   in Loop: Header=BB4_8239 Depth=3
	v_bfe_i32 v13, v9, 0, 8
	v_cmp_eq_u32_e32 vcc_lo, 0, v5
	s_delay_alu instid0(VALU_DEP_2) | instskip(NEXT) | instid1(VALU_DEP_1)
	v_cmp_lt_i16_e64 s13, -1, v13
	v_cndmask_b32_e64 v5, 0xff800000, v48, s13
	s_delay_alu instid0(VALU_DEP_1)
	v_cndmask_b32_e32 v13, 0x7f800001, v5, vcc_lo
; %bb.10025:                            ;   in Loop: Header=BB4_8239 Depth=3
	s_or_b32 exec_lo, exec_lo, s75
.LBB4_10026:                            ;   in Loop: Header=BB4_8239 Depth=3
	s_delay_alu instid0(SALU_CYCLE_1)
	s_or_b32 exec_lo, exec_lo, s74
.LBB4_10027:                            ;   in Loop: Header=BB4_8239 Depth=3
	s_delay_alu instid0(SALU_CYCLE_1) | instskip(NEXT) | instid1(VALU_DEP_1)
	s_or_b32 exec_lo, exec_lo, s73
	v_dual_add_f32 v14, v12, v13 :: v_dual_mov_b32 v87, v3
	v_mov_b32_e32 v13, v3
                                        ; implicit-def: $vgpr67
	s_mov_b32 s13, exec_lo
	s_delay_alu instid0(VALU_DEP_2) | instskip(SKIP_2) | instid1(VALU_DEP_3)
	v_and_b32_e32 v86, 0x7f800000, v14
	v_and_b32_e32 v12, 0x7fffff, v14
	v_lshrrev_b32_e32 v5, 24, v14
	v_cmpx_ne_u64_e32 0x7f800000, v[86:87]
	s_xor_b32 s73, exec_lo, s13
	s_cbranch_execz .LBB4_10041
; %bb.10028:                            ;   in Loop: Header=BB4_8239 Depth=3
	v_and_b32_e32 v86, 0x7fffffff, v14
	v_mov_b32_e32 v87, v3
	v_and_b32_e32 v5, 0x80, v5
                                        ; implicit-def: $vgpr67
	s_mov_b32 s13, exec_lo
	s_delay_alu instid0(VALU_DEP_2)
	v_cmpx_gt_u64_e32 0x47600001, v[86:87]
	s_xor_b32 s74, exec_lo, s13
	s_cbranch_execz .LBB4_10038
; %bb.10029:                            ;   in Loop: Header=BB4_8239 Depth=3
	v_mov_b32_e32 v67, 0
	s_mov_b32 s75, exec_lo
	v_cmpx_ne_u32_e32 0, v14
	s_cbranch_execz .LBB4_10037
; %bb.10030:                            ;   in Loop: Header=BB4_8239 Depth=3
	v_bfe_u32 v67, v14, 23, 8
	v_or_b32_e32 v15, 0x800000, v12
	s_delay_alu instid0(VALU_DEP_2) | instskip(SKIP_2) | instid1(VALU_DEP_2)
	v_cmp_gt_u32_e64 s13, 0x72, v67
	v_sub_nc_u32_e32 v14, 0x71, v67
	v_cmp_eq_u32_e32 vcc_lo, 0, v67
	v_dual_cndmask_b32 v14, 0, v14, s13 :: v_dual_cndmask_b32 v12, v15, v12, vcc_lo
	s_delay_alu instid0(VALU_DEP_1) | instskip(NEXT) | instid1(VALU_DEP_1)
	v_cndmask_b32_e64 v86, v14, 0x70, vcc_lo
	v_dual_add_nc_u32 v14, 21, v86 :: v_dual_add_nc_u32 v87, 20, v86
	s_delay_alu instid0(VALU_DEP_1) | instskip(NEXT) | instid1(VALU_DEP_2)
	v_lshlrev_b64_e64 v[14:15], v14, -1
	v_lshlrev_b64_e64 v[96:97], v87, 1
	s_delay_alu instid0(VALU_DEP_2) | instskip(SKIP_1) | instid1(VALU_DEP_4)
	v_bfi_b32 v14, v14, 0, v12
	v_lshrrev_b64 v[12:13], v86, v[12:13]
	v_bfi_b32 v15, v15, 0, 0
	s_delay_alu instid0(VALU_DEP_1) | instskip(NEXT) | instid1(VALU_DEP_3)
	v_cmp_eq_u64_e64 s13, v[14:15], v[96:97]
	v_mov_b64_e32 v[14:15], v[12:13]
	s_and_saveexec_b32 s76, s13
; %bb.10031:                            ;   in Loop: Header=BB4_8239 Depth=3
	v_bfe_u32 v14, v12, 21, 1
	v_mov_b32_e32 v15, v3
	s_delay_alu instid0(VALU_DEP_1) | instskip(NEXT) | instid1(VALU_DEP_1)
	v_add_nc_u64_e32 v[14:15], v[12:13], v[14:15]
	v_add_nc_u64_e32 v[14:15], -1, v[14:15]
; %bb.10032:                            ;   in Loop: Header=BB4_8239 Depth=3
	s_or_b32 exec_lo, exec_lo, s76
	v_add_nc_u32_e32 v13, 0xffffff81, v67
	v_lshrrev_b32_e32 v15, 23, v12
	s_mov_b32 s13, exec_lo
	s_delay_alu instid0(VALU_DEP_2) | instskip(NEXT) | instid1(VALU_DEP_1)
	v_cndmask_b32_e64 v13, v13, 0xffffff82, vcc_lo
	v_add3_u32 v67, v86, v13, v15
	v_and_b32_e32 v13, 0x1fffff, v14
                                        ; implicit-def: $vgpr14
	s_delay_alu instid0(VALU_DEP_1) | instskip(SKIP_1) | instid1(VALU_DEP_2)
	v_dual_add_nc_u32 v15, 14, v67 :: v_dual_add_nc_u32 v12, v13, v12
	v_mov_b32_e32 v13, v3
	v_cmpx_ne_u32_e32 0, v15
	s_xor_b32 s13, exec_lo, s13
; %bb.10033:                            ;   in Loop: Header=BB4_8239 Depth=3
	s_delay_alu instid0(VALU_DEP_2) | instskip(SKIP_1) | instid1(VALU_DEP_1)
	v_cmp_lt_u64_e32 vcc_lo, 0xffffff, v[12:13]
	v_add_nc_u32_e32 v14, 15, v67
	v_cndmask_b32_e32 v14, v15, v14, vcc_lo
	v_cndmask_b32_e64 v15, 0, 1, vcc_lo
	s_delay_alu instid0(VALU_DEP_1)
	v_lshrrev_b64 v[12:13], v15, v[12:13]
; %bb.10034:                            ;   in Loop: Header=BB4_8239 Depth=3
	s_and_not1_saveexec_b32 s13, s13
; %bb.10035:                            ;   in Loop: Header=BB4_8239 Depth=3
	s_delay_alu instid0(VALU_DEP_1)
	v_bfe_u32 v14, v12, 23, 1
; %bb.10036:                            ;   in Loop: Header=BB4_8239 Depth=3
	s_or_b32 exec_lo, exec_lo, s13
	s_delay_alu instid0(VALU_DEP_2) | instskip(NEXT) | instid1(VALU_DEP_2)
	v_lshrrev_b64 v[12:13], 21, v[12:13]
	v_cmp_gt_i32_e32 vcc_lo, 32, v14
	v_min_i32_e32 v15, 31, v14
	v_cmp_eq_u32_e64 s13, 0, v14
	s_delay_alu instid0(VALU_DEP_2) | instskip(SKIP_1) | instid1(VALU_DEP_2)
	v_dual_cndmask_b32 v13, 0, v13, vcc_lo :: v_dual_lshlrev_b32 v15, 2, v15
	v_cndmask_b32_e32 v12, 3, v12, vcc_lo
	v_and_b32_e32 v15, 0xfc, v15
	s_delay_alu instid0(VALU_DEP_2) | instskip(NEXT) | instid1(VALU_DEP_2)
	v_cmp_eq_u64_e32 vcc_lo, 0, v[12:13]
	v_and_or_b32 v12, v12, 3, v15
	s_and_b32 s13, s13, vcc_lo
	s_delay_alu instid0(VALU_DEP_1) | instid1(SALU_CYCLE_1)
	v_cndmask_b32_e64 v12, v12, 0, s13
	s_delay_alu instid0(VALU_DEP_1)
	v_or_b32_e32 v67, v12, v5
.LBB4_10037:                            ;   in Loop: Header=BB4_8239 Depth=3
	s_or_b32 exec_lo, exec_lo, s75
                                        ; implicit-def: $vgpr5
.LBB4_10038:                            ;   in Loop: Header=BB4_8239 Depth=3
	s_and_not1_saveexec_b32 s13, s74
; %bb.10039:                            ;   in Loop: Header=BB4_8239 Depth=3
	v_or_b32_e32 v67, 0x7b, v5
; %bb.10040:                            ;   in Loop: Header=BB4_8239 Depth=3
	s_or_b32 exec_lo, exec_lo, s13
                                        ; implicit-def: $vgpr14
                                        ; implicit-def: $vgpr12_vgpr13
                                        ; implicit-def: $vgpr5
.LBB4_10041:                            ;   in Loop: Header=BB4_8239 Depth=3
	s_and_not1_saveexec_b32 s13, s73
	s_cbranch_execz .LBB4_10047
; %bb.10042:                            ;   in Loop: Header=BB4_8239 Depth=3
	s_mov_b32 s73, exec_lo
                                        ; implicit-def: $vgpr67
	v_cmpx_ne_u64_e32 0, v[12:13]
	s_xor_b32 s73, exec_lo, s73
; %bb.10043:                            ;   in Loop: Header=BB4_8239 Depth=3
	v_or_b32_e32 v67, 0x7f, v5
                                        ; implicit-def: $vgpr14
; %bb.10044:                            ;   in Loop: Header=BB4_8239 Depth=3
	s_and_not1_saveexec_b32 s73, s73
; %bb.10045:                            ;   in Loop: Header=BB4_8239 Depth=3
	v_cmp_lt_i32_e32 vcc_lo, -1, v14
	v_cndmask_b32_e32 v67, 0xfc, v49, vcc_lo
; %bb.10046:                            ;   in Loop: Header=BB4_8239 Depth=3
	s_or_b32 exec_lo, exec_lo, s73
.LBB4_10047:                            ;   in Loop: Header=BB4_8239 Depth=3
	s_delay_alu instid0(SALU_CYCLE_1) | instskip(SKIP_3) | instid1(VALU_DEP_2)
	s_or_b32 exec_lo, exec_lo, s13
	v_lshrrev_b16 v12, 8, v2
	v_dual_mov_b32 v5, 0 :: v_dual_mov_b32 v14, 0
	s_mov_b32 s73, exec_lo
	v_cmpx_ne_u16_e32 0, v12
	s_cbranch_execz .LBB4_10057
; %bb.10048:                            ;   in Loop: Header=BB4_8239 Depth=3
	v_bfrev_b32_e32 v14, 1
	s_mov_b32 s74, exec_lo
	v_cmpx_ne_u16_e32 0x80, v12
	s_cbranch_execz .LBB4_10056
; %bb.10049:                            ;   in Loop: Header=BB4_8239 Depth=3
	v_and_b32_e32 v15, 0xffff, v12
	s_delay_alu instid0(VALU_DEP_1) | instskip(SKIP_1) | instid1(VALU_DEP_2)
	v_and_b32_e32 v14, 0x7c, v15
	v_and_b32_e32 v13, 3, v15
	v_cmp_ne_u32_e32 vcc_lo, 0x7c, v14
                                        ; implicit-def: $vgpr14
	s_and_saveexec_b32 s13, vcc_lo
	s_delay_alu instid0(SALU_CYCLE_1)
	s_xor_b32 s13, exec_lo, s13
	s_cbranch_execz .LBB4_10053
; %bb.10050:                            ;   in Loop: Header=BB4_8239 Depth=3
	v_bfe_u32 v14, v15, 2, 5
	s_mov_b32 s75, exec_lo
	s_delay_alu instid0(VALU_DEP_1)
	v_cmpx_eq_u32_e32 0, v14
	s_cbranch_execz .LBB4_10052
; %bb.10051:                            ;   in Loop: Header=BB4_8239 Depth=3
	v_clz_i32_u32_e32 v13, v13
	s_delay_alu instid0(VALU_DEP_1) | instskip(SKIP_1) | instid1(VALU_DEP_2)
	v_min_u32_e32 v14, 32, v13
	v_mov_b32_e32 v13, v3
	v_subrev_nc_u32_e32 v15, 29, v14
	v_sub_nc_u32_e32 v14, 30, v14
	s_delay_alu instid0(VALU_DEP_2) | instskip(NEXT) | instid1(VALU_DEP_1)
	v_lshlrev_b64_e32 v[12:13], v15, v[12:13]
	v_and_b32_e32 v13, 3, v12
.LBB4_10052:                            ;   in Loop: Header=BB4_8239 Depth=3
	s_or_b32 exec_lo, exec_lo, s75
	v_lshlrev_b32_e32 v2, 16, v2
	s_delay_alu instid0(VALU_DEP_1) | instskip(NEXT) | instid1(VALU_DEP_1)
	v_and_b32_e32 v2, 0x80000000, v2
	v_lshl_add_u32 v2, v14, 23, v2
	s_delay_alu instid0(VALU_DEP_1) | instskip(NEXT) | instid1(VALU_DEP_1)
	v_lshl_or_b32 v2, v13, 21, v2
                                        ; implicit-def: $vgpr13
	v_add_nc_u32_e32 v14, 0x38000000, v2
                                        ; implicit-def: $vgpr2
.LBB4_10053:                            ;   in Loop: Header=BB4_8239 Depth=3
	s_and_not1_saveexec_b32 s75, s13
; %bb.10054:                            ;   in Loop: Header=BB4_8239 Depth=3
	v_cmp_lt_i16_e64 s13, -1, v2
	v_cmp_eq_u32_e32 vcc_lo, 0, v13
	s_delay_alu instid0(VALU_DEP_2) | instskip(NEXT) | instid1(VALU_DEP_1)
	v_cndmask_b32_e64 v2, 0xff800000, v48, s13
	v_cndmask_b32_e32 v14, 0x7f800001, v2, vcc_lo
; %bb.10055:                            ;   in Loop: Header=BB4_8239 Depth=3
	s_or_b32 exec_lo, exec_lo, s75
.LBB4_10056:                            ;   in Loop: Header=BB4_8239 Depth=3
	s_delay_alu instid0(SALU_CYCLE_1)
	s_or_b32 exec_lo, exec_lo, s74
.LBB4_10057:                            ;   in Loop: Header=BB4_8239 Depth=3
	s_delay_alu instid0(SALU_CYCLE_1) | instskip(SKIP_2) | instid1(VALU_DEP_1)
	s_or_b32 exec_lo, exec_lo, s73
	v_lshrrev_b16 v12, 8, v9
	s_mov_b32 s73, exec_lo
	v_cmpx_ne_u16_e32 0, v12
	s_cbranch_execz .LBB4_10067
; %bb.10058:                            ;   in Loop: Header=BB4_8239 Depth=3
	v_bfrev_b32_e32 v5, 1
	s_mov_b32 s74, exec_lo
	v_cmpx_ne_u16_e32 0x80, v12
	s_cbranch_execz .LBB4_10066
; %bb.10059:                            ;   in Loop: Header=BB4_8239 Depth=3
	v_and_b32_e32 v13, 0xffff, v12
	s_delay_alu instid0(VALU_DEP_1) | instskip(SKIP_1) | instid1(VALU_DEP_2)
	v_and_b32_e32 v5, 0x7c, v13
	v_and_b32_e32 v2, 3, v13
	v_cmp_ne_u32_e32 vcc_lo, 0x7c, v5
                                        ; implicit-def: $vgpr5
	s_and_saveexec_b32 s13, vcc_lo
	s_delay_alu instid0(SALU_CYCLE_1)
	s_xor_b32 s13, exec_lo, s13
	s_cbranch_execz .LBB4_10063
; %bb.10060:                            ;   in Loop: Header=BB4_8239 Depth=3
	v_bfe_u32 v5, v13, 2, 5
	s_mov_b32 s75, exec_lo
	s_delay_alu instid0(VALU_DEP_1)
	v_cmpx_eq_u32_e32 0, v5
; %bb.10061:                            ;   in Loop: Header=BB4_8239 Depth=3
	v_clz_i32_u32_e32 v2, v2
	s_delay_alu instid0(VALU_DEP_1) | instskip(SKIP_1) | instid1(VALU_DEP_2)
	v_min_u32_e32 v2, 32, v2
	v_mov_b32_e32 v13, v3
	v_subrev_nc_u32_e32 v5, 29, v2
	s_delay_alu instid0(VALU_DEP_1) | instskip(NEXT) | instid1(VALU_DEP_1)
	v_lshlrev_b64_e32 v[12:13], v5, v[12:13]
	v_dual_sub_nc_u32 v5, 30, v2 :: v_dual_bitop2_b32 v2, 3, v12 bitop3:0x40
; %bb.10062:                            ;   in Loop: Header=BB4_8239 Depth=3
	s_or_b32 exec_lo, exec_lo, s75
	v_lshlrev_b32_e32 v12, 16, v9
	s_delay_alu instid0(VALU_DEP_1) | instskip(NEXT) | instid1(VALU_DEP_1)
	v_and_b32_e32 v12, 0x80000000, v12
	v_lshl_add_u32 v5, v5, 23, v12
	s_delay_alu instid0(VALU_DEP_1) | instskip(NEXT) | instid1(VALU_DEP_1)
	v_lshl_or_b32 v2, v2, 21, v5
	v_add_nc_u32_e32 v5, 0x38000000, v2
                                        ; implicit-def: $vgpr2
.LBB4_10063:                            ;   in Loop: Header=BB4_8239 Depth=3
	s_and_not1_saveexec_b32 s75, s13
; %bb.10064:                            ;   in Loop: Header=BB4_8239 Depth=3
	v_cmp_lt_i16_e64 s13, -1, v9
	v_cmp_eq_u32_e32 vcc_lo, 0, v2
	s_delay_alu instid0(VALU_DEP_2) | instskip(NEXT) | instid1(VALU_DEP_1)
	v_cndmask_b32_e64 v2, 0xff800000, v48, s13
	v_cndmask_b32_e32 v5, 0x7f800001, v2, vcc_lo
; %bb.10065:                            ;   in Loop: Header=BB4_8239 Depth=3
	s_or_b32 exec_lo, exec_lo, s75
.LBB4_10066:                            ;   in Loop: Header=BB4_8239 Depth=3
	s_delay_alu instid0(SALU_CYCLE_1)
	s_or_b32 exec_lo, exec_lo, s74
.LBB4_10067:                            ;   in Loop: Header=BB4_8239 Depth=3
	s_delay_alu instid0(SALU_CYCLE_1) | instskip(NEXT) | instid1(VALU_DEP_1)
	s_or_b32 exec_lo, exec_lo, s73
	v_dual_add_f32 v5, v14, v5 :: v_dual_mov_b32 v15, v3
	v_mov_b32_e32 v13, v3
                                        ; implicit-def: $vgpr101
	s_mov_b32 s13, exec_lo
	s_delay_alu instid0(VALU_DEP_2) | instskip(SKIP_2) | instid1(VALU_DEP_3)
	v_and_b32_e32 v14, 0x7f800000, v5
	v_and_b32_e32 v12, 0x7fffff, v5
	v_lshrrev_b32_e32 v2, 24, v5
	v_cmpx_ne_u64_e32 0x7f800000, v[14:15]
	s_xor_b32 s73, exec_lo, s13
	s_cbranch_execz .LBB4_10081
; %bb.10068:                            ;   in Loop: Header=BB4_8239 Depth=3
	v_and_b32_e32 v14, 0x7fffffff, v5
	v_mov_b32_e32 v15, v3
	v_and_b32_e32 v2, 0x80, v2
                                        ; implicit-def: $vgpr101
	s_mov_b32 s13, exec_lo
	s_delay_alu instid0(VALU_DEP_2)
	v_cmpx_gt_u64_e32 0x47600001, v[14:15]
	s_xor_b32 s74, exec_lo, s13
	s_cbranch_execz .LBB4_10078
; %bb.10069:                            ;   in Loop: Header=BB4_8239 Depth=3
	v_mov_b32_e32 v101, 0
	s_mov_b32 s75, exec_lo
	v_cmpx_ne_u32_e32 0, v5
	s_cbranch_execz .LBB4_10077
; %bb.10070:                            ;   in Loop: Header=BB4_8239 Depth=3
	v_bfe_u32 v5, v5, 23, 8
	v_or_b32_e32 v15, 0x800000, v12
	s_delay_alu instid0(VALU_DEP_2) | instskip(SKIP_2) | instid1(VALU_DEP_2)
	v_cmp_gt_u32_e64 s13, 0x72, v5
	v_sub_nc_u32_e32 v14, 0x71, v5
	v_cmp_eq_u32_e32 vcc_lo, 0, v5
	v_dual_cndmask_b32 v14, 0, v14, s13 :: v_dual_cndmask_b32 v12, v15, v12, vcc_lo
	s_delay_alu instid0(VALU_DEP_1) | instskip(NEXT) | instid1(VALU_DEP_1)
	v_cndmask_b32_e64 v86, v14, 0x70, vcc_lo
	v_dual_add_nc_u32 v14, 21, v86 :: v_dual_add_nc_u32 v87, 20, v86
	s_delay_alu instid0(VALU_DEP_1) | instskip(NEXT) | instid1(VALU_DEP_2)
	v_lshlrev_b64_e64 v[14:15], v14, -1
	v_lshlrev_b64_e64 v[96:97], v87, 1
	s_delay_alu instid0(VALU_DEP_2) | instskip(SKIP_1) | instid1(VALU_DEP_4)
	v_bfi_b32 v14, v14, 0, v12
	v_lshrrev_b64 v[12:13], v86, v[12:13]
	v_bfi_b32 v15, v15, 0, 0
	s_delay_alu instid0(VALU_DEP_1) | instskip(NEXT) | instid1(VALU_DEP_3)
	v_cmp_eq_u64_e64 s13, v[14:15], v[96:97]
	v_mov_b64_e32 v[14:15], v[12:13]
	s_and_saveexec_b32 s76, s13
; %bb.10071:                            ;   in Loop: Header=BB4_8239 Depth=3
	v_bfe_u32 v14, v12, 21, 1
	v_mov_b32_e32 v15, v3
	s_delay_alu instid0(VALU_DEP_1) | instskip(NEXT) | instid1(VALU_DEP_1)
	v_add_nc_u64_e32 v[14:15], v[12:13], v[14:15]
	v_add_nc_u64_e32 v[14:15], -1, v[14:15]
; %bb.10072:                            ;   in Loop: Header=BB4_8239 Depth=3
	s_or_b32 exec_lo, exec_lo, s76
	v_add_nc_u32_e32 v5, 0xffffff81, v5
	v_lshrrev_b32_e32 v13, 23, v12
	s_mov_b32 s13, exec_lo
	s_delay_alu instid0(VALU_DEP_2) | instskip(NEXT) | instid1(VALU_DEP_1)
	v_cndmask_b32_e64 v5, v5, 0xffffff82, vcc_lo
	v_add3_u32 v15, v86, v5, v13
	v_and_b32_e32 v5, 0x1fffff, v14
	s_delay_alu instid0(VALU_DEP_2) | instskip(NEXT) | instid1(VALU_DEP_2)
	v_dual_mov_b32 v13, v3 :: v_dual_add_nc_u32 v14, 14, v15
	v_add_nc_u32_e32 v12, v5, v12
                                        ; implicit-def: $vgpr5
	s_delay_alu instid0(VALU_DEP_2)
	v_cmpx_ne_u32_e32 0, v14
	s_xor_b32 s13, exec_lo, s13
; %bb.10073:                            ;   in Loop: Header=BB4_8239 Depth=3
	s_delay_alu instid0(VALU_DEP_2) | instskip(SKIP_1) | instid1(VALU_DEP_1)
	v_cmp_lt_u64_e32 vcc_lo, 0xffffff, v[12:13]
	v_add_nc_u32_e32 v5, 15, v15
	v_cndmask_b32_e32 v5, v14, v5, vcc_lo
	v_cndmask_b32_e64 v14, 0, 1, vcc_lo
	s_delay_alu instid0(VALU_DEP_1)
	v_lshrrev_b64 v[12:13], v14, v[12:13]
; %bb.10074:                            ;   in Loop: Header=BB4_8239 Depth=3
	s_and_not1_saveexec_b32 s13, s13
; %bb.10075:                            ;   in Loop: Header=BB4_8239 Depth=3
	s_delay_alu instid0(VALU_DEP_1)
	v_bfe_u32 v5, v12, 23, 1
; %bb.10076:                            ;   in Loop: Header=BB4_8239 Depth=3
	s_or_b32 exec_lo, exec_lo, s13
	s_delay_alu instid0(VALU_DEP_2) | instskip(NEXT) | instid1(VALU_DEP_2)
	v_lshrrev_b64 v[12:13], 21, v[12:13]
	v_cmp_gt_i32_e32 vcc_lo, 32, v5
	v_min_i32_e32 v14, 31, v5
	v_cmp_eq_u32_e64 s13, 0, v5
	s_delay_alu instid0(VALU_DEP_2) | instskip(SKIP_1) | instid1(VALU_DEP_2)
	v_dual_cndmask_b32 v12, 3, v12, vcc_lo :: v_dual_lshlrev_b32 v14, 2, v14
	v_cndmask_b32_e32 v13, 0, v13, vcc_lo
	v_and_b32_e32 v14, 0xfc, v14
	s_delay_alu instid0(VALU_DEP_2) | instskip(NEXT) | instid1(VALU_DEP_2)
	v_cmp_eq_u64_e32 vcc_lo, 0, v[12:13]
	v_and_or_b32 v5, v12, 3, v14
	s_and_b32 s13, s13, vcc_lo
	s_delay_alu instid0(VALU_DEP_1) | instid1(SALU_CYCLE_1)
	v_cndmask_b32_e64 v5, v5, 0, s13
	s_delay_alu instid0(VALU_DEP_1)
	v_or_b32_e32 v101, v5, v2
.LBB4_10077:                            ;   in Loop: Header=BB4_8239 Depth=3
	s_or_b32 exec_lo, exec_lo, s75
                                        ; implicit-def: $vgpr2
.LBB4_10078:                            ;   in Loop: Header=BB4_8239 Depth=3
	s_and_not1_saveexec_b32 s13, s74
; %bb.10079:                            ;   in Loop: Header=BB4_8239 Depth=3
	v_or_b32_e32 v101, 0x7b, v2
; %bb.10080:                            ;   in Loop: Header=BB4_8239 Depth=3
	s_or_b32 exec_lo, exec_lo, s13
                                        ; implicit-def: $vgpr5
                                        ; implicit-def: $vgpr12_vgpr13
                                        ; implicit-def: $vgpr2
.LBB4_10081:                            ;   in Loop: Header=BB4_8239 Depth=3
	s_and_not1_saveexec_b32 s13, s73
	s_cbranch_execz .LBB4_10087
; %bb.10082:                            ;   in Loop: Header=BB4_8239 Depth=3
	s_mov_b32 s73, exec_lo
                                        ; implicit-def: $vgpr101
	v_cmpx_ne_u64_e32 0, v[12:13]
	s_xor_b32 s73, exec_lo, s73
; %bb.10083:                            ;   in Loop: Header=BB4_8239 Depth=3
	v_or_b32_e32 v101, 0x7f, v2
                                        ; implicit-def: $vgpr5
; %bb.10084:                            ;   in Loop: Header=BB4_8239 Depth=3
	s_and_not1_saveexec_b32 s73, s73
; %bb.10085:                            ;   in Loop: Header=BB4_8239 Depth=3
	v_cmp_lt_i32_e32 vcc_lo, -1, v5
	v_cndmask_b32_e32 v101, 0xfc, v49, vcc_lo
; %bb.10086:                            ;   in Loop: Header=BB4_8239 Depth=3
	s_or_b32 exec_lo, exec_lo, s73
.LBB4_10087:                            ;   in Loop: Header=BB4_8239 Depth=3
	s_delay_alu instid0(SALU_CYCLE_1) | instskip(SKIP_3) | instid1(VALU_DEP_2)
	s_or_b32 exec_lo, exec_lo, s13
	v_dual_mov_b32 v5, 0 :: v_dual_lshrrev_b32 v2, 16, v4
	v_mov_b32_e32 v12, 0
	s_mov_b32 s73, exec_lo
	v_and_b32_e32 v13, 0xff, v2
	s_delay_alu instid0(VALU_DEP_1)
	v_cmpx_ne_u16_e32 0, v13
	s_cbranch_execz .LBB4_10097
; %bb.10088:                            ;   in Loop: Header=BB4_8239 Depth=3
	v_bfrev_b32_e32 v12, 1
	s_mov_b32 s74, exec_lo
	v_cmpx_ne_u16_e32 0x80, v13
	s_cbranch_execz .LBB4_10096
; %bb.10089:                            ;   in Loop: Header=BB4_8239 Depth=3
	v_and_b32_e32 v12, 0x7c0000, v4
	v_bfe_u32 v13, v4, 16, 2
	s_delay_alu instid0(VALU_DEP_2) | instskip(SKIP_1) | instid1(SALU_CYCLE_1)
	v_cmp_ne_u32_e32 vcc_lo, 0x7c0000, v12
                                        ; implicit-def: $vgpr12
	s_and_saveexec_b32 s13, vcc_lo
	s_xor_b32 s13, exec_lo, s13
	s_cbranch_execz .LBB4_10093
; %bb.10090:                            ;   in Loop: Header=BB4_8239 Depth=3
	v_bfe_u32 v12, v4, 18, 5
	s_mov_b32 s75, exec_lo
	s_delay_alu instid0(VALU_DEP_1)
	v_cmpx_eq_u32_e32 0, v12
; %bb.10091:                            ;   in Loop: Header=BB4_8239 Depth=3
	v_clz_i32_u32_e32 v12, v13
	s_delay_alu instid0(VALU_DEP_1) | instskip(NEXT) | instid1(VALU_DEP_1)
	v_min_u32_e32 v12, 32, v12
	v_subrev_nc_u32_e32 v13, 29, v12
	s_delay_alu instid0(VALU_DEP_1) | instskip(NEXT) | instid1(VALU_DEP_1)
	v_lshlrev_b64_e32 v[14:15], v13, v[2:3]
	v_dual_sub_nc_u32 v12, 30, v12 :: v_dual_bitop2_b32 v13, 3, v14 bitop3:0x40
; %bb.10092:                            ;   in Loop: Header=BB4_8239 Depth=3
	s_or_b32 exec_lo, exec_lo, s75
	v_lshlrev_b32_e32 v2, 24, v2
	s_delay_alu instid0(VALU_DEP_1) | instskip(NEXT) | instid1(VALU_DEP_1)
	v_and_b32_e32 v2, 0x80000000, v2
	v_lshl_add_u32 v2, v12, 23, v2
	s_delay_alu instid0(VALU_DEP_1) | instskip(NEXT) | instid1(VALU_DEP_1)
	v_lshl_or_b32 v2, v13, 21, v2
                                        ; implicit-def: $vgpr13
	v_add_nc_u32_e32 v12, 0x38000000, v2
                                        ; implicit-def: $vgpr2
.LBB4_10093:                            ;   in Loop: Header=BB4_8239 Depth=3
	s_and_not1_saveexec_b32 s75, s13
; %bb.10094:                            ;   in Loop: Header=BB4_8239 Depth=3
	v_bfe_i32 v2, v2, 0, 8
	v_cmp_eq_u32_e32 vcc_lo, 0, v13
	s_delay_alu instid0(VALU_DEP_2) | instskip(NEXT) | instid1(VALU_DEP_1)
	v_cmp_lt_i16_e64 s13, -1, v2
	v_cndmask_b32_e64 v2, 0xff800000, v48, s13
	s_delay_alu instid0(VALU_DEP_1)
	v_cndmask_b32_e32 v12, 0x7f800001, v2, vcc_lo
; %bb.10095:                            ;   in Loop: Header=BB4_8239 Depth=3
	s_or_b32 exec_lo, exec_lo, s75
.LBB4_10096:                            ;   in Loop: Header=BB4_8239 Depth=3
	s_delay_alu instid0(SALU_CYCLE_1)
	s_or_b32 exec_lo, exec_lo, s74
.LBB4_10097:                            ;   in Loop: Header=BB4_8239 Depth=3
	s_delay_alu instid0(SALU_CYCLE_1) | instskip(SKIP_2) | instid1(VALU_DEP_1)
	s_or_b32 exec_lo, exec_lo, s73
	v_lshrrev_b32_e32 v2, 16, v9
	s_mov_b32 s73, exec_lo
	v_and_b32_e32 v13, 0xff, v2
	s_delay_alu instid0(VALU_DEP_1)
	v_cmpx_ne_u16_e32 0, v13
	s_cbranch_execz .LBB4_10107
; %bb.10098:                            ;   in Loop: Header=BB4_8239 Depth=3
	v_bfrev_b32_e32 v5, 1
	s_mov_b32 s74, exec_lo
	v_cmpx_ne_u16_e32 0x80, v13
	s_cbranch_execz .LBB4_10106
; %bb.10099:                            ;   in Loop: Header=BB4_8239 Depth=3
	v_and_b32_e32 v5, 0x7c0000, v9
	v_bfe_u32 v13, v9, 16, 2
	s_delay_alu instid0(VALU_DEP_2) | instskip(SKIP_1) | instid1(SALU_CYCLE_1)
	v_cmp_ne_u32_e32 vcc_lo, 0x7c0000, v5
                                        ; implicit-def: $vgpr5
	s_and_saveexec_b32 s13, vcc_lo
	s_xor_b32 s13, exec_lo, s13
	s_cbranch_execz .LBB4_10103
; %bb.10100:                            ;   in Loop: Header=BB4_8239 Depth=3
	v_bfe_u32 v5, v9, 18, 5
	s_mov_b32 s75, exec_lo
	s_delay_alu instid0(VALU_DEP_1)
	v_cmpx_eq_u32_e32 0, v5
; %bb.10101:                            ;   in Loop: Header=BB4_8239 Depth=3
	v_clz_i32_u32_e32 v5, v13
	s_delay_alu instid0(VALU_DEP_1) | instskip(NEXT) | instid1(VALU_DEP_1)
	v_min_u32_e32 v5, 32, v5
	v_subrev_nc_u32_e32 v13, 29, v5
	s_delay_alu instid0(VALU_DEP_1) | instskip(NEXT) | instid1(VALU_DEP_1)
	v_lshlrev_b64_e32 v[14:15], v13, v[2:3]
	v_dual_sub_nc_u32 v5, 30, v5 :: v_dual_bitop2_b32 v13, 3, v14 bitop3:0x40
; %bb.10102:                            ;   in Loop: Header=BB4_8239 Depth=3
	s_or_b32 exec_lo, exec_lo, s75
	v_lshlrev_b32_e32 v2, 24, v2
	s_delay_alu instid0(VALU_DEP_1) | instskip(NEXT) | instid1(VALU_DEP_1)
	v_and_b32_e32 v2, 0x80000000, v2
	v_lshl_add_u32 v2, v5, 23, v2
	s_delay_alu instid0(VALU_DEP_1) | instskip(NEXT) | instid1(VALU_DEP_1)
	v_lshl_or_b32 v2, v13, 21, v2
                                        ; implicit-def: $vgpr13
	v_add_nc_u32_e32 v5, 0x38000000, v2
                                        ; implicit-def: $vgpr2
.LBB4_10103:                            ;   in Loop: Header=BB4_8239 Depth=3
	s_and_not1_saveexec_b32 s75, s13
; %bb.10104:                            ;   in Loop: Header=BB4_8239 Depth=3
	v_bfe_i32 v2, v2, 0, 8
	v_cmp_eq_u32_e32 vcc_lo, 0, v13
	s_delay_alu instid0(VALU_DEP_2) | instskip(NEXT) | instid1(VALU_DEP_1)
	v_cmp_lt_i16_e64 s13, -1, v2
	v_cndmask_b32_e64 v2, 0xff800000, v48, s13
	s_delay_alu instid0(VALU_DEP_1)
	v_cndmask_b32_e32 v5, 0x7f800001, v2, vcc_lo
; %bb.10105:                            ;   in Loop: Header=BB4_8239 Depth=3
	s_or_b32 exec_lo, exec_lo, s75
.LBB4_10106:                            ;   in Loop: Header=BB4_8239 Depth=3
	s_delay_alu instid0(SALU_CYCLE_1)
	s_or_b32 exec_lo, exec_lo, s74
.LBB4_10107:                            ;   in Loop: Header=BB4_8239 Depth=3
	s_delay_alu instid0(SALU_CYCLE_1) | instskip(NEXT) | instid1(VALU_DEP_1)
	s_or_b32 exec_lo, exec_lo, s73
	v_dual_add_f32 v5, v12, v5 :: v_dual_mov_b32 v15, v3
	s_delay_alu instid0(VALU_DEP_1) | instskip(SKIP_2) | instid1(VALU_DEP_2)
	v_dual_mov_b32 v13, v3 :: v_dual_lshrrev_b32 v2, 24, v5
	v_and_b32_e32 v14, 0x7f800000, v5
	v_and_b32_e32 v12, 0x7fffff, v5
	v_cmp_ne_u64_e32 vcc_lo, 0x7f800000, v[14:15]
                                        ; implicit-def: $vgpr14
	s_and_saveexec_b32 s13, vcc_lo
	s_delay_alu instid0(SALU_CYCLE_1)
	s_xor_b32 s73, exec_lo, s13
	s_cbranch_execz .LBB4_10121
; %bb.10108:                            ;   in Loop: Header=BB4_8239 Depth=3
	v_and_b32_e32 v14, 0x7fffffff, v5
	v_mov_b32_e32 v15, v3
	v_and_b32_e32 v2, 0x80, v2
	s_delay_alu instid0(VALU_DEP_2) | instskip(SKIP_1) | instid1(SALU_CYCLE_1)
	v_cmp_gt_u64_e32 vcc_lo, 0x47600001, v[14:15]
                                        ; implicit-def: $vgpr14
	s_and_saveexec_b32 s13, vcc_lo
	s_xor_b32 s74, exec_lo, s13
	s_cbranch_execz .LBB4_10118
; %bb.10109:                            ;   in Loop: Header=BB4_8239 Depth=3
	v_mov_b32_e32 v14, 0
	s_mov_b32 s75, exec_lo
	v_cmpx_ne_u32_e32 0, v5
	s_cbranch_execz .LBB4_10117
; %bb.10110:                            ;   in Loop: Header=BB4_8239 Depth=3
	v_bfe_u32 v5, v5, 23, 8
	v_or_b32_e32 v15, 0x800000, v12
	s_delay_alu instid0(VALU_DEP_2) | instskip(SKIP_2) | instid1(VALU_DEP_2)
	v_cmp_gt_u32_e64 s13, 0x72, v5
	v_sub_nc_u32_e32 v14, 0x71, v5
	v_cmp_eq_u32_e32 vcc_lo, 0, v5
	v_dual_cndmask_b32 v14, 0, v14, s13 :: v_dual_cndmask_b32 v12, v15, v12, vcc_lo
	s_delay_alu instid0(VALU_DEP_1) | instskip(NEXT) | instid1(VALU_DEP_1)
	v_cndmask_b32_e64 v86, v14, 0x70, vcc_lo
	v_dual_add_nc_u32 v14, 21, v86 :: v_dual_add_nc_u32 v87, 20, v86
	s_delay_alu instid0(VALU_DEP_1) | instskip(NEXT) | instid1(VALU_DEP_2)
	v_lshlrev_b64_e64 v[14:15], v14, -1
	v_lshlrev_b64_e64 v[96:97], v87, 1
	s_delay_alu instid0(VALU_DEP_2) | instskip(SKIP_1) | instid1(VALU_DEP_4)
	v_bfi_b32 v14, v14, 0, v12
	v_lshrrev_b64 v[12:13], v86, v[12:13]
	v_bfi_b32 v15, v15, 0, 0
	s_delay_alu instid0(VALU_DEP_1) | instskip(NEXT) | instid1(VALU_DEP_3)
	v_cmp_eq_u64_e64 s13, v[14:15], v[96:97]
	v_mov_b64_e32 v[14:15], v[12:13]
	s_and_saveexec_b32 s76, s13
; %bb.10111:                            ;   in Loop: Header=BB4_8239 Depth=3
	v_bfe_u32 v14, v12, 21, 1
	v_mov_b32_e32 v15, v3
	s_delay_alu instid0(VALU_DEP_1) | instskip(NEXT) | instid1(VALU_DEP_1)
	v_add_nc_u64_e32 v[14:15], v[12:13], v[14:15]
	v_add_nc_u64_e32 v[14:15], -1, v[14:15]
; %bb.10112:                            ;   in Loop: Header=BB4_8239 Depth=3
	s_or_b32 exec_lo, exec_lo, s76
	v_add_nc_u32_e32 v5, 0xffffff81, v5
	v_lshrrev_b32_e32 v13, 23, v12
	s_mov_b32 s13, exec_lo
	s_delay_alu instid0(VALU_DEP_2) | instskip(NEXT) | instid1(VALU_DEP_1)
	v_cndmask_b32_e64 v5, v5, 0xffffff82, vcc_lo
	v_add3_u32 v15, v86, v5, v13
	v_and_b32_e32 v5, 0x1fffff, v14
	s_delay_alu instid0(VALU_DEP_2) | instskip(NEXT) | instid1(VALU_DEP_2)
	v_dual_mov_b32 v13, v3 :: v_dual_add_nc_u32 v14, 14, v15
	v_add_nc_u32_e32 v12, v5, v12
                                        ; implicit-def: $vgpr5
	s_delay_alu instid0(VALU_DEP_2)
	v_cmpx_ne_u32_e32 0, v14
	s_xor_b32 s13, exec_lo, s13
; %bb.10113:                            ;   in Loop: Header=BB4_8239 Depth=3
	s_delay_alu instid0(VALU_DEP_2) | instskip(SKIP_1) | instid1(VALU_DEP_1)
	v_cmp_lt_u64_e32 vcc_lo, 0xffffff, v[12:13]
	v_add_nc_u32_e32 v5, 15, v15
	v_cndmask_b32_e32 v5, v14, v5, vcc_lo
	v_cndmask_b32_e64 v14, 0, 1, vcc_lo
	s_delay_alu instid0(VALU_DEP_1)
	v_lshrrev_b64 v[12:13], v14, v[12:13]
; %bb.10114:                            ;   in Loop: Header=BB4_8239 Depth=3
	s_and_not1_saveexec_b32 s13, s13
; %bb.10115:                            ;   in Loop: Header=BB4_8239 Depth=3
	s_delay_alu instid0(VALU_DEP_1)
	v_bfe_u32 v5, v12, 23, 1
; %bb.10116:                            ;   in Loop: Header=BB4_8239 Depth=3
	s_or_b32 exec_lo, exec_lo, s13
	s_delay_alu instid0(VALU_DEP_2) | instskip(NEXT) | instid1(VALU_DEP_2)
	v_lshrrev_b64 v[12:13], 21, v[12:13]
	v_cmp_gt_i32_e32 vcc_lo, 32, v5
	v_min_i32_e32 v14, 31, v5
	v_cmp_eq_u32_e64 s13, 0, v5
	s_delay_alu instid0(VALU_DEP_2) | instskip(SKIP_1) | instid1(VALU_DEP_2)
	v_dual_cndmask_b32 v12, 3, v12, vcc_lo :: v_dual_lshlrev_b32 v14, 2, v14
	v_cndmask_b32_e32 v13, 0, v13, vcc_lo
	v_and_b32_e32 v14, 0xfc, v14
	s_delay_alu instid0(VALU_DEP_2) | instskip(NEXT) | instid1(VALU_DEP_2)
	v_cmp_eq_u64_e32 vcc_lo, 0, v[12:13]
	v_and_or_b32 v5, v12, 3, v14
	s_and_b32 s13, s13, vcc_lo
	s_delay_alu instid0(VALU_DEP_1) | instid1(SALU_CYCLE_1)
	v_cndmask_b32_e64 v5, v5, 0, s13
	s_delay_alu instid0(VALU_DEP_1)
	v_or_b32_e32 v14, v5, v2
.LBB4_10117:                            ;   in Loop: Header=BB4_8239 Depth=3
	s_or_b32 exec_lo, exec_lo, s75
                                        ; implicit-def: $vgpr2
.LBB4_10118:                            ;   in Loop: Header=BB4_8239 Depth=3
	s_and_not1_saveexec_b32 s13, s74
; %bb.10119:                            ;   in Loop: Header=BB4_8239 Depth=3
	v_or_b32_e32 v14, 0x7b, v2
; %bb.10120:                            ;   in Loop: Header=BB4_8239 Depth=3
	s_or_b32 exec_lo, exec_lo, s13
                                        ; implicit-def: $vgpr5
                                        ; implicit-def: $vgpr12_vgpr13
                                        ; implicit-def: $vgpr2
.LBB4_10121:                            ;   in Loop: Header=BB4_8239 Depth=3
	s_and_not1_saveexec_b32 s13, s73
	s_cbranch_execz .LBB4_10127
; %bb.10122:                            ;   in Loop: Header=BB4_8239 Depth=3
	s_mov_b32 s73, exec_lo
                                        ; implicit-def: $vgpr14
	v_cmpx_ne_u64_e32 0, v[12:13]
	s_xor_b32 s73, exec_lo, s73
; %bb.10123:                            ;   in Loop: Header=BB4_8239 Depth=3
	v_or_b32_e32 v14, 0x7f, v2
                                        ; implicit-def: $vgpr5
; %bb.10124:                            ;   in Loop: Header=BB4_8239 Depth=3
	s_and_not1_saveexec_b32 s73, s73
; %bb.10125:                            ;   in Loop: Header=BB4_8239 Depth=3
	v_cmp_lt_i32_e32 vcc_lo, -1, v5
	v_cndmask_b32_e32 v14, 0xfc, v49, vcc_lo
; %bb.10126:                            ;   in Loop: Header=BB4_8239 Depth=3
	s_or_b32 exec_lo, exec_lo, s73
.LBB4_10127:                            ;   in Loop: Header=BB4_8239 Depth=3
	s_delay_alu instid0(SALU_CYCLE_1)
	s_or_b32 exec_lo, exec_lo, s13
	v_dual_mov_b32 v12, 0 :: v_dual_mov_b32 v13, 0
	s_mov_b32 s73, exec_lo
	v_cmpx_lt_u32_e32 0xffffff, v4
	s_cbranch_execz .LBB4_10137
; %bb.10128:                            ;   in Loop: Header=BB4_8239 Depth=3
	v_lshrrev_b32_e32 v2, 24, v4
	v_bfrev_b32_e32 v13, 1
	s_mov_b32 s74, exec_lo
	s_delay_alu instid0(VALU_DEP_2)
	v_cmpx_ne_u32_e32 0x80, v2
	s_cbranch_execz .LBB4_10136
; %bb.10129:                            ;   in Loop: Header=BB4_8239 Depth=3
	v_and_b32_e32 v5, 0x7c000000, v4
	v_bfe_u32 v15, v4, 24, 2
	s_mov_b32 s13, exec_lo
                                        ; implicit-def: $vgpr13
	s_delay_alu instid0(VALU_DEP_2)
	v_cmpx_ne_u32_e32 0x7c000000, v5
	s_xor_b32 s13, exec_lo, s13
	s_cbranch_execz .LBB4_10133
; %bb.10130:                            ;   in Loop: Header=BB4_8239 Depth=3
	v_bfe_u32 v5, v4, 26, 5
	s_mov_b32 s75, exec_lo
	s_delay_alu instid0(VALU_DEP_1)
	v_cmpx_eq_u32_e32 0, v5
; %bb.10131:                            ;   in Loop: Header=BB4_8239 Depth=3
	v_clz_i32_u32_e32 v5, v15
	s_delay_alu instid0(VALU_DEP_1) | instskip(NEXT) | instid1(VALU_DEP_1)
	v_min_u32_e32 v5, 32, v5
	v_subrev_nc_u32_e32 v13, 29, v5
	s_delay_alu instid0(VALU_DEP_1) | instskip(NEXT) | instid1(VALU_DEP_1)
	v_lshlrev_b64_e32 v[86:87], v13, v[2:3]
	v_dual_sub_nc_u32 v5, 30, v5 :: v_dual_bitop2_b32 v15, 3, v86 bitop3:0x40
; %bb.10132:                            ;   in Loop: Header=BB4_8239 Depth=3
	s_or_b32 exec_lo, exec_lo, s75
	v_and_b32_e32 v2, 0x80000000, v4
	s_delay_alu instid0(VALU_DEP_1) | instskip(NEXT) | instid1(VALU_DEP_1)
	v_lshl_add_u32 v2, v5, 23, v2
                                        ; implicit-def: $vgpr4_vgpr5
	v_lshl_or_b32 v2, v15, 21, v2
                                        ; implicit-def: $vgpr15
	s_delay_alu instid0(VALU_DEP_1)
	v_add_nc_u32_e32 v13, 0x38000000, v2
.LBB4_10133:                            ;   in Loop: Header=BB4_8239 Depth=3
	s_and_not1_saveexec_b32 s75, s13
; %bb.10134:                            ;   in Loop: Header=BB4_8239 Depth=3
	v_cmp_lt_i32_e64 s13, -1, v4
	v_cmp_eq_u32_e32 vcc_lo, 0, v15
	s_delay_alu instid0(VALU_DEP_2) | instskip(NEXT) | instid1(VALU_DEP_1)
	v_cndmask_b32_e64 v2, 0xff800000, v48, s13
	v_cndmask_b32_e32 v13, 0x7f800001, v2, vcc_lo
; %bb.10135:                            ;   in Loop: Header=BB4_8239 Depth=3
	s_or_b32 exec_lo, exec_lo, s75
.LBB4_10136:                            ;   in Loop: Header=BB4_8239 Depth=3
	s_delay_alu instid0(SALU_CYCLE_1)
	s_or_b32 exec_lo, exec_lo, s74
.LBB4_10137:                            ;   in Loop: Header=BB4_8239 Depth=3
	s_delay_alu instid0(SALU_CYCLE_1) | instskip(NEXT) | instid1(SALU_CYCLE_1)
	s_or_b32 exec_lo, exec_lo, s73
	s_mov_b32 s73, exec_lo
	v_cmpx_lt_u64_e64 s[22:23], v[8:9]
	s_cbranch_execz .LBB4_10147
; %bb.10138:                            ;   in Loop: Header=BB4_8239 Depth=3
	v_lshrrev_b32_e32 v2, 24, v9
	v_bfrev_b32_e32 v12, 1
	s_mov_b32 s74, exec_lo
	s_delay_alu instid0(VALU_DEP_2)
	v_cmpx_ne_u32_e32 0x80, v2
	s_cbranch_execz .LBB4_10146
; %bb.10139:                            ;   in Loop: Header=BB4_8239 Depth=3
	v_and_b32_e32 v5, 0x7c000000, v9
	v_bfe_u32 v4, v9, 24, 2
	s_mov_b32 s13, exec_lo
                                        ; implicit-def: $vgpr12
	s_delay_alu instid0(VALU_DEP_2)
	v_cmpx_ne_u32_e32 0x7c000000, v5
	s_xor_b32 s13, exec_lo, s13
	s_cbranch_execz .LBB4_10143
; %bb.10140:                            ;   in Loop: Header=BB4_8239 Depth=3
	v_bfe_u32 v5, v9, 26, 5
	s_mov_b32 s75, exec_lo
	s_delay_alu instid0(VALU_DEP_1)
	v_cmpx_eq_u32_e32 0, v5
; %bb.10141:                            ;   in Loop: Header=BB4_8239 Depth=3
	v_clz_i32_u32_e32 v4, v4
	s_delay_alu instid0(VALU_DEP_1) | instskip(NEXT) | instid1(VALU_DEP_1)
	v_min_u32_e32 v12, 32, v4
	v_subrev_nc_u32_e32 v4, 29, v12
	s_delay_alu instid0(VALU_DEP_1) | instskip(SKIP_1) | instid1(VALU_DEP_2)
	v_lshlrev_b64_e32 v[4:5], v4, v[2:3]
	v_sub_nc_u32_e32 v5, 30, v12
	v_and_b32_e32 v4, 3, v4
; %bb.10142:                            ;   in Loop: Header=BB4_8239 Depth=3
	s_or_b32 exec_lo, exec_lo, s75
	v_and_b32_e32 v2, 0x80000000, v9
	s_delay_alu instid0(VALU_DEP_1) | instskip(NEXT) | instid1(VALU_DEP_1)
	v_lshl_add_u32 v2, v5, 23, v2
	v_lshl_or_b32 v2, v4, 21, v2
                                        ; implicit-def: $vgpr4
	s_delay_alu instid0(VALU_DEP_1)
	v_add_nc_u32_e32 v12, 0x38000000, v2
.LBB4_10143:                            ;   in Loop: Header=BB4_8239 Depth=3
	s_and_not1_saveexec_b32 s75, s13
; %bb.10144:                            ;   in Loop: Header=BB4_8239 Depth=3
	v_cmp_lt_i64_e64 s13, -1, v[8:9]
	v_cmp_eq_u32_e32 vcc_lo, 0, v4
	s_delay_alu instid0(VALU_DEP_2) | instskip(NEXT) | instid1(VALU_DEP_1)
	v_cndmask_b32_e64 v2, 0xff800000, v48, s13
	v_cndmask_b32_e32 v12, 0x7f800001, v2, vcc_lo
; %bb.10145:                            ;   in Loop: Header=BB4_8239 Depth=3
	s_or_b32 exec_lo, exec_lo, s75
.LBB4_10146:                            ;   in Loop: Header=BB4_8239 Depth=3
	s_delay_alu instid0(SALU_CYCLE_1)
	s_or_b32 exec_lo, exec_lo, s74
.LBB4_10147:                            ;   in Loop: Header=BB4_8239 Depth=3
	s_delay_alu instid0(SALU_CYCLE_1) | instskip(NEXT) | instid1(VALU_DEP_1)
	s_or_b32 exec_lo, exec_lo, s73
	v_dual_add_f32 v8, v13, v12 :: v_dual_mov_b32 v13, v3
	v_mov_b32_e32 v5, v3
                                        ; implicit-def: $vgpr15
	s_mov_b32 s13, exec_lo
	s_delay_alu instid0(VALU_DEP_2) | instskip(SKIP_2) | instid1(VALU_DEP_3)
	v_and_b32_e32 v12, 0x7f800000, v8
	v_and_b32_e32 v4, 0x7fffff, v8
	v_lshrrev_b32_e32 v2, 24, v8
	v_cmpx_ne_u64_e32 0x7f800000, v[12:13]
	s_xor_b32 s73, exec_lo, s13
	s_cbranch_execz .LBB4_10161
; %bb.10148:                            ;   in Loop: Header=BB4_8239 Depth=3
	v_and_b32_e32 v12, 0x7fffffff, v8
	v_mov_b32_e32 v13, v3
	v_and_b32_e32 v2, 0x80, v2
                                        ; implicit-def: $vgpr15
	s_mov_b32 s13, exec_lo
	s_delay_alu instid0(VALU_DEP_2)
	v_cmpx_gt_u64_e32 0x47600001, v[12:13]
	s_xor_b32 s74, exec_lo, s13
	s_cbranch_execz .LBB4_10158
; %bb.10149:                            ;   in Loop: Header=BB4_8239 Depth=3
	v_mov_b32_e32 v15, 0
	s_mov_b32 s75, exec_lo
	v_cmpx_ne_u32_e32 0, v8
	s_cbranch_execz .LBB4_10157
; %bb.10150:                            ;   in Loop: Header=BB4_8239 Depth=3
	v_bfe_u32 v12, v8, 23, 8
	v_or_b32_e32 v9, 0x800000, v4
	s_delay_alu instid0(VALU_DEP_2) | instskip(SKIP_2) | instid1(VALU_DEP_2)
	v_cmp_gt_u32_e64 s13, 0x72, v12
	v_sub_nc_u32_e32 v8, 0x71, v12
	v_cmp_eq_u32_e32 vcc_lo, 0, v12
	v_cndmask_b32_e64 v8, 0, v8, s13
	s_delay_alu instid0(VALU_DEP_1) | instskip(NEXT) | instid1(VALU_DEP_1)
	v_cndmask_b32_e64 v13, v8, 0x70, vcc_lo
	v_dual_cndmask_b32 v4, v9, v4, vcc_lo :: v_dual_add_nc_u32 v8, 21, v13
	v_add_nc_u32_e32 v15, 20, v13
	s_delay_alu instid0(VALU_DEP_2) | instskip(NEXT) | instid1(VALU_DEP_2)
	v_lshlrev_b64_e64 v[8:9], v8, -1
	v_lshlrev_b64_e64 v[86:87], v15, 1
	s_delay_alu instid0(VALU_DEP_2) | instskip(SKIP_1) | instid1(VALU_DEP_4)
	v_bfi_b32 v8, v8, 0, v4
	v_lshrrev_b64 v[4:5], v13, v[4:5]
	v_bfi_b32 v9, v9, 0, 0
	s_delay_alu instid0(VALU_DEP_1) | instskip(NEXT) | instid1(VALU_DEP_3)
	v_cmp_eq_u64_e64 s13, v[8:9], v[86:87]
	v_mov_b64_e32 v[8:9], v[4:5]
	s_and_saveexec_b32 s76, s13
; %bb.10151:                            ;   in Loop: Header=BB4_8239 Depth=3
	v_bfe_u32 v8, v4, 21, 1
	v_mov_b32_e32 v9, v3
	s_delay_alu instid0(VALU_DEP_1) | instskip(NEXT) | instid1(VALU_DEP_1)
	v_add_nc_u64_e32 v[8:9], v[4:5], v[8:9]
	v_add_nc_u64_e32 v[8:9], -1, v[8:9]
; %bb.10152:                            ;   in Loop: Header=BB4_8239 Depth=3
	s_or_b32 exec_lo, exec_lo, s76
	v_add_nc_u32_e32 v5, 0xffffff81, v12
	v_lshrrev_b32_e32 v9, 23, v4
	s_mov_b32 s13, exec_lo
	s_delay_alu instid0(VALU_DEP_2) | instskip(NEXT) | instid1(VALU_DEP_1)
	v_cndmask_b32_e64 v5, v5, 0xffffff82, vcc_lo
	v_add3_u32 v12, v13, v5, v9
	v_and_b32_e32 v5, 0x1fffff, v8
                                        ; implicit-def: $vgpr8
	s_delay_alu instid0(VALU_DEP_2) | instskip(NEXT) | instid1(VALU_DEP_2)
	v_add_nc_u32_e32 v9, 14, v12
	v_dual_mov_b32 v5, v3 :: v_dual_add_nc_u32 v4, v5, v4
	s_delay_alu instid0(VALU_DEP_2)
	v_cmpx_ne_u32_e32 0, v9
	s_xor_b32 s13, exec_lo, s13
; %bb.10153:                            ;   in Loop: Header=BB4_8239 Depth=3
	s_delay_alu instid0(VALU_DEP_2) | instskip(SKIP_1) | instid1(VALU_DEP_1)
	v_cmp_lt_u64_e32 vcc_lo, 0xffffff, v[4:5]
	v_add_nc_u32_e32 v8, 15, v12
	v_cndmask_b32_e32 v8, v9, v8, vcc_lo
	v_cndmask_b32_e64 v9, 0, 1, vcc_lo
	s_delay_alu instid0(VALU_DEP_1)
	v_lshrrev_b64 v[4:5], v9, v[4:5]
; %bb.10154:                            ;   in Loop: Header=BB4_8239 Depth=3
	s_and_not1_saveexec_b32 s13, s13
; %bb.10155:                            ;   in Loop: Header=BB4_8239 Depth=3
	s_delay_alu instid0(VALU_DEP_1)
	v_bfe_u32 v8, v4, 23, 1
; %bb.10156:                            ;   in Loop: Header=BB4_8239 Depth=3
	s_or_b32 exec_lo, exec_lo, s13
	s_delay_alu instid0(VALU_DEP_2) | instskip(NEXT) | instid1(VALU_DEP_2)
	v_lshrrev_b64 v[4:5], 21, v[4:5]
	v_cmp_gt_i32_e32 vcc_lo, 32, v8
	v_min_i32_e32 v9, 31, v8
	v_cmp_eq_u32_e64 s13, 0, v8
	s_delay_alu instid0(VALU_DEP_4) | instskip(NEXT) | instid1(VALU_DEP_3)
	v_cndmask_b32_e32 v5, 0, v5, vcc_lo
	v_dual_cndmask_b32 v4, 3, v4 :: v_dual_lshlrev_b32 v9, 2, v9
	s_delay_alu instid0(VALU_DEP_1) | instskip(NEXT) | instid1(VALU_DEP_2)
	v_and_b32_e32 v9, 0xfc, v9
	v_cmp_eq_u64_e32 vcc_lo, 0, v[4:5]
	s_delay_alu instid0(VALU_DEP_2)
	v_and_or_b32 v4, v4, 3, v9
	s_and_b32 s13, s13, vcc_lo
	s_delay_alu instid0(VALU_DEP_1) | instid1(SALU_CYCLE_1)
	v_cndmask_b32_e64 v4, v4, 0, s13
	s_delay_alu instid0(VALU_DEP_1)
	v_or_b32_e32 v15, v4, v2
.LBB4_10157:                            ;   in Loop: Header=BB4_8239 Depth=3
	s_or_b32 exec_lo, exec_lo, s75
                                        ; implicit-def: $vgpr2
.LBB4_10158:                            ;   in Loop: Header=BB4_8239 Depth=3
	s_and_not1_saveexec_b32 s13, s74
; %bb.10159:                            ;   in Loop: Header=BB4_8239 Depth=3
	v_or_b32_e32 v15, 0x7b, v2
; %bb.10160:                            ;   in Loop: Header=BB4_8239 Depth=3
	s_or_b32 exec_lo, exec_lo, s13
                                        ; implicit-def: $vgpr8
                                        ; implicit-def: $vgpr4_vgpr5
                                        ; implicit-def: $vgpr2
.LBB4_10161:                            ;   in Loop: Header=BB4_8239 Depth=3
	s_and_not1_saveexec_b32 s13, s73
	s_cbranch_execz .LBB4_10167
; %bb.10162:                            ;   in Loop: Header=BB4_8239 Depth=3
	s_mov_b32 s73, exec_lo
                                        ; implicit-def: $vgpr15
	v_cmpx_ne_u64_e32 0, v[4:5]
	s_xor_b32 s73, exec_lo, s73
; %bb.10163:                            ;   in Loop: Header=BB4_8239 Depth=3
	v_or_b32_e32 v15, 0x7f, v2
                                        ; implicit-def: $vgpr8
; %bb.10164:                            ;   in Loop: Header=BB4_8239 Depth=3
	s_and_not1_saveexec_b32 s73, s73
; %bb.10165:                            ;   in Loop: Header=BB4_8239 Depth=3
	v_cmp_lt_i32_e32 vcc_lo, -1, v8
	v_cndmask_b32_e32 v15, 0xfc, v49, vcc_lo
; %bb.10166:                            ;   in Loop: Header=BB4_8239 Depth=3
	s_or_b32 exec_lo, exec_lo, s73
.LBB4_10167:                            ;   in Loop: Header=BB4_8239 Depth=3
	s_delay_alu instid0(SALU_CYCLE_1) | instskip(SKIP_4) | instid1(VALU_DEP_2)
	s_or_b32 exec_lo, exec_lo, s13
	v_lshl_or_b32 v2, v113, 8, v51
	v_dual_lshlrev_b32 v4, 16, v117 :: v_dual_lshlrev_b32 v8, 24, v66
	v_dual_mov_b32 v5, v3 :: v_dual_mov_b32 v9, 0
	s_mov_b32 s73, exec_lo
	v_or3_b32 v4, v4, v8, v2
	v_mov_b32_e32 v8, 0
	v_cmpx_ne_u32_e32 0, v51
	s_cbranch_execz .LBB4_10177
; %bb.10168:                            ;   in Loop: Header=BB4_8239 Depth=3
	v_bfrev_b32_e32 v9, 1
	s_mov_b32 s74, exec_lo
	v_cmpx_ne_u32_e32 0x80, v51
	s_cbranch_execz .LBB4_10176
; %bb.10169:                            ;   in Loop: Header=BB4_8239 Depth=3
	v_and_b32_e32 v9, 0x7c, v51
	v_and_b32_e32 v12, 3, v51
	s_delay_alu instid0(VALU_DEP_2) | instskip(SKIP_1) | instid1(SALU_CYCLE_1)
	v_cmp_ne_u32_e32 vcc_lo, 0x7c, v9
                                        ; implicit-def: $vgpr9
	s_and_saveexec_b32 s13, vcc_lo
	s_xor_b32 s13, exec_lo, s13
	s_cbranch_execz .LBB4_10173
; %bb.10170:                            ;   in Loop: Header=BB4_8239 Depth=3
	v_bfe_u32 v9, v51, 2, 5
	s_mov_b32 s75, exec_lo
	s_delay_alu instid0(VALU_DEP_1)
	v_cmpx_eq_u32_e32 0, v9
; %bb.10171:                            ;   in Loop: Header=BB4_8239 Depth=3
	v_clz_i32_u32_e32 v9, v12
	s_delay_alu instid0(VALU_DEP_1) | instskip(NEXT) | instid1(VALU_DEP_1)
	v_min_u32_e32 v9, 32, v9
	v_subrev_nc_u32_e32 v12, 29, v9
	s_delay_alu instid0(VALU_DEP_1) | instskip(NEXT) | instid1(VALU_DEP_1)
	v_lshlrev_b64_e32 v[12:13], v12, v[4:5]
	v_dual_sub_nc_u32 v9, 30, v9 :: v_dual_bitop2_b32 v12, 3, v12 bitop3:0x40
; %bb.10172:                            ;   in Loop: Header=BB4_8239 Depth=3
	s_or_b32 exec_lo, exec_lo, s75
	v_lshlrev_b32_e32 v5, 24, v51
                                        ; implicit-def: $vgpr51
	s_delay_alu instid0(VALU_DEP_1) | instskip(NEXT) | instid1(VALU_DEP_1)
	v_and_b32_e32 v5, 0x80000000, v5
	v_lshl_add_u32 v5, v9, 23, v5
	s_delay_alu instid0(VALU_DEP_1) | instskip(NEXT) | instid1(VALU_DEP_1)
	v_lshl_or_b32 v5, v12, 21, v5
                                        ; implicit-def: $vgpr12
	v_add_nc_u32_e32 v9, 0x38000000, v5
.LBB4_10173:                            ;   in Loop: Header=BB4_8239 Depth=3
	s_and_not1_saveexec_b32 s75, s13
; %bb.10174:                            ;   in Loop: Header=BB4_8239 Depth=3
	v_and_b32_e32 v5, 0x80, v51
	v_cmp_eq_u32_e32 vcc_lo, 0, v12
	s_delay_alu instid0(VALU_DEP_2) | instskip(NEXT) | instid1(VALU_DEP_1)
	v_cmp_eq_u32_e64 s13, 0, v5
	v_cndmask_b32_e64 v5, 0xff800000, v48, s13
	s_delay_alu instid0(VALU_DEP_1)
	v_cndmask_b32_e32 v9, 0x7f800001, v5, vcc_lo
; %bb.10175:                            ;   in Loop: Header=BB4_8239 Depth=3
	s_or_b32 exec_lo, exec_lo, s75
.LBB4_10176:                            ;   in Loop: Header=BB4_8239 Depth=3
	s_delay_alu instid0(SALU_CYCLE_1)
	s_or_b32 exec_lo, exec_lo, s74
.LBB4_10177:                            ;   in Loop: Header=BB4_8239 Depth=3
	s_delay_alu instid0(SALU_CYCLE_1) | instskip(SKIP_2) | instid1(VALU_DEP_1)
	s_or_b32 exec_lo, exec_lo, s73
	v_and_b32_e32 v5, 0xff, v10
	s_mov_b32 s73, exec_lo
	v_cmpx_ne_u16_e32 0, v5
	s_cbranch_execz .LBB4_10187
; %bb.10178:                            ;   in Loop: Header=BB4_8239 Depth=3
	v_bfe_i32 v12, v10, 0, 8
	v_bfrev_b32_e32 v8, 1
	s_mov_b32 s74, exec_lo
	s_delay_alu instid0(VALU_DEP_2)
	v_cmpx_ne_u16_e32 0xff80, v12
	s_cbranch_execz .LBB4_10186
; %bb.10179:                            ;   in Loop: Header=BB4_8239 Depth=3
	v_and_b32_e32 v8, 0x7c, v10
	v_and_b32_e32 v5, 3, v10
	s_delay_alu instid0(VALU_DEP_2) | instskip(SKIP_1) | instid1(SALU_CYCLE_1)
	v_cmp_ne_u32_e32 vcc_lo, 0x7c, v8
                                        ; implicit-def: $vgpr8
	s_and_saveexec_b32 s13, vcc_lo
	s_xor_b32 s13, exec_lo, s13
	s_cbranch_execz .LBB4_10183
; %bb.10180:                            ;   in Loop: Header=BB4_8239 Depth=3
	v_bfe_u32 v8, v10, 2, 5
	s_mov_b32 s75, exec_lo
	s_delay_alu instid0(VALU_DEP_1)
	v_cmpx_eq_u32_e32 0, v8
; %bb.10181:                            ;   in Loop: Header=BB4_8239 Depth=3
	v_clz_i32_u32_e32 v5, v5
	s_delay_alu instid0(VALU_DEP_1) | instskip(NEXT) | instid1(VALU_DEP_1)
	v_min_u32_e32 v5, 32, v5
	v_subrev_nc_u32_e32 v8, 29, v5
	s_delay_alu instid0(VALU_DEP_1) | instskip(NEXT) | instid1(VALU_DEP_1)
	v_lshlrev_b64_e32 v[12:13], v8, v[10:11]
	v_dual_sub_nc_u32 v8, 30, v5 :: v_dual_bitop2_b32 v5, 3, v12 bitop3:0x40
; %bb.10182:                            ;   in Loop: Header=BB4_8239 Depth=3
	s_or_b32 exec_lo, exec_lo, s75
	v_lshlrev_b32_e32 v12, 24, v10
	s_delay_alu instid0(VALU_DEP_1) | instskip(NEXT) | instid1(VALU_DEP_1)
	v_and_b32_e32 v12, 0x80000000, v12
	v_lshl_add_u32 v8, v8, 23, v12
                                        ; implicit-def: $vgpr12
	s_delay_alu instid0(VALU_DEP_1) | instskip(NEXT) | instid1(VALU_DEP_1)
	v_lshl_or_b32 v5, v5, 21, v8
	v_add_nc_u32_e32 v8, 0x38000000, v5
                                        ; implicit-def: $vgpr5
.LBB4_10183:                            ;   in Loop: Header=BB4_8239 Depth=3
	s_and_not1_saveexec_b32 s75, s13
; %bb.10184:                            ;   in Loop: Header=BB4_8239 Depth=3
	v_cmp_lt_i16_e64 s13, -1, v12
	v_cmp_eq_u32_e32 vcc_lo, 0, v5
	s_delay_alu instid0(VALU_DEP_2) | instskip(NEXT) | instid1(VALU_DEP_1)
	v_cndmask_b32_e64 v5, 0xff800000, v48, s13
	v_cndmask_b32_e32 v8, 0x7f800001, v5, vcc_lo
; %bb.10185:                            ;   in Loop: Header=BB4_8239 Depth=3
	s_or_b32 exec_lo, exec_lo, s75
.LBB4_10186:                            ;   in Loop: Header=BB4_8239 Depth=3
	s_delay_alu instid0(SALU_CYCLE_1)
	s_or_b32 exec_lo, exec_lo, s74
.LBB4_10187:                            ;   in Loop: Header=BB4_8239 Depth=3
	s_delay_alu instid0(SALU_CYCLE_1) | instskip(NEXT) | instid1(VALU_DEP_1)
	s_or_b32 exec_lo, exec_lo, s73
	v_dual_add_f32 v12, v9, v8 :: v_dual_mov_b32 v87, v3
	v_mov_b32_e32 v9, v3
                                        ; implicit-def: $vgpr51
	s_mov_b32 s13, exec_lo
	s_delay_alu instid0(VALU_DEP_2) | instskip(SKIP_2) | instid1(VALU_DEP_3)
	v_and_b32_e32 v86, 0x7f800000, v12
	v_and_b32_e32 v8, 0x7fffff, v12
	v_lshrrev_b32_e32 v5, 24, v12
	v_cmpx_ne_u64_e32 0x7f800000, v[86:87]
	s_xor_b32 s73, exec_lo, s13
	s_cbranch_execz .LBB4_10201
; %bb.10188:                            ;   in Loop: Header=BB4_8239 Depth=3
	v_and_b32_e32 v86, 0x7fffffff, v12
	v_mov_b32_e32 v87, v3
	v_and_b32_e32 v5, 0x80, v5
                                        ; implicit-def: $vgpr51
	s_mov_b32 s13, exec_lo
	s_delay_alu instid0(VALU_DEP_2)
	v_cmpx_gt_u64_e32 0x47600001, v[86:87]
	s_xor_b32 s74, exec_lo, s13
	s_cbranch_execz .LBB4_10198
; %bb.10189:                            ;   in Loop: Header=BB4_8239 Depth=3
	v_mov_b32_e32 v51, 0
	s_mov_b32 s75, exec_lo
	v_cmpx_ne_u32_e32 0, v12
	s_cbranch_execz .LBB4_10197
; %bb.10190:                            ;   in Loop: Header=BB4_8239 Depth=3
	v_bfe_u32 v51, v12, 23, 8
	v_or_b32_e32 v13, 0x800000, v8
	s_delay_alu instid0(VALU_DEP_2) | instskip(SKIP_2) | instid1(VALU_DEP_2)
	v_cmp_gt_u32_e64 s13, 0x72, v51
	v_sub_nc_u32_e32 v12, 0x71, v51
	v_cmp_eq_u32_e32 vcc_lo, 0, v51
	v_cndmask_b32_e64 v12, 0, v12, s13
	s_delay_alu instid0(VALU_DEP_1) | instskip(NEXT) | instid1(VALU_DEP_1)
	v_cndmask_b32_e64 v66, v12, 0x70, vcc_lo
	v_dual_cndmask_b32 v8, v13, v8, vcc_lo :: v_dual_add_nc_u32 v12, 21, v66
	v_add_nc_u32_e32 v86, 20, v66
	s_delay_alu instid0(VALU_DEP_2) | instskip(NEXT) | instid1(VALU_DEP_2)
	v_lshlrev_b64_e64 v[12:13], v12, -1
	v_lshlrev_b64_e64 v[86:87], v86, 1
	s_delay_alu instid0(VALU_DEP_2) | instskip(SKIP_1) | instid1(VALU_DEP_4)
	v_bfi_b32 v12, v12, 0, v8
	v_lshrrev_b64 v[8:9], v66, v[8:9]
	v_bfi_b32 v13, v13, 0, 0
	s_delay_alu instid0(VALU_DEP_1) | instskip(NEXT) | instid1(VALU_DEP_3)
	v_cmp_eq_u64_e64 s13, v[12:13], v[86:87]
	v_mov_b64_e32 v[12:13], v[8:9]
	s_and_saveexec_b32 s76, s13
; %bb.10191:                            ;   in Loop: Header=BB4_8239 Depth=3
	v_bfe_u32 v12, v8, 21, 1
	v_mov_b32_e32 v13, v3
	s_delay_alu instid0(VALU_DEP_1) | instskip(NEXT) | instid1(VALU_DEP_1)
	v_add_nc_u64_e32 v[12:13], v[8:9], v[12:13]
	v_add_nc_u64_e32 v[12:13], -1, v[12:13]
; %bb.10192:                            ;   in Loop: Header=BB4_8239 Depth=3
	s_or_b32 exec_lo, exec_lo, s76
	v_add_nc_u32_e32 v9, 0xffffff81, v51
	v_lshrrev_b32_e32 v13, 23, v8
	s_mov_b32 s13, exec_lo
	s_delay_alu instid0(VALU_DEP_2) | instskip(NEXT) | instid1(VALU_DEP_1)
	v_cndmask_b32_e64 v9, v9, 0xffffff82, vcc_lo
	v_add3_u32 v51, v66, v9, v13
	v_and_b32_e32 v9, 0x1fffff, v12
                                        ; implicit-def: $vgpr12
	s_delay_alu instid0(VALU_DEP_1) | instskip(SKIP_1) | instid1(VALU_DEP_2)
	v_dual_add_nc_u32 v13, 14, v51 :: v_dual_add_nc_u32 v8, v9, v8
	v_mov_b32_e32 v9, v3
	v_cmpx_ne_u32_e32 0, v13
	s_xor_b32 s13, exec_lo, s13
; %bb.10193:                            ;   in Loop: Header=BB4_8239 Depth=3
	s_delay_alu instid0(VALU_DEP_2) | instskip(SKIP_1) | instid1(VALU_DEP_1)
	v_cmp_lt_u64_e32 vcc_lo, 0xffffff, v[8:9]
	v_add_nc_u32_e32 v12, 15, v51
	v_cndmask_b32_e32 v12, v13, v12, vcc_lo
	v_cndmask_b32_e64 v13, 0, 1, vcc_lo
	s_delay_alu instid0(VALU_DEP_1)
	v_lshrrev_b64 v[8:9], v13, v[8:9]
; %bb.10194:                            ;   in Loop: Header=BB4_8239 Depth=3
	s_and_not1_saveexec_b32 s13, s13
; %bb.10195:                            ;   in Loop: Header=BB4_8239 Depth=3
	s_delay_alu instid0(VALU_DEP_1)
	v_bfe_u32 v12, v8, 23, 1
; %bb.10196:                            ;   in Loop: Header=BB4_8239 Depth=3
	s_or_b32 exec_lo, exec_lo, s13
	s_delay_alu instid0(VALU_DEP_2) | instskip(NEXT) | instid1(VALU_DEP_2)
	v_lshrrev_b64 v[8:9], 21, v[8:9]
	v_cmp_gt_i32_e32 vcc_lo, 32, v12
	v_min_i32_e32 v13, 31, v12
	v_cmp_eq_u32_e64 s13, 0, v12
	s_delay_alu instid0(VALU_DEP_4) | instskip(NEXT) | instid1(VALU_DEP_3)
	v_cndmask_b32_e32 v9, 0, v9, vcc_lo
	v_dual_cndmask_b32 v8, 3, v8 :: v_dual_lshlrev_b32 v13, 2, v13
	s_delay_alu instid0(VALU_DEP_1) | instskip(NEXT) | instid1(VALU_DEP_2)
	v_and_b32_e32 v13, 0xfc, v13
	v_cmp_eq_u64_e32 vcc_lo, 0, v[8:9]
	s_delay_alu instid0(VALU_DEP_2)
	v_and_or_b32 v8, v8, 3, v13
	s_and_b32 s13, s13, vcc_lo
	s_delay_alu instid0(VALU_DEP_1) | instid1(SALU_CYCLE_1)
	v_cndmask_b32_e64 v8, v8, 0, s13
	s_delay_alu instid0(VALU_DEP_1)
	v_or_b32_e32 v51, v8, v5
.LBB4_10197:                            ;   in Loop: Header=BB4_8239 Depth=3
	s_or_b32 exec_lo, exec_lo, s75
                                        ; implicit-def: $vgpr5
.LBB4_10198:                            ;   in Loop: Header=BB4_8239 Depth=3
	s_and_not1_saveexec_b32 s13, s74
; %bb.10199:                            ;   in Loop: Header=BB4_8239 Depth=3
	v_or_b32_e32 v51, 0x7b, v5
; %bb.10200:                            ;   in Loop: Header=BB4_8239 Depth=3
	s_or_b32 exec_lo, exec_lo, s13
                                        ; implicit-def: $vgpr12
                                        ; implicit-def: $vgpr8_vgpr9
                                        ; implicit-def: $vgpr5
.LBB4_10201:                            ;   in Loop: Header=BB4_8239 Depth=3
	s_and_not1_saveexec_b32 s13, s73
	s_cbranch_execz .LBB4_10207
; %bb.10202:                            ;   in Loop: Header=BB4_8239 Depth=3
	s_mov_b32 s73, exec_lo
                                        ; implicit-def: $vgpr51
	v_cmpx_ne_u64_e32 0, v[8:9]
	s_xor_b32 s73, exec_lo, s73
; %bb.10203:                            ;   in Loop: Header=BB4_8239 Depth=3
	v_or_b32_e32 v51, 0x7f, v5
                                        ; implicit-def: $vgpr12
; %bb.10204:                            ;   in Loop: Header=BB4_8239 Depth=3
	s_and_not1_saveexec_b32 s73, s73
; %bb.10205:                            ;   in Loop: Header=BB4_8239 Depth=3
	v_cmp_lt_i32_e32 vcc_lo, -1, v12
	v_cndmask_b32_e32 v51, 0xfc, v49, vcc_lo
; %bb.10206:                            ;   in Loop: Header=BB4_8239 Depth=3
	s_or_b32 exec_lo, exec_lo, s73
.LBB4_10207:                            ;   in Loop: Header=BB4_8239 Depth=3
	s_delay_alu instid0(SALU_CYCLE_1) | instskip(SKIP_3) | instid1(VALU_DEP_2)
	s_or_b32 exec_lo, exec_lo, s13
	v_lshrrev_b16 v8, 8, v2
	v_dual_mov_b32 v5, 0 :: v_dual_mov_b32 v12, 0
	s_mov_b32 s73, exec_lo
	v_cmpx_ne_u16_e32 0, v8
	s_cbranch_execz .LBB4_10217
; %bb.10208:                            ;   in Loop: Header=BB4_8239 Depth=3
	v_bfrev_b32_e32 v12, 1
	s_mov_b32 s74, exec_lo
	v_cmpx_ne_u16_e32 0x80, v8
	s_cbranch_execz .LBB4_10216
; %bb.10209:                            ;   in Loop: Header=BB4_8239 Depth=3
	v_and_b32_e32 v13, 0xffff, v8
	s_delay_alu instid0(VALU_DEP_1) | instskip(SKIP_1) | instid1(VALU_DEP_2)
	v_and_b32_e32 v12, 0x7c, v13
	v_and_b32_e32 v9, 3, v13
	v_cmp_ne_u32_e32 vcc_lo, 0x7c, v12
                                        ; implicit-def: $vgpr12
	s_and_saveexec_b32 s13, vcc_lo
	s_delay_alu instid0(SALU_CYCLE_1)
	s_xor_b32 s13, exec_lo, s13
	s_cbranch_execz .LBB4_10213
; %bb.10210:                            ;   in Loop: Header=BB4_8239 Depth=3
	v_bfe_u32 v12, v13, 2, 5
	s_mov_b32 s75, exec_lo
	s_delay_alu instid0(VALU_DEP_1)
	v_cmpx_eq_u32_e32 0, v12
	s_cbranch_execz .LBB4_10212
; %bb.10211:                            ;   in Loop: Header=BB4_8239 Depth=3
	v_clz_i32_u32_e32 v9, v9
	s_delay_alu instid0(VALU_DEP_1) | instskip(SKIP_1) | instid1(VALU_DEP_2)
	v_min_u32_e32 v12, 32, v9
	v_mov_b32_e32 v9, v3
	v_subrev_nc_u32_e32 v13, 29, v12
	v_sub_nc_u32_e32 v12, 30, v12
	s_delay_alu instid0(VALU_DEP_2) | instskip(NEXT) | instid1(VALU_DEP_1)
	v_lshlrev_b64_e32 v[8:9], v13, v[8:9]
	v_and_b32_e32 v9, 3, v8
.LBB4_10212:                            ;   in Loop: Header=BB4_8239 Depth=3
	s_or_b32 exec_lo, exec_lo, s75
	v_lshlrev_b32_e32 v2, 16, v2
	s_delay_alu instid0(VALU_DEP_1) | instskip(NEXT) | instid1(VALU_DEP_1)
	v_and_b32_e32 v2, 0x80000000, v2
	v_lshl_add_u32 v2, v12, 23, v2
	s_delay_alu instid0(VALU_DEP_1) | instskip(NEXT) | instid1(VALU_DEP_1)
	v_lshl_or_b32 v2, v9, 21, v2
                                        ; implicit-def: $vgpr9
	v_add_nc_u32_e32 v12, 0x38000000, v2
                                        ; implicit-def: $vgpr2
.LBB4_10213:                            ;   in Loop: Header=BB4_8239 Depth=3
	s_and_not1_saveexec_b32 s75, s13
; %bb.10214:                            ;   in Loop: Header=BB4_8239 Depth=3
	v_cmp_lt_i16_e64 s13, -1, v2
	v_cmp_eq_u32_e32 vcc_lo, 0, v9
	s_delay_alu instid0(VALU_DEP_2) | instskip(NEXT) | instid1(VALU_DEP_1)
	v_cndmask_b32_e64 v2, 0xff800000, v48, s13
	v_cndmask_b32_e32 v12, 0x7f800001, v2, vcc_lo
; %bb.10215:                            ;   in Loop: Header=BB4_8239 Depth=3
	s_or_b32 exec_lo, exec_lo, s75
.LBB4_10216:                            ;   in Loop: Header=BB4_8239 Depth=3
	s_delay_alu instid0(SALU_CYCLE_1)
	s_or_b32 exec_lo, exec_lo, s74
.LBB4_10217:                            ;   in Loop: Header=BB4_8239 Depth=3
	s_delay_alu instid0(SALU_CYCLE_1) | instskip(SKIP_2) | instid1(VALU_DEP_1)
	s_or_b32 exec_lo, exec_lo, s73
	v_lshrrev_b16 v8, 8, v10
	s_mov_b32 s73, exec_lo
	v_cmpx_ne_u16_e32 0, v8
	s_cbranch_execz .LBB4_10227
; %bb.10218:                            ;   in Loop: Header=BB4_8239 Depth=3
	v_bfrev_b32_e32 v5, 1
	s_mov_b32 s74, exec_lo
	v_cmpx_ne_u16_e32 0x80, v8
	s_cbranch_execz .LBB4_10226
; %bb.10219:                            ;   in Loop: Header=BB4_8239 Depth=3
	v_and_b32_e32 v9, 0xffff, v8
	s_delay_alu instid0(VALU_DEP_1) | instskip(SKIP_1) | instid1(VALU_DEP_2)
	v_and_b32_e32 v5, 0x7c, v9
	v_and_b32_e32 v2, 3, v9
	v_cmp_ne_u32_e32 vcc_lo, 0x7c, v5
                                        ; implicit-def: $vgpr5
	s_and_saveexec_b32 s13, vcc_lo
	s_delay_alu instid0(SALU_CYCLE_1)
	s_xor_b32 s13, exec_lo, s13
	s_cbranch_execz .LBB4_10223
; %bb.10220:                            ;   in Loop: Header=BB4_8239 Depth=3
	v_bfe_u32 v5, v9, 2, 5
	s_mov_b32 s75, exec_lo
	s_delay_alu instid0(VALU_DEP_1)
	v_cmpx_eq_u32_e32 0, v5
; %bb.10221:                            ;   in Loop: Header=BB4_8239 Depth=3
	v_clz_i32_u32_e32 v2, v2
	s_delay_alu instid0(VALU_DEP_1) | instskip(SKIP_1) | instid1(VALU_DEP_2)
	v_min_u32_e32 v2, 32, v2
	v_mov_b32_e32 v9, v3
	v_subrev_nc_u32_e32 v5, 29, v2
	s_delay_alu instid0(VALU_DEP_1) | instskip(NEXT) | instid1(VALU_DEP_1)
	v_lshlrev_b64_e32 v[8:9], v5, v[8:9]
	v_dual_sub_nc_u32 v5, 30, v2 :: v_dual_bitop2_b32 v2, 3, v8 bitop3:0x40
; %bb.10222:                            ;   in Loop: Header=BB4_8239 Depth=3
	s_or_b32 exec_lo, exec_lo, s75
	v_lshlrev_b32_e32 v8, 16, v10
	s_delay_alu instid0(VALU_DEP_1) | instskip(NEXT) | instid1(VALU_DEP_1)
	v_and_b32_e32 v8, 0x80000000, v8
	v_lshl_add_u32 v5, v5, 23, v8
	s_delay_alu instid0(VALU_DEP_1) | instskip(NEXT) | instid1(VALU_DEP_1)
	v_lshl_or_b32 v2, v2, 21, v5
	v_add_nc_u32_e32 v5, 0x38000000, v2
                                        ; implicit-def: $vgpr2
.LBB4_10223:                            ;   in Loop: Header=BB4_8239 Depth=3
	s_and_not1_saveexec_b32 s75, s13
; %bb.10224:                            ;   in Loop: Header=BB4_8239 Depth=3
	v_cmp_lt_i16_e64 s13, -1, v10
	v_cmp_eq_u32_e32 vcc_lo, 0, v2
	s_delay_alu instid0(VALU_DEP_2) | instskip(NEXT) | instid1(VALU_DEP_1)
	v_cndmask_b32_e64 v2, 0xff800000, v48, s13
	v_cndmask_b32_e32 v5, 0x7f800001, v2, vcc_lo
; %bb.10225:                            ;   in Loop: Header=BB4_8239 Depth=3
	s_or_b32 exec_lo, exec_lo, s75
.LBB4_10226:                            ;   in Loop: Header=BB4_8239 Depth=3
	s_delay_alu instid0(SALU_CYCLE_1)
	s_or_b32 exec_lo, exec_lo, s74
.LBB4_10227:                            ;   in Loop: Header=BB4_8239 Depth=3
	s_delay_alu instid0(SALU_CYCLE_1) | instskip(NEXT) | instid1(VALU_DEP_1)
	s_or_b32 exec_lo, exec_lo, s73
	v_dual_add_f32 v5, v12, v5 :: v_dual_mov_b32 v13, v3
	v_mov_b32_e32 v9, v3
                                        ; implicit-def: $vgpr66
	s_mov_b32 s13, exec_lo
	s_delay_alu instid0(VALU_DEP_2) | instskip(SKIP_2) | instid1(VALU_DEP_3)
	v_and_b32_e32 v12, 0x7f800000, v5
	v_and_b32_e32 v8, 0x7fffff, v5
	v_lshrrev_b32_e32 v2, 24, v5
	v_cmpx_ne_u64_e32 0x7f800000, v[12:13]
	s_xor_b32 s73, exec_lo, s13
	s_cbranch_execz .LBB4_10241
; %bb.10228:                            ;   in Loop: Header=BB4_8239 Depth=3
	v_and_b32_e32 v12, 0x7fffffff, v5
	v_mov_b32_e32 v13, v3
	v_and_b32_e32 v2, 0x80, v2
                                        ; implicit-def: $vgpr66
	s_mov_b32 s13, exec_lo
	s_delay_alu instid0(VALU_DEP_2)
	v_cmpx_gt_u64_e32 0x47600001, v[12:13]
	s_xor_b32 s74, exec_lo, s13
	s_cbranch_execz .LBB4_10238
; %bb.10229:                            ;   in Loop: Header=BB4_8239 Depth=3
	v_mov_b32_e32 v66, 0
	s_mov_b32 s75, exec_lo
	v_cmpx_ne_u32_e32 0, v5
	s_cbranch_execz .LBB4_10237
; %bb.10230:                            ;   in Loop: Header=BB4_8239 Depth=3
	v_bfe_u32 v5, v5, 23, 8
	v_or_b32_e32 v13, 0x800000, v8
	s_delay_alu instid0(VALU_DEP_2) | instskip(SKIP_2) | instid1(VALU_DEP_2)
	v_cmp_gt_u32_e64 s13, 0x72, v5
	v_sub_nc_u32_e32 v12, 0x71, v5
	v_cmp_eq_u32_e32 vcc_lo, 0, v5
	v_cndmask_b32_e64 v12, 0, v12, s13
	s_delay_alu instid0(VALU_DEP_1) | instskip(NEXT) | instid1(VALU_DEP_1)
	v_cndmask_b32_e64 v66, v12, 0x70, vcc_lo
	v_dual_cndmask_b32 v8, v13, v8, vcc_lo :: v_dual_add_nc_u32 v12, 21, v66
	v_add_nc_u32_e32 v86, 20, v66
	s_delay_alu instid0(VALU_DEP_2) | instskip(NEXT) | instid1(VALU_DEP_2)
	v_lshlrev_b64_e64 v[12:13], v12, -1
	v_lshlrev_b64_e64 v[86:87], v86, 1
	s_delay_alu instid0(VALU_DEP_2) | instskip(SKIP_1) | instid1(VALU_DEP_4)
	v_bfi_b32 v12, v12, 0, v8
	v_lshrrev_b64 v[8:9], v66, v[8:9]
	v_bfi_b32 v13, v13, 0, 0
	s_delay_alu instid0(VALU_DEP_1) | instskip(NEXT) | instid1(VALU_DEP_3)
	v_cmp_eq_u64_e64 s13, v[12:13], v[86:87]
	v_mov_b64_e32 v[12:13], v[8:9]
	s_and_saveexec_b32 s76, s13
; %bb.10231:                            ;   in Loop: Header=BB4_8239 Depth=3
	v_bfe_u32 v12, v8, 21, 1
	v_mov_b32_e32 v13, v3
	s_delay_alu instid0(VALU_DEP_1) | instskip(NEXT) | instid1(VALU_DEP_1)
	v_add_nc_u64_e32 v[12:13], v[8:9], v[12:13]
	v_add_nc_u64_e32 v[12:13], -1, v[12:13]
; %bb.10232:                            ;   in Loop: Header=BB4_8239 Depth=3
	s_or_b32 exec_lo, exec_lo, s76
	v_add_nc_u32_e32 v5, 0xffffff81, v5
	v_lshrrev_b32_e32 v9, 23, v8
	s_mov_b32 s13, exec_lo
	s_delay_alu instid0(VALU_DEP_2) | instskip(NEXT) | instid1(VALU_DEP_1)
	v_cndmask_b32_e64 v5, v5, 0xffffff82, vcc_lo
	v_add3_u32 v13, v66, v5, v9
	v_and_b32_e32 v5, 0x1fffff, v12
	s_delay_alu instid0(VALU_DEP_2) | instskip(NEXT) | instid1(VALU_DEP_2)
	v_dual_mov_b32 v9, v3 :: v_dual_add_nc_u32 v12, 14, v13
	v_add_nc_u32_e32 v8, v5, v8
                                        ; implicit-def: $vgpr5
	s_delay_alu instid0(VALU_DEP_2)
	v_cmpx_ne_u32_e32 0, v12
	s_xor_b32 s13, exec_lo, s13
; %bb.10233:                            ;   in Loop: Header=BB4_8239 Depth=3
	s_delay_alu instid0(VALU_DEP_2) | instskip(SKIP_1) | instid1(VALU_DEP_1)
	v_cmp_lt_u64_e32 vcc_lo, 0xffffff, v[8:9]
	v_add_nc_u32_e32 v5, 15, v13
	v_cndmask_b32_e32 v5, v12, v5, vcc_lo
	v_cndmask_b32_e64 v12, 0, 1, vcc_lo
	s_delay_alu instid0(VALU_DEP_1)
	v_lshrrev_b64 v[8:9], v12, v[8:9]
; %bb.10234:                            ;   in Loop: Header=BB4_8239 Depth=3
	s_and_not1_saveexec_b32 s13, s13
; %bb.10235:                            ;   in Loop: Header=BB4_8239 Depth=3
	s_delay_alu instid0(VALU_DEP_1)
	v_bfe_u32 v5, v8, 23, 1
; %bb.10236:                            ;   in Loop: Header=BB4_8239 Depth=3
	s_or_b32 exec_lo, exec_lo, s13
	s_delay_alu instid0(VALU_DEP_2) | instskip(NEXT) | instid1(VALU_DEP_2)
	v_lshrrev_b64 v[8:9], 21, v[8:9]
	v_cmp_gt_i32_e32 vcc_lo, 32, v5
	v_min_i32_e32 v12, 31, v5
	v_cmp_eq_u32_e64 s13, 0, v5
	s_delay_alu instid0(VALU_DEP_4) | instskip(NEXT) | instid1(VALU_DEP_3)
	v_cndmask_b32_e32 v8, 3, v8, vcc_lo
	v_dual_cndmask_b32 v9, 0, v9 :: v_dual_lshlrev_b32 v12, 2, v12
	s_delay_alu instid0(VALU_DEP_1) | instskip(NEXT) | instid1(VALU_DEP_2)
	v_and_b32_e32 v12, 0xfc, v12
	v_cmp_eq_u64_e32 vcc_lo, 0, v[8:9]
	s_delay_alu instid0(VALU_DEP_2)
	v_and_or_b32 v5, v8, 3, v12
	s_and_b32 s13, s13, vcc_lo
	s_delay_alu instid0(VALU_DEP_1) | instid1(SALU_CYCLE_1)
	v_cndmask_b32_e64 v5, v5, 0, s13
	s_delay_alu instid0(VALU_DEP_1)
	v_or_b32_e32 v66, v5, v2
.LBB4_10237:                            ;   in Loop: Header=BB4_8239 Depth=3
	s_or_b32 exec_lo, exec_lo, s75
                                        ; implicit-def: $vgpr2
.LBB4_10238:                            ;   in Loop: Header=BB4_8239 Depth=3
	s_and_not1_saveexec_b32 s13, s74
; %bb.10239:                            ;   in Loop: Header=BB4_8239 Depth=3
	v_or_b32_e32 v66, 0x7b, v2
; %bb.10240:                            ;   in Loop: Header=BB4_8239 Depth=3
	s_or_b32 exec_lo, exec_lo, s13
                                        ; implicit-def: $vgpr5
                                        ; implicit-def: $vgpr8_vgpr9
                                        ; implicit-def: $vgpr2
.LBB4_10241:                            ;   in Loop: Header=BB4_8239 Depth=3
	s_and_not1_saveexec_b32 s13, s73
	s_cbranch_execz .LBB4_10247
; %bb.10242:                            ;   in Loop: Header=BB4_8239 Depth=3
	s_mov_b32 s73, exec_lo
                                        ; implicit-def: $vgpr66
	v_cmpx_ne_u64_e32 0, v[8:9]
	s_xor_b32 s73, exec_lo, s73
; %bb.10243:                            ;   in Loop: Header=BB4_8239 Depth=3
	v_or_b32_e32 v66, 0x7f, v2
                                        ; implicit-def: $vgpr5
; %bb.10244:                            ;   in Loop: Header=BB4_8239 Depth=3
	s_and_not1_saveexec_b32 s73, s73
; %bb.10245:                            ;   in Loop: Header=BB4_8239 Depth=3
	v_cmp_lt_i32_e32 vcc_lo, -1, v5
	v_cndmask_b32_e32 v66, 0xfc, v49, vcc_lo
; %bb.10246:                            ;   in Loop: Header=BB4_8239 Depth=3
	s_or_b32 exec_lo, exec_lo, s73
.LBB4_10247:                            ;   in Loop: Header=BB4_8239 Depth=3
	s_delay_alu instid0(SALU_CYCLE_1) | instskip(SKIP_3) | instid1(VALU_DEP_2)
	s_or_b32 exec_lo, exec_lo, s13
	v_dual_mov_b32 v5, 0 :: v_dual_lshrrev_b32 v2, 16, v4
	v_mov_b32_e32 v8, 0
	s_mov_b32 s73, exec_lo
	v_and_b32_e32 v9, 0xff, v2
	s_delay_alu instid0(VALU_DEP_1)
	v_cmpx_ne_u16_e32 0, v9
	s_cbranch_execz .LBB4_10257
; %bb.10248:                            ;   in Loop: Header=BB4_8239 Depth=3
	v_bfrev_b32_e32 v8, 1
	s_mov_b32 s74, exec_lo
	v_cmpx_ne_u16_e32 0x80, v9
	s_cbranch_execz .LBB4_10256
; %bb.10249:                            ;   in Loop: Header=BB4_8239 Depth=3
	v_and_b32_e32 v8, 0x7c0000, v4
	v_bfe_u32 v9, v4, 16, 2
	s_delay_alu instid0(VALU_DEP_2) | instskip(SKIP_1) | instid1(SALU_CYCLE_1)
	v_cmp_ne_u32_e32 vcc_lo, 0x7c0000, v8
                                        ; implicit-def: $vgpr8
	s_and_saveexec_b32 s13, vcc_lo
	s_xor_b32 s13, exec_lo, s13
	s_cbranch_execz .LBB4_10253
; %bb.10250:                            ;   in Loop: Header=BB4_8239 Depth=3
	v_bfe_u32 v8, v4, 18, 5
	s_mov_b32 s75, exec_lo
	s_delay_alu instid0(VALU_DEP_1)
	v_cmpx_eq_u32_e32 0, v8
; %bb.10251:                            ;   in Loop: Header=BB4_8239 Depth=3
	v_clz_i32_u32_e32 v8, v9
	s_delay_alu instid0(VALU_DEP_1) | instskip(NEXT) | instid1(VALU_DEP_1)
	v_min_u32_e32 v8, 32, v8
	v_subrev_nc_u32_e32 v9, 29, v8
	v_sub_nc_u32_e32 v8, 30, v8
	s_delay_alu instid0(VALU_DEP_2) | instskip(NEXT) | instid1(VALU_DEP_1)
	v_lshlrev_b64_e32 v[12:13], v9, v[2:3]
	v_and_b32_e32 v9, 3, v12
; %bb.10252:                            ;   in Loop: Header=BB4_8239 Depth=3
	s_or_b32 exec_lo, exec_lo, s75
	v_lshlrev_b32_e32 v2, 24, v2
	s_delay_alu instid0(VALU_DEP_1) | instskip(NEXT) | instid1(VALU_DEP_1)
	v_and_b32_e32 v2, 0x80000000, v2
	v_lshl_add_u32 v2, v8, 23, v2
	s_delay_alu instid0(VALU_DEP_1) | instskip(NEXT) | instid1(VALU_DEP_1)
	v_lshl_or_b32 v2, v9, 21, v2
                                        ; implicit-def: $vgpr9
	v_add_nc_u32_e32 v8, 0x38000000, v2
                                        ; implicit-def: $vgpr2
.LBB4_10253:                            ;   in Loop: Header=BB4_8239 Depth=3
	s_and_not1_saveexec_b32 s75, s13
; %bb.10254:                            ;   in Loop: Header=BB4_8239 Depth=3
	v_bfe_i32 v2, v2, 0, 8
	v_cmp_eq_u32_e32 vcc_lo, 0, v9
	s_delay_alu instid0(VALU_DEP_2) | instskip(NEXT) | instid1(VALU_DEP_1)
	v_cmp_lt_i16_e64 s13, -1, v2
	v_cndmask_b32_e64 v2, 0xff800000, v48, s13
	s_delay_alu instid0(VALU_DEP_1)
	v_cndmask_b32_e32 v8, 0x7f800001, v2, vcc_lo
; %bb.10255:                            ;   in Loop: Header=BB4_8239 Depth=3
	s_or_b32 exec_lo, exec_lo, s75
.LBB4_10256:                            ;   in Loop: Header=BB4_8239 Depth=3
	s_delay_alu instid0(SALU_CYCLE_1)
	s_or_b32 exec_lo, exec_lo, s74
.LBB4_10257:                            ;   in Loop: Header=BB4_8239 Depth=3
	s_delay_alu instid0(SALU_CYCLE_1) | instskip(SKIP_2) | instid1(VALU_DEP_1)
	s_or_b32 exec_lo, exec_lo, s73
	v_lshrrev_b32_e32 v2, 16, v10
	s_mov_b32 s73, exec_lo
	v_and_b32_e32 v9, 0xff, v2
	s_delay_alu instid0(VALU_DEP_1)
	v_cmpx_ne_u16_e32 0, v9
	s_cbranch_execz .LBB4_10267
; %bb.10258:                            ;   in Loop: Header=BB4_8239 Depth=3
	v_bfrev_b32_e32 v5, 1
	s_mov_b32 s74, exec_lo
	v_cmpx_ne_u16_e32 0x80, v9
	s_cbranch_execz .LBB4_10266
; %bb.10259:                            ;   in Loop: Header=BB4_8239 Depth=3
	v_and_b32_e32 v5, 0x7c0000, v10
	v_bfe_u32 v9, v10, 16, 2
	s_delay_alu instid0(VALU_DEP_2) | instskip(SKIP_1) | instid1(SALU_CYCLE_1)
	v_cmp_ne_u32_e32 vcc_lo, 0x7c0000, v5
                                        ; implicit-def: $vgpr5
	s_and_saveexec_b32 s13, vcc_lo
	s_xor_b32 s13, exec_lo, s13
	s_cbranch_execz .LBB4_10263
; %bb.10260:                            ;   in Loop: Header=BB4_8239 Depth=3
	v_bfe_u32 v5, v10, 18, 5
	s_mov_b32 s75, exec_lo
	s_delay_alu instid0(VALU_DEP_1)
	v_cmpx_eq_u32_e32 0, v5
; %bb.10261:                            ;   in Loop: Header=BB4_8239 Depth=3
	v_clz_i32_u32_e32 v5, v9
	s_delay_alu instid0(VALU_DEP_1) | instskip(NEXT) | instid1(VALU_DEP_1)
	v_min_u32_e32 v5, 32, v5
	v_subrev_nc_u32_e32 v9, 29, v5
	s_delay_alu instid0(VALU_DEP_1) | instskip(NEXT) | instid1(VALU_DEP_1)
	v_lshlrev_b64_e32 v[12:13], v9, v[2:3]
	v_dual_sub_nc_u32 v5, 30, v5 :: v_dual_bitop2_b32 v9, 3, v12 bitop3:0x40
; %bb.10262:                            ;   in Loop: Header=BB4_8239 Depth=3
	s_or_b32 exec_lo, exec_lo, s75
	v_lshlrev_b32_e32 v2, 24, v2
	s_delay_alu instid0(VALU_DEP_1) | instskip(NEXT) | instid1(VALU_DEP_1)
	v_and_b32_e32 v2, 0x80000000, v2
	v_lshl_add_u32 v2, v5, 23, v2
	s_delay_alu instid0(VALU_DEP_1) | instskip(NEXT) | instid1(VALU_DEP_1)
	v_lshl_or_b32 v2, v9, 21, v2
                                        ; implicit-def: $vgpr9
	v_add_nc_u32_e32 v5, 0x38000000, v2
                                        ; implicit-def: $vgpr2
.LBB4_10263:                            ;   in Loop: Header=BB4_8239 Depth=3
	s_and_not1_saveexec_b32 s75, s13
; %bb.10264:                            ;   in Loop: Header=BB4_8239 Depth=3
	v_bfe_i32 v2, v2, 0, 8
	v_cmp_eq_u32_e32 vcc_lo, 0, v9
	s_delay_alu instid0(VALU_DEP_2) | instskip(NEXT) | instid1(VALU_DEP_1)
	v_cmp_lt_i16_e64 s13, -1, v2
	v_cndmask_b32_e64 v2, 0xff800000, v48, s13
	s_delay_alu instid0(VALU_DEP_1)
	v_cndmask_b32_e32 v5, 0x7f800001, v2, vcc_lo
; %bb.10265:                            ;   in Loop: Header=BB4_8239 Depth=3
	s_or_b32 exec_lo, exec_lo, s75
.LBB4_10266:                            ;   in Loop: Header=BB4_8239 Depth=3
	s_delay_alu instid0(SALU_CYCLE_1)
	s_or_b32 exec_lo, exec_lo, s74
.LBB4_10267:                            ;   in Loop: Header=BB4_8239 Depth=3
	s_delay_alu instid0(SALU_CYCLE_1) | instskip(NEXT) | instid1(VALU_DEP_1)
	s_or_b32 exec_lo, exec_lo, s73
	v_dual_add_f32 v5, v8, v5 :: v_dual_mov_b32 v13, v3
	v_mov_b32_e32 v9, v3
                                        ; implicit-def: $vgpr103
	s_mov_b32 s13, exec_lo
	s_delay_alu instid0(VALU_DEP_2) | instskip(SKIP_2) | instid1(VALU_DEP_3)
	v_and_b32_e32 v12, 0x7f800000, v5
	v_and_b32_e32 v8, 0x7fffff, v5
	v_lshrrev_b32_e32 v2, 24, v5
	v_cmpx_ne_u64_e32 0x7f800000, v[12:13]
	s_xor_b32 s73, exec_lo, s13
	s_cbranch_execz .LBB4_10281
; %bb.10268:                            ;   in Loop: Header=BB4_8239 Depth=3
	v_and_b32_e32 v12, 0x7fffffff, v5
	v_mov_b32_e32 v13, v3
	v_and_b32_e32 v2, 0x80, v2
                                        ; implicit-def: $vgpr103
	s_mov_b32 s13, exec_lo
	s_delay_alu instid0(VALU_DEP_2)
	v_cmpx_gt_u64_e32 0x47600001, v[12:13]
	s_xor_b32 s74, exec_lo, s13
	s_cbranch_execz .LBB4_10278
; %bb.10269:                            ;   in Loop: Header=BB4_8239 Depth=3
	v_mov_b32_e32 v103, 0
	s_mov_b32 s75, exec_lo
	v_cmpx_ne_u32_e32 0, v5
	s_cbranch_execz .LBB4_10277
; %bb.10270:                            ;   in Loop: Header=BB4_8239 Depth=3
	v_bfe_u32 v5, v5, 23, 8
	v_or_b32_e32 v13, 0x800000, v8
	s_delay_alu instid0(VALU_DEP_2) | instskip(SKIP_2) | instid1(VALU_DEP_2)
	v_cmp_gt_u32_e64 s13, 0x72, v5
	v_sub_nc_u32_e32 v12, 0x71, v5
	v_cmp_eq_u32_e32 vcc_lo, 0, v5
	v_cndmask_b32_e64 v12, 0, v12, s13
	s_delay_alu instid0(VALU_DEP_1) | instskip(NEXT) | instid1(VALU_DEP_1)
	v_cndmask_b32_e64 v86, v12, 0x70, vcc_lo
	v_dual_cndmask_b32 v8, v13, v8, vcc_lo :: v_dual_add_nc_u32 v12, 21, v86
	v_add_nc_u32_e32 v87, 20, v86
	s_delay_alu instid0(VALU_DEP_2) | instskip(NEXT) | instid1(VALU_DEP_2)
	v_lshlrev_b64_e64 v[12:13], v12, -1
	v_lshlrev_b64_e64 v[96:97], v87, 1
	s_delay_alu instid0(VALU_DEP_2) | instskip(SKIP_1) | instid1(VALU_DEP_4)
	v_bfi_b32 v12, v12, 0, v8
	v_lshrrev_b64 v[8:9], v86, v[8:9]
	v_bfi_b32 v13, v13, 0, 0
	s_delay_alu instid0(VALU_DEP_1) | instskip(NEXT) | instid1(VALU_DEP_3)
	v_cmp_eq_u64_e64 s13, v[12:13], v[96:97]
	v_mov_b64_e32 v[12:13], v[8:9]
	s_and_saveexec_b32 s76, s13
; %bb.10271:                            ;   in Loop: Header=BB4_8239 Depth=3
	v_bfe_u32 v12, v8, 21, 1
	v_mov_b32_e32 v13, v3
	s_delay_alu instid0(VALU_DEP_1) | instskip(NEXT) | instid1(VALU_DEP_1)
	v_add_nc_u64_e32 v[12:13], v[8:9], v[12:13]
	v_add_nc_u64_e32 v[12:13], -1, v[12:13]
; %bb.10272:                            ;   in Loop: Header=BB4_8239 Depth=3
	s_or_b32 exec_lo, exec_lo, s76
	v_add_nc_u32_e32 v5, 0xffffff81, v5
	v_lshrrev_b32_e32 v9, 23, v8
	s_mov_b32 s13, exec_lo
	s_delay_alu instid0(VALU_DEP_2) | instskip(NEXT) | instid1(VALU_DEP_1)
	v_cndmask_b32_e64 v5, v5, 0xffffff82, vcc_lo
	v_add3_u32 v13, v86, v5, v9
	v_and_b32_e32 v5, 0x1fffff, v12
	s_delay_alu instid0(VALU_DEP_2) | instskip(NEXT) | instid1(VALU_DEP_2)
	v_dual_mov_b32 v9, v3 :: v_dual_add_nc_u32 v12, 14, v13
	v_add_nc_u32_e32 v8, v5, v8
                                        ; implicit-def: $vgpr5
	s_delay_alu instid0(VALU_DEP_2)
	v_cmpx_ne_u32_e32 0, v12
	s_xor_b32 s13, exec_lo, s13
; %bb.10273:                            ;   in Loop: Header=BB4_8239 Depth=3
	s_delay_alu instid0(VALU_DEP_2) | instskip(SKIP_1) | instid1(VALU_DEP_1)
	v_cmp_lt_u64_e32 vcc_lo, 0xffffff, v[8:9]
	v_add_nc_u32_e32 v5, 15, v13
	v_cndmask_b32_e32 v5, v12, v5, vcc_lo
	v_cndmask_b32_e64 v12, 0, 1, vcc_lo
	s_delay_alu instid0(VALU_DEP_1)
	v_lshrrev_b64 v[8:9], v12, v[8:9]
; %bb.10274:                            ;   in Loop: Header=BB4_8239 Depth=3
	s_and_not1_saveexec_b32 s13, s13
; %bb.10275:                            ;   in Loop: Header=BB4_8239 Depth=3
	s_delay_alu instid0(VALU_DEP_1)
	v_bfe_u32 v5, v8, 23, 1
; %bb.10276:                            ;   in Loop: Header=BB4_8239 Depth=3
	s_or_b32 exec_lo, exec_lo, s13
	s_delay_alu instid0(VALU_DEP_2) | instskip(NEXT) | instid1(VALU_DEP_2)
	v_lshrrev_b64 v[8:9], 21, v[8:9]
	v_cmp_gt_i32_e32 vcc_lo, 32, v5
	v_min_i32_e32 v12, 31, v5
	v_cmp_eq_u32_e64 s13, 0, v5
	s_delay_alu instid0(VALU_DEP_4) | instskip(NEXT) | instid1(VALU_DEP_3)
	v_cndmask_b32_e32 v8, 3, v8, vcc_lo
	v_dual_cndmask_b32 v9, 0, v9 :: v_dual_lshlrev_b32 v12, 2, v12
	s_delay_alu instid0(VALU_DEP_1) | instskip(NEXT) | instid1(VALU_DEP_2)
	v_and_b32_e32 v12, 0xfc, v12
	v_cmp_eq_u64_e32 vcc_lo, 0, v[8:9]
	s_delay_alu instid0(VALU_DEP_2)
	v_and_or_b32 v5, v8, 3, v12
	s_and_b32 s13, s13, vcc_lo
	s_delay_alu instid0(VALU_DEP_1) | instid1(SALU_CYCLE_1)
	v_cndmask_b32_e64 v5, v5, 0, s13
	s_delay_alu instid0(VALU_DEP_1)
	v_or_b32_e32 v103, v5, v2
.LBB4_10277:                            ;   in Loop: Header=BB4_8239 Depth=3
	s_or_b32 exec_lo, exec_lo, s75
                                        ; implicit-def: $vgpr2
.LBB4_10278:                            ;   in Loop: Header=BB4_8239 Depth=3
	s_and_not1_saveexec_b32 s13, s74
; %bb.10279:                            ;   in Loop: Header=BB4_8239 Depth=3
	v_or_b32_e32 v103, 0x7b, v2
; %bb.10280:                            ;   in Loop: Header=BB4_8239 Depth=3
	s_or_b32 exec_lo, exec_lo, s13
                                        ; implicit-def: $vgpr5
                                        ; implicit-def: $vgpr8_vgpr9
                                        ; implicit-def: $vgpr2
.LBB4_10281:                            ;   in Loop: Header=BB4_8239 Depth=3
	s_and_not1_saveexec_b32 s13, s73
	s_cbranch_execz .LBB4_10287
; %bb.10282:                            ;   in Loop: Header=BB4_8239 Depth=3
	s_mov_b32 s73, exec_lo
                                        ; implicit-def: $vgpr103
	v_cmpx_ne_u64_e32 0, v[8:9]
	s_xor_b32 s73, exec_lo, s73
; %bb.10283:                            ;   in Loop: Header=BB4_8239 Depth=3
	v_or_b32_e32 v103, 0x7f, v2
                                        ; implicit-def: $vgpr5
; %bb.10284:                            ;   in Loop: Header=BB4_8239 Depth=3
	s_and_not1_saveexec_b32 s73, s73
; %bb.10285:                            ;   in Loop: Header=BB4_8239 Depth=3
	v_cmp_lt_i32_e32 vcc_lo, -1, v5
	v_cndmask_b32_e32 v103, 0xfc, v49, vcc_lo
; %bb.10286:                            ;   in Loop: Header=BB4_8239 Depth=3
	s_or_b32 exec_lo, exec_lo, s73
.LBB4_10287:                            ;   in Loop: Header=BB4_8239 Depth=3
	s_delay_alu instid0(SALU_CYCLE_1)
	s_or_b32 exec_lo, exec_lo, s13
	v_dual_mov_b32 v8, 0 :: v_dual_mov_b32 v9, 0
	s_mov_b32 s73, exec_lo
	v_cmpx_lt_u32_e32 0xffffff, v4
	s_cbranch_execz .LBB4_10297
; %bb.10288:                            ;   in Loop: Header=BB4_8239 Depth=3
	v_lshrrev_b32_e32 v2, 24, v4
	v_bfrev_b32_e32 v9, 1
	s_mov_b32 s74, exec_lo
	s_delay_alu instid0(VALU_DEP_2)
	v_cmpx_ne_u32_e32 0x80, v2
	s_cbranch_execz .LBB4_10296
; %bb.10289:                            ;   in Loop: Header=BB4_8239 Depth=3
	v_and_b32_e32 v5, 0x7c000000, v4
	v_bfe_u32 v12, v4, 24, 2
	s_mov_b32 s13, exec_lo
                                        ; implicit-def: $vgpr9
	s_delay_alu instid0(VALU_DEP_2)
	v_cmpx_ne_u32_e32 0x7c000000, v5
	s_xor_b32 s13, exec_lo, s13
	s_cbranch_execz .LBB4_10293
; %bb.10290:                            ;   in Loop: Header=BB4_8239 Depth=3
	v_bfe_u32 v5, v4, 26, 5
	s_mov_b32 s75, exec_lo
	s_delay_alu instid0(VALU_DEP_1)
	v_cmpx_eq_u32_e32 0, v5
; %bb.10291:                            ;   in Loop: Header=BB4_8239 Depth=3
	v_clz_i32_u32_e32 v5, v12
	s_delay_alu instid0(VALU_DEP_1) | instskip(NEXT) | instid1(VALU_DEP_1)
	v_min_u32_e32 v5, 32, v5
	v_subrev_nc_u32_e32 v9, 29, v5
	s_delay_alu instid0(VALU_DEP_1) | instskip(NEXT) | instid1(VALU_DEP_1)
	v_lshlrev_b64_e32 v[12:13], v9, v[2:3]
	v_dual_sub_nc_u32 v5, 30, v5 :: v_dual_bitop2_b32 v12, 3, v12 bitop3:0x40
; %bb.10292:                            ;   in Loop: Header=BB4_8239 Depth=3
	s_or_b32 exec_lo, exec_lo, s75
	v_and_b32_e32 v2, 0x80000000, v4
	s_delay_alu instid0(VALU_DEP_1) | instskip(NEXT) | instid1(VALU_DEP_1)
	v_lshl_add_u32 v2, v5, 23, v2
                                        ; implicit-def: $vgpr4_vgpr5
	v_lshl_or_b32 v2, v12, 21, v2
                                        ; implicit-def: $vgpr12
	s_delay_alu instid0(VALU_DEP_1)
	v_add_nc_u32_e32 v9, 0x38000000, v2
.LBB4_10293:                            ;   in Loop: Header=BB4_8239 Depth=3
	s_and_not1_saveexec_b32 s75, s13
; %bb.10294:                            ;   in Loop: Header=BB4_8239 Depth=3
	v_cmp_lt_i32_e64 s13, -1, v4
	v_cmp_eq_u32_e32 vcc_lo, 0, v12
	s_delay_alu instid0(VALU_DEP_2) | instskip(NEXT) | instid1(VALU_DEP_1)
	v_cndmask_b32_e64 v2, 0xff800000, v48, s13
	v_cndmask_b32_e32 v9, 0x7f800001, v2, vcc_lo
; %bb.10295:                            ;   in Loop: Header=BB4_8239 Depth=3
	s_or_b32 exec_lo, exec_lo, s75
.LBB4_10296:                            ;   in Loop: Header=BB4_8239 Depth=3
	s_delay_alu instid0(SALU_CYCLE_1)
	s_or_b32 exec_lo, exec_lo, s74
.LBB4_10297:                            ;   in Loop: Header=BB4_8239 Depth=3
	s_delay_alu instid0(SALU_CYCLE_1) | instskip(NEXT) | instid1(SALU_CYCLE_1)
	s_or_b32 exec_lo, exec_lo, s73
	s_mov_b32 s73, exec_lo
	v_cmpx_lt_u32_e32 0xffffff, v10
	s_cbranch_execz .LBB4_10307
; %bb.10298:                            ;   in Loop: Header=BB4_8239 Depth=3
	v_lshrrev_b32_e32 v2, 24, v10
	v_bfrev_b32_e32 v8, 1
	s_mov_b32 s74, exec_lo
	s_delay_alu instid0(VALU_DEP_2)
	v_cmpx_ne_u32_e32 0x80, v2
	s_cbranch_execz .LBB4_10306
; %bb.10299:                            ;   in Loop: Header=BB4_8239 Depth=3
	v_and_b32_e32 v5, 0x7c000000, v10
	v_bfe_u32 v4, v10, 24, 2
	s_mov_b32 s13, exec_lo
                                        ; implicit-def: $vgpr8
	s_delay_alu instid0(VALU_DEP_2)
	v_cmpx_ne_u32_e32 0x7c000000, v5
	s_xor_b32 s13, exec_lo, s13
	s_cbranch_execz .LBB4_10303
; %bb.10300:                            ;   in Loop: Header=BB4_8239 Depth=3
	v_bfe_u32 v5, v10, 26, 5
	s_mov_b32 s75, exec_lo
	s_delay_alu instid0(VALU_DEP_1)
	v_cmpx_eq_u32_e32 0, v5
; %bb.10301:                            ;   in Loop: Header=BB4_8239 Depth=3
	v_clz_i32_u32_e32 v4, v4
	s_delay_alu instid0(VALU_DEP_1) | instskip(NEXT) | instid1(VALU_DEP_1)
	v_min_u32_e32 v8, 32, v4
	v_subrev_nc_u32_e32 v4, 29, v8
	s_delay_alu instid0(VALU_DEP_1) | instskip(SKIP_1) | instid1(VALU_DEP_2)
	v_lshlrev_b64_e32 v[4:5], v4, v[2:3]
	v_sub_nc_u32_e32 v5, 30, v8
	v_and_b32_e32 v4, 3, v4
; %bb.10302:                            ;   in Loop: Header=BB4_8239 Depth=3
	s_or_b32 exec_lo, exec_lo, s75
	v_and_b32_e32 v2, 0x80000000, v10
	s_delay_alu instid0(VALU_DEP_1) | instskip(NEXT) | instid1(VALU_DEP_1)
	v_lshl_add_u32 v2, v5, 23, v2
	v_lshl_or_b32 v2, v4, 21, v2
                                        ; implicit-def: $vgpr4
	s_delay_alu instid0(VALU_DEP_1)
	v_add_nc_u32_e32 v8, 0x38000000, v2
.LBB4_10303:                            ;   in Loop: Header=BB4_8239 Depth=3
	s_and_not1_saveexec_b32 s75, s13
; %bb.10304:                            ;   in Loop: Header=BB4_8239 Depth=3
	v_cmp_lt_i32_e64 s13, -1, v10
	v_cmp_eq_u32_e32 vcc_lo, 0, v4
	s_delay_alu instid0(VALU_DEP_2) | instskip(NEXT) | instid1(VALU_DEP_1)
	v_cndmask_b32_e64 v2, 0xff800000, v48, s13
	v_cndmask_b32_e32 v8, 0x7f800001, v2, vcc_lo
; %bb.10305:                            ;   in Loop: Header=BB4_8239 Depth=3
	s_or_b32 exec_lo, exec_lo, s75
.LBB4_10306:                            ;   in Loop: Header=BB4_8239 Depth=3
	s_delay_alu instid0(SALU_CYCLE_1)
	s_or_b32 exec_lo, exec_lo, s74
.LBB4_10307:                            ;   in Loop: Header=BB4_8239 Depth=3
	s_delay_alu instid0(SALU_CYCLE_1) | instskip(NEXT) | instid1(VALU_DEP_1)
	s_or_b32 exec_lo, exec_lo, s73
	v_dual_add_f32 v8, v9, v8 :: v_dual_mov_b32 v13, v3
	v_mov_b32_e32 v5, v3
                                        ; implicit-def: $vgpr113
	s_mov_b32 s13, exec_lo
	s_delay_alu instid0(VALU_DEP_2) | instskip(SKIP_2) | instid1(VALU_DEP_3)
	v_and_b32_e32 v12, 0x7f800000, v8
	v_and_b32_e32 v4, 0x7fffff, v8
	v_lshrrev_b32_e32 v2, 24, v8
	v_cmpx_ne_u64_e32 0x7f800000, v[12:13]
	s_xor_b32 s73, exec_lo, s13
	s_cbranch_execz .LBB4_10321
; %bb.10308:                            ;   in Loop: Header=BB4_8239 Depth=3
	v_and_b32_e32 v12, 0x7fffffff, v8
	v_mov_b32_e32 v13, v3
	v_and_b32_e32 v2, 0x80, v2
                                        ; implicit-def: $vgpr113
	s_mov_b32 s13, exec_lo
	s_delay_alu instid0(VALU_DEP_2)
	v_cmpx_gt_u64_e32 0x47600001, v[12:13]
	s_xor_b32 s74, exec_lo, s13
	s_cbranch_execz .LBB4_10318
; %bb.10309:                            ;   in Loop: Header=BB4_8239 Depth=3
	v_mov_b32_e32 v113, 0
	s_mov_b32 s75, exec_lo
	v_cmpx_ne_u32_e32 0, v8
	s_cbranch_execz .LBB4_10317
; %bb.10310:                            ;   in Loop: Header=BB4_8239 Depth=3
	v_bfe_u32 v12, v8, 23, 8
	v_or_b32_e32 v9, 0x800000, v4
	s_delay_alu instid0(VALU_DEP_2) | instskip(SKIP_2) | instid1(VALU_DEP_2)
	v_cmp_gt_u32_e64 s13, 0x72, v12
	v_sub_nc_u32_e32 v8, 0x71, v12
	v_cmp_eq_u32_e32 vcc_lo, 0, v12
	v_cndmask_b32_e64 v8, 0, v8, s13
	s_delay_alu instid0(VALU_DEP_1) | instskip(NEXT) | instid1(VALU_DEP_1)
	v_cndmask_b32_e64 v13, v8, 0x70, vcc_lo
	v_dual_cndmask_b32 v4, v9, v4, vcc_lo :: v_dual_add_nc_u32 v8, 21, v13
	v_add_nc_u32_e32 v86, 20, v13
	s_delay_alu instid0(VALU_DEP_2) | instskip(NEXT) | instid1(VALU_DEP_2)
	v_lshlrev_b64_e64 v[8:9], v8, -1
	v_lshlrev_b64_e64 v[86:87], v86, 1
	s_delay_alu instid0(VALU_DEP_2) | instskip(SKIP_1) | instid1(VALU_DEP_4)
	v_bfi_b32 v8, v8, 0, v4
	v_lshrrev_b64 v[4:5], v13, v[4:5]
	v_bfi_b32 v9, v9, 0, 0
	s_delay_alu instid0(VALU_DEP_1) | instskip(NEXT) | instid1(VALU_DEP_3)
	v_cmp_eq_u64_e64 s13, v[8:9], v[86:87]
	v_mov_b64_e32 v[8:9], v[4:5]
	s_and_saveexec_b32 s76, s13
; %bb.10311:                            ;   in Loop: Header=BB4_8239 Depth=3
	v_bfe_u32 v8, v4, 21, 1
	v_mov_b32_e32 v9, v3
	s_delay_alu instid0(VALU_DEP_1) | instskip(NEXT) | instid1(VALU_DEP_1)
	v_add_nc_u64_e32 v[8:9], v[4:5], v[8:9]
	v_add_nc_u64_e32 v[8:9], -1, v[8:9]
; %bb.10312:                            ;   in Loop: Header=BB4_8239 Depth=3
	s_or_b32 exec_lo, exec_lo, s76
	v_add_nc_u32_e32 v5, 0xffffff81, v12
	v_lshrrev_b32_e32 v9, 23, v4
	s_mov_b32 s13, exec_lo
	s_delay_alu instid0(VALU_DEP_2) | instskip(NEXT) | instid1(VALU_DEP_1)
	v_cndmask_b32_e64 v5, v5, 0xffffff82, vcc_lo
	v_add3_u32 v12, v13, v5, v9
	v_and_b32_e32 v5, 0x1fffff, v8
                                        ; implicit-def: $vgpr8
	s_delay_alu instid0(VALU_DEP_2) | instskip(NEXT) | instid1(VALU_DEP_2)
	v_add_nc_u32_e32 v9, 14, v12
	v_dual_mov_b32 v5, v3 :: v_dual_add_nc_u32 v4, v5, v4
	s_delay_alu instid0(VALU_DEP_2)
	v_cmpx_ne_u32_e32 0, v9
	s_xor_b32 s13, exec_lo, s13
; %bb.10313:                            ;   in Loop: Header=BB4_8239 Depth=3
	s_delay_alu instid0(VALU_DEP_2) | instskip(SKIP_1) | instid1(VALU_DEP_1)
	v_cmp_lt_u64_e32 vcc_lo, 0xffffff, v[4:5]
	v_add_nc_u32_e32 v8, 15, v12
	v_cndmask_b32_e32 v8, v9, v8, vcc_lo
	v_cndmask_b32_e64 v9, 0, 1, vcc_lo
	s_delay_alu instid0(VALU_DEP_1)
	v_lshrrev_b64 v[4:5], v9, v[4:5]
; %bb.10314:                            ;   in Loop: Header=BB4_8239 Depth=3
	s_and_not1_saveexec_b32 s13, s13
; %bb.10315:                            ;   in Loop: Header=BB4_8239 Depth=3
	s_delay_alu instid0(VALU_DEP_1)
	v_bfe_u32 v8, v4, 23, 1
; %bb.10316:                            ;   in Loop: Header=BB4_8239 Depth=3
	s_or_b32 exec_lo, exec_lo, s13
	s_delay_alu instid0(VALU_DEP_2) | instskip(NEXT) | instid1(VALU_DEP_2)
	v_lshrrev_b64 v[4:5], 21, v[4:5]
	v_cmp_gt_i32_e32 vcc_lo, 32, v8
	v_min_i32_e32 v9, 31, v8
	v_cmp_eq_u32_e64 s13, 0, v8
	s_delay_alu instid0(VALU_DEP_4) | instskip(NEXT) | instid1(VALU_DEP_3)
	v_cndmask_b32_e32 v5, 0, v5, vcc_lo
	v_dual_cndmask_b32 v4, 3, v4 :: v_dual_lshlrev_b32 v9, 2, v9
	s_delay_alu instid0(VALU_DEP_1) | instskip(NEXT) | instid1(VALU_DEP_2)
	v_and_b32_e32 v9, 0xfc, v9
	v_cmp_eq_u64_e32 vcc_lo, 0, v[4:5]
	s_delay_alu instid0(VALU_DEP_2)
	v_and_or_b32 v4, v4, 3, v9
	s_and_b32 s13, s13, vcc_lo
	s_delay_alu instid0(VALU_DEP_1) | instid1(SALU_CYCLE_1)
	v_cndmask_b32_e64 v4, v4, 0, s13
	s_delay_alu instid0(VALU_DEP_1)
	v_or_b32_e32 v113, v4, v2
.LBB4_10317:                            ;   in Loop: Header=BB4_8239 Depth=3
	s_or_b32 exec_lo, exec_lo, s75
                                        ; implicit-def: $vgpr2
.LBB4_10318:                            ;   in Loop: Header=BB4_8239 Depth=3
	s_and_not1_saveexec_b32 s13, s74
; %bb.10319:                            ;   in Loop: Header=BB4_8239 Depth=3
	v_or_b32_e32 v113, 0x7b, v2
; %bb.10320:                            ;   in Loop: Header=BB4_8239 Depth=3
	s_or_b32 exec_lo, exec_lo, s13
                                        ; implicit-def: $vgpr8
                                        ; implicit-def: $vgpr4_vgpr5
                                        ; implicit-def: $vgpr2
.LBB4_10321:                            ;   in Loop: Header=BB4_8239 Depth=3
	s_and_not1_saveexec_b32 s13, s73
	s_cbranch_execz .LBB4_10327
; %bb.10322:                            ;   in Loop: Header=BB4_8239 Depth=3
	s_mov_b32 s73, exec_lo
                                        ; implicit-def: $vgpr113
	v_cmpx_ne_u64_e32 0, v[4:5]
	s_xor_b32 s73, exec_lo, s73
; %bb.10323:                            ;   in Loop: Header=BB4_8239 Depth=3
	v_or_b32_e32 v113, 0x7f, v2
                                        ; implicit-def: $vgpr8
; %bb.10324:                            ;   in Loop: Header=BB4_8239 Depth=3
	s_and_not1_saveexec_b32 s73, s73
; %bb.10325:                            ;   in Loop: Header=BB4_8239 Depth=3
	v_cmp_lt_i32_e32 vcc_lo, -1, v8
	v_cndmask_b32_e32 v113, 0xfc, v49, vcc_lo
; %bb.10326:                            ;   in Loop: Header=BB4_8239 Depth=3
	s_or_b32 exec_lo, exec_lo, s73
.LBB4_10327:                            ;   in Loop: Header=BB4_8239 Depth=3
	s_delay_alu instid0(SALU_CYCLE_1) | instskip(SKIP_4) | instid1(VALU_DEP_2)
	s_or_b32 exec_lo, exec_lo, s13
	v_dual_lshlrev_b32 v4, 24, v115 :: v_dual_lshlrev_b32 v8, 16, v100
	v_lshl_or_b32 v2, v64, 8, v31
	v_dual_mov_b32 v5, v3 :: v_dual_mov_b32 v9, 0
	s_mov_b32 s73, exec_lo
	v_or3_b32 v4, v8, v4, v2
	v_mov_b32_e32 v8, 0
	v_cmpx_ne_u32_e32 0, v31
	s_cbranch_execz .LBB4_10337
; %bb.10328:                            ;   in Loop: Header=BB4_8239 Depth=3
	v_bfrev_b32_e32 v8, 1
	s_mov_b32 s74, exec_lo
	v_cmpx_ne_u32_e32 0x80, v31
	s_cbranch_execz .LBB4_10336
; %bb.10329:                            ;   in Loop: Header=BB4_8239 Depth=3
	v_and_b32_e32 v8, 0x7c, v31
	v_and_b32_e32 v12, 3, v31
	s_delay_alu instid0(VALU_DEP_2) | instskip(SKIP_1) | instid1(SALU_CYCLE_1)
	v_cmp_ne_u32_e32 vcc_lo, 0x7c, v8
                                        ; implicit-def: $vgpr8
	s_and_saveexec_b32 s13, vcc_lo
	s_xor_b32 s13, exec_lo, s13
	s_cbranch_execz .LBB4_10333
; %bb.10330:                            ;   in Loop: Header=BB4_8239 Depth=3
	v_bfe_u32 v8, v31, 2, 5
	s_mov_b32 s75, exec_lo
	s_delay_alu instid0(VALU_DEP_1)
	v_cmpx_eq_u32_e32 0, v8
; %bb.10331:                            ;   in Loop: Header=BB4_8239 Depth=3
	v_clz_i32_u32_e32 v8, v12
	s_delay_alu instid0(VALU_DEP_1) | instskip(NEXT) | instid1(VALU_DEP_1)
	v_min_u32_e32 v8, 32, v8
	v_subrev_nc_u32_e32 v12, 29, v8
	v_sub_nc_u32_e32 v8, 30, v8
	s_delay_alu instid0(VALU_DEP_2) | instskip(NEXT) | instid1(VALU_DEP_1)
	v_lshlrev_b64_e32 v[12:13], v12, v[4:5]
	v_and_b32_e32 v12, 3, v12
; %bb.10332:                            ;   in Loop: Header=BB4_8239 Depth=3
	s_or_b32 exec_lo, exec_lo, s75
	v_lshlrev_b32_e32 v5, 24, v31
                                        ; implicit-def: $vgpr31
	s_delay_alu instid0(VALU_DEP_1) | instskip(NEXT) | instid1(VALU_DEP_1)
	v_and_b32_e32 v5, 0x80000000, v5
	v_lshl_add_u32 v5, v8, 23, v5
	s_delay_alu instid0(VALU_DEP_1) | instskip(NEXT) | instid1(VALU_DEP_1)
	v_lshl_or_b32 v5, v12, 21, v5
                                        ; implicit-def: $vgpr12
	v_add_nc_u32_e32 v8, 0x38000000, v5
.LBB4_10333:                            ;   in Loop: Header=BB4_8239 Depth=3
	s_and_not1_saveexec_b32 s75, s13
; %bb.10334:                            ;   in Loop: Header=BB4_8239 Depth=3
	v_and_b32_e32 v5, 0x80, v31
	v_cmp_eq_u32_e32 vcc_lo, 0, v12
	s_delay_alu instid0(VALU_DEP_2) | instskip(NEXT) | instid1(VALU_DEP_1)
	v_cmp_eq_u32_e64 s13, 0, v5
	v_cndmask_b32_e64 v5, 0xff800000, v48, s13
	s_delay_alu instid0(VALU_DEP_1)
	v_cndmask_b32_e32 v8, 0x7f800001, v5, vcc_lo
; %bb.10335:                            ;   in Loop: Header=BB4_8239 Depth=3
	s_or_b32 exec_lo, exec_lo, s75
.LBB4_10336:                            ;   in Loop: Header=BB4_8239 Depth=3
	s_delay_alu instid0(SALU_CYCLE_1)
	s_or_b32 exec_lo, exec_lo, s74
.LBB4_10337:                            ;   in Loop: Header=BB4_8239 Depth=3
	s_delay_alu instid0(SALU_CYCLE_1) | instskip(SKIP_2) | instid1(VALU_DEP_1)
	s_or_b32 exec_lo, exec_lo, s73
	v_and_b32_e32 v5, 0xff, v11
	s_mov_b32 s73, exec_lo
	v_cmpx_ne_u16_e32 0, v5
	s_cbranch_execz .LBB4_10347
; %bb.10338:                            ;   in Loop: Header=BB4_8239 Depth=3
	v_bfrev_b32_e32 v9, 1
	s_mov_b32 s74, exec_lo
	v_cmpx_ne_u16_e32 0x80, v5
	s_cbranch_execz .LBB4_10346
; %bb.10339:                            ;   in Loop: Header=BB4_8239 Depth=3
	v_and_b32_e32 v9, 0x7c, v11
	v_and_b32_e32 v5, 3, v11
	s_delay_alu instid0(VALU_DEP_2) | instskip(SKIP_1) | instid1(SALU_CYCLE_1)
	v_cmp_ne_u32_e32 vcc_lo, 0x7c, v9
                                        ; implicit-def: $vgpr9
	s_and_saveexec_b32 s13, vcc_lo
	s_xor_b32 s13, exec_lo, s13
	s_cbranch_execz .LBB4_10343
; %bb.10340:                            ;   in Loop: Header=BB4_8239 Depth=3
	v_bfe_u32 v9, v11, 2, 5
	s_mov_b32 s75, exec_lo
	s_delay_alu instid0(VALU_DEP_1)
	v_cmpx_eq_u32_e32 0, v9
; %bb.10341:                            ;   in Loop: Header=BB4_8239 Depth=3
	v_clz_i32_u32_e32 v5, v5
	v_dual_mov_b32 v12, v11 :: v_dual_mov_b32 v13, v3
	s_delay_alu instid0(VALU_DEP_2) | instskip(NEXT) | instid1(VALU_DEP_1)
	v_min_u32_e32 v5, 32, v5
	v_subrev_nc_u32_e32 v9, 29, v5
	s_delay_alu instid0(VALU_DEP_1) | instskip(NEXT) | instid1(VALU_DEP_1)
	v_lshlrev_b64_e32 v[12:13], v9, v[12:13]
	v_dual_sub_nc_u32 v9, 30, v5 :: v_dual_bitop2_b32 v5, 3, v12 bitop3:0x40
; %bb.10342:                            ;   in Loop: Header=BB4_8239 Depth=3
	s_or_b32 exec_lo, exec_lo, s75
	v_lshlrev_b32_e32 v12, 24, v11
	s_delay_alu instid0(VALU_DEP_1) | instskip(NEXT) | instid1(VALU_DEP_1)
	v_and_b32_e32 v12, 0x80000000, v12
	v_lshl_add_u32 v9, v9, 23, v12
	s_delay_alu instid0(VALU_DEP_1) | instskip(NEXT) | instid1(VALU_DEP_1)
	v_lshl_or_b32 v5, v5, 21, v9
	v_add_nc_u32_e32 v9, 0x38000000, v5
                                        ; implicit-def: $vgpr5
.LBB4_10343:                            ;   in Loop: Header=BB4_8239 Depth=3
	s_and_not1_saveexec_b32 s75, s13
; %bb.10344:                            ;   in Loop: Header=BB4_8239 Depth=3
	v_bfe_i32 v9, v11, 0, 8
	v_cmp_eq_u32_e32 vcc_lo, 0, v5
	s_delay_alu instid0(VALU_DEP_2) | instskip(NEXT) | instid1(VALU_DEP_1)
	v_cmp_lt_i16_e64 s13, -1, v9
	v_cndmask_b32_e64 v5, 0xff800000, v48, s13
	s_delay_alu instid0(VALU_DEP_1)
	v_cndmask_b32_e32 v9, 0x7f800001, v5, vcc_lo
; %bb.10345:                            ;   in Loop: Header=BB4_8239 Depth=3
	s_or_b32 exec_lo, exec_lo, s75
.LBB4_10346:                            ;   in Loop: Header=BB4_8239 Depth=3
	s_delay_alu instid0(SALU_CYCLE_1)
	s_or_b32 exec_lo, exec_lo, s74
.LBB4_10347:                            ;   in Loop: Header=BB4_8239 Depth=3
	s_delay_alu instid0(SALU_CYCLE_1) | instskip(NEXT) | instid1(VALU_DEP_1)
	s_or_b32 exec_lo, exec_lo, s73
	v_dual_add_f32 v12, v8, v9 :: v_dual_mov_b32 v87, v3
	v_mov_b32_e32 v9, v3
                                        ; implicit-def: $vgpr31
	s_mov_b32 s13, exec_lo
	s_delay_alu instid0(VALU_DEP_2) | instskip(SKIP_2) | instid1(VALU_DEP_3)
	v_and_b32_e32 v86, 0x7f800000, v12
	v_and_b32_e32 v8, 0x7fffff, v12
	v_lshrrev_b32_e32 v5, 24, v12
	v_cmpx_ne_u64_e32 0x7f800000, v[86:87]
	s_xor_b32 s73, exec_lo, s13
	s_cbranch_execz .LBB4_10361
; %bb.10348:                            ;   in Loop: Header=BB4_8239 Depth=3
	v_and_b32_e32 v86, 0x7fffffff, v12
	v_mov_b32_e32 v87, v3
	v_and_b32_e32 v5, 0x80, v5
                                        ; implicit-def: $vgpr31
	s_mov_b32 s13, exec_lo
	s_delay_alu instid0(VALU_DEP_2)
	v_cmpx_gt_u64_e32 0x47600001, v[86:87]
	s_xor_b32 s74, exec_lo, s13
	s_cbranch_execz .LBB4_10358
; %bb.10349:                            ;   in Loop: Header=BB4_8239 Depth=3
	v_mov_b32_e32 v31, 0
	s_mov_b32 s75, exec_lo
	v_cmpx_ne_u32_e32 0, v12
	s_cbranch_execz .LBB4_10357
; %bb.10350:                            ;   in Loop: Header=BB4_8239 Depth=3
	v_bfe_u32 v31, v12, 23, 8
	v_or_b32_e32 v13, 0x800000, v8
	s_delay_alu instid0(VALU_DEP_2) | instskip(SKIP_2) | instid1(VALU_DEP_2)
	v_cmp_gt_u32_e64 s13, 0x72, v31
	v_sub_nc_u32_e32 v12, 0x71, v31
	v_cmp_eq_u32_e32 vcc_lo, 0, v31
	v_cndmask_b32_e64 v12, 0, v12, s13
	v_cndmask_b32_e32 v8, v13, v8, vcc_lo
	s_delay_alu instid0(VALU_DEP_2) | instskip(NEXT) | instid1(VALU_DEP_1)
	v_cndmask_b32_e64 v64, v12, 0x70, vcc_lo
	v_dual_add_nc_u32 v12, 21, v64 :: v_dual_add_nc_u32 v86, 20, v64
	s_delay_alu instid0(VALU_DEP_1) | instskip(NEXT) | instid1(VALU_DEP_2)
	v_lshlrev_b64_e64 v[12:13], v12, -1
	v_lshlrev_b64_e64 v[86:87], v86, 1
	s_delay_alu instid0(VALU_DEP_2) | instskip(SKIP_1) | instid1(VALU_DEP_4)
	v_bfi_b32 v12, v12, 0, v8
	v_lshrrev_b64 v[8:9], v64, v[8:9]
	v_bfi_b32 v13, v13, 0, 0
	s_delay_alu instid0(VALU_DEP_1) | instskip(NEXT) | instid1(VALU_DEP_3)
	v_cmp_eq_u64_e64 s13, v[12:13], v[86:87]
	v_mov_b64_e32 v[12:13], v[8:9]
	s_and_saveexec_b32 s76, s13
; %bb.10351:                            ;   in Loop: Header=BB4_8239 Depth=3
	v_bfe_u32 v12, v8, 21, 1
	v_mov_b32_e32 v13, v3
	s_delay_alu instid0(VALU_DEP_1) | instskip(NEXT) | instid1(VALU_DEP_1)
	v_add_nc_u64_e32 v[12:13], v[8:9], v[12:13]
	v_add_nc_u64_e32 v[12:13], -1, v[12:13]
; %bb.10352:                            ;   in Loop: Header=BB4_8239 Depth=3
	s_or_b32 exec_lo, exec_lo, s76
	v_add_nc_u32_e32 v9, 0xffffff81, v31
	v_lshrrev_b32_e32 v13, 23, v8
	s_mov_b32 s13, exec_lo
	s_delay_alu instid0(VALU_DEP_2) | instskip(NEXT) | instid1(VALU_DEP_1)
	v_cndmask_b32_e64 v9, v9, 0xffffff82, vcc_lo
	v_add3_u32 v31, v64, v9, v13
	v_and_b32_e32 v9, 0x1fffff, v12
                                        ; implicit-def: $vgpr12
	s_delay_alu instid0(VALU_DEP_1) | instskip(SKIP_1) | instid1(VALU_DEP_2)
	v_dual_add_nc_u32 v13, 14, v31 :: v_dual_add_nc_u32 v8, v9, v8
	v_mov_b32_e32 v9, v3
	v_cmpx_ne_u32_e32 0, v13
	s_xor_b32 s13, exec_lo, s13
; %bb.10353:                            ;   in Loop: Header=BB4_8239 Depth=3
	s_delay_alu instid0(VALU_DEP_2) | instskip(SKIP_1) | instid1(VALU_DEP_1)
	v_cmp_lt_u64_e32 vcc_lo, 0xffffff, v[8:9]
	v_add_nc_u32_e32 v12, 15, v31
	v_cndmask_b32_e32 v12, v13, v12, vcc_lo
	v_cndmask_b32_e64 v13, 0, 1, vcc_lo
	s_delay_alu instid0(VALU_DEP_1)
	v_lshrrev_b64 v[8:9], v13, v[8:9]
; %bb.10354:                            ;   in Loop: Header=BB4_8239 Depth=3
	s_and_not1_saveexec_b32 s13, s13
; %bb.10355:                            ;   in Loop: Header=BB4_8239 Depth=3
	s_delay_alu instid0(VALU_DEP_1)
	v_bfe_u32 v12, v8, 23, 1
; %bb.10356:                            ;   in Loop: Header=BB4_8239 Depth=3
	s_or_b32 exec_lo, exec_lo, s13
	s_delay_alu instid0(VALU_DEP_2) | instskip(NEXT) | instid1(VALU_DEP_2)
	v_lshrrev_b64 v[8:9], 21, v[8:9]
	v_cmp_gt_i32_e32 vcc_lo, 32, v12
	v_min_i32_e32 v13, 31, v12
	v_cmp_eq_u32_e64 s13, 0, v12
	s_delay_alu instid0(VALU_DEP_4) | instskip(NEXT) | instid1(VALU_DEP_3)
	v_cndmask_b32_e32 v9, 0, v9, vcc_lo
	v_dual_cndmask_b32 v8, 3, v8 :: v_dual_lshlrev_b32 v13, 2, v13
	s_delay_alu instid0(VALU_DEP_1) | instskip(NEXT) | instid1(VALU_DEP_2)
	v_and_b32_e32 v13, 0xfc, v13
	v_cmp_eq_u64_e32 vcc_lo, 0, v[8:9]
	s_delay_alu instid0(VALU_DEP_2)
	v_and_or_b32 v8, v8, 3, v13
	s_and_b32 s13, s13, vcc_lo
	s_delay_alu instid0(VALU_DEP_1) | instid1(SALU_CYCLE_1)
	v_cndmask_b32_e64 v8, v8, 0, s13
	s_delay_alu instid0(VALU_DEP_1)
	v_or_b32_e32 v31, v8, v5
.LBB4_10357:                            ;   in Loop: Header=BB4_8239 Depth=3
	s_or_b32 exec_lo, exec_lo, s75
                                        ; implicit-def: $vgpr5
.LBB4_10358:                            ;   in Loop: Header=BB4_8239 Depth=3
	s_and_not1_saveexec_b32 s13, s74
; %bb.10359:                            ;   in Loop: Header=BB4_8239 Depth=3
	v_or_b32_e32 v31, 0x7b, v5
; %bb.10360:                            ;   in Loop: Header=BB4_8239 Depth=3
	s_or_b32 exec_lo, exec_lo, s13
                                        ; implicit-def: $vgpr12
                                        ; implicit-def: $vgpr8_vgpr9
                                        ; implicit-def: $vgpr5
.LBB4_10361:                            ;   in Loop: Header=BB4_8239 Depth=3
	s_and_not1_saveexec_b32 s13, s73
	s_cbranch_execz .LBB4_10367
; %bb.10362:                            ;   in Loop: Header=BB4_8239 Depth=3
	s_mov_b32 s73, exec_lo
                                        ; implicit-def: $vgpr31
	v_cmpx_ne_u64_e32 0, v[8:9]
	s_xor_b32 s73, exec_lo, s73
; %bb.10363:                            ;   in Loop: Header=BB4_8239 Depth=3
	v_or_b32_e32 v31, 0x7f, v5
                                        ; implicit-def: $vgpr12
; %bb.10364:                            ;   in Loop: Header=BB4_8239 Depth=3
	s_and_not1_saveexec_b32 s73, s73
; %bb.10365:                            ;   in Loop: Header=BB4_8239 Depth=3
	v_cmp_lt_i32_e32 vcc_lo, -1, v12
	v_cndmask_b32_e32 v31, 0xfc, v49, vcc_lo
; %bb.10366:                            ;   in Loop: Header=BB4_8239 Depth=3
	s_or_b32 exec_lo, exec_lo, s73
.LBB4_10367:                            ;   in Loop: Header=BB4_8239 Depth=3
	s_delay_alu instid0(SALU_CYCLE_1) | instskip(SKIP_3) | instid1(VALU_DEP_2)
	s_or_b32 exec_lo, exec_lo, s13
	v_lshrrev_b16 v8, 8, v2
	v_dual_mov_b32 v5, 0 :: v_dual_mov_b32 v12, 0
	s_mov_b32 s73, exec_lo
	v_cmpx_ne_u16_e32 0, v8
	s_cbranch_execz .LBB4_10377
; %bb.10368:                            ;   in Loop: Header=BB4_8239 Depth=3
	v_bfrev_b32_e32 v12, 1
	s_mov_b32 s74, exec_lo
	v_cmpx_ne_u16_e32 0x80, v8
	s_cbranch_execz .LBB4_10376
; %bb.10369:                            ;   in Loop: Header=BB4_8239 Depth=3
	v_and_b32_e32 v13, 0xffff, v8
	s_delay_alu instid0(VALU_DEP_1) | instskip(SKIP_1) | instid1(VALU_DEP_2)
	v_and_b32_e32 v12, 0x7c, v13
	v_and_b32_e32 v9, 3, v13
	v_cmp_ne_u32_e32 vcc_lo, 0x7c, v12
                                        ; implicit-def: $vgpr12
	s_and_saveexec_b32 s13, vcc_lo
	s_delay_alu instid0(SALU_CYCLE_1)
	s_xor_b32 s13, exec_lo, s13
	s_cbranch_execz .LBB4_10373
; %bb.10370:                            ;   in Loop: Header=BB4_8239 Depth=3
	v_bfe_u32 v12, v13, 2, 5
	s_mov_b32 s75, exec_lo
	s_delay_alu instid0(VALU_DEP_1)
	v_cmpx_eq_u32_e32 0, v12
	s_cbranch_execz .LBB4_10372
; %bb.10371:                            ;   in Loop: Header=BB4_8239 Depth=3
	v_clz_i32_u32_e32 v9, v9
	s_delay_alu instid0(VALU_DEP_1) | instskip(SKIP_1) | instid1(VALU_DEP_2)
	v_min_u32_e32 v12, 32, v9
	v_mov_b32_e32 v9, v3
	v_subrev_nc_u32_e32 v13, 29, v12
	v_sub_nc_u32_e32 v12, 30, v12
	s_delay_alu instid0(VALU_DEP_2) | instskip(NEXT) | instid1(VALU_DEP_1)
	v_lshlrev_b64_e32 v[8:9], v13, v[8:9]
	v_and_b32_e32 v9, 3, v8
.LBB4_10372:                            ;   in Loop: Header=BB4_8239 Depth=3
	s_or_b32 exec_lo, exec_lo, s75
	v_lshlrev_b32_e32 v2, 16, v2
	s_delay_alu instid0(VALU_DEP_1) | instskip(NEXT) | instid1(VALU_DEP_1)
	v_and_b32_e32 v2, 0x80000000, v2
	v_lshl_add_u32 v2, v12, 23, v2
	s_delay_alu instid0(VALU_DEP_1) | instskip(NEXT) | instid1(VALU_DEP_1)
	v_lshl_or_b32 v2, v9, 21, v2
                                        ; implicit-def: $vgpr9
	v_add_nc_u32_e32 v12, 0x38000000, v2
                                        ; implicit-def: $vgpr2
.LBB4_10373:                            ;   in Loop: Header=BB4_8239 Depth=3
	s_and_not1_saveexec_b32 s75, s13
; %bb.10374:                            ;   in Loop: Header=BB4_8239 Depth=3
	v_cmp_lt_i16_e64 s13, -1, v2
	v_cmp_eq_u32_e32 vcc_lo, 0, v9
	s_delay_alu instid0(VALU_DEP_2) | instskip(NEXT) | instid1(VALU_DEP_1)
	v_cndmask_b32_e64 v2, 0xff800000, v48, s13
	v_cndmask_b32_e32 v12, 0x7f800001, v2, vcc_lo
; %bb.10375:                            ;   in Loop: Header=BB4_8239 Depth=3
	s_or_b32 exec_lo, exec_lo, s75
.LBB4_10376:                            ;   in Loop: Header=BB4_8239 Depth=3
	s_delay_alu instid0(SALU_CYCLE_1)
	s_or_b32 exec_lo, exec_lo, s74
.LBB4_10377:                            ;   in Loop: Header=BB4_8239 Depth=3
	s_delay_alu instid0(SALU_CYCLE_1) | instskip(SKIP_2) | instid1(VALU_DEP_1)
	s_or_b32 exec_lo, exec_lo, s73
	v_lshrrev_b16 v8, 8, v11
	s_mov_b32 s73, exec_lo
	v_cmpx_ne_u16_e32 0, v8
	s_cbranch_execz .LBB4_10387
; %bb.10378:                            ;   in Loop: Header=BB4_8239 Depth=3
	v_bfrev_b32_e32 v5, 1
	s_mov_b32 s74, exec_lo
	v_cmpx_ne_u16_e32 0x80, v8
	s_cbranch_execz .LBB4_10386
; %bb.10379:                            ;   in Loop: Header=BB4_8239 Depth=3
	v_and_b32_e32 v9, 0xffff, v8
	s_delay_alu instid0(VALU_DEP_1) | instskip(SKIP_1) | instid1(VALU_DEP_2)
	v_and_b32_e32 v5, 0x7c, v9
	v_and_b32_e32 v2, 3, v9
	v_cmp_ne_u32_e32 vcc_lo, 0x7c, v5
                                        ; implicit-def: $vgpr5
	s_and_saveexec_b32 s13, vcc_lo
	s_delay_alu instid0(SALU_CYCLE_1)
	s_xor_b32 s13, exec_lo, s13
	s_cbranch_execz .LBB4_10383
; %bb.10380:                            ;   in Loop: Header=BB4_8239 Depth=3
	v_bfe_u32 v5, v9, 2, 5
	s_mov_b32 s75, exec_lo
	s_delay_alu instid0(VALU_DEP_1)
	v_cmpx_eq_u32_e32 0, v5
; %bb.10381:                            ;   in Loop: Header=BB4_8239 Depth=3
	v_clz_i32_u32_e32 v2, v2
	s_delay_alu instid0(VALU_DEP_1) | instskip(SKIP_1) | instid1(VALU_DEP_2)
	v_min_u32_e32 v2, 32, v2
	v_mov_b32_e32 v9, v3
	v_subrev_nc_u32_e32 v5, 29, v2
	s_delay_alu instid0(VALU_DEP_1) | instskip(NEXT) | instid1(VALU_DEP_1)
	v_lshlrev_b64_e32 v[8:9], v5, v[8:9]
	v_dual_sub_nc_u32 v5, 30, v2 :: v_dual_bitop2_b32 v2, 3, v8 bitop3:0x40
; %bb.10382:                            ;   in Loop: Header=BB4_8239 Depth=3
	s_or_b32 exec_lo, exec_lo, s75
	v_lshlrev_b32_e32 v8, 16, v11
	s_delay_alu instid0(VALU_DEP_1) | instskip(NEXT) | instid1(VALU_DEP_1)
	v_and_b32_e32 v8, 0x80000000, v8
	v_lshl_add_u32 v5, v5, 23, v8
	s_delay_alu instid0(VALU_DEP_1) | instskip(NEXT) | instid1(VALU_DEP_1)
	v_lshl_or_b32 v2, v2, 21, v5
	v_add_nc_u32_e32 v5, 0x38000000, v2
                                        ; implicit-def: $vgpr2
.LBB4_10383:                            ;   in Loop: Header=BB4_8239 Depth=3
	s_and_not1_saveexec_b32 s75, s13
; %bb.10384:                            ;   in Loop: Header=BB4_8239 Depth=3
	v_cmp_lt_i16_e64 s13, -1, v11
	v_cmp_eq_u32_e32 vcc_lo, 0, v2
	s_delay_alu instid0(VALU_DEP_2) | instskip(NEXT) | instid1(VALU_DEP_1)
	v_cndmask_b32_e64 v2, 0xff800000, v48, s13
	v_cndmask_b32_e32 v5, 0x7f800001, v2, vcc_lo
; %bb.10385:                            ;   in Loop: Header=BB4_8239 Depth=3
	s_or_b32 exec_lo, exec_lo, s75
.LBB4_10386:                            ;   in Loop: Header=BB4_8239 Depth=3
	s_delay_alu instid0(SALU_CYCLE_1)
	s_or_b32 exec_lo, exec_lo, s74
.LBB4_10387:                            ;   in Loop: Header=BB4_8239 Depth=3
	s_delay_alu instid0(SALU_CYCLE_1) | instskip(NEXT) | instid1(VALU_DEP_1)
	s_or_b32 exec_lo, exec_lo, s73
	v_dual_add_f32 v5, v12, v5 :: v_dual_mov_b32 v13, v3
	v_mov_b32_e32 v9, v3
                                        ; implicit-def: $vgpr64
	s_mov_b32 s13, exec_lo
	s_delay_alu instid0(VALU_DEP_2) | instskip(SKIP_2) | instid1(VALU_DEP_3)
	v_and_b32_e32 v12, 0x7f800000, v5
	v_and_b32_e32 v8, 0x7fffff, v5
	v_lshrrev_b32_e32 v2, 24, v5
	v_cmpx_ne_u64_e32 0x7f800000, v[12:13]
	s_xor_b32 s73, exec_lo, s13
	s_cbranch_execz .LBB4_10401
; %bb.10388:                            ;   in Loop: Header=BB4_8239 Depth=3
	v_and_b32_e32 v12, 0x7fffffff, v5
	v_mov_b32_e32 v13, v3
	v_and_b32_e32 v2, 0x80, v2
                                        ; implicit-def: $vgpr64
	s_mov_b32 s13, exec_lo
	s_delay_alu instid0(VALU_DEP_2)
	v_cmpx_gt_u64_e32 0x47600001, v[12:13]
	s_xor_b32 s74, exec_lo, s13
	s_cbranch_execz .LBB4_10398
; %bb.10389:                            ;   in Loop: Header=BB4_8239 Depth=3
	v_mov_b32_e32 v64, 0
	s_mov_b32 s75, exec_lo
	v_cmpx_ne_u32_e32 0, v5
	s_cbranch_execz .LBB4_10397
; %bb.10390:                            ;   in Loop: Header=BB4_8239 Depth=3
	v_bfe_u32 v5, v5, 23, 8
	v_or_b32_e32 v13, 0x800000, v8
	s_delay_alu instid0(VALU_DEP_2) | instskip(SKIP_2) | instid1(VALU_DEP_2)
	v_cmp_gt_u32_e64 s13, 0x72, v5
	v_sub_nc_u32_e32 v12, 0x71, v5
	v_cmp_eq_u32_e32 vcc_lo, 0, v5
	v_cndmask_b32_e64 v12, 0, v12, s13
	v_cndmask_b32_e32 v8, v13, v8, vcc_lo
	s_delay_alu instid0(VALU_DEP_2) | instskip(NEXT) | instid1(VALU_DEP_1)
	v_cndmask_b32_e64 v64, v12, 0x70, vcc_lo
	v_dual_add_nc_u32 v12, 21, v64 :: v_dual_add_nc_u32 v86, 20, v64
	s_delay_alu instid0(VALU_DEP_1) | instskip(NEXT) | instid1(VALU_DEP_2)
	v_lshlrev_b64_e64 v[12:13], v12, -1
	v_lshlrev_b64_e64 v[86:87], v86, 1
	s_delay_alu instid0(VALU_DEP_2) | instskip(SKIP_1) | instid1(VALU_DEP_4)
	v_bfi_b32 v12, v12, 0, v8
	v_lshrrev_b64 v[8:9], v64, v[8:9]
	v_bfi_b32 v13, v13, 0, 0
	s_delay_alu instid0(VALU_DEP_1) | instskip(NEXT) | instid1(VALU_DEP_3)
	v_cmp_eq_u64_e64 s13, v[12:13], v[86:87]
	v_mov_b64_e32 v[12:13], v[8:9]
	s_and_saveexec_b32 s76, s13
; %bb.10391:                            ;   in Loop: Header=BB4_8239 Depth=3
	v_bfe_u32 v12, v8, 21, 1
	v_mov_b32_e32 v13, v3
	s_delay_alu instid0(VALU_DEP_1) | instskip(NEXT) | instid1(VALU_DEP_1)
	v_add_nc_u64_e32 v[12:13], v[8:9], v[12:13]
	v_add_nc_u64_e32 v[12:13], -1, v[12:13]
; %bb.10392:                            ;   in Loop: Header=BB4_8239 Depth=3
	s_or_b32 exec_lo, exec_lo, s76
	v_add_nc_u32_e32 v5, 0xffffff81, v5
	v_lshrrev_b32_e32 v9, 23, v8
	s_mov_b32 s13, exec_lo
	s_delay_alu instid0(VALU_DEP_2) | instskip(NEXT) | instid1(VALU_DEP_1)
	v_cndmask_b32_e64 v5, v5, 0xffffff82, vcc_lo
	v_add3_u32 v13, v64, v5, v9
	v_and_b32_e32 v5, 0x1fffff, v12
	s_delay_alu instid0(VALU_DEP_2) | instskip(NEXT) | instid1(VALU_DEP_2)
	v_dual_mov_b32 v9, v3 :: v_dual_add_nc_u32 v12, 14, v13
	v_add_nc_u32_e32 v8, v5, v8
                                        ; implicit-def: $vgpr5
	s_delay_alu instid0(VALU_DEP_2)
	v_cmpx_ne_u32_e32 0, v12
	s_xor_b32 s13, exec_lo, s13
; %bb.10393:                            ;   in Loop: Header=BB4_8239 Depth=3
	s_delay_alu instid0(VALU_DEP_2) | instskip(SKIP_1) | instid1(VALU_DEP_1)
	v_cmp_lt_u64_e32 vcc_lo, 0xffffff, v[8:9]
	v_add_nc_u32_e32 v5, 15, v13
	v_cndmask_b32_e32 v5, v12, v5, vcc_lo
	v_cndmask_b32_e64 v12, 0, 1, vcc_lo
	s_delay_alu instid0(VALU_DEP_1)
	v_lshrrev_b64 v[8:9], v12, v[8:9]
; %bb.10394:                            ;   in Loop: Header=BB4_8239 Depth=3
	s_and_not1_saveexec_b32 s13, s13
; %bb.10395:                            ;   in Loop: Header=BB4_8239 Depth=3
	s_delay_alu instid0(VALU_DEP_1)
	v_bfe_u32 v5, v8, 23, 1
; %bb.10396:                            ;   in Loop: Header=BB4_8239 Depth=3
	s_or_b32 exec_lo, exec_lo, s13
	s_delay_alu instid0(VALU_DEP_2) | instskip(NEXT) | instid1(VALU_DEP_2)
	v_lshrrev_b64 v[8:9], 21, v[8:9]
	v_cmp_gt_i32_e32 vcc_lo, 32, v5
	v_min_i32_e32 v12, 31, v5
	v_cmp_eq_u32_e64 s13, 0, v5
	s_delay_alu instid0(VALU_DEP_4) | instskip(NEXT) | instid1(VALU_DEP_3)
	v_cndmask_b32_e32 v8, 3, v8, vcc_lo
	v_dual_cndmask_b32 v9, 0, v9 :: v_dual_lshlrev_b32 v12, 2, v12
	s_delay_alu instid0(VALU_DEP_1) | instskip(NEXT) | instid1(VALU_DEP_2)
	v_and_b32_e32 v12, 0xfc, v12
	v_cmp_eq_u64_e32 vcc_lo, 0, v[8:9]
	s_delay_alu instid0(VALU_DEP_2)
	v_and_or_b32 v5, v8, 3, v12
	s_and_b32 s13, s13, vcc_lo
	s_delay_alu instid0(VALU_DEP_1) | instid1(SALU_CYCLE_1)
	v_cndmask_b32_e64 v5, v5, 0, s13
	s_delay_alu instid0(VALU_DEP_1)
	v_or_b32_e32 v64, v5, v2
.LBB4_10397:                            ;   in Loop: Header=BB4_8239 Depth=3
	s_or_b32 exec_lo, exec_lo, s75
                                        ; implicit-def: $vgpr2
.LBB4_10398:                            ;   in Loop: Header=BB4_8239 Depth=3
	s_and_not1_saveexec_b32 s13, s74
; %bb.10399:                            ;   in Loop: Header=BB4_8239 Depth=3
	v_or_b32_e32 v64, 0x7b, v2
; %bb.10400:                            ;   in Loop: Header=BB4_8239 Depth=3
	s_or_b32 exec_lo, exec_lo, s13
                                        ; implicit-def: $vgpr5
                                        ; implicit-def: $vgpr8_vgpr9
                                        ; implicit-def: $vgpr2
.LBB4_10401:                            ;   in Loop: Header=BB4_8239 Depth=3
	s_and_not1_saveexec_b32 s13, s73
	s_cbranch_execz .LBB4_10407
; %bb.10402:                            ;   in Loop: Header=BB4_8239 Depth=3
	s_mov_b32 s73, exec_lo
                                        ; implicit-def: $vgpr64
	v_cmpx_ne_u64_e32 0, v[8:9]
	s_xor_b32 s73, exec_lo, s73
; %bb.10403:                            ;   in Loop: Header=BB4_8239 Depth=3
	v_or_b32_e32 v64, 0x7f, v2
                                        ; implicit-def: $vgpr5
; %bb.10404:                            ;   in Loop: Header=BB4_8239 Depth=3
	s_and_not1_saveexec_b32 s73, s73
; %bb.10405:                            ;   in Loop: Header=BB4_8239 Depth=3
	v_cmp_lt_i32_e32 vcc_lo, -1, v5
	v_cndmask_b32_e32 v64, 0xfc, v49, vcc_lo
; %bb.10406:                            ;   in Loop: Header=BB4_8239 Depth=3
	s_or_b32 exec_lo, exec_lo, s73
.LBB4_10407:                            ;   in Loop: Header=BB4_8239 Depth=3
	s_delay_alu instid0(SALU_CYCLE_1) | instskip(SKIP_3) | instid1(VALU_DEP_2)
	s_or_b32 exec_lo, exec_lo, s13
	v_dual_mov_b32 v5, 0 :: v_dual_lshrrev_b32 v2, 16, v4
	v_mov_b32_e32 v8, 0
	s_mov_b32 s73, exec_lo
	v_and_b32_e32 v9, 0xff, v2
	s_delay_alu instid0(VALU_DEP_1)
	v_cmpx_ne_u16_e32 0, v9
	s_cbranch_execz .LBB4_10417
; %bb.10408:                            ;   in Loop: Header=BB4_8239 Depth=3
	v_bfrev_b32_e32 v8, 1
	s_mov_b32 s74, exec_lo
	v_cmpx_ne_u16_e32 0x80, v9
	s_cbranch_execz .LBB4_10416
; %bb.10409:                            ;   in Loop: Header=BB4_8239 Depth=3
	v_and_b32_e32 v8, 0x7c0000, v4
	v_bfe_u32 v9, v4, 16, 2
	s_delay_alu instid0(VALU_DEP_2) | instskip(SKIP_1) | instid1(SALU_CYCLE_1)
	v_cmp_ne_u32_e32 vcc_lo, 0x7c0000, v8
                                        ; implicit-def: $vgpr8
	s_and_saveexec_b32 s13, vcc_lo
	s_xor_b32 s13, exec_lo, s13
	s_cbranch_execz .LBB4_10413
; %bb.10410:                            ;   in Loop: Header=BB4_8239 Depth=3
	v_bfe_u32 v8, v4, 18, 5
	s_mov_b32 s75, exec_lo
	s_delay_alu instid0(VALU_DEP_1)
	v_cmpx_eq_u32_e32 0, v8
; %bb.10411:                            ;   in Loop: Header=BB4_8239 Depth=3
	v_clz_i32_u32_e32 v8, v9
	s_delay_alu instid0(VALU_DEP_1) | instskip(NEXT) | instid1(VALU_DEP_1)
	v_min_u32_e32 v8, 32, v8
	v_subrev_nc_u32_e32 v9, 29, v8
	v_sub_nc_u32_e32 v8, 30, v8
	s_delay_alu instid0(VALU_DEP_2) | instskip(NEXT) | instid1(VALU_DEP_1)
	v_lshlrev_b64_e32 v[12:13], v9, v[2:3]
	v_and_b32_e32 v9, 3, v12
; %bb.10412:                            ;   in Loop: Header=BB4_8239 Depth=3
	s_or_b32 exec_lo, exec_lo, s75
	v_lshlrev_b32_e32 v2, 24, v2
	s_delay_alu instid0(VALU_DEP_1) | instskip(NEXT) | instid1(VALU_DEP_1)
	v_and_b32_e32 v2, 0x80000000, v2
	v_lshl_add_u32 v2, v8, 23, v2
	s_delay_alu instid0(VALU_DEP_1) | instskip(NEXT) | instid1(VALU_DEP_1)
	v_lshl_or_b32 v2, v9, 21, v2
                                        ; implicit-def: $vgpr9
	v_add_nc_u32_e32 v8, 0x38000000, v2
                                        ; implicit-def: $vgpr2
.LBB4_10413:                            ;   in Loop: Header=BB4_8239 Depth=3
	s_and_not1_saveexec_b32 s75, s13
; %bb.10414:                            ;   in Loop: Header=BB4_8239 Depth=3
	v_bfe_i32 v2, v2, 0, 8
	v_cmp_eq_u32_e32 vcc_lo, 0, v9
	s_delay_alu instid0(VALU_DEP_2) | instskip(NEXT) | instid1(VALU_DEP_1)
	v_cmp_lt_i16_e64 s13, -1, v2
	v_cndmask_b32_e64 v2, 0xff800000, v48, s13
	s_delay_alu instid0(VALU_DEP_1)
	v_cndmask_b32_e32 v8, 0x7f800001, v2, vcc_lo
; %bb.10415:                            ;   in Loop: Header=BB4_8239 Depth=3
	s_or_b32 exec_lo, exec_lo, s75
.LBB4_10416:                            ;   in Loop: Header=BB4_8239 Depth=3
	s_delay_alu instid0(SALU_CYCLE_1)
	s_or_b32 exec_lo, exec_lo, s74
.LBB4_10417:                            ;   in Loop: Header=BB4_8239 Depth=3
	s_delay_alu instid0(SALU_CYCLE_1) | instskip(SKIP_2) | instid1(VALU_DEP_1)
	s_or_b32 exec_lo, exec_lo, s73
	v_lshrrev_b32_e32 v2, 16, v11
	s_mov_b32 s73, exec_lo
	v_and_b32_e32 v9, 0xff, v2
	s_delay_alu instid0(VALU_DEP_1)
	v_cmpx_ne_u16_e32 0, v9
	s_cbranch_execz .LBB4_10427
; %bb.10418:                            ;   in Loop: Header=BB4_8239 Depth=3
	v_bfrev_b32_e32 v5, 1
	s_mov_b32 s74, exec_lo
	v_cmpx_ne_u16_e32 0x80, v9
	s_cbranch_execz .LBB4_10426
; %bb.10419:                            ;   in Loop: Header=BB4_8239 Depth=3
	v_and_b32_e32 v5, 0x7c0000, v11
	v_bfe_u32 v9, v11, 16, 2
	s_delay_alu instid0(VALU_DEP_2) | instskip(SKIP_1) | instid1(SALU_CYCLE_1)
	v_cmp_ne_u32_e32 vcc_lo, 0x7c0000, v5
                                        ; implicit-def: $vgpr5
	s_and_saveexec_b32 s13, vcc_lo
	s_xor_b32 s13, exec_lo, s13
	s_cbranch_execz .LBB4_10423
; %bb.10420:                            ;   in Loop: Header=BB4_8239 Depth=3
	v_bfe_u32 v5, v11, 18, 5
	s_mov_b32 s75, exec_lo
	s_delay_alu instid0(VALU_DEP_1)
	v_cmpx_eq_u32_e32 0, v5
; %bb.10421:                            ;   in Loop: Header=BB4_8239 Depth=3
	v_clz_i32_u32_e32 v5, v9
	s_delay_alu instid0(VALU_DEP_1) | instskip(NEXT) | instid1(VALU_DEP_1)
	v_min_u32_e32 v5, 32, v5
	v_subrev_nc_u32_e32 v9, 29, v5
	s_delay_alu instid0(VALU_DEP_1) | instskip(NEXT) | instid1(VALU_DEP_1)
	v_lshlrev_b64_e32 v[12:13], v9, v[2:3]
	v_dual_sub_nc_u32 v5, 30, v5 :: v_dual_bitop2_b32 v9, 3, v12 bitop3:0x40
; %bb.10422:                            ;   in Loop: Header=BB4_8239 Depth=3
	s_or_b32 exec_lo, exec_lo, s75
	v_lshlrev_b32_e32 v2, 24, v2
	s_delay_alu instid0(VALU_DEP_1) | instskip(NEXT) | instid1(VALU_DEP_1)
	v_and_b32_e32 v2, 0x80000000, v2
	v_lshl_add_u32 v2, v5, 23, v2
	s_delay_alu instid0(VALU_DEP_1) | instskip(NEXT) | instid1(VALU_DEP_1)
	v_lshl_or_b32 v2, v9, 21, v2
                                        ; implicit-def: $vgpr9
	v_add_nc_u32_e32 v5, 0x38000000, v2
                                        ; implicit-def: $vgpr2
.LBB4_10423:                            ;   in Loop: Header=BB4_8239 Depth=3
	s_and_not1_saveexec_b32 s75, s13
; %bb.10424:                            ;   in Loop: Header=BB4_8239 Depth=3
	v_bfe_i32 v2, v2, 0, 8
	v_cmp_eq_u32_e32 vcc_lo, 0, v9
	s_delay_alu instid0(VALU_DEP_2) | instskip(NEXT) | instid1(VALU_DEP_1)
	v_cmp_lt_i16_e64 s13, -1, v2
	v_cndmask_b32_e64 v2, 0xff800000, v48, s13
	s_delay_alu instid0(VALU_DEP_1)
	v_cndmask_b32_e32 v5, 0x7f800001, v2, vcc_lo
; %bb.10425:                            ;   in Loop: Header=BB4_8239 Depth=3
	s_or_b32 exec_lo, exec_lo, s75
.LBB4_10426:                            ;   in Loop: Header=BB4_8239 Depth=3
	s_delay_alu instid0(SALU_CYCLE_1)
	s_or_b32 exec_lo, exec_lo, s74
.LBB4_10427:                            ;   in Loop: Header=BB4_8239 Depth=3
	s_delay_alu instid0(SALU_CYCLE_1) | instskip(NEXT) | instid1(VALU_DEP_1)
	s_or_b32 exec_lo, exec_lo, s73
	v_dual_add_f32 v5, v8, v5 :: v_dual_mov_b32 v13, v3
	s_delay_alu instid0(VALU_DEP_1) | instskip(SKIP_2) | instid1(VALU_DEP_2)
	v_dual_mov_b32 v9, v3 :: v_dual_lshrrev_b32 v2, 24, v5
	v_and_b32_e32 v12, 0x7f800000, v5
	v_and_b32_e32 v8, 0x7fffff, v5
	v_cmp_ne_u64_e32 vcc_lo, 0x7f800000, v[12:13]
                                        ; implicit-def: $vgpr12
	s_and_saveexec_b32 s13, vcc_lo
	s_delay_alu instid0(SALU_CYCLE_1)
	s_xor_b32 s73, exec_lo, s13
	s_cbranch_execz .LBB4_10441
; %bb.10428:                            ;   in Loop: Header=BB4_8239 Depth=3
	v_and_b32_e32 v12, 0x7fffffff, v5
	v_mov_b32_e32 v13, v3
	v_and_b32_e32 v2, 0x80, v2
	s_delay_alu instid0(VALU_DEP_2) | instskip(SKIP_1) | instid1(SALU_CYCLE_1)
	v_cmp_gt_u64_e32 vcc_lo, 0x47600001, v[12:13]
                                        ; implicit-def: $vgpr12
	s_and_saveexec_b32 s13, vcc_lo
	s_xor_b32 s74, exec_lo, s13
	s_cbranch_execz .LBB4_10438
; %bb.10429:                            ;   in Loop: Header=BB4_8239 Depth=3
	v_mov_b32_e32 v12, 0
	s_mov_b32 s75, exec_lo
	v_cmpx_ne_u32_e32 0, v5
	s_cbranch_execz .LBB4_10437
; %bb.10430:                            ;   in Loop: Header=BB4_8239 Depth=3
	v_bfe_u32 v5, v5, 23, 8
	v_or_b32_e32 v13, 0x800000, v8
	s_delay_alu instid0(VALU_DEP_2) | instskip(SKIP_2) | instid1(VALU_DEP_2)
	v_cmp_gt_u32_e64 s13, 0x72, v5
	v_sub_nc_u32_e32 v12, 0x71, v5
	v_cmp_eq_u32_e32 vcc_lo, 0, v5
	v_cndmask_b32_e64 v12, 0, v12, s13
	s_delay_alu instid0(VALU_DEP_1) | instskip(NEXT) | instid1(VALU_DEP_1)
	v_cndmask_b32_e64 v86, v12, 0x70, vcc_lo
	v_dual_cndmask_b32 v8, v13, v8, vcc_lo :: v_dual_add_nc_u32 v12, 21, v86
	v_add_nc_u32_e32 v87, 20, v86
	s_delay_alu instid0(VALU_DEP_2) | instskip(NEXT) | instid1(VALU_DEP_2)
	v_lshlrev_b64_e64 v[12:13], v12, -1
	v_lshlrev_b64_e64 v[96:97], v87, 1
	s_delay_alu instid0(VALU_DEP_2) | instskip(SKIP_1) | instid1(VALU_DEP_4)
	v_bfi_b32 v12, v12, 0, v8
	v_lshrrev_b64 v[8:9], v86, v[8:9]
	v_bfi_b32 v13, v13, 0, 0
	s_delay_alu instid0(VALU_DEP_1) | instskip(NEXT) | instid1(VALU_DEP_3)
	v_cmp_eq_u64_e64 s13, v[12:13], v[96:97]
	v_mov_b64_e32 v[12:13], v[8:9]
	s_and_saveexec_b32 s76, s13
; %bb.10431:                            ;   in Loop: Header=BB4_8239 Depth=3
	v_bfe_u32 v12, v8, 21, 1
	v_mov_b32_e32 v13, v3
	s_delay_alu instid0(VALU_DEP_1) | instskip(NEXT) | instid1(VALU_DEP_1)
	v_add_nc_u64_e32 v[12:13], v[8:9], v[12:13]
	v_add_nc_u64_e32 v[12:13], -1, v[12:13]
; %bb.10432:                            ;   in Loop: Header=BB4_8239 Depth=3
	s_or_b32 exec_lo, exec_lo, s76
	v_add_nc_u32_e32 v5, 0xffffff81, v5
	v_lshrrev_b32_e32 v9, 23, v8
	s_mov_b32 s13, exec_lo
	s_delay_alu instid0(VALU_DEP_2) | instskip(NEXT) | instid1(VALU_DEP_1)
	v_cndmask_b32_e64 v5, v5, 0xffffff82, vcc_lo
	v_add3_u32 v13, v86, v5, v9
	v_and_b32_e32 v5, 0x1fffff, v12
	s_delay_alu instid0(VALU_DEP_2) | instskip(NEXT) | instid1(VALU_DEP_2)
	v_dual_mov_b32 v9, v3 :: v_dual_add_nc_u32 v12, 14, v13
	v_add_nc_u32_e32 v8, v5, v8
                                        ; implicit-def: $vgpr5
	s_delay_alu instid0(VALU_DEP_2)
	v_cmpx_ne_u32_e32 0, v12
	s_xor_b32 s13, exec_lo, s13
; %bb.10433:                            ;   in Loop: Header=BB4_8239 Depth=3
	s_delay_alu instid0(VALU_DEP_2) | instskip(SKIP_1) | instid1(VALU_DEP_1)
	v_cmp_lt_u64_e32 vcc_lo, 0xffffff, v[8:9]
	v_add_nc_u32_e32 v5, 15, v13
	v_cndmask_b32_e32 v5, v12, v5, vcc_lo
	v_cndmask_b32_e64 v12, 0, 1, vcc_lo
	s_delay_alu instid0(VALU_DEP_1)
	v_lshrrev_b64 v[8:9], v12, v[8:9]
; %bb.10434:                            ;   in Loop: Header=BB4_8239 Depth=3
	s_and_not1_saveexec_b32 s13, s13
; %bb.10435:                            ;   in Loop: Header=BB4_8239 Depth=3
	s_delay_alu instid0(VALU_DEP_1)
	v_bfe_u32 v5, v8, 23, 1
; %bb.10436:                            ;   in Loop: Header=BB4_8239 Depth=3
	s_or_b32 exec_lo, exec_lo, s13
	s_delay_alu instid0(VALU_DEP_2) | instskip(NEXT) | instid1(VALU_DEP_2)
	v_lshrrev_b64 v[8:9], 21, v[8:9]
	v_cmp_gt_i32_e32 vcc_lo, 32, v5
	v_min_i32_e32 v12, 31, v5
	v_cmp_eq_u32_e64 s13, 0, v5
	s_delay_alu instid0(VALU_DEP_4) | instskip(NEXT) | instid1(VALU_DEP_3)
	v_cndmask_b32_e32 v8, 3, v8, vcc_lo
	v_dual_cndmask_b32 v9, 0, v9 :: v_dual_lshlrev_b32 v12, 2, v12
	s_delay_alu instid0(VALU_DEP_1) | instskip(NEXT) | instid1(VALU_DEP_2)
	v_and_b32_e32 v12, 0xfc, v12
	v_cmp_eq_u64_e32 vcc_lo, 0, v[8:9]
	s_delay_alu instid0(VALU_DEP_2)
	v_and_or_b32 v5, v8, 3, v12
	s_and_b32 s13, s13, vcc_lo
	s_delay_alu instid0(VALU_DEP_1) | instid1(SALU_CYCLE_1)
	v_cndmask_b32_e64 v5, v5, 0, s13
	s_delay_alu instid0(VALU_DEP_1)
	v_or_b32_e32 v12, v5, v2
.LBB4_10437:                            ;   in Loop: Header=BB4_8239 Depth=3
	s_or_b32 exec_lo, exec_lo, s75
                                        ; implicit-def: $vgpr2
.LBB4_10438:                            ;   in Loop: Header=BB4_8239 Depth=3
	s_and_not1_saveexec_b32 s13, s74
; %bb.10439:                            ;   in Loop: Header=BB4_8239 Depth=3
	v_or_b32_e32 v12, 0x7b, v2
; %bb.10440:                            ;   in Loop: Header=BB4_8239 Depth=3
	s_or_b32 exec_lo, exec_lo, s13
                                        ; implicit-def: $vgpr5
                                        ; implicit-def: $vgpr8_vgpr9
                                        ; implicit-def: $vgpr2
.LBB4_10441:                            ;   in Loop: Header=BB4_8239 Depth=3
	s_and_not1_saveexec_b32 s13, s73
	s_cbranch_execz .LBB4_10447
; %bb.10442:                            ;   in Loop: Header=BB4_8239 Depth=3
	s_mov_b32 s73, exec_lo
                                        ; implicit-def: $vgpr12
	v_cmpx_ne_u64_e32 0, v[8:9]
	s_xor_b32 s73, exec_lo, s73
; %bb.10443:                            ;   in Loop: Header=BB4_8239 Depth=3
	v_or_b32_e32 v12, 0x7f, v2
                                        ; implicit-def: $vgpr5
; %bb.10444:                            ;   in Loop: Header=BB4_8239 Depth=3
	s_and_not1_saveexec_b32 s73, s73
; %bb.10445:                            ;   in Loop: Header=BB4_8239 Depth=3
	v_cmp_lt_i32_e32 vcc_lo, -1, v5
	v_cndmask_b32_e32 v12, 0xfc, v49, vcc_lo
; %bb.10446:                            ;   in Loop: Header=BB4_8239 Depth=3
	s_or_b32 exec_lo, exec_lo, s73
.LBB4_10447:                            ;   in Loop: Header=BB4_8239 Depth=3
	s_delay_alu instid0(SALU_CYCLE_1)
	s_or_b32 exec_lo, exec_lo, s13
	v_dual_mov_b32 v8, 0 :: v_dual_mov_b32 v9, 0
	s_mov_b32 s73, exec_lo
	v_cmpx_lt_u32_e32 0xffffff, v4
	s_cbranch_execz .LBB4_10457
; %bb.10448:                            ;   in Loop: Header=BB4_8239 Depth=3
	v_lshrrev_b32_e32 v2, 24, v4
	v_bfrev_b32_e32 v9, 1
	s_mov_b32 s74, exec_lo
	s_delay_alu instid0(VALU_DEP_2)
	v_cmpx_ne_u32_e32 0x80, v2
	s_cbranch_execz .LBB4_10456
; %bb.10449:                            ;   in Loop: Header=BB4_8239 Depth=3
	v_and_b32_e32 v5, 0x7c000000, v4
	v_bfe_u32 v13, v4, 24, 2
	s_mov_b32 s13, exec_lo
                                        ; implicit-def: $vgpr9
	s_delay_alu instid0(VALU_DEP_2)
	v_cmpx_ne_u32_e32 0x7c000000, v5
	s_xor_b32 s13, exec_lo, s13
	s_cbranch_execz .LBB4_10453
; %bb.10450:                            ;   in Loop: Header=BB4_8239 Depth=3
	v_bfe_u32 v5, v4, 26, 5
	s_mov_b32 s75, exec_lo
	s_delay_alu instid0(VALU_DEP_1)
	v_cmpx_eq_u32_e32 0, v5
; %bb.10451:                            ;   in Loop: Header=BB4_8239 Depth=3
	v_clz_i32_u32_e32 v5, v13
	s_delay_alu instid0(VALU_DEP_1) | instskip(NEXT) | instid1(VALU_DEP_1)
	v_min_u32_e32 v5, 32, v5
	v_subrev_nc_u32_e32 v9, 29, v5
	s_delay_alu instid0(VALU_DEP_1) | instskip(NEXT) | instid1(VALU_DEP_1)
	v_lshlrev_b64_e32 v[86:87], v9, v[2:3]
	v_dual_sub_nc_u32 v5, 30, v5 :: v_dual_bitop2_b32 v13, 3, v86 bitop3:0x40
; %bb.10452:                            ;   in Loop: Header=BB4_8239 Depth=3
	s_or_b32 exec_lo, exec_lo, s75
	v_and_b32_e32 v2, 0x80000000, v4
	s_delay_alu instid0(VALU_DEP_1) | instskip(NEXT) | instid1(VALU_DEP_1)
	v_lshl_add_u32 v2, v5, 23, v2
                                        ; implicit-def: $vgpr4_vgpr5
	v_lshl_or_b32 v2, v13, 21, v2
                                        ; implicit-def: $vgpr13
	s_delay_alu instid0(VALU_DEP_1)
	v_add_nc_u32_e32 v9, 0x38000000, v2
.LBB4_10453:                            ;   in Loop: Header=BB4_8239 Depth=3
	s_and_not1_saveexec_b32 s75, s13
; %bb.10454:                            ;   in Loop: Header=BB4_8239 Depth=3
	v_cmp_lt_i32_e64 s13, -1, v4
	v_cmp_eq_u32_e32 vcc_lo, 0, v13
	s_delay_alu instid0(VALU_DEP_2) | instskip(NEXT) | instid1(VALU_DEP_1)
	v_cndmask_b32_e64 v2, 0xff800000, v48, s13
	v_cndmask_b32_e32 v9, 0x7f800001, v2, vcc_lo
; %bb.10455:                            ;   in Loop: Header=BB4_8239 Depth=3
	s_or_b32 exec_lo, exec_lo, s75
.LBB4_10456:                            ;   in Loop: Header=BB4_8239 Depth=3
	s_delay_alu instid0(SALU_CYCLE_1)
	s_or_b32 exec_lo, exec_lo, s74
.LBB4_10457:                            ;   in Loop: Header=BB4_8239 Depth=3
	s_delay_alu instid0(SALU_CYCLE_1) | instskip(NEXT) | instid1(SALU_CYCLE_1)
	s_or_b32 exec_lo, exec_lo, s73
	s_mov_b32 s73, exec_lo
	v_cmpx_lt_u64_e64 s[22:23], v[10:11]
	s_cbranch_execz .LBB4_10467
; %bb.10458:                            ;   in Loop: Header=BB4_8239 Depth=3
	v_lshrrev_b32_e32 v2, 24, v11
	v_bfrev_b32_e32 v8, 1
	s_mov_b32 s74, exec_lo
	s_delay_alu instid0(VALU_DEP_2)
	v_cmpx_ne_u32_e32 0x80, v2
	s_cbranch_execz .LBB4_10466
; %bb.10459:                            ;   in Loop: Header=BB4_8239 Depth=3
	v_and_b32_e32 v5, 0x7c000000, v11
	v_bfe_u32 v4, v11, 24, 2
	s_mov_b32 s13, exec_lo
                                        ; implicit-def: $vgpr8
	s_delay_alu instid0(VALU_DEP_2)
	v_cmpx_ne_u32_e32 0x7c000000, v5
	s_xor_b32 s13, exec_lo, s13
	s_cbranch_execz .LBB4_10463
; %bb.10460:                            ;   in Loop: Header=BB4_8239 Depth=3
	v_bfe_u32 v5, v11, 26, 5
	s_mov_b32 s75, exec_lo
	s_delay_alu instid0(VALU_DEP_1)
	v_cmpx_eq_u32_e32 0, v5
; %bb.10461:                            ;   in Loop: Header=BB4_8239 Depth=3
	v_clz_i32_u32_e32 v4, v4
	s_delay_alu instid0(VALU_DEP_1) | instskip(NEXT) | instid1(VALU_DEP_1)
	v_min_u32_e32 v8, 32, v4
	v_subrev_nc_u32_e32 v4, 29, v8
	s_delay_alu instid0(VALU_DEP_1) | instskip(SKIP_1) | instid1(VALU_DEP_2)
	v_lshlrev_b64_e32 v[4:5], v4, v[2:3]
	v_sub_nc_u32_e32 v5, 30, v8
	v_and_b32_e32 v4, 3, v4
; %bb.10462:                            ;   in Loop: Header=BB4_8239 Depth=3
	s_or_b32 exec_lo, exec_lo, s75
	v_and_b32_e32 v2, 0x80000000, v11
                                        ; implicit-def: $vgpr10_vgpr11
	s_delay_alu instid0(VALU_DEP_1) | instskip(NEXT) | instid1(VALU_DEP_1)
	v_lshl_add_u32 v2, v5, 23, v2
	v_lshl_or_b32 v2, v4, 21, v2
                                        ; implicit-def: $vgpr4
	s_delay_alu instid0(VALU_DEP_1)
	v_add_nc_u32_e32 v8, 0x38000000, v2
.LBB4_10463:                            ;   in Loop: Header=BB4_8239 Depth=3
	s_and_not1_saveexec_b32 s75, s13
; %bb.10464:                            ;   in Loop: Header=BB4_8239 Depth=3
	v_cmp_lt_i64_e64 s13, -1, v[10:11]
	v_cmp_eq_u32_e32 vcc_lo, 0, v4
	s_delay_alu instid0(VALU_DEP_2) | instskip(NEXT) | instid1(VALU_DEP_1)
	v_cndmask_b32_e64 v2, 0xff800000, v48, s13
	v_cndmask_b32_e32 v8, 0x7f800001, v2, vcc_lo
; %bb.10465:                            ;   in Loop: Header=BB4_8239 Depth=3
	s_or_b32 exec_lo, exec_lo, s75
.LBB4_10466:                            ;   in Loop: Header=BB4_8239 Depth=3
	s_delay_alu instid0(SALU_CYCLE_1)
	s_or_b32 exec_lo, exec_lo, s74
.LBB4_10467:                            ;   in Loop: Header=BB4_8239 Depth=3
	s_delay_alu instid0(SALU_CYCLE_1) | instskip(NEXT) | instid1(VALU_DEP_1)
	s_or_b32 exec_lo, exec_lo, s73
	v_dual_add_f32 v9, v9, v8 :: v_dual_mov_b32 v11, v3
	v_mov_b32_e32 v5, v3
                                        ; implicit-def: $vgpr8
	s_mov_b32 s13, exec_lo
	s_delay_alu instid0(VALU_DEP_2) | instskip(SKIP_2) | instid1(VALU_DEP_3)
	v_and_b32_e32 v10, 0x7f800000, v9
	v_and_b32_e32 v4, 0x7fffff, v9
	v_lshrrev_b32_e32 v2, 24, v9
	v_cmpx_ne_u64_e32 0x7f800000, v[10:11]
	s_xor_b32 s73, exec_lo, s13
	s_cbranch_execz .LBB4_10481
; %bb.10468:                            ;   in Loop: Header=BB4_8239 Depth=3
	v_and_b32_e32 v10, 0x7fffffff, v9
	v_mov_b32_e32 v11, v3
	v_and_b32_e32 v2, 0x80, v2
                                        ; implicit-def: $vgpr8
	s_mov_b32 s13, exec_lo
	s_delay_alu instid0(VALU_DEP_2)
	v_cmpx_gt_u64_e32 0x47600001, v[10:11]
	s_xor_b32 s74, exec_lo, s13
	s_cbranch_execz .LBB4_10478
; %bb.10469:                            ;   in Loop: Header=BB4_8239 Depth=3
	v_mov_b32_e32 v8, 0
	s_mov_b32 s75, exec_lo
	v_cmpx_ne_u32_e32 0, v9
	s_cbranch_execz .LBB4_10477
; %bb.10470:                            ;   in Loop: Header=BB4_8239 Depth=3
	v_bfe_u32 v10, v9, 23, 8
	v_or_b32_e32 v9, 0x800000, v4
	s_delay_alu instid0(VALU_DEP_2) | instskip(SKIP_2) | instid1(VALU_DEP_2)
	v_cmp_gt_u32_e64 s13, 0x72, v10
	v_sub_nc_u32_e32 v8, 0x71, v10
	v_cmp_eq_u32_e32 vcc_lo, 0, v10
	v_cndmask_b32_e64 v8, 0, v8, s13
	s_delay_alu instid0(VALU_DEP_1) | instskip(NEXT) | instid1(VALU_DEP_1)
	v_cndmask_b32_e64 v11, v8, 0x70, vcc_lo
	v_dual_cndmask_b32 v4, v9, v4, vcc_lo :: v_dual_add_nc_u32 v8, 21, v11
	v_add_nc_u32_e32 v13, 20, v11
	s_delay_alu instid0(VALU_DEP_2) | instskip(NEXT) | instid1(VALU_DEP_2)
	v_lshlrev_b64_e64 v[8:9], v8, -1
	v_lshlrev_b64_e64 v[86:87], v13, 1
	s_delay_alu instid0(VALU_DEP_2) | instskip(SKIP_1) | instid1(VALU_DEP_4)
	v_bfi_b32 v8, v8, 0, v4
	v_lshrrev_b64 v[4:5], v11, v[4:5]
	v_bfi_b32 v9, v9, 0, 0
	s_delay_alu instid0(VALU_DEP_1) | instskip(NEXT) | instid1(VALU_DEP_3)
	v_cmp_eq_u64_e64 s13, v[8:9], v[86:87]
	v_mov_b64_e32 v[8:9], v[4:5]
	s_and_saveexec_b32 s76, s13
; %bb.10471:                            ;   in Loop: Header=BB4_8239 Depth=3
	v_bfe_u32 v8, v4, 21, 1
	v_mov_b32_e32 v9, v3
	s_delay_alu instid0(VALU_DEP_1) | instskip(NEXT) | instid1(VALU_DEP_1)
	v_add_nc_u64_e32 v[8:9], v[4:5], v[8:9]
	v_add_nc_u64_e32 v[8:9], -1, v[8:9]
; %bb.10472:                            ;   in Loop: Header=BB4_8239 Depth=3
	s_or_b32 exec_lo, exec_lo, s76
	v_add_nc_u32_e32 v5, 0xffffff81, v10
	v_lshrrev_b32_e32 v9, 23, v4
	s_mov_b32 s13, exec_lo
	s_delay_alu instid0(VALU_DEP_2) | instskip(NEXT) | instid1(VALU_DEP_1)
	v_cndmask_b32_e64 v5, v5, 0xffffff82, vcc_lo
	v_add3_u32 v10, v11, v5, v9
	v_and_b32_e32 v5, 0x1fffff, v8
                                        ; implicit-def: $vgpr8
	s_delay_alu instid0(VALU_DEP_1) | instskip(SKIP_1) | instid1(VALU_DEP_2)
	v_dual_add_nc_u32 v9, 14, v10 :: v_dual_add_nc_u32 v4, v5, v4
	v_mov_b32_e32 v5, v3
	v_cmpx_ne_u32_e32 0, v9
	s_xor_b32 s13, exec_lo, s13
; %bb.10473:                            ;   in Loop: Header=BB4_8239 Depth=3
	s_delay_alu instid0(VALU_DEP_2) | instskip(SKIP_1) | instid1(VALU_DEP_1)
	v_cmp_lt_u64_e32 vcc_lo, 0xffffff, v[4:5]
	v_add_nc_u32_e32 v8, 15, v10
	v_cndmask_b32_e32 v8, v9, v8, vcc_lo
	v_cndmask_b32_e64 v9, 0, 1, vcc_lo
	s_delay_alu instid0(VALU_DEP_1)
	v_lshrrev_b64 v[4:5], v9, v[4:5]
; %bb.10474:                            ;   in Loop: Header=BB4_8239 Depth=3
	s_and_not1_saveexec_b32 s13, s13
; %bb.10475:                            ;   in Loop: Header=BB4_8239 Depth=3
	s_delay_alu instid0(VALU_DEP_1)
	v_bfe_u32 v8, v4, 23, 1
; %bb.10476:                            ;   in Loop: Header=BB4_8239 Depth=3
	s_or_b32 exec_lo, exec_lo, s13
	s_delay_alu instid0(VALU_DEP_2) | instskip(NEXT) | instid1(VALU_DEP_2)
	v_lshrrev_b64 v[4:5], 21, v[4:5]
	v_cmp_gt_i32_e32 vcc_lo, 32, v8
	v_min_i32_e32 v9, 31, v8
	v_cmp_eq_u32_e64 s13, 0, v8
	s_delay_alu instid0(VALU_DEP_4) | instskip(NEXT) | instid1(VALU_DEP_3)
	v_cndmask_b32_e32 v5, 0, v5, vcc_lo
	v_dual_cndmask_b32 v4, 3, v4 :: v_dual_lshlrev_b32 v9, 2, v9
	s_delay_alu instid0(VALU_DEP_1) | instskip(NEXT) | instid1(VALU_DEP_2)
	v_and_b32_e32 v9, 0xfc, v9
	v_cmp_eq_u64_e32 vcc_lo, 0, v[4:5]
	s_delay_alu instid0(VALU_DEP_2)
	v_and_or_b32 v4, v4, 3, v9
	s_and_b32 s13, s13, vcc_lo
	s_delay_alu instid0(VALU_DEP_1) | instid1(SALU_CYCLE_1)
	v_cndmask_b32_e64 v4, v4, 0, s13
	s_delay_alu instid0(VALU_DEP_1)
	v_or_b32_e32 v8, v4, v2
.LBB4_10477:                            ;   in Loop: Header=BB4_8239 Depth=3
	s_or_b32 exec_lo, exec_lo, s75
                                        ; implicit-def: $vgpr2
.LBB4_10478:                            ;   in Loop: Header=BB4_8239 Depth=3
	s_and_not1_saveexec_b32 s13, s74
; %bb.10479:                            ;   in Loop: Header=BB4_8239 Depth=3
	v_or_b32_e32 v8, 0x7b, v2
; %bb.10480:                            ;   in Loop: Header=BB4_8239 Depth=3
	s_or_b32 exec_lo, exec_lo, s13
                                        ; implicit-def: $vgpr9
                                        ; implicit-def: $vgpr4_vgpr5
                                        ; implicit-def: $vgpr2
.LBB4_10481:                            ;   in Loop: Header=BB4_8239 Depth=3
	s_and_not1_saveexec_b32 s13, s73
	s_cbranch_execz .LBB4_8238
; %bb.10482:                            ;   in Loop: Header=BB4_8239 Depth=3
	s_mov_b32 s73, exec_lo
                                        ; implicit-def: $vgpr8
	v_cmpx_ne_u64_e32 0, v[4:5]
	s_xor_b32 s73, exec_lo, s73
; %bb.10483:                            ;   in Loop: Header=BB4_8239 Depth=3
	v_or_b32_e32 v8, 0x7f, v2
                                        ; implicit-def: $vgpr9
; %bb.10484:                            ;   in Loop: Header=BB4_8239 Depth=3
	s_and_not1_saveexec_b32 s73, s73
	s_cbranch_execz .LBB4_8237
; %bb.10485:                            ;   in Loop: Header=BB4_8239 Depth=3
	v_cmp_lt_i32_e32 vcc_lo, -1, v9
	v_cndmask_b32_e32 v8, 0xfc, v49, vcc_lo
	s_branch .LBB4_8237
.LBB4_10486:                            ;   in Loop: Header=BB4_8155 Depth=2
	s_or_b32 exec_lo, exec_lo, s15
	v_mov_b32_e32 v47, v89
.LBB4_10487:                            ;   in Loop: Header=BB4_8155 Depth=2
	s_or_b32 exec_lo, exec_lo, s14
	v_dual_lshlrev_b32 v30, 10, v21 :: v_dual_mov_b32 v2, 0
	s_mov_b32 s13, 0
	s_mov_b32 s73, exec_lo
                                        ; implicit-def: $vgpr113
                                        ; implicit-def: $vgpr115
	s_delay_alu instid0(VALU_DEP_1)
	v_cmpx_ne_u32_e64 v47, v30
	s_cbranch_execz .LBB4_11559
; %bb.10488:                            ;   in Loop: Header=BB4_8155 Depth=2
	v_dual_lshlrev_b32 v2, 5, v20 :: v_dual_sub_nc_u32 v5, v47, v30
	v_and_b32_e32 v4, 31, v0
	s_mov_b32 s74, exec_lo
	s_delay_alu instid0(VALU_DEP_1) | instskip(NEXT) | instid1(VALU_DEP_1)
	v_dual_ashrrev_i32 v8, 31, v5 :: v_dual_sub_nc_u32 v2, v4, v2
	v_dual_lshrrev_b32 v8, 23, v8 :: v_dual_ashrrev_i32 v4, 31, v2
	s_delay_alu instid0(VALU_DEP_1) | instskip(NEXT) | instid1(VALU_DEP_1)
	v_lshrrev_b32_e32 v4, 27, v4
	v_add_nc_u32_e32 v4, v2, v4
	s_delay_alu instid0(VALU_DEP_1) | instskip(NEXT) | instid1(VALU_DEP_1)
	v_and_b32_e32 v9, 0xffffffe0, v4
	v_dual_sub_nc_u32 v31, v2, v9 :: v_dual_add_nc_u32 v8, v5, v8
	s_delay_alu instid0(VALU_DEP_1) | instskip(NEXT) | instid1(VALU_DEP_2)
	v_lshlrev_b32_e32 v2, 4, v31
	v_and_b32_e32 v50, 0xfffffe00, v8
	s_delay_alu instid0(VALU_DEP_1) | instskip(NEXT) | instid1(VALU_DEP_1)
	v_dual_ashrrev_i32 v4, 5, v4 :: v_dual_sub_nc_u32 v51, v5, v50
	v_lshl_add_u32 v2, v4, 9, v2
	v_ashrrev_i32_e32 v8, 9, v8
	s_delay_alu instid0(VALU_DEP_3) | instskip(NEXT) | instid1(VALU_DEP_3)
	v_cmp_lt_i32_e64 s13, 15, v51
	v_sub_nc_u32_e32 v65, v5, v2
	s_delay_alu instid0(VALU_DEP_2) | instskip(NEXT) | instid1(VALU_DEP_1)
	v_add_co_ci_u32_e64 v8, null, 0, v8, s13
	v_sub_nc_u32_e32 v64, v8, v4
	s_delay_alu instid0(VALU_DEP_3)
	v_cmpx_lt_i32_e32 15, v65
	s_cbranch_execz .LBB4_11558
; %bb.10489:                            ;   in Loop: Header=BB4_8155 Depth=2
	s_trap 2
	scratch_load_b64 v[10:11], off, s33 offset:220 ; 8-byte Folded Reload
	v_dual_mov_b32 v58, v47 :: v_dual_add_nc_u32 v8, v2, v30
	ds_load_b64 v[4:5], v0
	v_ashrrev_i32_e32 v9, 31, v8
	s_delay_alu instid0(VALU_DEP_1)
	v_add_nc_u64_e32 v[44:45], v[8:9], v[42:43]
	s_wait_dscnt 0x0
	v_readfirstlane_b32 s14, v4
	v_readfirstlane_b32 s15, v5
	v_add_nc_u64_e32 v[46:47], v[4:5], v[8:9]
	s_and_b32 s43, s14, 3
	s_bfe_i32 s42, s14, 0x80000
	s_clz_i32_u32 s77, s43
	s_bfe_u32 s75, s14, 0x50002
	s_min_u32 s77, s77, 32
	s_and_b32 s76, s14, 0x7c
	s_sub_co_i32 s88, s77, 29
	s_lshl_b32 s78, s14, 24
	s_sext_i32_i8 s79, s14
	s_lshl_b64 s[14:15], s[14:15], s88
	s_and_b32 s78, s78, 0x80000000
	s_sub_co_i32 s15, 30, s77
	s_and_b32 s14, s14, 3
	s_cmp_gt_i32 s79, -1
	s_cselect_b32 s77, s47, 0xff800000
	s_cmp_eq_u32 s43, 0
	s_cselect_b32 s77, s77, 0x7f800001
	s_cmp_eq_u32 s75, 0
	s_cselect_b32 s15, s15, s75
	s_cselect_b32 s14, s14, s43
	s_lshl_b32 s15, s15, 23
	s_lshl_b32 s14, s14, 21
	s_add_co_i32 s15, s15, s78
	s_mov_b32 s75, 0
	s_or_b32 s14, s15, s14
	s_delay_alu instid0(SALU_CYCLE_1)
	s_add_co_i32 s14, s14, 0x38000000
	s_cmp_eq_u32 s76, 0x7c
	s_cselect_b32 s76, s77, s14
	s_and_b32 s77, s42, 0xff
	s_wait_loadcnt 0x0
	v_add_nc_u64_e32 v[12:13], v[8:9], v[10:11]
	scratch_load_b64 v[10:11], off, s33 offset:228 ; 8-byte Folded Reload
	s_wait_loadcnt 0x0
	v_add_nc_u64_e32 v[14:15], v[8:9], v[10:11]
.LBB4_10490:                            ;   Parent Loop BB4_47 Depth=1
                                        ;     Parent Loop BB4_8155 Depth=2
                                        ; =>    This Loop Header: Depth=3
                                        ;         Child Loop BB4_11531 Depth 4
	s_cmp_lt_i32 s77, 0x80
	s_cbranch_scc1 .LBB4_10494
; %bb.10491:                            ;   in Loop: Header=BB4_10490 Depth=3
	s_and_b32 s14, 0xffff, s77
	s_delay_alu instid0(SALU_CYCLE_1)
	s_cmp_eq_u32 s14, 0x80
	s_mov_b32 s14, -1
	s_cbranch_scc0 .LBB4_10493
; %bb.10492:                            ;   in Loop: Header=BB4_10490 Depth=3
	s_mov_b32 s14, 0
.LBB4_10493:                            ;   in Loop: Header=BB4_10490 Depth=3
	s_brev_b32 s15, 1
	s_branch .LBB4_10496
.LBB4_10494:                            ;   in Loop: Header=BB4_10490 Depth=3
	s_mov_b32 s14, 0
	s_brev_b32 s15, 1
	s_cbranch_execz .LBB4_10496
; %bb.10495:                            ;   in Loop: Header=BB4_10490 Depth=3
	s_and_b32 s14, 0xffff, s77
	s_mov_b32 s15, 0
	s_cmp_lg_u32 s14, 0
	s_cselect_b32 s14, -1, 0
.LBB4_10496:                            ;   in Loop: Header=BB4_10490 Depth=3
	s_delay_alu instid0(SALU_CYCLE_1)
	s_and_not1_b32 vcc_lo, exec_lo, s14
	s_cbranch_vccnz .LBB4_10498
; %bb.10497:                            ;   in Loop: Header=BB4_10490 Depth=3
	s_mov_b32 s15, s76
.LBB4_10498:                            ;   in Loop: Header=BB4_10490 Depth=3
	global_load_b128 v[8:11], v[12:13], off th:TH_LOAD_NT
	s_wait_loadcnt 0x0
	v_and_b32_e32 v2, 0xff, v8
	s_delay_alu instid0(VALU_DEP_1)
	v_cmp_ne_u16_e32 vcc_lo, 0, v2
	v_mov_b32_e32 v2, 0
	s_wait_xcnt 0x0
	s_and_saveexec_b32 s14, vcc_lo
	s_cbranch_execz .LBB4_10508
; %bb.10499:                            ;   in Loop: Header=BB4_10490 Depth=3
	v_bfe_i32 v5, v8, 0, 8
	v_bfrev_b32_e32 v2, 1
	s_mov_b32 s42, exec_lo
	s_delay_alu instid0(VALU_DEP_2)
	v_cmpx_ne_u16_e32 0xff80, v5
	s_cbranch_execz .LBB4_10507
; %bb.10500:                            ;   in Loop: Header=BB4_10490 Depth=3
	v_and_b32_e32 v2, 0x7c, v8
	v_and_b32_e32 v4, 3, v8
	s_delay_alu instid0(VALU_DEP_2) | instskip(SKIP_1) | instid1(SALU_CYCLE_1)
	v_cmp_ne_u32_e32 vcc_lo, 0x7c, v2
                                        ; implicit-def: $vgpr2
	s_and_saveexec_b32 s43, vcc_lo
	s_xor_b32 s43, exec_lo, s43
	s_cbranch_execz .LBB4_10504
; %bb.10501:                            ;   in Loop: Header=BB4_10490 Depth=3
	v_bfe_u32 v2, v8, 2, 5
	s_mov_b32 s78, exec_lo
	s_delay_alu instid0(VALU_DEP_1)
	v_cmpx_eq_u32_e32 0, v2
; %bb.10502:                            ;   in Loop: Header=BB4_10490 Depth=3
	v_clz_i32_u32_e32 v2, v4
	s_delay_alu instid0(VALU_DEP_1) | instskip(NEXT) | instid1(VALU_DEP_1)
	v_min_u32_e32 v2, 32, v2
	v_subrev_nc_u32_e32 v4, 29, v2
	s_delay_alu instid0(VALU_DEP_1) | instskip(NEXT) | instid1(VALU_DEP_1)
	v_lshlrev_b64_e32 v[4:5], v4, v[8:9]
	v_dual_sub_nc_u32 v2, 30, v2 :: v_dual_bitop2_b32 v4, 3, v4 bitop3:0x40
; %bb.10503:                            ;   in Loop: Header=BB4_10490 Depth=3
	s_or_b32 exec_lo, exec_lo, s78
	v_lshlrev_b32_e32 v5, 24, v8
	s_delay_alu instid0(VALU_DEP_1) | instskip(NEXT) | instid1(VALU_DEP_1)
	v_and_b32_e32 v5, 0x80000000, v5
	v_lshl_add_u32 v2, v2, 23, v5
                                        ; implicit-def: $vgpr5
	s_delay_alu instid0(VALU_DEP_1) | instskip(NEXT) | instid1(VALU_DEP_1)
	v_lshl_or_b32 v2, v4, 21, v2
                                        ; implicit-def: $vgpr4
	v_add_nc_u32_e32 v2, 0x38000000, v2
.LBB4_10504:                            ;   in Loop: Header=BB4_10490 Depth=3
	s_and_not1_saveexec_b32 s43, s43
; %bb.10505:                            ;   in Loop: Header=BB4_10490 Depth=3
	v_cmp_lt_i16_e32 vcc_lo, -1, v5
	v_cndmask_b32_e32 v2, 0xff800000, v48, vcc_lo
	v_cmp_eq_u32_e32 vcc_lo, 0, v4
	s_delay_alu instid0(VALU_DEP_2)
	v_cndmask_b32_e32 v2, 0x7f800001, v2, vcc_lo
; %bb.10506:                            ;   in Loop: Header=BB4_10490 Depth=3
	s_or_b32 exec_lo, exec_lo, s43
.LBB4_10507:                            ;   in Loop: Header=BB4_10490 Depth=3
	s_delay_alu instid0(SALU_CYCLE_1)
	s_or_b32 exec_lo, exec_lo, s42
.LBB4_10508:                            ;   in Loop: Header=BB4_10490 Depth=3
	s_delay_alu instid0(SALU_CYCLE_1) | instskip(NEXT) | instid1(VALU_DEP_1)
	s_or_b32 exec_lo, exec_lo, s14
	v_dual_mul_f32 v16, s15, v2 :: v_dual_mov_b32 v19, v3
	v_mov_b32_e32 v5, v3
                                        ; implicit-def: $vgpr21
	s_mov_b32 s14, exec_lo
	s_delay_alu instid0(VALU_DEP_2) | instskip(SKIP_2) | instid1(VALU_DEP_3)
	v_and_b32_e32 v18, 0x7f800000, v16
	v_and_b32_e32 v4, 0x7fffff, v16
	v_lshrrev_b32_e32 v2, 24, v16
	v_cmpx_ne_u64_e32 0x7f800000, v[18:19]
	s_xor_b32 s42, exec_lo, s14
	s_cbranch_execz .LBB4_10522
; %bb.10509:                            ;   in Loop: Header=BB4_10490 Depth=3
	v_and_b32_e32 v18, 0x7fffffff, v16
	v_mov_b32_e32 v19, v3
	v_and_b32_e32 v2, 0x80, v2
                                        ; implicit-def: $vgpr21
	s_mov_b32 s14, exec_lo
	s_delay_alu instid0(VALU_DEP_2)
	v_cmpx_gt_u64_e32 0x47600001, v[18:19]
	s_xor_b32 s43, exec_lo, s14
	s_cbranch_execz .LBB4_10519
; %bb.10510:                            ;   in Loop: Header=BB4_10490 Depth=3
	v_mov_b32_e32 v21, 0
	s_mov_b32 s78, exec_lo
	v_cmpx_ne_u32_e32 0, v16
	s_cbranch_execz .LBB4_10518
; %bb.10511:                            ;   in Loop: Header=BB4_10490 Depth=3
	v_bfe_u32 v18, v16, 23, 8
	v_or_b32_e32 v20, 0x800000, v4
	s_delay_alu instid0(VALU_DEP_2) | instskip(SKIP_1) | instid1(VALU_DEP_2)
	v_sub_nc_u32_e32 v16, 0x71, v18
	v_cmp_gt_u32_e32 vcc_lo, 0x72, v18
	v_cndmask_b32_e32 v16, 0, v16, vcc_lo
	v_cmp_eq_u32_e32 vcc_lo, 0, v18
	s_delay_alu instid0(VALU_DEP_2) | instskip(NEXT) | instid1(VALU_DEP_1)
	v_cndmask_b32_e64 v19, v16, 0x70, vcc_lo
	v_dual_cndmask_b32 v4, v20, v4, vcc_lo :: v_dual_add_nc_u32 v16, 21, v19
	v_add_nc_u32_e32 v21, 20, v19
	s_delay_alu instid0(VALU_DEP_2) | instskip(NEXT) | instid1(VALU_DEP_2)
	v_lshlrev_b64_e64 v[16:17], v16, -1
	v_lshlrev_b64_e64 v[20:21], v21, 1
	s_delay_alu instid0(VALU_DEP_2) | instskip(SKIP_1) | instid1(VALU_DEP_4)
	v_bfi_b32 v16, v16, 0, v4
	v_lshrrev_b64 v[4:5], v19, v[4:5]
	v_bfi_b32 v17, v17, 0, 0
	s_delay_alu instid0(VALU_DEP_1) | instskip(NEXT) | instid1(VALU_DEP_3)
	v_cmp_eq_u64_e64 s14, v[16:17], v[20:21]
	v_mov_b64_e32 v[16:17], v[4:5]
	s_and_saveexec_b32 s79, s14
; %bb.10512:                            ;   in Loop: Header=BB4_10490 Depth=3
	v_bfe_u32 v16, v4, 21, 1
	v_mov_b32_e32 v17, v3
	s_delay_alu instid0(VALU_DEP_1) | instskip(NEXT) | instid1(VALU_DEP_1)
	v_add_nc_u64_e32 v[16:17], v[4:5], v[16:17]
	v_add_nc_u64_e32 v[16:17], -1, v[16:17]
; %bb.10513:                            ;   in Loop: Header=BB4_10490 Depth=3
	s_or_b32 exec_lo, exec_lo, s79
	v_add_nc_u32_e32 v5, 0xffffff81, v18
	v_lshrrev_b32_e32 v17, 23, v4
	s_mov_b32 s14, exec_lo
	s_delay_alu instid0(VALU_DEP_2) | instskip(NEXT) | instid1(VALU_DEP_1)
	v_cndmask_b32_e64 v5, v5, 0xffffff82, vcc_lo
	v_add3_u32 v17, v19, v5, v17
	v_and_b32_e32 v5, 0x1fffff, v16
                                        ; implicit-def: $vgpr16
	s_delay_alu instid0(VALU_DEP_1) | instskip(SKIP_1) | instid1(VALU_DEP_2)
	v_dual_add_nc_u32 v18, 14, v17 :: v_dual_add_nc_u32 v4, v5, v4
	v_mov_b32_e32 v5, v3
	v_cmpx_ne_u32_e32 0, v18
	s_xor_b32 s14, exec_lo, s14
; %bb.10514:                            ;   in Loop: Header=BB4_10490 Depth=3
	s_delay_alu instid0(VALU_DEP_2) | instskip(SKIP_2) | instid1(VALU_DEP_2)
	v_cmp_lt_u64_e32 vcc_lo, 0xffffff, v[4:5]
	v_add_nc_u32_e32 v16, 15, v17
	v_cndmask_b32_e64 v17, 0, 1, vcc_lo
	v_cndmask_b32_e32 v16, v18, v16, vcc_lo
	s_delay_alu instid0(VALU_DEP_2)
	v_lshrrev_b64 v[4:5], v17, v[4:5]
; %bb.10515:                            ;   in Loop: Header=BB4_10490 Depth=3
	s_and_not1_saveexec_b32 s14, s14
; %bb.10516:                            ;   in Loop: Header=BB4_10490 Depth=3
	s_delay_alu instid0(VALU_DEP_1)
	v_bfe_u32 v16, v4, 23, 1
; %bb.10517:                            ;   in Loop: Header=BB4_10490 Depth=3
	s_or_b32 exec_lo, exec_lo, s14
	s_delay_alu instid0(VALU_DEP_2) | instskip(NEXT) | instid1(VALU_DEP_2)
	v_lshrrev_b64 v[4:5], 21, v[4:5]
	v_cmp_gt_i32_e32 vcc_lo, 32, v16
	v_min_i32_e32 v17, 31, v16
	v_cmp_eq_u32_e64 s14, 0, v16
	s_delay_alu instid0(VALU_DEP_4) | instskip(NEXT) | instid1(VALU_DEP_3)
	v_cndmask_b32_e32 v5, 0, v5, vcc_lo
	v_dual_cndmask_b32 v4, 3, v4 :: v_dual_lshlrev_b32 v17, 2, v17
	s_delay_alu instid0(VALU_DEP_1) | instskip(NEXT) | instid1(VALU_DEP_2)
	v_and_b32_e32 v17, 0xfc, v17
	v_cmp_eq_u64_e32 vcc_lo, 0, v[4:5]
	s_delay_alu instid0(VALU_DEP_2)
	v_and_or_b32 v4, v4, 3, v17
	s_and_b32 s14, s14, vcc_lo
	s_delay_alu instid0(VALU_DEP_1) | instid1(SALU_CYCLE_1)
	v_cndmask_b32_e64 v4, v4, 0, s14
	s_delay_alu instid0(VALU_DEP_1)
	v_or_b32_e32 v21, v4, v2
.LBB4_10518:                            ;   in Loop: Header=BB4_10490 Depth=3
	s_or_b32 exec_lo, exec_lo, s78
                                        ; implicit-def: $vgpr2
.LBB4_10519:                            ;   in Loop: Header=BB4_10490 Depth=3
	s_and_not1_saveexec_b32 s14, s43
; %bb.10520:                            ;   in Loop: Header=BB4_10490 Depth=3
	v_or_b32_e32 v21, 0x7b, v2
; %bb.10521:                            ;   in Loop: Header=BB4_10490 Depth=3
	s_or_b32 exec_lo, exec_lo, s14
                                        ; implicit-def: $vgpr16
                                        ; implicit-def: $vgpr4_vgpr5
                                        ; implicit-def: $vgpr2
.LBB4_10522:                            ;   in Loop: Header=BB4_10490 Depth=3
	s_and_not1_saveexec_b32 s14, s42
	s_cbranch_execz .LBB4_10528
; %bb.10523:                            ;   in Loop: Header=BB4_10490 Depth=3
	s_mov_b32 s42, exec_lo
                                        ; implicit-def: $vgpr21
	v_cmpx_ne_u64_e32 0, v[4:5]
	s_xor_b32 s42, exec_lo, s42
; %bb.10524:                            ;   in Loop: Header=BB4_10490 Depth=3
	v_or_b32_e32 v21, 0x7f, v2
                                        ; implicit-def: $vgpr16
; %bb.10525:                            ;   in Loop: Header=BB4_10490 Depth=3
	s_and_not1_saveexec_b32 s42, s42
; %bb.10526:                            ;   in Loop: Header=BB4_10490 Depth=3
	v_cmp_lt_i32_e32 vcc_lo, -1, v16
	v_cndmask_b32_e32 v21, 0xfc, v49, vcc_lo
; %bb.10527:                            ;   in Loop: Header=BB4_10490 Depth=3
	s_or_b32 exec_lo, exec_lo, s42
.LBB4_10528:                            ;   in Loop: Header=BB4_10490 Depth=3
	s_delay_alu instid0(SALU_CYCLE_1) | instskip(SKIP_3) | instid1(VALU_DEP_2)
	s_or_b32 exec_lo, exec_lo, s14
	v_lshrrev_b16 v4, 8, v8
	v_mov_b32_e32 v5, 0
	s_mov_b32 s14, exec_lo
	v_cmpx_ne_u16_e32 0, v4
	s_cbranch_execz .LBB4_10538
; %bb.10529:                            ;   in Loop: Header=BB4_10490 Depth=3
	v_bfrev_b32_e32 v5, 1
	s_mov_b32 s42, exec_lo
	v_cmpx_ne_u16_e32 0x80, v4
	s_cbranch_execz .LBB4_10537
; %bb.10530:                            ;   in Loop: Header=BB4_10490 Depth=3
	v_and_b32_e32 v16, 0xffff, v4
	s_delay_alu instid0(VALU_DEP_1) | instskip(SKIP_1) | instid1(VALU_DEP_2)
	v_and_b32_e32 v5, 0x7c, v16
	v_and_b32_e32 v2, 3, v16
	v_cmp_ne_u32_e32 vcc_lo, 0x7c, v5
                                        ; implicit-def: $vgpr5
	s_and_saveexec_b32 s43, vcc_lo
	s_delay_alu instid0(SALU_CYCLE_1)
	s_xor_b32 s43, exec_lo, s43
	s_cbranch_execz .LBB4_10534
; %bb.10531:                            ;   in Loop: Header=BB4_10490 Depth=3
	v_bfe_u32 v5, v16, 2, 5
	s_mov_b32 s78, exec_lo
	s_delay_alu instid0(VALU_DEP_1)
	v_cmpx_eq_u32_e32 0, v5
; %bb.10532:                            ;   in Loop: Header=BB4_10490 Depth=3
	v_clz_i32_u32_e32 v2, v2
	v_mov_b32_e32 v5, v3
	s_delay_alu instid0(VALU_DEP_2) | instskip(NEXT) | instid1(VALU_DEP_1)
	v_min_u32_e32 v2, 32, v2
	v_subrev_nc_u32_e32 v16, 29, v2
	s_delay_alu instid0(VALU_DEP_1) | instskip(NEXT) | instid1(VALU_DEP_1)
	v_lshlrev_b64_e32 v[4:5], v16, v[4:5]
	v_dual_sub_nc_u32 v5, 30, v2 :: v_dual_bitop2_b32 v2, 3, v4 bitop3:0x40
; %bb.10533:                            ;   in Loop: Header=BB4_10490 Depth=3
	s_or_b32 exec_lo, exec_lo, s78
	v_lshlrev_b32_e32 v4, 16, v8
	s_delay_alu instid0(VALU_DEP_1) | instskip(NEXT) | instid1(VALU_DEP_1)
	v_and_b32_e32 v4, 0x80000000, v4
	v_lshl_add_u32 v4, v5, 23, v4
	s_delay_alu instid0(VALU_DEP_1) | instskip(NEXT) | instid1(VALU_DEP_1)
	v_lshl_or_b32 v2, v2, 21, v4
	v_add_nc_u32_e32 v5, 0x38000000, v2
                                        ; implicit-def: $vgpr2
.LBB4_10534:                            ;   in Loop: Header=BB4_10490 Depth=3
	s_and_not1_saveexec_b32 s43, s43
; %bb.10535:                            ;   in Loop: Header=BB4_10490 Depth=3
	v_cmp_lt_i16_e32 vcc_lo, -1, v8
	v_cndmask_b32_e32 v4, 0xff800000, v48, vcc_lo
	v_cmp_eq_u32_e32 vcc_lo, 0, v2
	s_delay_alu instid0(VALU_DEP_2)
	v_cndmask_b32_e32 v5, 0x7f800001, v4, vcc_lo
; %bb.10536:                            ;   in Loop: Header=BB4_10490 Depth=3
	s_or_b32 exec_lo, exec_lo, s43
.LBB4_10537:                            ;   in Loop: Header=BB4_10490 Depth=3
	s_delay_alu instid0(SALU_CYCLE_1)
	s_or_b32 exec_lo, exec_lo, s42
.LBB4_10538:                            ;   in Loop: Header=BB4_10490 Depth=3
	s_delay_alu instid0(SALU_CYCLE_1) | instskip(NEXT) | instid1(VALU_DEP_1)
	s_or_b32 exec_lo, exec_lo, s14
	v_dual_mul_f32 v16, s15, v5 :: v_dual_mov_b32 v19, v3
	v_mov_b32_e32 v5, v3
                                        ; implicit-def: $vgpr66
	s_mov_b32 s14, exec_lo
	s_delay_alu instid0(VALU_DEP_2) | instskip(SKIP_2) | instid1(VALU_DEP_3)
	v_and_b32_e32 v18, 0x7f800000, v16
	v_and_b32_e32 v4, 0x7fffff, v16
	v_lshrrev_b32_e32 v2, 24, v16
	v_cmpx_ne_u64_e32 0x7f800000, v[18:19]
	s_xor_b32 s42, exec_lo, s14
	s_cbranch_execz .LBB4_10552
; %bb.10539:                            ;   in Loop: Header=BB4_10490 Depth=3
	v_and_b32_e32 v18, 0x7fffffff, v16
	v_mov_b32_e32 v19, v3
	v_and_b32_e32 v2, 0x80, v2
                                        ; implicit-def: $vgpr66
	s_mov_b32 s14, exec_lo
	s_delay_alu instid0(VALU_DEP_2)
	v_cmpx_gt_u64_e32 0x47600001, v[18:19]
	s_xor_b32 s43, exec_lo, s14
	s_cbranch_execz .LBB4_10549
; %bb.10540:                            ;   in Loop: Header=BB4_10490 Depth=3
	v_mov_b32_e32 v66, 0
	s_mov_b32 s78, exec_lo
	v_cmpx_ne_u32_e32 0, v16
	s_cbranch_execz .LBB4_10548
; %bb.10541:                            ;   in Loop: Header=BB4_10490 Depth=3
	v_bfe_u32 v18, v16, 23, 8
	v_or_b32_e32 v20, 0x800000, v4
	s_delay_alu instid0(VALU_DEP_2) | instskip(SKIP_1) | instid1(VALU_DEP_2)
	v_sub_nc_u32_e32 v16, 0x71, v18
	v_cmp_gt_u32_e32 vcc_lo, 0x72, v18
	v_cndmask_b32_e32 v16, 0, v16, vcc_lo
	v_cmp_eq_u32_e32 vcc_lo, 0, v18
	s_delay_alu instid0(VALU_DEP_2) | instskip(NEXT) | instid1(VALU_DEP_1)
	v_cndmask_b32_e64 v19, v16, 0x70, vcc_lo
	v_dual_cndmask_b32 v4, v20, v4, vcc_lo :: v_dual_add_nc_u32 v16, 21, v19
	v_add_nc_u32_e32 v66, 20, v19
	s_delay_alu instid0(VALU_DEP_2) | instskip(NEXT) | instid1(VALU_DEP_2)
	v_lshlrev_b64_e64 v[16:17], v16, -1
	v_lshlrev_b64_e64 v[66:67], v66, 1
	s_delay_alu instid0(VALU_DEP_2) | instskip(SKIP_1) | instid1(VALU_DEP_4)
	v_bfi_b32 v16, v16, 0, v4
	v_lshrrev_b64 v[4:5], v19, v[4:5]
	v_bfi_b32 v17, v17, 0, 0
	s_delay_alu instid0(VALU_DEP_1) | instskip(NEXT) | instid1(VALU_DEP_3)
	v_cmp_eq_u64_e64 s14, v[16:17], v[66:67]
	v_mov_b64_e32 v[16:17], v[4:5]
	s_and_saveexec_b32 s79, s14
; %bb.10542:                            ;   in Loop: Header=BB4_10490 Depth=3
	v_bfe_u32 v16, v4, 21, 1
	v_mov_b32_e32 v17, v3
	s_delay_alu instid0(VALU_DEP_1) | instskip(NEXT) | instid1(VALU_DEP_1)
	v_add_nc_u64_e32 v[16:17], v[4:5], v[16:17]
	v_add_nc_u64_e32 v[16:17], -1, v[16:17]
; %bb.10543:                            ;   in Loop: Header=BB4_10490 Depth=3
	s_or_b32 exec_lo, exec_lo, s79
	v_add_nc_u32_e32 v5, 0xffffff81, v18
	v_lshrrev_b32_e32 v17, 23, v4
	s_mov_b32 s14, exec_lo
	s_delay_alu instid0(VALU_DEP_2) | instskip(NEXT) | instid1(VALU_DEP_1)
	v_cndmask_b32_e64 v5, v5, 0xffffff82, vcc_lo
	v_add3_u32 v17, v19, v5, v17
	v_and_b32_e32 v5, 0x1fffff, v16
                                        ; implicit-def: $vgpr16
	s_delay_alu instid0(VALU_DEP_1) | instskip(SKIP_1) | instid1(VALU_DEP_2)
	v_dual_add_nc_u32 v18, 14, v17 :: v_dual_add_nc_u32 v4, v5, v4
	v_mov_b32_e32 v5, v3
	v_cmpx_ne_u32_e32 0, v18
	s_xor_b32 s14, exec_lo, s14
; %bb.10544:                            ;   in Loop: Header=BB4_10490 Depth=3
	s_delay_alu instid0(VALU_DEP_2) | instskip(SKIP_2) | instid1(VALU_DEP_2)
	v_cmp_lt_u64_e32 vcc_lo, 0xffffff, v[4:5]
	v_add_nc_u32_e32 v16, 15, v17
	v_cndmask_b32_e64 v17, 0, 1, vcc_lo
	v_cndmask_b32_e32 v16, v18, v16, vcc_lo
	s_delay_alu instid0(VALU_DEP_2)
	v_lshrrev_b64 v[4:5], v17, v[4:5]
; %bb.10545:                            ;   in Loop: Header=BB4_10490 Depth=3
	s_and_not1_saveexec_b32 s14, s14
; %bb.10546:                            ;   in Loop: Header=BB4_10490 Depth=3
	s_delay_alu instid0(VALU_DEP_1)
	v_bfe_u32 v16, v4, 23, 1
; %bb.10547:                            ;   in Loop: Header=BB4_10490 Depth=3
	s_or_b32 exec_lo, exec_lo, s14
	s_delay_alu instid0(VALU_DEP_2) | instskip(NEXT) | instid1(VALU_DEP_2)
	v_lshrrev_b64 v[4:5], 21, v[4:5]
	v_cmp_gt_i32_e32 vcc_lo, 32, v16
	v_min_i32_e32 v17, 31, v16
	v_cmp_eq_u32_e64 s14, 0, v16
	s_delay_alu instid0(VALU_DEP_4) | instskip(NEXT) | instid1(VALU_DEP_3)
	v_cndmask_b32_e32 v5, 0, v5, vcc_lo
	v_dual_cndmask_b32 v4, 3, v4 :: v_dual_lshlrev_b32 v17, 2, v17
	s_delay_alu instid0(VALU_DEP_1) | instskip(NEXT) | instid1(VALU_DEP_2)
	v_and_b32_e32 v17, 0xfc, v17
	v_cmp_eq_u64_e32 vcc_lo, 0, v[4:5]
	s_delay_alu instid0(VALU_DEP_2)
	v_and_or_b32 v4, v4, 3, v17
	s_and_b32 s14, s14, vcc_lo
	s_delay_alu instid0(VALU_DEP_1) | instid1(SALU_CYCLE_1)
	v_cndmask_b32_e64 v4, v4, 0, s14
	s_delay_alu instid0(VALU_DEP_1)
	v_or_b32_e32 v66, v4, v2
.LBB4_10548:                            ;   in Loop: Header=BB4_10490 Depth=3
	s_or_b32 exec_lo, exec_lo, s78
                                        ; implicit-def: $vgpr2
.LBB4_10549:                            ;   in Loop: Header=BB4_10490 Depth=3
	s_and_not1_saveexec_b32 s14, s43
; %bb.10550:                            ;   in Loop: Header=BB4_10490 Depth=3
	v_or_b32_e32 v66, 0x7b, v2
; %bb.10551:                            ;   in Loop: Header=BB4_10490 Depth=3
	s_or_b32 exec_lo, exec_lo, s14
                                        ; implicit-def: $vgpr16
                                        ; implicit-def: $vgpr4_vgpr5
                                        ; implicit-def: $vgpr2
.LBB4_10552:                            ;   in Loop: Header=BB4_10490 Depth=3
	s_and_not1_saveexec_b32 s14, s42
	s_cbranch_execz .LBB4_10558
; %bb.10553:                            ;   in Loop: Header=BB4_10490 Depth=3
	s_mov_b32 s42, exec_lo
                                        ; implicit-def: $vgpr66
	v_cmpx_ne_u64_e32 0, v[4:5]
	s_xor_b32 s42, exec_lo, s42
; %bb.10554:                            ;   in Loop: Header=BB4_10490 Depth=3
	v_or_b32_e32 v66, 0x7f, v2
                                        ; implicit-def: $vgpr16
; %bb.10555:                            ;   in Loop: Header=BB4_10490 Depth=3
	s_and_not1_saveexec_b32 s42, s42
; %bb.10556:                            ;   in Loop: Header=BB4_10490 Depth=3
	v_cmp_lt_i32_e32 vcc_lo, -1, v16
	v_cndmask_b32_e32 v66, 0xfc, v49, vcc_lo
; %bb.10557:                            ;   in Loop: Header=BB4_10490 Depth=3
	s_or_b32 exec_lo, exec_lo, s42
.LBB4_10558:                            ;   in Loop: Header=BB4_10490 Depth=3
	s_delay_alu instid0(SALU_CYCLE_1) | instskip(SKIP_2) | instid1(VALU_DEP_1)
	s_or_b32 exec_lo, exec_lo, s14
	v_dual_lshrrev_b32 v2, 16, v8 :: v_dual_mov_b32 v4, 0
	s_mov_b32 s14, exec_lo
	v_and_b32_e32 v5, 0xff, v2
	s_delay_alu instid0(VALU_DEP_1)
	v_cmpx_ne_u16_e32 0, v5
	s_cbranch_execz .LBB4_10568
; %bb.10559:                            ;   in Loop: Header=BB4_10490 Depth=3
	v_bfrev_b32_e32 v4, 1
	s_mov_b32 s42, exec_lo
	v_cmpx_ne_u16_e32 0x80, v5
	s_cbranch_execz .LBB4_10567
; %bb.10560:                            ;   in Loop: Header=BB4_10490 Depth=3
	v_and_b32_e32 v4, 0x7c0000, v8
	v_bfe_u32 v5, v8, 16, 2
	s_delay_alu instid0(VALU_DEP_2) | instskip(SKIP_1) | instid1(SALU_CYCLE_1)
	v_cmp_ne_u32_e32 vcc_lo, 0x7c0000, v4
                                        ; implicit-def: $vgpr4
	s_and_saveexec_b32 s43, vcc_lo
	s_xor_b32 s43, exec_lo, s43
	s_cbranch_execz .LBB4_10564
; %bb.10561:                            ;   in Loop: Header=BB4_10490 Depth=3
	v_bfe_u32 v4, v8, 18, 5
	s_mov_b32 s78, exec_lo
	s_delay_alu instid0(VALU_DEP_1)
	v_cmpx_eq_u32_e32 0, v4
; %bb.10562:                            ;   in Loop: Header=BB4_10490 Depth=3
	v_clz_i32_u32_e32 v4, v5
	s_delay_alu instid0(VALU_DEP_1) | instskip(NEXT) | instid1(VALU_DEP_1)
	v_min_u32_e32 v4, 32, v4
	v_subrev_nc_u32_e32 v5, 29, v4
	v_sub_nc_u32_e32 v4, 30, v4
	s_delay_alu instid0(VALU_DEP_2) | instskip(NEXT) | instid1(VALU_DEP_1)
	v_lshlrev_b64_e32 v[16:17], v5, v[2:3]
	v_and_b32_e32 v5, 3, v16
; %bb.10563:                            ;   in Loop: Header=BB4_10490 Depth=3
	s_or_b32 exec_lo, exec_lo, s78
	v_lshlrev_b32_e32 v2, 24, v2
	s_delay_alu instid0(VALU_DEP_1) | instskip(NEXT) | instid1(VALU_DEP_1)
	v_and_b32_e32 v2, 0x80000000, v2
	v_lshl_add_u32 v2, v4, 23, v2
	s_delay_alu instid0(VALU_DEP_1) | instskip(NEXT) | instid1(VALU_DEP_1)
	v_lshl_or_b32 v2, v5, 21, v2
                                        ; implicit-def: $vgpr5
	v_add_nc_u32_e32 v4, 0x38000000, v2
                                        ; implicit-def: $vgpr2
.LBB4_10564:                            ;   in Loop: Header=BB4_10490 Depth=3
	s_and_not1_saveexec_b32 s43, s43
; %bb.10565:                            ;   in Loop: Header=BB4_10490 Depth=3
	v_bfe_i32 v2, v2, 0, 8
	s_delay_alu instid0(VALU_DEP_1) | instskip(SKIP_2) | instid1(VALU_DEP_2)
	v_cmp_lt_i16_e32 vcc_lo, -1, v2
	v_cndmask_b32_e32 v2, 0xff800000, v48, vcc_lo
	v_cmp_eq_u32_e32 vcc_lo, 0, v5
	v_cndmask_b32_e32 v4, 0x7f800001, v2, vcc_lo
; %bb.10566:                            ;   in Loop: Header=BB4_10490 Depth=3
	s_or_b32 exec_lo, exec_lo, s43
.LBB4_10567:                            ;   in Loop: Header=BB4_10490 Depth=3
	s_delay_alu instid0(SALU_CYCLE_1)
	s_or_b32 exec_lo, exec_lo, s42
.LBB4_10568:                            ;   in Loop: Header=BB4_10490 Depth=3
	s_delay_alu instid0(SALU_CYCLE_1) | instskip(NEXT) | instid1(VALU_DEP_1)
	s_or_b32 exec_lo, exec_lo, s14
	v_dual_mul_f32 v16, s15, v4 :: v_dual_mov_b32 v19, v3
	v_mov_b32_e32 v5, v3
                                        ; implicit-def: $vgpr100
	s_mov_b32 s14, exec_lo
	s_delay_alu instid0(VALU_DEP_2) | instskip(SKIP_2) | instid1(VALU_DEP_3)
	v_and_b32_e32 v18, 0x7f800000, v16
	v_and_b32_e32 v4, 0x7fffff, v16
	v_lshrrev_b32_e32 v2, 24, v16
	v_cmpx_ne_u64_e32 0x7f800000, v[18:19]
	s_xor_b32 s42, exec_lo, s14
	s_cbranch_execz .LBB4_10582
; %bb.10569:                            ;   in Loop: Header=BB4_10490 Depth=3
	v_and_b32_e32 v18, 0x7fffffff, v16
	v_mov_b32_e32 v19, v3
	v_and_b32_e32 v2, 0x80, v2
                                        ; implicit-def: $vgpr100
	s_mov_b32 s14, exec_lo
	s_delay_alu instid0(VALU_DEP_2)
	v_cmpx_gt_u64_e32 0x47600001, v[18:19]
	s_xor_b32 s43, exec_lo, s14
	s_cbranch_execz .LBB4_10579
; %bb.10570:                            ;   in Loop: Header=BB4_10490 Depth=3
	v_mov_b32_e32 v100, 0
	s_mov_b32 s78, exec_lo
	v_cmpx_ne_u32_e32 0, v16
	s_cbranch_execz .LBB4_10578
; %bb.10571:                            ;   in Loop: Header=BB4_10490 Depth=3
	v_bfe_u32 v18, v16, 23, 8
	v_or_b32_e32 v20, 0x800000, v4
	s_delay_alu instid0(VALU_DEP_2) | instskip(SKIP_1) | instid1(VALU_DEP_2)
	v_sub_nc_u32_e32 v16, 0x71, v18
	v_cmp_gt_u32_e32 vcc_lo, 0x72, v18
	v_cndmask_b32_e32 v16, 0, v16, vcc_lo
	v_cmp_eq_u32_e32 vcc_lo, 0, v18
	s_delay_alu instid0(VALU_DEP_2) | instskip(NEXT) | instid1(VALU_DEP_1)
	v_cndmask_b32_e64 v19, v16, 0x70, vcc_lo
	v_dual_cndmask_b32 v4, v20, v4, vcc_lo :: v_dual_add_nc_u32 v16, 21, v19
	v_add_nc_u32_e32 v67, 20, v19
	s_delay_alu instid0(VALU_DEP_2) | instskip(NEXT) | instid1(VALU_DEP_2)
	v_lshlrev_b64_e64 v[16:17], v16, -1
	v_lshlrev_b64_e64 v[86:87], v67, 1
	s_delay_alu instid0(VALU_DEP_2) | instskip(SKIP_1) | instid1(VALU_DEP_4)
	v_bfi_b32 v16, v16, 0, v4
	v_lshrrev_b64 v[4:5], v19, v[4:5]
	v_bfi_b32 v17, v17, 0, 0
	s_delay_alu instid0(VALU_DEP_1) | instskip(NEXT) | instid1(VALU_DEP_3)
	v_cmp_eq_u64_e64 s14, v[16:17], v[86:87]
	v_mov_b64_e32 v[16:17], v[4:5]
	s_and_saveexec_b32 s79, s14
; %bb.10572:                            ;   in Loop: Header=BB4_10490 Depth=3
	v_bfe_u32 v16, v4, 21, 1
	v_mov_b32_e32 v17, v3
	s_delay_alu instid0(VALU_DEP_1) | instskip(NEXT) | instid1(VALU_DEP_1)
	v_add_nc_u64_e32 v[16:17], v[4:5], v[16:17]
	v_add_nc_u64_e32 v[16:17], -1, v[16:17]
; %bb.10573:                            ;   in Loop: Header=BB4_10490 Depth=3
	s_or_b32 exec_lo, exec_lo, s79
	v_add_nc_u32_e32 v5, 0xffffff81, v18
	v_lshrrev_b32_e32 v17, 23, v4
	s_mov_b32 s14, exec_lo
	s_delay_alu instid0(VALU_DEP_2) | instskip(NEXT) | instid1(VALU_DEP_1)
	v_cndmask_b32_e64 v5, v5, 0xffffff82, vcc_lo
	v_add3_u32 v17, v19, v5, v17
	v_and_b32_e32 v5, 0x1fffff, v16
                                        ; implicit-def: $vgpr16
	s_delay_alu instid0(VALU_DEP_1) | instskip(SKIP_1) | instid1(VALU_DEP_2)
	v_dual_add_nc_u32 v18, 14, v17 :: v_dual_add_nc_u32 v4, v5, v4
	v_mov_b32_e32 v5, v3
	v_cmpx_ne_u32_e32 0, v18
	s_xor_b32 s14, exec_lo, s14
; %bb.10574:                            ;   in Loop: Header=BB4_10490 Depth=3
	s_delay_alu instid0(VALU_DEP_2) | instskip(SKIP_2) | instid1(VALU_DEP_2)
	v_cmp_lt_u64_e32 vcc_lo, 0xffffff, v[4:5]
	v_add_nc_u32_e32 v16, 15, v17
	v_cndmask_b32_e64 v17, 0, 1, vcc_lo
	v_cndmask_b32_e32 v16, v18, v16, vcc_lo
	s_delay_alu instid0(VALU_DEP_2)
	v_lshrrev_b64 v[4:5], v17, v[4:5]
; %bb.10575:                            ;   in Loop: Header=BB4_10490 Depth=3
	s_and_not1_saveexec_b32 s14, s14
; %bb.10576:                            ;   in Loop: Header=BB4_10490 Depth=3
	s_delay_alu instid0(VALU_DEP_1)
	v_bfe_u32 v16, v4, 23, 1
; %bb.10577:                            ;   in Loop: Header=BB4_10490 Depth=3
	s_or_b32 exec_lo, exec_lo, s14
	s_delay_alu instid0(VALU_DEP_2) | instskip(NEXT) | instid1(VALU_DEP_2)
	v_lshrrev_b64 v[4:5], 21, v[4:5]
	v_cmp_gt_i32_e32 vcc_lo, 32, v16
	v_min_i32_e32 v17, 31, v16
	v_cmp_eq_u32_e64 s14, 0, v16
	s_delay_alu instid0(VALU_DEP_4) | instskip(NEXT) | instid1(VALU_DEP_3)
	v_cndmask_b32_e32 v5, 0, v5, vcc_lo
	v_dual_cndmask_b32 v4, 3, v4 :: v_dual_lshlrev_b32 v17, 2, v17
	s_delay_alu instid0(VALU_DEP_1) | instskip(NEXT) | instid1(VALU_DEP_2)
	v_and_b32_e32 v17, 0xfc, v17
	v_cmp_eq_u64_e32 vcc_lo, 0, v[4:5]
	s_delay_alu instid0(VALU_DEP_2)
	v_and_or_b32 v4, v4, 3, v17
	s_and_b32 s14, s14, vcc_lo
	s_delay_alu instid0(VALU_DEP_1) | instid1(SALU_CYCLE_1)
	v_cndmask_b32_e64 v4, v4, 0, s14
	s_delay_alu instid0(VALU_DEP_1)
	v_or_b32_e32 v100, v4, v2
.LBB4_10578:                            ;   in Loop: Header=BB4_10490 Depth=3
	s_or_b32 exec_lo, exec_lo, s78
                                        ; implicit-def: $vgpr2
.LBB4_10579:                            ;   in Loop: Header=BB4_10490 Depth=3
	s_and_not1_saveexec_b32 s14, s43
; %bb.10580:                            ;   in Loop: Header=BB4_10490 Depth=3
	v_or_b32_e32 v100, 0x7b, v2
; %bb.10581:                            ;   in Loop: Header=BB4_10490 Depth=3
	s_or_b32 exec_lo, exec_lo, s14
                                        ; implicit-def: $vgpr16
                                        ; implicit-def: $vgpr4_vgpr5
                                        ; implicit-def: $vgpr2
.LBB4_10582:                            ;   in Loop: Header=BB4_10490 Depth=3
	s_and_not1_saveexec_b32 s14, s42
	s_cbranch_execz .LBB4_10588
; %bb.10583:                            ;   in Loop: Header=BB4_10490 Depth=3
	s_mov_b32 s42, exec_lo
                                        ; implicit-def: $vgpr100
	v_cmpx_ne_u64_e32 0, v[4:5]
	s_xor_b32 s42, exec_lo, s42
; %bb.10584:                            ;   in Loop: Header=BB4_10490 Depth=3
	v_or_b32_e32 v100, 0x7f, v2
                                        ; implicit-def: $vgpr16
; %bb.10585:                            ;   in Loop: Header=BB4_10490 Depth=3
	s_and_not1_saveexec_b32 s42, s42
; %bb.10586:                            ;   in Loop: Header=BB4_10490 Depth=3
	v_cmp_lt_i32_e32 vcc_lo, -1, v16
	v_cndmask_b32_e32 v100, 0xfc, v49, vcc_lo
; %bb.10587:                            ;   in Loop: Header=BB4_10490 Depth=3
	s_or_b32 exec_lo, exec_lo, s42
.LBB4_10588:                            ;   in Loop: Header=BB4_10490 Depth=3
	s_delay_alu instid0(SALU_CYCLE_1)
	s_or_b32 exec_lo, exec_lo, s14
	v_mov_b32_e32 v4, 0
	s_mov_b32 s14, exec_lo
	v_cmpx_lt_u32_e32 0xffffff, v8
	s_cbranch_execz .LBB4_10598
; %bb.10589:                            ;   in Loop: Header=BB4_10490 Depth=3
	v_lshrrev_b32_e32 v2, 24, v8
	v_bfrev_b32_e32 v4, 1
	s_mov_b32 s42, exec_lo
	s_delay_alu instid0(VALU_DEP_2)
	v_cmpx_ne_u32_e32 0x80, v2
	s_cbranch_execz .LBB4_10597
; %bb.10590:                            ;   in Loop: Header=BB4_10490 Depth=3
	v_and_b32_e32 v4, 0x7c000000, v8
	v_bfe_u32 v5, v8, 24, 2
	s_delay_alu instid0(VALU_DEP_2) | instskip(SKIP_1) | instid1(SALU_CYCLE_1)
	v_cmp_ne_u32_e32 vcc_lo, 0x7c000000, v4
                                        ; implicit-def: $vgpr4
	s_and_saveexec_b32 s43, vcc_lo
	s_xor_b32 s43, exec_lo, s43
	s_cbranch_execz .LBB4_10594
; %bb.10591:                            ;   in Loop: Header=BB4_10490 Depth=3
	v_bfe_u32 v4, v8, 26, 5
	s_mov_b32 s78, exec_lo
	s_delay_alu instid0(VALU_DEP_1)
	v_cmpx_eq_u32_e32 0, v4
; %bb.10592:                            ;   in Loop: Header=BB4_10490 Depth=3
	v_clz_i32_u32_e32 v4, v5
	s_delay_alu instid0(VALU_DEP_1) | instskip(NEXT) | instid1(VALU_DEP_1)
	v_min_u32_e32 v4, 32, v4
	v_subrev_nc_u32_e32 v5, 29, v4
	v_sub_nc_u32_e32 v4, 30, v4
	s_delay_alu instid0(VALU_DEP_2) | instskip(NEXT) | instid1(VALU_DEP_1)
	v_lshlrev_b64_e32 v[16:17], v5, v[2:3]
	v_and_b32_e32 v5, 3, v16
; %bb.10593:                            ;   in Loop: Header=BB4_10490 Depth=3
	s_or_b32 exec_lo, exec_lo, s78
	v_and_b32_e32 v2, 0x80000000, v8
	s_delay_alu instid0(VALU_DEP_1) | instskip(NEXT) | instid1(VALU_DEP_1)
	v_lshl_add_u32 v2, v4, 23, v2
	v_lshl_or_b32 v2, v5, 21, v2
                                        ; implicit-def: $vgpr5
	s_delay_alu instid0(VALU_DEP_1)
	v_add_nc_u32_e32 v4, 0x38000000, v2
.LBB4_10594:                            ;   in Loop: Header=BB4_10490 Depth=3
	s_and_not1_saveexec_b32 s43, s43
; %bb.10595:                            ;   in Loop: Header=BB4_10490 Depth=3
	v_cmp_lt_i32_e32 vcc_lo, -1, v8
	v_cndmask_b32_e32 v2, 0xff800000, v48, vcc_lo
	v_cmp_eq_u32_e32 vcc_lo, 0, v5
	s_delay_alu instid0(VALU_DEP_2)
	v_cndmask_b32_e32 v4, 0x7f800001, v2, vcc_lo
; %bb.10596:                            ;   in Loop: Header=BB4_10490 Depth=3
	s_or_b32 exec_lo, exec_lo, s43
.LBB4_10597:                            ;   in Loop: Header=BB4_10490 Depth=3
	s_delay_alu instid0(SALU_CYCLE_1)
	s_or_b32 exec_lo, exec_lo, s42
.LBB4_10598:                            ;   in Loop: Header=BB4_10490 Depth=3
	s_delay_alu instid0(SALU_CYCLE_1) | instskip(NEXT) | instid1(VALU_DEP_1)
	s_or_b32 exec_lo, exec_lo, s14
	v_dual_mul_f32 v16, s15, v4 :: v_dual_mov_b32 v19, v3
	v_mov_b32_e32 v5, v3
                                        ; implicit-def: $vgpr113
	s_mov_b32 s14, exec_lo
	s_delay_alu instid0(VALU_DEP_2) | instskip(SKIP_2) | instid1(VALU_DEP_3)
	v_and_b32_e32 v18, 0x7f800000, v16
	v_and_b32_e32 v4, 0x7fffff, v16
	v_lshrrev_b32_e32 v2, 24, v16
	v_cmpx_ne_u64_e32 0x7f800000, v[18:19]
	s_xor_b32 s42, exec_lo, s14
	s_cbranch_execz .LBB4_10612
; %bb.10599:                            ;   in Loop: Header=BB4_10490 Depth=3
	v_and_b32_e32 v18, 0x7fffffff, v16
	v_mov_b32_e32 v19, v3
	v_and_b32_e32 v2, 0x80, v2
                                        ; implicit-def: $vgpr113
	s_mov_b32 s14, exec_lo
	s_delay_alu instid0(VALU_DEP_2)
	v_cmpx_gt_u64_e32 0x47600001, v[18:19]
	s_xor_b32 s43, exec_lo, s14
	s_cbranch_execz .LBB4_10609
; %bb.10600:                            ;   in Loop: Header=BB4_10490 Depth=3
	v_mov_b32_e32 v113, 0
	s_mov_b32 s78, exec_lo
	v_cmpx_ne_u32_e32 0, v16
	s_cbranch_execz .LBB4_10608
; %bb.10601:                            ;   in Loop: Header=BB4_10490 Depth=3
	v_bfe_u32 v18, v16, 23, 8
	v_or_b32_e32 v20, 0x800000, v4
	s_delay_alu instid0(VALU_DEP_2) | instskip(SKIP_1) | instid1(VALU_DEP_2)
	v_sub_nc_u32_e32 v16, 0x71, v18
	v_cmp_gt_u32_e32 vcc_lo, 0x72, v18
	v_cndmask_b32_e32 v16, 0, v16, vcc_lo
	v_cmp_eq_u32_e32 vcc_lo, 0, v18
	s_delay_alu instid0(VALU_DEP_2) | instskip(NEXT) | instid1(VALU_DEP_1)
	v_cndmask_b32_e64 v19, v16, 0x70, vcc_lo
	v_dual_cndmask_b32 v4, v20, v4, vcc_lo :: v_dual_add_nc_u32 v16, 21, v19
	v_add_nc_u32_e32 v67, 20, v19
	s_delay_alu instid0(VALU_DEP_2) | instskip(NEXT) | instid1(VALU_DEP_2)
	v_lshlrev_b64_e64 v[16:17], v16, -1
	v_lshlrev_b64_e64 v[86:87], v67, 1
	s_delay_alu instid0(VALU_DEP_2) | instskip(SKIP_1) | instid1(VALU_DEP_4)
	v_bfi_b32 v16, v16, 0, v4
	v_lshrrev_b64 v[4:5], v19, v[4:5]
	v_bfi_b32 v17, v17, 0, 0
	s_delay_alu instid0(VALU_DEP_1) | instskip(NEXT) | instid1(VALU_DEP_3)
	v_cmp_eq_u64_e64 s14, v[16:17], v[86:87]
	v_mov_b64_e32 v[16:17], v[4:5]
	s_and_saveexec_b32 s79, s14
; %bb.10602:                            ;   in Loop: Header=BB4_10490 Depth=3
	v_bfe_u32 v16, v4, 21, 1
	v_mov_b32_e32 v17, v3
	s_delay_alu instid0(VALU_DEP_1) | instskip(NEXT) | instid1(VALU_DEP_1)
	v_add_nc_u64_e32 v[16:17], v[4:5], v[16:17]
	v_add_nc_u64_e32 v[16:17], -1, v[16:17]
; %bb.10603:                            ;   in Loop: Header=BB4_10490 Depth=3
	s_or_b32 exec_lo, exec_lo, s79
	v_add_nc_u32_e32 v5, 0xffffff81, v18
	v_lshrrev_b32_e32 v17, 23, v4
	s_mov_b32 s14, exec_lo
	s_delay_alu instid0(VALU_DEP_2) | instskip(NEXT) | instid1(VALU_DEP_1)
	v_cndmask_b32_e64 v5, v5, 0xffffff82, vcc_lo
	v_add3_u32 v17, v19, v5, v17
	v_and_b32_e32 v5, 0x1fffff, v16
                                        ; implicit-def: $vgpr16
	s_delay_alu instid0(VALU_DEP_1) | instskip(SKIP_1) | instid1(VALU_DEP_2)
	v_dual_add_nc_u32 v18, 14, v17 :: v_dual_add_nc_u32 v4, v5, v4
	v_mov_b32_e32 v5, v3
	v_cmpx_ne_u32_e32 0, v18
	s_xor_b32 s14, exec_lo, s14
; %bb.10604:                            ;   in Loop: Header=BB4_10490 Depth=3
	s_delay_alu instid0(VALU_DEP_2) | instskip(SKIP_2) | instid1(VALU_DEP_2)
	v_cmp_lt_u64_e32 vcc_lo, 0xffffff, v[4:5]
	v_add_nc_u32_e32 v16, 15, v17
	v_cndmask_b32_e64 v17, 0, 1, vcc_lo
	v_cndmask_b32_e32 v16, v18, v16, vcc_lo
	s_delay_alu instid0(VALU_DEP_2)
	v_lshrrev_b64 v[4:5], v17, v[4:5]
; %bb.10605:                            ;   in Loop: Header=BB4_10490 Depth=3
	s_and_not1_saveexec_b32 s14, s14
; %bb.10606:                            ;   in Loop: Header=BB4_10490 Depth=3
	s_delay_alu instid0(VALU_DEP_1)
	v_bfe_u32 v16, v4, 23, 1
; %bb.10607:                            ;   in Loop: Header=BB4_10490 Depth=3
	s_or_b32 exec_lo, exec_lo, s14
	s_delay_alu instid0(VALU_DEP_2) | instskip(NEXT) | instid1(VALU_DEP_2)
	v_lshrrev_b64 v[4:5], 21, v[4:5]
	v_cmp_gt_i32_e32 vcc_lo, 32, v16
	v_min_i32_e32 v17, 31, v16
	v_cmp_eq_u32_e64 s14, 0, v16
	s_delay_alu instid0(VALU_DEP_4) | instskip(NEXT) | instid1(VALU_DEP_3)
	v_cndmask_b32_e32 v5, 0, v5, vcc_lo
	v_dual_cndmask_b32 v4, 3, v4 :: v_dual_lshlrev_b32 v17, 2, v17
	s_delay_alu instid0(VALU_DEP_1) | instskip(NEXT) | instid1(VALU_DEP_2)
	v_and_b32_e32 v17, 0xfc, v17
	v_cmp_eq_u64_e32 vcc_lo, 0, v[4:5]
	s_delay_alu instid0(VALU_DEP_2)
	v_and_or_b32 v4, v4, 3, v17
	s_and_b32 s14, s14, vcc_lo
	s_delay_alu instid0(VALU_DEP_1) | instid1(SALU_CYCLE_1)
	v_cndmask_b32_e64 v4, v4, 0, s14
	s_delay_alu instid0(VALU_DEP_1)
	v_or_b32_e32 v113, v4, v2
.LBB4_10608:                            ;   in Loop: Header=BB4_10490 Depth=3
	s_or_b32 exec_lo, exec_lo, s78
                                        ; implicit-def: $vgpr2
.LBB4_10609:                            ;   in Loop: Header=BB4_10490 Depth=3
	s_and_not1_saveexec_b32 s14, s43
; %bb.10610:                            ;   in Loop: Header=BB4_10490 Depth=3
	v_or_b32_e32 v113, 0x7b, v2
; %bb.10611:                            ;   in Loop: Header=BB4_10490 Depth=3
	s_or_b32 exec_lo, exec_lo, s14
                                        ; implicit-def: $vgpr16
                                        ; implicit-def: $vgpr4_vgpr5
                                        ; implicit-def: $vgpr2
.LBB4_10612:                            ;   in Loop: Header=BB4_10490 Depth=3
	s_and_not1_saveexec_b32 s14, s42
	s_cbranch_execz .LBB4_10618
; %bb.10613:                            ;   in Loop: Header=BB4_10490 Depth=3
	s_mov_b32 s42, exec_lo
                                        ; implicit-def: $vgpr113
	v_cmpx_ne_u64_e32 0, v[4:5]
	s_xor_b32 s42, exec_lo, s42
; %bb.10614:                            ;   in Loop: Header=BB4_10490 Depth=3
	v_or_b32_e32 v113, 0x7f, v2
                                        ; implicit-def: $vgpr16
; %bb.10615:                            ;   in Loop: Header=BB4_10490 Depth=3
	s_and_not1_saveexec_b32 s42, s42
; %bb.10616:                            ;   in Loop: Header=BB4_10490 Depth=3
	v_cmp_lt_i32_e32 vcc_lo, -1, v16
	v_cndmask_b32_e32 v113, 0xfc, v49, vcc_lo
; %bb.10617:                            ;   in Loop: Header=BB4_10490 Depth=3
	s_or_b32 exec_lo, exec_lo, s42
.LBB4_10618:                            ;   in Loop: Header=BB4_10490 Depth=3
	s_delay_alu instid0(SALU_CYCLE_1) | instskip(SKIP_4) | instid1(VALU_DEP_3)
	s_or_b32 exec_lo, exec_lo, s14
	v_and_b32_e32 v16, 0xff, v9
	v_dual_mov_b32 v4, v9 :: v_dual_mov_b32 v5, v3
	v_mov_b32_e32 v2, 0
	s_mov_b32 s14, exec_lo
	v_cmpx_ne_u16_e32 0, v16
	s_cbranch_execz .LBB4_10628
; %bb.10619:                            ;   in Loop: Header=BB4_10490 Depth=3
	v_bfrev_b32_e32 v2, 1
	s_mov_b32 s42, exec_lo
	v_cmpx_ne_u16_e32 0x80, v16
	s_cbranch_execz .LBB4_10627
; %bb.10620:                            ;   in Loop: Header=BB4_10490 Depth=3
	v_and_b32_e32 v2, 0x7c, v9
	v_and_b32_e32 v16, 3, v9
	s_delay_alu instid0(VALU_DEP_2) | instskip(SKIP_1) | instid1(SALU_CYCLE_1)
	v_cmp_ne_u32_e32 vcc_lo, 0x7c, v2
                                        ; implicit-def: $vgpr2
	s_and_saveexec_b32 s43, vcc_lo
	s_xor_b32 s43, exec_lo, s43
	s_cbranch_execz .LBB4_10624
; %bb.10621:                            ;   in Loop: Header=BB4_10490 Depth=3
	v_bfe_u32 v2, v9, 2, 5
	s_mov_b32 s78, exec_lo
	s_delay_alu instid0(VALU_DEP_1)
	v_cmpx_eq_u32_e32 0, v2
; %bb.10622:                            ;   in Loop: Header=BB4_10490 Depth=3
	v_clz_i32_u32_e32 v2, v16
	s_delay_alu instid0(VALU_DEP_1) | instskip(NEXT) | instid1(VALU_DEP_1)
	v_min_u32_e32 v2, 32, v2
	v_subrev_nc_u32_e32 v16, 29, v2
	s_delay_alu instid0(VALU_DEP_1) | instskip(NEXT) | instid1(VALU_DEP_1)
	v_lshlrev_b64_e32 v[16:17], v16, v[4:5]
	v_dual_sub_nc_u32 v2, 30, v2 :: v_dual_bitop2_b32 v16, 3, v16 bitop3:0x40
; %bb.10623:                            ;   in Loop: Header=BB4_10490 Depth=3
	s_or_b32 exec_lo, exec_lo, s78
	v_lshlrev_b32_e32 v5, 24, v9
	s_delay_alu instid0(VALU_DEP_1) | instskip(NEXT) | instid1(VALU_DEP_1)
	v_and_b32_e32 v5, 0x80000000, v5
	v_lshl_add_u32 v2, v2, 23, v5
	s_delay_alu instid0(VALU_DEP_1) | instskip(NEXT) | instid1(VALU_DEP_1)
	v_lshl_or_b32 v2, v16, 21, v2
                                        ; implicit-def: $vgpr16
	v_add_nc_u32_e32 v2, 0x38000000, v2
.LBB4_10624:                            ;   in Loop: Header=BB4_10490 Depth=3
	s_and_not1_saveexec_b32 s43, s43
; %bb.10625:                            ;   in Loop: Header=BB4_10490 Depth=3
	v_bfe_i32 v2, v9, 0, 8
	s_delay_alu instid0(VALU_DEP_1) | instskip(SKIP_2) | instid1(VALU_DEP_2)
	v_cmp_lt_i16_e32 vcc_lo, -1, v2
	v_cndmask_b32_e32 v2, 0xff800000, v48, vcc_lo
	v_cmp_eq_u32_e32 vcc_lo, 0, v16
	v_cndmask_b32_e32 v2, 0x7f800001, v2, vcc_lo
; %bb.10626:                            ;   in Loop: Header=BB4_10490 Depth=3
	s_or_b32 exec_lo, exec_lo, s43
.LBB4_10627:                            ;   in Loop: Header=BB4_10490 Depth=3
	s_delay_alu instid0(SALU_CYCLE_1)
	s_or_b32 exec_lo, exec_lo, s42
.LBB4_10628:                            ;   in Loop: Header=BB4_10490 Depth=3
	s_delay_alu instid0(SALU_CYCLE_1) | instskip(NEXT) | instid1(VALU_DEP_1)
	s_or_b32 exec_lo, exec_lo, s14
	v_dual_mul_f32 v5, s15, v2 :: v_dual_mov_b32 v19, v3
	v_mov_b32_e32 v17, v3
                                        ; implicit-def: $vgpr20
	s_mov_b32 s14, exec_lo
	s_delay_alu instid0(VALU_DEP_2) | instskip(SKIP_2) | instid1(VALU_DEP_3)
	v_and_b32_e32 v18, 0x7f800000, v5
	v_and_b32_e32 v16, 0x7fffff, v5
	v_lshrrev_b32_e32 v2, 24, v5
	v_cmpx_ne_u64_e32 0x7f800000, v[18:19]
	s_xor_b32 s42, exec_lo, s14
	s_cbranch_execz .LBB4_10642
; %bb.10629:                            ;   in Loop: Header=BB4_10490 Depth=3
	v_and_b32_e32 v18, 0x7fffffff, v5
	v_mov_b32_e32 v19, v3
	v_and_b32_e32 v2, 0x80, v2
                                        ; implicit-def: $vgpr20
	s_mov_b32 s14, exec_lo
	s_delay_alu instid0(VALU_DEP_2)
	v_cmpx_gt_u64_e32 0x47600001, v[18:19]
	s_xor_b32 s43, exec_lo, s14
	s_cbranch_execz .LBB4_10639
; %bb.10630:                            ;   in Loop: Header=BB4_10490 Depth=3
	v_mov_b32_e32 v20, 0
	s_mov_b32 s78, exec_lo
	v_cmpx_ne_u32_e32 0, v5
	s_cbranch_execz .LBB4_10638
; %bb.10631:                            ;   in Loop: Header=BB4_10490 Depth=3
	v_bfe_u32 v5, v5, 23, 8
	v_or_b32_e32 v67, 0x800000, v16
	s_delay_alu instid0(VALU_DEP_2) | instskip(SKIP_1) | instid1(VALU_DEP_2)
	v_sub_nc_u32_e32 v18, 0x71, v5
	v_cmp_gt_u32_e32 vcc_lo, 0x72, v5
	v_cndmask_b32_e32 v18, 0, v18, vcc_lo
	v_cmp_eq_u32_e32 vcc_lo, 0, v5
	s_delay_alu instid0(VALU_DEP_2) | instskip(SKIP_1) | instid1(VALU_DEP_2)
	v_cndmask_b32_e64 v20, v18, 0x70, vcc_lo
	v_cndmask_b32_e32 v16, v67, v16, vcc_lo
	v_dual_add_nc_u32 v18, 21, v20 :: v_dual_add_nc_u32 v86, 20, v20
	s_delay_alu instid0(VALU_DEP_1) | instskip(NEXT) | instid1(VALU_DEP_2)
	v_lshlrev_b64_e64 v[18:19], v18, -1
	v_lshlrev_b64_e64 v[86:87], v86, 1
	s_delay_alu instid0(VALU_DEP_2) | instskip(SKIP_1) | instid1(VALU_DEP_4)
	v_bfi_b32 v18, v18, 0, v16
	v_lshrrev_b64 v[16:17], v20, v[16:17]
	v_bfi_b32 v19, v19, 0, 0
	s_delay_alu instid0(VALU_DEP_1) | instskip(NEXT) | instid1(VALU_DEP_3)
	v_cmp_eq_u64_e64 s14, v[18:19], v[86:87]
	v_mov_b64_e32 v[18:19], v[16:17]
	s_and_saveexec_b32 s79, s14
; %bb.10632:                            ;   in Loop: Header=BB4_10490 Depth=3
	v_bfe_u32 v18, v16, 21, 1
	v_mov_b32_e32 v19, v3
	s_delay_alu instid0(VALU_DEP_1) | instskip(NEXT) | instid1(VALU_DEP_1)
	v_add_nc_u64_e32 v[18:19], v[16:17], v[18:19]
	v_add_nc_u64_e32 v[18:19], -1, v[18:19]
; %bb.10633:                            ;   in Loop: Header=BB4_10490 Depth=3
	s_or_b32 exec_lo, exec_lo, s79
	v_add_nc_u32_e32 v5, 0xffffff81, v5
	v_lshrrev_b32_e32 v17, 23, v16
	s_mov_b32 s14, exec_lo
	s_delay_alu instid0(VALU_DEP_2) | instskip(NEXT) | instid1(VALU_DEP_1)
	v_cndmask_b32_e64 v5, v5, 0xffffff82, vcc_lo
	v_add3_u32 v19, v20, v5, v17
	v_and_b32_e32 v5, 0x1fffff, v18
	s_delay_alu instid0(VALU_DEP_2) | instskip(NEXT) | instid1(VALU_DEP_2)
	v_dual_mov_b32 v17, v3 :: v_dual_add_nc_u32 v18, 14, v19
	v_add_nc_u32_e32 v16, v5, v16
                                        ; implicit-def: $vgpr5
	s_delay_alu instid0(VALU_DEP_2)
	v_cmpx_ne_u32_e32 0, v18
	s_xor_b32 s14, exec_lo, s14
; %bb.10634:                            ;   in Loop: Header=BB4_10490 Depth=3
	s_delay_alu instid0(VALU_DEP_2) | instskip(SKIP_1) | instid1(VALU_DEP_1)
	v_cmp_lt_u64_e32 vcc_lo, 0xffffff, v[16:17]
	v_add_nc_u32_e32 v5, 15, v19
	v_cndmask_b32_e32 v5, v18, v5, vcc_lo
	v_cndmask_b32_e64 v18, 0, 1, vcc_lo
	s_delay_alu instid0(VALU_DEP_1)
	v_lshrrev_b64 v[16:17], v18, v[16:17]
; %bb.10635:                            ;   in Loop: Header=BB4_10490 Depth=3
	s_and_not1_saveexec_b32 s14, s14
; %bb.10636:                            ;   in Loop: Header=BB4_10490 Depth=3
	s_delay_alu instid0(VALU_DEP_1)
	v_bfe_u32 v5, v16, 23, 1
; %bb.10637:                            ;   in Loop: Header=BB4_10490 Depth=3
	s_or_b32 exec_lo, exec_lo, s14
	s_delay_alu instid0(VALU_DEP_2) | instskip(NEXT) | instid1(VALU_DEP_2)
	v_lshrrev_b64 v[16:17], 21, v[16:17]
	v_cmp_gt_i32_e32 vcc_lo, 32, v5
	v_min_i32_e32 v18, 31, v5
	v_cmp_eq_u32_e64 s14, 0, v5
	s_delay_alu instid0(VALU_DEP_2) | instskip(SKIP_1) | instid1(VALU_DEP_2)
	v_dual_cndmask_b32 v16, 3, v16, vcc_lo :: v_dual_lshlrev_b32 v18, 2, v18
	v_cndmask_b32_e32 v17, 0, v17, vcc_lo
	v_and_b32_e32 v18, 0xfc, v18
	s_delay_alu instid0(VALU_DEP_2) | instskip(NEXT) | instid1(VALU_DEP_2)
	v_cmp_eq_u64_e32 vcc_lo, 0, v[16:17]
	v_and_or_b32 v5, v16, 3, v18
	s_and_b32 s14, s14, vcc_lo
	s_delay_alu instid0(VALU_DEP_1) | instid1(SALU_CYCLE_1)
	v_cndmask_b32_e64 v5, v5, 0, s14
	s_delay_alu instid0(VALU_DEP_1)
	v_or_b32_e32 v20, v5, v2
.LBB4_10638:                            ;   in Loop: Header=BB4_10490 Depth=3
	s_or_b32 exec_lo, exec_lo, s78
                                        ; implicit-def: $vgpr2
.LBB4_10639:                            ;   in Loop: Header=BB4_10490 Depth=3
	s_and_not1_saveexec_b32 s14, s43
; %bb.10640:                            ;   in Loop: Header=BB4_10490 Depth=3
	v_or_b32_e32 v20, 0x7b, v2
; %bb.10641:                            ;   in Loop: Header=BB4_10490 Depth=3
	s_or_b32 exec_lo, exec_lo, s14
                                        ; implicit-def: $vgpr5
                                        ; implicit-def: $vgpr16_vgpr17
                                        ; implicit-def: $vgpr2
.LBB4_10642:                            ;   in Loop: Header=BB4_10490 Depth=3
	s_and_not1_saveexec_b32 s14, s42
	s_cbranch_execz .LBB4_10648
; %bb.10643:                            ;   in Loop: Header=BB4_10490 Depth=3
	s_mov_b32 s42, exec_lo
                                        ; implicit-def: $vgpr20
	v_cmpx_ne_u64_e32 0, v[16:17]
	s_xor_b32 s42, exec_lo, s42
; %bb.10644:                            ;   in Loop: Header=BB4_10490 Depth=3
	v_or_b32_e32 v20, 0x7f, v2
                                        ; implicit-def: $vgpr5
; %bb.10645:                            ;   in Loop: Header=BB4_10490 Depth=3
	s_and_not1_saveexec_b32 s42, s42
; %bb.10646:                            ;   in Loop: Header=BB4_10490 Depth=3
	v_cmp_lt_i32_e32 vcc_lo, -1, v5
	v_cndmask_b32_e32 v20, 0xfc, v49, vcc_lo
; %bb.10647:                            ;   in Loop: Header=BB4_10490 Depth=3
	s_or_b32 exec_lo, exec_lo, s42
.LBB4_10648:                            ;   in Loop: Header=BB4_10490 Depth=3
	s_delay_alu instid0(SALU_CYCLE_1) | instskip(SKIP_3) | instid1(VALU_DEP_2)
	s_or_b32 exec_lo, exec_lo, s14
	v_lshrrev_b16 v16, 8, v4
	v_mov_b32_e32 v17, 0
	s_mov_b32 s14, exec_lo
	v_cmpx_ne_u16_e32 0, v16
	s_cbranch_execz .LBB4_10658
; %bb.10649:                            ;   in Loop: Header=BB4_10490 Depth=3
	v_bfrev_b32_e32 v17, 1
	s_mov_b32 s42, exec_lo
	v_cmpx_ne_u16_e32 0x80, v16
	s_cbranch_execz .LBB4_10657
; %bb.10650:                            ;   in Loop: Header=BB4_10490 Depth=3
	v_and_b32_e32 v5, 0xffff, v16
	s_delay_alu instid0(VALU_DEP_1) | instskip(SKIP_1) | instid1(VALU_DEP_2)
	v_and_b32_e32 v17, 0x7c, v5
	v_and_b32_e32 v2, 3, v5
	v_cmp_ne_u32_e32 vcc_lo, 0x7c, v17
                                        ; implicit-def: $vgpr17
	s_and_saveexec_b32 s43, vcc_lo
	s_delay_alu instid0(SALU_CYCLE_1)
	s_xor_b32 s43, exec_lo, s43
	s_cbranch_execz .LBB4_10654
; %bb.10651:                            ;   in Loop: Header=BB4_10490 Depth=3
	v_bfe_u32 v5, v5, 2, 5
	s_mov_b32 s78, exec_lo
	s_delay_alu instid0(VALU_DEP_1)
	v_cmpx_eq_u32_e32 0, v5
; %bb.10652:                            ;   in Loop: Header=BB4_10490 Depth=3
	v_clz_i32_u32_e32 v2, v2
	s_delay_alu instid0(VALU_DEP_1) | instskip(SKIP_1) | instid1(VALU_DEP_2)
	v_min_u32_e32 v2, 32, v2
	v_mov_b32_e32 v17, v3
	v_subrev_nc_u32_e32 v5, 29, v2
	s_delay_alu instid0(VALU_DEP_1) | instskip(NEXT) | instid1(VALU_DEP_1)
	v_lshlrev_b64_e32 v[16:17], v5, v[16:17]
	v_dual_sub_nc_u32 v5, 30, v2 :: v_dual_bitop2_b32 v2, 3, v16 bitop3:0x40
; %bb.10653:                            ;   in Loop: Header=BB4_10490 Depth=3
	s_or_b32 exec_lo, exec_lo, s78
	v_lshlrev_b32_e32 v4, 16, v4
	s_delay_alu instid0(VALU_DEP_1) | instskip(NEXT) | instid1(VALU_DEP_1)
	v_and_b32_e32 v4, 0x80000000, v4
	v_lshl_add_u32 v4, v5, 23, v4
	s_delay_alu instid0(VALU_DEP_1) | instskip(NEXT) | instid1(VALU_DEP_1)
	v_lshl_or_b32 v2, v2, 21, v4
                                        ; implicit-def: $vgpr4_vgpr5
	v_add_nc_u32_e32 v17, 0x38000000, v2
                                        ; implicit-def: $vgpr2
.LBB4_10654:                            ;   in Loop: Header=BB4_10490 Depth=3
	s_and_not1_saveexec_b32 s43, s43
; %bb.10655:                            ;   in Loop: Header=BB4_10490 Depth=3
	v_cmp_lt_i16_e32 vcc_lo, -1, v4
	v_cndmask_b32_e32 v4, 0xff800000, v48, vcc_lo
	v_cmp_eq_u32_e32 vcc_lo, 0, v2
	s_delay_alu instid0(VALU_DEP_2)
	v_cndmask_b32_e32 v17, 0x7f800001, v4, vcc_lo
; %bb.10656:                            ;   in Loop: Header=BB4_10490 Depth=3
	s_or_b32 exec_lo, exec_lo, s43
.LBB4_10657:                            ;   in Loop: Header=BB4_10490 Depth=3
	s_delay_alu instid0(SALU_CYCLE_1)
	s_or_b32 exec_lo, exec_lo, s42
.LBB4_10658:                            ;   in Loop: Header=BB4_10490 Depth=3
	s_delay_alu instid0(SALU_CYCLE_1) | instskip(NEXT) | instid1(VALU_DEP_1)
	s_or_b32 exec_lo, exec_lo, s14
	v_dual_mul_f32 v16, s15, v17 :: v_dual_mov_b32 v19, v3
	v_mov_b32_e32 v5, v3
                                        ; implicit-def: $vgpr40
	s_mov_b32 s14, exec_lo
	s_delay_alu instid0(VALU_DEP_2) | instskip(SKIP_2) | instid1(VALU_DEP_3)
	v_and_b32_e32 v18, 0x7f800000, v16
	v_and_b32_e32 v4, 0x7fffff, v16
	v_lshrrev_b32_e32 v2, 24, v16
	v_cmpx_ne_u64_e32 0x7f800000, v[18:19]
	s_xor_b32 s42, exec_lo, s14
	s_cbranch_execz .LBB4_10672
; %bb.10659:                            ;   in Loop: Header=BB4_10490 Depth=3
	v_and_b32_e32 v18, 0x7fffffff, v16
	v_mov_b32_e32 v19, v3
	v_and_b32_e32 v2, 0x80, v2
                                        ; implicit-def: $vgpr40
	s_mov_b32 s14, exec_lo
	s_delay_alu instid0(VALU_DEP_2)
	v_cmpx_gt_u64_e32 0x47600001, v[18:19]
	s_xor_b32 s43, exec_lo, s14
	s_cbranch_execz .LBB4_10669
; %bb.10660:                            ;   in Loop: Header=BB4_10490 Depth=3
	v_mov_b32_e32 v40, 0
	s_mov_b32 s78, exec_lo
	v_cmpx_ne_u32_e32 0, v16
	s_cbranch_execz .LBB4_10668
; %bb.10661:                            ;   in Loop: Header=BB4_10490 Depth=3
	v_bfe_u32 v18, v16, 23, 8
	v_or_b32_e32 v67, 0x800000, v4
	s_delay_alu instid0(VALU_DEP_2) | instskip(SKIP_1) | instid1(VALU_DEP_2)
	v_sub_nc_u32_e32 v16, 0x71, v18
	v_cmp_gt_u32_e32 vcc_lo, 0x72, v18
	v_cndmask_b32_e32 v16, 0, v16, vcc_lo
	v_cmp_eq_u32_e32 vcc_lo, 0, v18
	s_delay_alu instid0(VALU_DEP_2) | instskip(NEXT) | instid1(VALU_DEP_1)
	v_cndmask_b32_e64 v19, v16, 0x70, vcc_lo
	v_dual_cndmask_b32 v4, v67, v4, vcc_lo :: v_dual_add_nc_u32 v16, 21, v19
	v_add_nc_u32_e32 v86, 20, v19
	s_delay_alu instid0(VALU_DEP_2) | instskip(NEXT) | instid1(VALU_DEP_2)
	v_lshlrev_b64_e64 v[16:17], v16, -1
	v_lshlrev_b64_e64 v[86:87], v86, 1
	s_delay_alu instid0(VALU_DEP_2) | instskip(SKIP_1) | instid1(VALU_DEP_4)
	v_bfi_b32 v16, v16, 0, v4
	v_lshrrev_b64 v[4:5], v19, v[4:5]
	v_bfi_b32 v17, v17, 0, 0
	s_delay_alu instid0(VALU_DEP_1) | instskip(NEXT) | instid1(VALU_DEP_3)
	v_cmp_eq_u64_e64 s14, v[16:17], v[86:87]
	v_mov_b64_e32 v[16:17], v[4:5]
	s_and_saveexec_b32 s79, s14
; %bb.10662:                            ;   in Loop: Header=BB4_10490 Depth=3
	v_bfe_u32 v16, v4, 21, 1
	v_mov_b32_e32 v17, v3
	s_delay_alu instid0(VALU_DEP_1) | instskip(NEXT) | instid1(VALU_DEP_1)
	v_add_nc_u64_e32 v[16:17], v[4:5], v[16:17]
	v_add_nc_u64_e32 v[16:17], -1, v[16:17]
; %bb.10663:                            ;   in Loop: Header=BB4_10490 Depth=3
	s_or_b32 exec_lo, exec_lo, s79
	v_add_nc_u32_e32 v5, 0xffffff81, v18
	v_lshrrev_b32_e32 v17, 23, v4
	s_mov_b32 s14, exec_lo
	s_delay_alu instid0(VALU_DEP_2) | instskip(NEXT) | instid1(VALU_DEP_1)
	v_cndmask_b32_e64 v5, v5, 0xffffff82, vcc_lo
	v_add3_u32 v17, v19, v5, v17
	v_and_b32_e32 v5, 0x1fffff, v16
                                        ; implicit-def: $vgpr16
	s_delay_alu instid0(VALU_DEP_1) | instskip(SKIP_1) | instid1(VALU_DEP_2)
	v_dual_add_nc_u32 v18, 14, v17 :: v_dual_add_nc_u32 v4, v5, v4
	v_mov_b32_e32 v5, v3
	v_cmpx_ne_u32_e32 0, v18
	s_xor_b32 s14, exec_lo, s14
; %bb.10664:                            ;   in Loop: Header=BB4_10490 Depth=3
	s_delay_alu instid0(VALU_DEP_2) | instskip(SKIP_2) | instid1(VALU_DEP_2)
	v_cmp_lt_u64_e32 vcc_lo, 0xffffff, v[4:5]
	v_add_nc_u32_e32 v16, 15, v17
	v_cndmask_b32_e64 v17, 0, 1, vcc_lo
	v_cndmask_b32_e32 v16, v18, v16, vcc_lo
	s_delay_alu instid0(VALU_DEP_2)
	v_lshrrev_b64 v[4:5], v17, v[4:5]
; %bb.10665:                            ;   in Loop: Header=BB4_10490 Depth=3
	s_and_not1_saveexec_b32 s14, s14
; %bb.10666:                            ;   in Loop: Header=BB4_10490 Depth=3
	s_delay_alu instid0(VALU_DEP_1)
	v_bfe_u32 v16, v4, 23, 1
; %bb.10667:                            ;   in Loop: Header=BB4_10490 Depth=3
	s_or_b32 exec_lo, exec_lo, s14
	s_delay_alu instid0(VALU_DEP_2) | instskip(NEXT) | instid1(VALU_DEP_2)
	v_lshrrev_b64 v[4:5], 21, v[4:5]
	v_cmp_gt_i32_e32 vcc_lo, 32, v16
	v_min_i32_e32 v17, 31, v16
	v_cmp_eq_u32_e64 s14, 0, v16
	s_delay_alu instid0(VALU_DEP_4) | instskip(NEXT) | instid1(VALU_DEP_3)
	v_cndmask_b32_e32 v5, 0, v5, vcc_lo
	v_dual_cndmask_b32 v4, 3, v4 :: v_dual_lshlrev_b32 v17, 2, v17
	s_delay_alu instid0(VALU_DEP_1) | instskip(NEXT) | instid1(VALU_DEP_2)
	v_and_b32_e32 v17, 0xfc, v17
	v_cmp_eq_u64_e32 vcc_lo, 0, v[4:5]
	s_delay_alu instid0(VALU_DEP_2)
	v_and_or_b32 v4, v4, 3, v17
	s_and_b32 s14, s14, vcc_lo
	s_delay_alu instid0(VALU_DEP_1) | instid1(SALU_CYCLE_1)
	v_cndmask_b32_e64 v4, v4, 0, s14
	s_delay_alu instid0(VALU_DEP_1)
	v_or_b32_e32 v40, v4, v2
.LBB4_10668:                            ;   in Loop: Header=BB4_10490 Depth=3
	s_or_b32 exec_lo, exec_lo, s78
                                        ; implicit-def: $vgpr2
.LBB4_10669:                            ;   in Loop: Header=BB4_10490 Depth=3
	s_and_not1_saveexec_b32 s14, s43
; %bb.10670:                            ;   in Loop: Header=BB4_10490 Depth=3
	v_or_b32_e32 v40, 0x7b, v2
; %bb.10671:                            ;   in Loop: Header=BB4_10490 Depth=3
	s_or_b32 exec_lo, exec_lo, s14
                                        ; implicit-def: $vgpr16
                                        ; implicit-def: $vgpr4_vgpr5
                                        ; implicit-def: $vgpr2
.LBB4_10672:                            ;   in Loop: Header=BB4_10490 Depth=3
	s_and_not1_saveexec_b32 s14, s42
	s_cbranch_execz .LBB4_10678
; %bb.10673:                            ;   in Loop: Header=BB4_10490 Depth=3
	s_mov_b32 s42, exec_lo
                                        ; implicit-def: $vgpr40
	v_cmpx_ne_u64_e32 0, v[4:5]
	s_xor_b32 s42, exec_lo, s42
; %bb.10674:                            ;   in Loop: Header=BB4_10490 Depth=3
	v_or_b32_e32 v40, 0x7f, v2
                                        ; implicit-def: $vgpr16
; %bb.10675:                            ;   in Loop: Header=BB4_10490 Depth=3
	s_and_not1_saveexec_b32 s42, s42
; %bb.10676:                            ;   in Loop: Header=BB4_10490 Depth=3
	v_cmp_lt_i32_e32 vcc_lo, -1, v16
	v_cndmask_b32_e32 v40, 0xfc, v49, vcc_lo
; %bb.10677:                            ;   in Loop: Header=BB4_10490 Depth=3
	s_or_b32 exec_lo, exec_lo, s42
.LBB4_10678:                            ;   in Loop: Header=BB4_10490 Depth=3
	s_delay_alu instid0(SALU_CYCLE_1) | instskip(SKIP_2) | instid1(VALU_DEP_1)
	s_or_b32 exec_lo, exec_lo, s14
	v_dual_lshrrev_b32 v2, 16, v9 :: v_dual_mov_b32 v4, 0
	s_mov_b32 s14, exec_lo
	v_and_b32_e32 v5, 0xff, v2
	s_delay_alu instid0(VALU_DEP_1)
	v_cmpx_ne_u16_e32 0, v5
	s_cbranch_execz .LBB4_10688
; %bb.10679:                            ;   in Loop: Header=BB4_10490 Depth=3
	v_bfrev_b32_e32 v4, 1
	s_mov_b32 s42, exec_lo
	v_cmpx_ne_u16_e32 0x80, v5
	s_cbranch_execz .LBB4_10687
; %bb.10680:                            ;   in Loop: Header=BB4_10490 Depth=3
	v_and_b32_e32 v4, 0x7c0000, v9
	v_bfe_u32 v5, v9, 16, 2
	s_delay_alu instid0(VALU_DEP_2) | instskip(SKIP_1) | instid1(SALU_CYCLE_1)
	v_cmp_ne_u32_e32 vcc_lo, 0x7c0000, v4
                                        ; implicit-def: $vgpr4
	s_and_saveexec_b32 s43, vcc_lo
	s_xor_b32 s43, exec_lo, s43
	s_cbranch_execz .LBB4_10684
; %bb.10681:                            ;   in Loop: Header=BB4_10490 Depth=3
	v_bfe_u32 v4, v9, 18, 5
	s_mov_b32 s78, exec_lo
	s_delay_alu instid0(VALU_DEP_1)
	v_cmpx_eq_u32_e32 0, v4
; %bb.10682:                            ;   in Loop: Header=BB4_10490 Depth=3
	v_clz_i32_u32_e32 v4, v5
	s_delay_alu instid0(VALU_DEP_1) | instskip(NEXT) | instid1(VALU_DEP_1)
	v_min_u32_e32 v4, 32, v4
	v_subrev_nc_u32_e32 v5, 29, v4
	v_sub_nc_u32_e32 v4, 30, v4
	s_delay_alu instid0(VALU_DEP_2) | instskip(NEXT) | instid1(VALU_DEP_1)
	v_lshlrev_b64_e32 v[16:17], v5, v[2:3]
	v_and_b32_e32 v5, 3, v16
; %bb.10683:                            ;   in Loop: Header=BB4_10490 Depth=3
	s_or_b32 exec_lo, exec_lo, s78
	v_lshlrev_b32_e32 v2, 24, v2
	s_delay_alu instid0(VALU_DEP_1) | instskip(NEXT) | instid1(VALU_DEP_1)
	v_and_b32_e32 v2, 0x80000000, v2
	v_lshl_add_u32 v2, v4, 23, v2
	s_delay_alu instid0(VALU_DEP_1) | instskip(NEXT) | instid1(VALU_DEP_1)
	v_lshl_or_b32 v2, v5, 21, v2
                                        ; implicit-def: $vgpr5
	v_add_nc_u32_e32 v4, 0x38000000, v2
                                        ; implicit-def: $vgpr2
.LBB4_10684:                            ;   in Loop: Header=BB4_10490 Depth=3
	s_and_not1_saveexec_b32 s43, s43
; %bb.10685:                            ;   in Loop: Header=BB4_10490 Depth=3
	v_bfe_i32 v2, v2, 0, 8
	s_delay_alu instid0(VALU_DEP_1) | instskip(SKIP_2) | instid1(VALU_DEP_2)
	v_cmp_lt_i16_e32 vcc_lo, -1, v2
	v_cndmask_b32_e32 v2, 0xff800000, v48, vcc_lo
	v_cmp_eq_u32_e32 vcc_lo, 0, v5
	v_cndmask_b32_e32 v4, 0x7f800001, v2, vcc_lo
; %bb.10686:                            ;   in Loop: Header=BB4_10490 Depth=3
	s_or_b32 exec_lo, exec_lo, s43
.LBB4_10687:                            ;   in Loop: Header=BB4_10490 Depth=3
	s_delay_alu instid0(SALU_CYCLE_1)
	s_or_b32 exec_lo, exec_lo, s42
.LBB4_10688:                            ;   in Loop: Header=BB4_10490 Depth=3
	s_delay_alu instid0(SALU_CYCLE_1) | instskip(NEXT) | instid1(VALU_DEP_1)
	s_or_b32 exec_lo, exec_lo, s14
	v_dual_mul_f32 v16, s15, v4 :: v_dual_mov_b32 v19, v3
	v_mov_b32_e32 v5, v3
                                        ; implicit-def: $vgpr56
	s_mov_b32 s14, exec_lo
	s_delay_alu instid0(VALU_DEP_2) | instskip(SKIP_2) | instid1(VALU_DEP_3)
	v_and_b32_e32 v18, 0x7f800000, v16
	v_and_b32_e32 v4, 0x7fffff, v16
	v_lshrrev_b32_e32 v2, 24, v16
	v_cmpx_ne_u64_e32 0x7f800000, v[18:19]
	s_xor_b32 s42, exec_lo, s14
	s_cbranch_execz .LBB4_10702
; %bb.10689:                            ;   in Loop: Header=BB4_10490 Depth=3
	v_and_b32_e32 v18, 0x7fffffff, v16
	v_mov_b32_e32 v19, v3
	v_and_b32_e32 v2, 0x80, v2
                                        ; implicit-def: $vgpr56
	s_mov_b32 s14, exec_lo
	s_delay_alu instid0(VALU_DEP_2)
	v_cmpx_gt_u64_e32 0x47600001, v[18:19]
	s_xor_b32 s43, exec_lo, s14
	s_cbranch_execz .LBB4_10699
; %bb.10690:                            ;   in Loop: Header=BB4_10490 Depth=3
	v_mov_b32_e32 v56, 0
	s_mov_b32 s78, exec_lo
	v_cmpx_ne_u32_e32 0, v16
	s_cbranch_execz .LBB4_10698
; %bb.10691:                            ;   in Loop: Header=BB4_10490 Depth=3
	v_bfe_u32 v18, v16, 23, 8
	v_or_b32_e32 v67, 0x800000, v4
	s_delay_alu instid0(VALU_DEP_2) | instskip(SKIP_1) | instid1(VALU_DEP_2)
	v_sub_nc_u32_e32 v16, 0x71, v18
	v_cmp_gt_u32_e32 vcc_lo, 0x72, v18
	v_cndmask_b32_e32 v16, 0, v16, vcc_lo
	v_cmp_eq_u32_e32 vcc_lo, 0, v18
	s_delay_alu instid0(VALU_DEP_2) | instskip(NEXT) | instid1(VALU_DEP_1)
	v_cndmask_b32_e64 v19, v16, 0x70, vcc_lo
	v_dual_cndmask_b32 v4, v67, v4, vcc_lo :: v_dual_add_nc_u32 v16, 21, v19
	v_add_nc_u32_e32 v86, 20, v19
	s_delay_alu instid0(VALU_DEP_2) | instskip(NEXT) | instid1(VALU_DEP_2)
	v_lshlrev_b64_e64 v[16:17], v16, -1
	v_lshlrev_b64_e64 v[86:87], v86, 1
	s_delay_alu instid0(VALU_DEP_2) | instskip(SKIP_1) | instid1(VALU_DEP_4)
	v_bfi_b32 v16, v16, 0, v4
	v_lshrrev_b64 v[4:5], v19, v[4:5]
	v_bfi_b32 v17, v17, 0, 0
	s_delay_alu instid0(VALU_DEP_1) | instskip(NEXT) | instid1(VALU_DEP_3)
	v_cmp_eq_u64_e64 s14, v[16:17], v[86:87]
	v_mov_b64_e32 v[16:17], v[4:5]
	s_and_saveexec_b32 s79, s14
; %bb.10692:                            ;   in Loop: Header=BB4_10490 Depth=3
	v_bfe_u32 v16, v4, 21, 1
	v_mov_b32_e32 v17, v3
	s_delay_alu instid0(VALU_DEP_1) | instskip(NEXT) | instid1(VALU_DEP_1)
	v_add_nc_u64_e32 v[16:17], v[4:5], v[16:17]
	v_add_nc_u64_e32 v[16:17], -1, v[16:17]
; %bb.10693:                            ;   in Loop: Header=BB4_10490 Depth=3
	s_or_b32 exec_lo, exec_lo, s79
	v_add_nc_u32_e32 v5, 0xffffff81, v18
	v_lshrrev_b32_e32 v17, 23, v4
	s_mov_b32 s14, exec_lo
	s_delay_alu instid0(VALU_DEP_2) | instskip(NEXT) | instid1(VALU_DEP_1)
	v_cndmask_b32_e64 v5, v5, 0xffffff82, vcc_lo
	v_add3_u32 v17, v19, v5, v17
	v_and_b32_e32 v5, 0x1fffff, v16
                                        ; implicit-def: $vgpr16
	s_delay_alu instid0(VALU_DEP_1) | instskip(SKIP_1) | instid1(VALU_DEP_2)
	v_dual_add_nc_u32 v18, 14, v17 :: v_dual_add_nc_u32 v4, v5, v4
	v_mov_b32_e32 v5, v3
	v_cmpx_ne_u32_e32 0, v18
	s_xor_b32 s14, exec_lo, s14
; %bb.10694:                            ;   in Loop: Header=BB4_10490 Depth=3
	s_delay_alu instid0(VALU_DEP_2) | instskip(SKIP_2) | instid1(VALU_DEP_2)
	v_cmp_lt_u64_e32 vcc_lo, 0xffffff, v[4:5]
	v_add_nc_u32_e32 v16, 15, v17
	v_cndmask_b32_e64 v17, 0, 1, vcc_lo
	v_cndmask_b32_e32 v16, v18, v16, vcc_lo
	s_delay_alu instid0(VALU_DEP_2)
	v_lshrrev_b64 v[4:5], v17, v[4:5]
; %bb.10695:                            ;   in Loop: Header=BB4_10490 Depth=3
	s_and_not1_saveexec_b32 s14, s14
; %bb.10696:                            ;   in Loop: Header=BB4_10490 Depth=3
	s_delay_alu instid0(VALU_DEP_1)
	v_bfe_u32 v16, v4, 23, 1
; %bb.10697:                            ;   in Loop: Header=BB4_10490 Depth=3
	s_or_b32 exec_lo, exec_lo, s14
	s_delay_alu instid0(VALU_DEP_2) | instskip(NEXT) | instid1(VALU_DEP_2)
	v_lshrrev_b64 v[4:5], 21, v[4:5]
	v_cmp_gt_i32_e32 vcc_lo, 32, v16
	v_min_i32_e32 v17, 31, v16
	v_cmp_eq_u32_e64 s14, 0, v16
	s_delay_alu instid0(VALU_DEP_4) | instskip(NEXT) | instid1(VALU_DEP_3)
	v_cndmask_b32_e32 v5, 0, v5, vcc_lo
	v_dual_cndmask_b32 v4, 3, v4 :: v_dual_lshlrev_b32 v17, 2, v17
	s_delay_alu instid0(VALU_DEP_1) | instskip(NEXT) | instid1(VALU_DEP_2)
	v_and_b32_e32 v17, 0xfc, v17
	v_cmp_eq_u64_e32 vcc_lo, 0, v[4:5]
	s_delay_alu instid0(VALU_DEP_2)
	v_and_or_b32 v4, v4, 3, v17
	s_and_b32 s14, s14, vcc_lo
	s_delay_alu instid0(VALU_DEP_1) | instid1(SALU_CYCLE_1)
	v_cndmask_b32_e64 v4, v4, 0, s14
	s_delay_alu instid0(VALU_DEP_1)
	v_or_b32_e32 v56, v4, v2
.LBB4_10698:                            ;   in Loop: Header=BB4_10490 Depth=3
	s_or_b32 exec_lo, exec_lo, s78
                                        ; implicit-def: $vgpr2
.LBB4_10699:                            ;   in Loop: Header=BB4_10490 Depth=3
	s_and_not1_saveexec_b32 s14, s43
; %bb.10700:                            ;   in Loop: Header=BB4_10490 Depth=3
	v_or_b32_e32 v56, 0x7b, v2
; %bb.10701:                            ;   in Loop: Header=BB4_10490 Depth=3
	s_or_b32 exec_lo, exec_lo, s14
                                        ; implicit-def: $vgpr16
                                        ; implicit-def: $vgpr4_vgpr5
                                        ; implicit-def: $vgpr2
.LBB4_10702:                            ;   in Loop: Header=BB4_10490 Depth=3
	s_and_not1_saveexec_b32 s14, s42
	s_cbranch_execz .LBB4_10708
; %bb.10703:                            ;   in Loop: Header=BB4_10490 Depth=3
	s_mov_b32 s42, exec_lo
                                        ; implicit-def: $vgpr56
	v_cmpx_ne_u64_e32 0, v[4:5]
	s_xor_b32 s42, exec_lo, s42
; %bb.10704:                            ;   in Loop: Header=BB4_10490 Depth=3
	v_or_b32_e32 v56, 0x7f, v2
                                        ; implicit-def: $vgpr16
; %bb.10705:                            ;   in Loop: Header=BB4_10490 Depth=3
	s_and_not1_saveexec_b32 s42, s42
; %bb.10706:                            ;   in Loop: Header=BB4_10490 Depth=3
	v_cmp_lt_i32_e32 vcc_lo, -1, v16
	v_cndmask_b32_e32 v56, 0xfc, v49, vcc_lo
; %bb.10707:                            ;   in Loop: Header=BB4_10490 Depth=3
	s_or_b32 exec_lo, exec_lo, s42
.LBB4_10708:                            ;   in Loop: Header=BB4_10490 Depth=3
	s_delay_alu instid0(SALU_CYCLE_1)
	s_or_b32 exec_lo, exec_lo, s14
	v_mov_b32_e32 v4, 0
	s_mov_b32 s14, exec_lo
	v_cmpx_lt_u64_e64 s[22:23], v[8:9]
	s_cbranch_execz .LBB4_10718
; %bb.10709:                            ;   in Loop: Header=BB4_10490 Depth=3
	v_lshrrev_b32_e32 v2, 24, v9
	v_bfrev_b32_e32 v4, 1
	s_mov_b32 s42, exec_lo
	s_delay_alu instid0(VALU_DEP_2)
	v_cmpx_ne_u32_e32 0x80, v2
	s_cbranch_execz .LBB4_10717
; %bb.10710:                            ;   in Loop: Header=BB4_10490 Depth=3
	v_and_b32_e32 v4, 0x7c000000, v9
	v_bfe_u32 v5, v9, 24, 2
	s_delay_alu instid0(VALU_DEP_2) | instskip(SKIP_1) | instid1(SALU_CYCLE_1)
	v_cmp_ne_u32_e32 vcc_lo, 0x7c000000, v4
                                        ; implicit-def: $vgpr4
	s_and_saveexec_b32 s43, vcc_lo
	s_xor_b32 s43, exec_lo, s43
	s_cbranch_execz .LBB4_10714
; %bb.10711:                            ;   in Loop: Header=BB4_10490 Depth=3
	v_bfe_u32 v4, v9, 26, 5
	s_mov_b32 s78, exec_lo
	s_delay_alu instid0(VALU_DEP_1)
	v_cmpx_eq_u32_e32 0, v4
; %bb.10712:                            ;   in Loop: Header=BB4_10490 Depth=3
	v_clz_i32_u32_e32 v4, v5
	s_delay_alu instid0(VALU_DEP_1) | instskip(NEXT) | instid1(VALU_DEP_1)
	v_min_u32_e32 v4, 32, v4
	v_subrev_nc_u32_e32 v5, 29, v4
	v_sub_nc_u32_e32 v4, 30, v4
	s_delay_alu instid0(VALU_DEP_2) | instskip(NEXT) | instid1(VALU_DEP_1)
	v_lshlrev_b64_e32 v[16:17], v5, v[2:3]
	v_and_b32_e32 v5, 3, v16
; %bb.10713:                            ;   in Loop: Header=BB4_10490 Depth=3
	s_or_b32 exec_lo, exec_lo, s78
	v_and_b32_e32 v2, 0x80000000, v9
	s_delay_alu instid0(VALU_DEP_1) | instskip(NEXT) | instid1(VALU_DEP_1)
	v_lshl_add_u32 v2, v4, 23, v2
	v_lshl_or_b32 v2, v5, 21, v2
                                        ; implicit-def: $vgpr5
	s_delay_alu instid0(VALU_DEP_1)
	v_add_nc_u32_e32 v4, 0x38000000, v2
.LBB4_10714:                            ;   in Loop: Header=BB4_10490 Depth=3
	s_and_not1_saveexec_b32 s43, s43
; %bb.10715:                            ;   in Loop: Header=BB4_10490 Depth=3
	v_cmp_lt_i64_e32 vcc_lo, -1, v[8:9]
	v_cndmask_b32_e32 v2, 0xff800000, v48, vcc_lo
	v_cmp_eq_u32_e32 vcc_lo, 0, v5
	s_delay_alu instid0(VALU_DEP_2)
	v_cndmask_b32_e32 v4, 0x7f800001, v2, vcc_lo
; %bb.10716:                            ;   in Loop: Header=BB4_10490 Depth=3
	s_or_b32 exec_lo, exec_lo, s43
.LBB4_10717:                            ;   in Loop: Header=BB4_10490 Depth=3
	s_delay_alu instid0(SALU_CYCLE_1)
	s_or_b32 exec_lo, exec_lo, s42
.LBB4_10718:                            ;   in Loop: Header=BB4_10490 Depth=3
	s_delay_alu instid0(SALU_CYCLE_1) | instskip(NEXT) | instid1(VALU_DEP_1)
	s_or_b32 exec_lo, exec_lo, s14
	v_dual_mul_f32 v8, s15, v4 :: v_dual_mov_b32 v17, v3
	v_mov_b32_e32 v5, v3
                                        ; implicit-def: $vgpr57
	s_mov_b32 s14, exec_lo
	s_delay_alu instid0(VALU_DEP_2) | instskip(SKIP_2) | instid1(VALU_DEP_3)
	v_and_b32_e32 v16, 0x7f800000, v8
	v_and_b32_e32 v4, 0x7fffff, v8
	v_lshrrev_b32_e32 v2, 24, v8
	v_cmpx_ne_u64_e32 0x7f800000, v[16:17]
	s_xor_b32 s42, exec_lo, s14
	s_cbranch_execz .LBB4_10732
; %bb.10719:                            ;   in Loop: Header=BB4_10490 Depth=3
	v_and_b32_e32 v16, 0x7fffffff, v8
	v_mov_b32_e32 v17, v3
	v_and_b32_e32 v2, 0x80, v2
                                        ; implicit-def: $vgpr57
	s_mov_b32 s14, exec_lo
	s_delay_alu instid0(VALU_DEP_2)
	v_cmpx_gt_u64_e32 0x47600001, v[16:17]
	s_xor_b32 s43, exec_lo, s14
	s_cbranch_execz .LBB4_10729
; %bb.10720:                            ;   in Loop: Header=BB4_10490 Depth=3
	v_mov_b32_e32 v57, 0
	s_mov_b32 s78, exec_lo
	v_cmpx_ne_u32_e32 0, v8
	s_cbranch_execz .LBB4_10728
; %bb.10721:                            ;   in Loop: Header=BB4_10490 Depth=3
	v_bfe_u32 v16, v8, 23, 8
	v_or_b32_e32 v18, 0x800000, v4
	s_delay_alu instid0(VALU_DEP_2) | instskip(SKIP_1) | instid1(VALU_DEP_2)
	v_sub_nc_u32_e32 v8, 0x71, v16
	v_cmp_gt_u32_e32 vcc_lo, 0x72, v16
	v_cndmask_b32_e32 v8, 0, v8, vcc_lo
	v_cmp_eq_u32_e32 vcc_lo, 0, v16
	s_delay_alu instid0(VALU_DEP_2) | instskip(NEXT) | instid1(VALU_DEP_1)
	v_cndmask_b32_e64 v17, v8, 0x70, vcc_lo
	v_dual_cndmask_b32 v4, v18, v4, vcc_lo :: v_dual_add_nc_u32 v8, 21, v17
	v_add_nc_u32_e32 v19, 20, v17
	s_delay_alu instid0(VALU_DEP_2) | instskip(NEXT) | instid1(VALU_DEP_2)
	v_lshlrev_b64_e64 v[8:9], v8, -1
	v_lshlrev_b64_e64 v[18:19], v19, 1
	s_delay_alu instid0(VALU_DEP_2) | instskip(SKIP_1) | instid1(VALU_DEP_4)
	v_bfi_b32 v8, v8, 0, v4
	v_lshrrev_b64 v[4:5], v17, v[4:5]
	v_bfi_b32 v9, v9, 0, 0
	s_delay_alu instid0(VALU_DEP_1) | instskip(NEXT) | instid1(VALU_DEP_3)
	v_cmp_eq_u64_e64 s14, v[8:9], v[18:19]
	v_mov_b64_e32 v[8:9], v[4:5]
	s_and_saveexec_b32 s79, s14
; %bb.10722:                            ;   in Loop: Header=BB4_10490 Depth=3
	v_bfe_u32 v8, v4, 21, 1
	v_mov_b32_e32 v9, v3
	s_delay_alu instid0(VALU_DEP_1) | instskip(NEXT) | instid1(VALU_DEP_1)
	v_add_nc_u64_e32 v[8:9], v[4:5], v[8:9]
	v_add_nc_u64_e32 v[8:9], -1, v[8:9]
; %bb.10723:                            ;   in Loop: Header=BB4_10490 Depth=3
	s_or_b32 exec_lo, exec_lo, s79
	v_add_nc_u32_e32 v5, 0xffffff81, v16
	v_lshrrev_b32_e32 v9, 23, v4
	s_mov_b32 s14, exec_lo
	s_delay_alu instid0(VALU_DEP_2) | instskip(NEXT) | instid1(VALU_DEP_1)
	v_cndmask_b32_e64 v5, v5, 0xffffff82, vcc_lo
	v_add3_u32 v9, v17, v5, v9
	v_and_b32_e32 v5, 0x1fffff, v8
                                        ; implicit-def: $vgpr8
	s_delay_alu instid0(VALU_DEP_1) | instskip(SKIP_1) | instid1(VALU_DEP_2)
	v_dual_add_nc_u32 v16, 14, v9 :: v_dual_add_nc_u32 v4, v5, v4
	v_mov_b32_e32 v5, v3
	v_cmpx_ne_u32_e32 0, v16
	s_xor_b32 s14, exec_lo, s14
; %bb.10724:                            ;   in Loop: Header=BB4_10490 Depth=3
	s_delay_alu instid0(VALU_DEP_2) | instskip(SKIP_2) | instid1(VALU_DEP_2)
	v_cmp_lt_u64_e32 vcc_lo, 0xffffff, v[4:5]
	v_add_nc_u32_e32 v8, 15, v9
	v_cndmask_b32_e64 v9, 0, 1, vcc_lo
	v_cndmask_b32_e32 v8, v16, v8, vcc_lo
	s_delay_alu instid0(VALU_DEP_2)
	v_lshrrev_b64 v[4:5], v9, v[4:5]
; %bb.10725:                            ;   in Loop: Header=BB4_10490 Depth=3
	s_and_not1_saveexec_b32 s14, s14
; %bb.10726:                            ;   in Loop: Header=BB4_10490 Depth=3
	s_delay_alu instid0(VALU_DEP_1)
	v_bfe_u32 v8, v4, 23, 1
; %bb.10727:                            ;   in Loop: Header=BB4_10490 Depth=3
	s_or_b32 exec_lo, exec_lo, s14
	s_delay_alu instid0(VALU_DEP_2) | instskip(NEXT) | instid1(VALU_DEP_2)
	v_lshrrev_b64 v[4:5], 21, v[4:5]
	v_cmp_gt_i32_e32 vcc_lo, 32, v8
	v_min_i32_e32 v9, 31, v8
	v_cmp_eq_u32_e64 s14, 0, v8
	s_delay_alu instid0(VALU_DEP_4) | instskip(NEXT) | instid1(VALU_DEP_3)
	v_cndmask_b32_e32 v5, 0, v5, vcc_lo
	v_dual_cndmask_b32 v4, 3, v4 :: v_dual_lshlrev_b32 v9, 2, v9
	s_delay_alu instid0(VALU_DEP_1) | instskip(NEXT) | instid1(VALU_DEP_2)
	v_and_b32_e32 v9, 0xfc, v9
	v_cmp_eq_u64_e32 vcc_lo, 0, v[4:5]
	s_delay_alu instid0(VALU_DEP_2)
	v_and_or_b32 v4, v4, 3, v9
	s_and_b32 s14, s14, vcc_lo
	s_delay_alu instid0(VALU_DEP_1) | instid1(SALU_CYCLE_1)
	v_cndmask_b32_e64 v4, v4, 0, s14
	s_delay_alu instid0(VALU_DEP_1)
	v_or_b32_e32 v57, v4, v2
.LBB4_10728:                            ;   in Loop: Header=BB4_10490 Depth=3
	s_or_b32 exec_lo, exec_lo, s78
                                        ; implicit-def: $vgpr2
.LBB4_10729:                            ;   in Loop: Header=BB4_10490 Depth=3
	s_and_not1_saveexec_b32 s14, s43
; %bb.10730:                            ;   in Loop: Header=BB4_10490 Depth=3
	v_or_b32_e32 v57, 0x7b, v2
; %bb.10731:                            ;   in Loop: Header=BB4_10490 Depth=3
	s_or_b32 exec_lo, exec_lo, s14
                                        ; implicit-def: $vgpr8
                                        ; implicit-def: $vgpr4_vgpr5
                                        ; implicit-def: $vgpr2
.LBB4_10732:                            ;   in Loop: Header=BB4_10490 Depth=3
	s_and_not1_saveexec_b32 s14, s42
	s_cbranch_execz .LBB4_10738
; %bb.10733:                            ;   in Loop: Header=BB4_10490 Depth=3
	s_mov_b32 s42, exec_lo
                                        ; implicit-def: $vgpr57
	v_cmpx_ne_u64_e32 0, v[4:5]
	s_xor_b32 s42, exec_lo, s42
; %bb.10734:                            ;   in Loop: Header=BB4_10490 Depth=3
	v_or_b32_e32 v57, 0x7f, v2
                                        ; implicit-def: $vgpr8
; %bb.10735:                            ;   in Loop: Header=BB4_10490 Depth=3
	s_and_not1_saveexec_b32 s42, s42
; %bb.10736:                            ;   in Loop: Header=BB4_10490 Depth=3
	v_cmp_lt_i32_e32 vcc_lo, -1, v8
	v_cndmask_b32_e32 v57, 0xfc, v49, vcc_lo
; %bb.10737:                            ;   in Loop: Header=BB4_10490 Depth=3
	s_or_b32 exec_lo, exec_lo, s42
.LBB4_10738:                            ;   in Loop: Header=BB4_10490 Depth=3
	s_delay_alu instid0(SALU_CYCLE_1) | instskip(SKIP_1) | instid1(VALU_DEP_1)
	s_or_b32 exec_lo, exec_lo, s14
	v_and_b32_e32 v2, 0xff, v10
	v_cmp_ne_u16_e32 vcc_lo, 0, v2
	v_mov_b32_e32 v2, 0
	s_and_saveexec_b32 s14, vcc_lo
	s_cbranch_execz .LBB4_10748
; %bb.10739:                            ;   in Loop: Header=BB4_10490 Depth=3
	v_bfe_i32 v5, v10, 0, 8
	v_bfrev_b32_e32 v2, 1
	s_mov_b32 s42, exec_lo
	s_delay_alu instid0(VALU_DEP_2)
	v_cmpx_ne_u16_e32 0xff80, v5
	s_cbranch_execz .LBB4_10747
; %bb.10740:                            ;   in Loop: Header=BB4_10490 Depth=3
	v_and_b32_e32 v2, 0x7c, v10
	v_and_b32_e32 v4, 3, v10
	s_delay_alu instid0(VALU_DEP_2) | instskip(SKIP_1) | instid1(SALU_CYCLE_1)
	v_cmp_ne_u32_e32 vcc_lo, 0x7c, v2
                                        ; implicit-def: $vgpr2
	s_and_saveexec_b32 s43, vcc_lo
	s_xor_b32 s43, exec_lo, s43
	s_cbranch_execz .LBB4_10744
; %bb.10741:                            ;   in Loop: Header=BB4_10490 Depth=3
	v_bfe_u32 v2, v10, 2, 5
	s_mov_b32 s78, exec_lo
	s_delay_alu instid0(VALU_DEP_1)
	v_cmpx_eq_u32_e32 0, v2
; %bb.10742:                            ;   in Loop: Header=BB4_10490 Depth=3
	v_clz_i32_u32_e32 v2, v4
	s_delay_alu instid0(VALU_DEP_1) | instskip(NEXT) | instid1(VALU_DEP_1)
	v_min_u32_e32 v2, 32, v2
	v_subrev_nc_u32_e32 v4, 29, v2
	s_delay_alu instid0(VALU_DEP_1) | instskip(NEXT) | instid1(VALU_DEP_1)
	v_lshlrev_b64_e32 v[4:5], v4, v[10:11]
	v_dual_sub_nc_u32 v2, 30, v2 :: v_dual_bitop2_b32 v4, 3, v4 bitop3:0x40
; %bb.10743:                            ;   in Loop: Header=BB4_10490 Depth=3
	s_or_b32 exec_lo, exec_lo, s78
	v_lshlrev_b32_e32 v5, 24, v10
	s_delay_alu instid0(VALU_DEP_1) | instskip(NEXT) | instid1(VALU_DEP_1)
	v_and_b32_e32 v5, 0x80000000, v5
	v_lshl_add_u32 v2, v2, 23, v5
                                        ; implicit-def: $vgpr5
	s_delay_alu instid0(VALU_DEP_1) | instskip(NEXT) | instid1(VALU_DEP_1)
	v_lshl_or_b32 v2, v4, 21, v2
                                        ; implicit-def: $vgpr4
	v_add_nc_u32_e32 v2, 0x38000000, v2
.LBB4_10744:                            ;   in Loop: Header=BB4_10490 Depth=3
	s_and_not1_saveexec_b32 s43, s43
; %bb.10745:                            ;   in Loop: Header=BB4_10490 Depth=3
	v_cmp_lt_i16_e32 vcc_lo, -1, v5
	v_cndmask_b32_e32 v2, 0xff800000, v48, vcc_lo
	v_cmp_eq_u32_e32 vcc_lo, 0, v4
	s_delay_alu instid0(VALU_DEP_2)
	v_cndmask_b32_e32 v2, 0x7f800001, v2, vcc_lo
; %bb.10746:                            ;   in Loop: Header=BB4_10490 Depth=3
	s_or_b32 exec_lo, exec_lo, s43
.LBB4_10747:                            ;   in Loop: Header=BB4_10490 Depth=3
	s_delay_alu instid0(SALU_CYCLE_1)
	s_or_b32 exec_lo, exec_lo, s42
.LBB4_10748:                            ;   in Loop: Header=BB4_10490 Depth=3
	s_delay_alu instid0(SALU_CYCLE_1) | instskip(NEXT) | instid1(VALU_DEP_1)
	s_or_b32 exec_lo, exec_lo, s14
	v_dual_mul_f32 v8, s15, v2 :: v_dual_mov_b32 v17, v3
	v_mov_b32_e32 v5, v3
                                        ; implicit-def: $vgpr101
	s_mov_b32 s14, exec_lo
	s_delay_alu instid0(VALU_DEP_2) | instskip(SKIP_2) | instid1(VALU_DEP_3)
	v_and_b32_e32 v16, 0x7f800000, v8
	v_and_b32_e32 v4, 0x7fffff, v8
	v_lshrrev_b32_e32 v2, 24, v8
	v_cmpx_ne_u64_e32 0x7f800000, v[16:17]
	s_xor_b32 s42, exec_lo, s14
	s_cbranch_execz .LBB4_10762
; %bb.10749:                            ;   in Loop: Header=BB4_10490 Depth=3
	v_and_b32_e32 v16, 0x7fffffff, v8
	v_mov_b32_e32 v17, v3
	v_and_b32_e32 v2, 0x80, v2
                                        ; implicit-def: $vgpr101
	s_mov_b32 s14, exec_lo
	s_delay_alu instid0(VALU_DEP_2)
	v_cmpx_gt_u64_e32 0x47600001, v[16:17]
	s_xor_b32 s43, exec_lo, s14
	s_cbranch_execz .LBB4_10759
; %bb.10750:                            ;   in Loop: Header=BB4_10490 Depth=3
	v_mov_b32_e32 v101, 0
	s_mov_b32 s78, exec_lo
	v_cmpx_ne_u32_e32 0, v8
	s_cbranch_execz .LBB4_10758
; %bb.10751:                            ;   in Loop: Header=BB4_10490 Depth=3
	v_bfe_u32 v16, v8, 23, 8
	v_or_b32_e32 v18, 0x800000, v4
	s_delay_alu instid0(VALU_DEP_2) | instskip(SKIP_1) | instid1(VALU_DEP_2)
	v_sub_nc_u32_e32 v8, 0x71, v16
	v_cmp_gt_u32_e32 vcc_lo, 0x72, v16
	v_cndmask_b32_e32 v8, 0, v8, vcc_lo
	v_cmp_eq_u32_e32 vcc_lo, 0, v16
	s_delay_alu instid0(VALU_DEP_2) | instskip(NEXT) | instid1(VALU_DEP_1)
	v_cndmask_b32_e64 v17, v8, 0x70, vcc_lo
	v_dual_cndmask_b32 v4, v18, v4, vcc_lo :: v_dual_add_nc_u32 v8, 21, v17
	v_add_nc_u32_e32 v19, 20, v17
	s_delay_alu instid0(VALU_DEP_2) | instskip(NEXT) | instid1(VALU_DEP_2)
	v_lshlrev_b64_e64 v[8:9], v8, -1
	v_lshlrev_b64_e64 v[18:19], v19, 1
	s_delay_alu instid0(VALU_DEP_2) | instskip(SKIP_1) | instid1(VALU_DEP_4)
	v_bfi_b32 v8, v8, 0, v4
	v_lshrrev_b64 v[4:5], v17, v[4:5]
	v_bfi_b32 v9, v9, 0, 0
	s_delay_alu instid0(VALU_DEP_1) | instskip(NEXT) | instid1(VALU_DEP_3)
	v_cmp_eq_u64_e64 s14, v[8:9], v[18:19]
	v_mov_b64_e32 v[8:9], v[4:5]
	s_and_saveexec_b32 s79, s14
; %bb.10752:                            ;   in Loop: Header=BB4_10490 Depth=3
	v_bfe_u32 v8, v4, 21, 1
	v_mov_b32_e32 v9, v3
	s_delay_alu instid0(VALU_DEP_1) | instskip(NEXT) | instid1(VALU_DEP_1)
	v_add_nc_u64_e32 v[8:9], v[4:5], v[8:9]
	v_add_nc_u64_e32 v[8:9], -1, v[8:9]
; %bb.10753:                            ;   in Loop: Header=BB4_10490 Depth=3
	s_or_b32 exec_lo, exec_lo, s79
	v_add_nc_u32_e32 v5, 0xffffff81, v16
	v_lshrrev_b32_e32 v9, 23, v4
	s_mov_b32 s14, exec_lo
	s_delay_alu instid0(VALU_DEP_2) | instskip(NEXT) | instid1(VALU_DEP_1)
	v_cndmask_b32_e64 v5, v5, 0xffffff82, vcc_lo
	v_add3_u32 v9, v17, v5, v9
	v_and_b32_e32 v5, 0x1fffff, v8
                                        ; implicit-def: $vgpr8
	s_delay_alu instid0(VALU_DEP_1) | instskip(SKIP_1) | instid1(VALU_DEP_2)
	v_dual_add_nc_u32 v16, 14, v9 :: v_dual_add_nc_u32 v4, v5, v4
	v_mov_b32_e32 v5, v3
	v_cmpx_ne_u32_e32 0, v16
	s_xor_b32 s14, exec_lo, s14
; %bb.10754:                            ;   in Loop: Header=BB4_10490 Depth=3
	s_delay_alu instid0(VALU_DEP_2) | instskip(SKIP_2) | instid1(VALU_DEP_2)
	v_cmp_lt_u64_e32 vcc_lo, 0xffffff, v[4:5]
	v_add_nc_u32_e32 v8, 15, v9
	v_cndmask_b32_e64 v9, 0, 1, vcc_lo
	v_cndmask_b32_e32 v8, v16, v8, vcc_lo
	s_delay_alu instid0(VALU_DEP_2)
	v_lshrrev_b64 v[4:5], v9, v[4:5]
; %bb.10755:                            ;   in Loop: Header=BB4_10490 Depth=3
	s_and_not1_saveexec_b32 s14, s14
; %bb.10756:                            ;   in Loop: Header=BB4_10490 Depth=3
	s_delay_alu instid0(VALU_DEP_1)
	v_bfe_u32 v8, v4, 23, 1
; %bb.10757:                            ;   in Loop: Header=BB4_10490 Depth=3
	s_or_b32 exec_lo, exec_lo, s14
	s_delay_alu instid0(VALU_DEP_2) | instskip(NEXT) | instid1(VALU_DEP_2)
	v_lshrrev_b64 v[4:5], 21, v[4:5]
	v_cmp_gt_i32_e32 vcc_lo, 32, v8
	v_min_i32_e32 v9, 31, v8
	v_cmp_eq_u32_e64 s14, 0, v8
	s_delay_alu instid0(VALU_DEP_4) | instskip(NEXT) | instid1(VALU_DEP_3)
	v_cndmask_b32_e32 v5, 0, v5, vcc_lo
	v_dual_cndmask_b32 v4, 3, v4 :: v_dual_lshlrev_b32 v9, 2, v9
	s_delay_alu instid0(VALU_DEP_1) | instskip(NEXT) | instid1(VALU_DEP_2)
	v_and_b32_e32 v9, 0xfc, v9
	v_cmp_eq_u64_e32 vcc_lo, 0, v[4:5]
	s_delay_alu instid0(VALU_DEP_2)
	v_and_or_b32 v4, v4, 3, v9
	s_and_b32 s14, s14, vcc_lo
	s_delay_alu instid0(VALU_DEP_1) | instid1(SALU_CYCLE_1)
	v_cndmask_b32_e64 v4, v4, 0, s14
	s_delay_alu instid0(VALU_DEP_1)
	v_or_b32_e32 v101, v4, v2
.LBB4_10758:                            ;   in Loop: Header=BB4_10490 Depth=3
	s_or_b32 exec_lo, exec_lo, s78
                                        ; implicit-def: $vgpr2
.LBB4_10759:                            ;   in Loop: Header=BB4_10490 Depth=3
	s_and_not1_saveexec_b32 s14, s43
; %bb.10760:                            ;   in Loop: Header=BB4_10490 Depth=3
	v_or_b32_e32 v101, 0x7b, v2
; %bb.10761:                            ;   in Loop: Header=BB4_10490 Depth=3
	s_or_b32 exec_lo, exec_lo, s14
                                        ; implicit-def: $vgpr8
                                        ; implicit-def: $vgpr4_vgpr5
                                        ; implicit-def: $vgpr2
.LBB4_10762:                            ;   in Loop: Header=BB4_10490 Depth=3
	s_and_not1_saveexec_b32 s14, s42
	s_cbranch_execz .LBB4_10768
; %bb.10763:                            ;   in Loop: Header=BB4_10490 Depth=3
	s_mov_b32 s42, exec_lo
                                        ; implicit-def: $vgpr101
	v_cmpx_ne_u64_e32 0, v[4:5]
	s_xor_b32 s42, exec_lo, s42
; %bb.10764:                            ;   in Loop: Header=BB4_10490 Depth=3
	v_or_b32_e32 v101, 0x7f, v2
                                        ; implicit-def: $vgpr8
; %bb.10765:                            ;   in Loop: Header=BB4_10490 Depth=3
	s_and_not1_saveexec_b32 s42, s42
; %bb.10766:                            ;   in Loop: Header=BB4_10490 Depth=3
	v_cmp_lt_i32_e32 vcc_lo, -1, v8
	v_cndmask_b32_e32 v101, 0xfc, v49, vcc_lo
; %bb.10767:                            ;   in Loop: Header=BB4_10490 Depth=3
	s_or_b32 exec_lo, exec_lo, s42
.LBB4_10768:                            ;   in Loop: Header=BB4_10490 Depth=3
	s_delay_alu instid0(SALU_CYCLE_1) | instskip(SKIP_3) | instid1(VALU_DEP_2)
	s_or_b32 exec_lo, exec_lo, s14
	v_lshrrev_b16 v4, 8, v10
	v_mov_b32_e32 v5, 0
	s_mov_b32 s14, exec_lo
	v_cmpx_ne_u16_e32 0, v4
	s_cbranch_execz .LBB4_10778
; %bb.10769:                            ;   in Loop: Header=BB4_10490 Depth=3
	v_bfrev_b32_e32 v5, 1
	s_mov_b32 s42, exec_lo
	v_cmpx_ne_u16_e32 0x80, v4
	s_cbranch_execz .LBB4_10777
; %bb.10770:                            ;   in Loop: Header=BB4_10490 Depth=3
	v_and_b32_e32 v8, 0xffff, v4
	s_delay_alu instid0(VALU_DEP_1) | instskip(SKIP_1) | instid1(VALU_DEP_2)
	v_and_b32_e32 v5, 0x7c, v8
	v_and_b32_e32 v2, 3, v8
	v_cmp_ne_u32_e32 vcc_lo, 0x7c, v5
                                        ; implicit-def: $vgpr5
	s_and_saveexec_b32 s43, vcc_lo
	s_delay_alu instid0(SALU_CYCLE_1)
	s_xor_b32 s43, exec_lo, s43
	s_cbranch_execz .LBB4_10774
; %bb.10771:                            ;   in Loop: Header=BB4_10490 Depth=3
	v_bfe_u32 v5, v8, 2, 5
	s_mov_b32 s78, exec_lo
	s_delay_alu instid0(VALU_DEP_1)
	v_cmpx_eq_u32_e32 0, v5
; %bb.10772:                            ;   in Loop: Header=BB4_10490 Depth=3
	v_clz_i32_u32_e32 v2, v2
	v_mov_b32_e32 v5, v3
	s_delay_alu instid0(VALU_DEP_2) | instskip(NEXT) | instid1(VALU_DEP_1)
	v_min_u32_e32 v2, 32, v2
	v_subrev_nc_u32_e32 v8, 29, v2
	s_delay_alu instid0(VALU_DEP_1) | instskip(NEXT) | instid1(VALU_DEP_1)
	v_lshlrev_b64_e32 v[4:5], v8, v[4:5]
	v_dual_sub_nc_u32 v5, 30, v2 :: v_dual_bitop2_b32 v2, 3, v4 bitop3:0x40
; %bb.10773:                            ;   in Loop: Header=BB4_10490 Depth=3
	s_or_b32 exec_lo, exec_lo, s78
	v_lshlrev_b32_e32 v4, 16, v10
	s_delay_alu instid0(VALU_DEP_1) | instskip(NEXT) | instid1(VALU_DEP_1)
	v_and_b32_e32 v4, 0x80000000, v4
	v_lshl_add_u32 v4, v5, 23, v4
	s_delay_alu instid0(VALU_DEP_1) | instskip(NEXT) | instid1(VALU_DEP_1)
	v_lshl_or_b32 v2, v2, 21, v4
	v_add_nc_u32_e32 v5, 0x38000000, v2
                                        ; implicit-def: $vgpr2
.LBB4_10774:                            ;   in Loop: Header=BB4_10490 Depth=3
	s_and_not1_saveexec_b32 s43, s43
; %bb.10775:                            ;   in Loop: Header=BB4_10490 Depth=3
	v_cmp_lt_i16_e32 vcc_lo, -1, v10
	v_cndmask_b32_e32 v4, 0xff800000, v48, vcc_lo
	v_cmp_eq_u32_e32 vcc_lo, 0, v2
	s_delay_alu instid0(VALU_DEP_2)
	v_cndmask_b32_e32 v5, 0x7f800001, v4, vcc_lo
; %bb.10776:                            ;   in Loop: Header=BB4_10490 Depth=3
	s_or_b32 exec_lo, exec_lo, s43
.LBB4_10777:                            ;   in Loop: Header=BB4_10490 Depth=3
	s_delay_alu instid0(SALU_CYCLE_1)
	s_or_b32 exec_lo, exec_lo, s42
.LBB4_10778:                            ;   in Loop: Header=BB4_10490 Depth=3
	s_delay_alu instid0(SALU_CYCLE_1) | instskip(NEXT) | instid1(VALU_DEP_1)
	s_or_b32 exec_lo, exec_lo, s14
	v_dual_mul_f32 v8, s15, v5 :: v_dual_mov_b32 v17, v3
	v_mov_b32_e32 v5, v3
                                        ; implicit-def: $vgpr116
	s_mov_b32 s14, exec_lo
	s_delay_alu instid0(VALU_DEP_2) | instskip(SKIP_2) | instid1(VALU_DEP_3)
	v_and_b32_e32 v16, 0x7f800000, v8
	v_and_b32_e32 v4, 0x7fffff, v8
	v_lshrrev_b32_e32 v2, 24, v8
	v_cmpx_ne_u64_e32 0x7f800000, v[16:17]
	s_xor_b32 s42, exec_lo, s14
	s_cbranch_execz .LBB4_10792
; %bb.10779:                            ;   in Loop: Header=BB4_10490 Depth=3
	v_and_b32_e32 v16, 0x7fffffff, v8
	v_mov_b32_e32 v17, v3
	v_and_b32_e32 v2, 0x80, v2
                                        ; implicit-def: $vgpr116
	s_mov_b32 s14, exec_lo
	s_delay_alu instid0(VALU_DEP_2)
	v_cmpx_gt_u64_e32 0x47600001, v[16:17]
	s_xor_b32 s43, exec_lo, s14
	s_cbranch_execz .LBB4_10789
; %bb.10780:                            ;   in Loop: Header=BB4_10490 Depth=3
	v_mov_b32_e32 v116, 0
	s_mov_b32 s78, exec_lo
	v_cmpx_ne_u32_e32 0, v8
	s_cbranch_execz .LBB4_10788
; %bb.10781:                            ;   in Loop: Header=BB4_10490 Depth=3
	v_bfe_u32 v16, v8, 23, 8
	v_or_b32_e32 v18, 0x800000, v4
	s_delay_alu instid0(VALU_DEP_2) | instskip(SKIP_1) | instid1(VALU_DEP_2)
	v_sub_nc_u32_e32 v8, 0x71, v16
	v_cmp_gt_u32_e32 vcc_lo, 0x72, v16
	v_cndmask_b32_e32 v8, 0, v8, vcc_lo
	v_cmp_eq_u32_e32 vcc_lo, 0, v16
	s_delay_alu instid0(VALU_DEP_2) | instskip(NEXT) | instid1(VALU_DEP_1)
	v_cndmask_b32_e64 v17, v8, 0x70, vcc_lo
	v_dual_cndmask_b32 v4, v18, v4, vcc_lo :: v_dual_add_nc_u32 v8, 21, v17
	v_add_nc_u32_e32 v19, 20, v17
	s_delay_alu instid0(VALU_DEP_2) | instskip(NEXT) | instid1(VALU_DEP_2)
	v_lshlrev_b64_e64 v[8:9], v8, -1
	v_lshlrev_b64_e64 v[18:19], v19, 1
	s_delay_alu instid0(VALU_DEP_2) | instskip(SKIP_1) | instid1(VALU_DEP_4)
	v_bfi_b32 v8, v8, 0, v4
	v_lshrrev_b64 v[4:5], v17, v[4:5]
	v_bfi_b32 v9, v9, 0, 0
	s_delay_alu instid0(VALU_DEP_1) | instskip(NEXT) | instid1(VALU_DEP_3)
	v_cmp_eq_u64_e64 s14, v[8:9], v[18:19]
	v_mov_b64_e32 v[8:9], v[4:5]
	s_and_saveexec_b32 s79, s14
; %bb.10782:                            ;   in Loop: Header=BB4_10490 Depth=3
	v_bfe_u32 v8, v4, 21, 1
	v_mov_b32_e32 v9, v3
	s_delay_alu instid0(VALU_DEP_1) | instskip(NEXT) | instid1(VALU_DEP_1)
	v_add_nc_u64_e32 v[8:9], v[4:5], v[8:9]
	v_add_nc_u64_e32 v[8:9], -1, v[8:9]
; %bb.10783:                            ;   in Loop: Header=BB4_10490 Depth=3
	s_or_b32 exec_lo, exec_lo, s79
	v_add_nc_u32_e32 v5, 0xffffff81, v16
	v_lshrrev_b32_e32 v9, 23, v4
	s_mov_b32 s14, exec_lo
	s_delay_alu instid0(VALU_DEP_2) | instskip(NEXT) | instid1(VALU_DEP_1)
	v_cndmask_b32_e64 v5, v5, 0xffffff82, vcc_lo
	v_add3_u32 v9, v17, v5, v9
	v_and_b32_e32 v5, 0x1fffff, v8
                                        ; implicit-def: $vgpr8
	s_delay_alu instid0(VALU_DEP_1) | instskip(SKIP_1) | instid1(VALU_DEP_2)
	v_dual_add_nc_u32 v16, 14, v9 :: v_dual_add_nc_u32 v4, v5, v4
	v_mov_b32_e32 v5, v3
	v_cmpx_ne_u32_e32 0, v16
	s_xor_b32 s14, exec_lo, s14
; %bb.10784:                            ;   in Loop: Header=BB4_10490 Depth=3
	s_delay_alu instid0(VALU_DEP_2) | instskip(SKIP_2) | instid1(VALU_DEP_2)
	v_cmp_lt_u64_e32 vcc_lo, 0xffffff, v[4:5]
	v_add_nc_u32_e32 v8, 15, v9
	v_cndmask_b32_e64 v9, 0, 1, vcc_lo
	v_cndmask_b32_e32 v8, v16, v8, vcc_lo
	s_delay_alu instid0(VALU_DEP_2)
	v_lshrrev_b64 v[4:5], v9, v[4:5]
; %bb.10785:                            ;   in Loop: Header=BB4_10490 Depth=3
	s_and_not1_saveexec_b32 s14, s14
; %bb.10786:                            ;   in Loop: Header=BB4_10490 Depth=3
	s_delay_alu instid0(VALU_DEP_1)
	v_bfe_u32 v8, v4, 23, 1
; %bb.10787:                            ;   in Loop: Header=BB4_10490 Depth=3
	s_or_b32 exec_lo, exec_lo, s14
	s_delay_alu instid0(VALU_DEP_2) | instskip(NEXT) | instid1(VALU_DEP_2)
	v_lshrrev_b64 v[4:5], 21, v[4:5]
	v_cmp_gt_i32_e32 vcc_lo, 32, v8
	v_min_i32_e32 v9, 31, v8
	v_cmp_eq_u32_e64 s14, 0, v8
	s_delay_alu instid0(VALU_DEP_4) | instskip(NEXT) | instid1(VALU_DEP_3)
	v_cndmask_b32_e32 v5, 0, v5, vcc_lo
	v_dual_cndmask_b32 v4, 3, v4 :: v_dual_lshlrev_b32 v9, 2, v9
	s_delay_alu instid0(VALU_DEP_1) | instskip(NEXT) | instid1(VALU_DEP_2)
	v_and_b32_e32 v9, 0xfc, v9
	v_cmp_eq_u64_e32 vcc_lo, 0, v[4:5]
	s_delay_alu instid0(VALU_DEP_2)
	v_and_or_b32 v4, v4, 3, v9
	s_and_b32 s14, s14, vcc_lo
	s_delay_alu instid0(VALU_DEP_1) | instid1(SALU_CYCLE_1)
	v_cndmask_b32_e64 v4, v4, 0, s14
	s_delay_alu instid0(VALU_DEP_1)
	v_or_b32_e32 v116, v4, v2
.LBB4_10788:                            ;   in Loop: Header=BB4_10490 Depth=3
	s_or_b32 exec_lo, exec_lo, s78
                                        ; implicit-def: $vgpr2
.LBB4_10789:                            ;   in Loop: Header=BB4_10490 Depth=3
	s_and_not1_saveexec_b32 s14, s43
; %bb.10790:                            ;   in Loop: Header=BB4_10490 Depth=3
	v_or_b32_e32 v116, 0x7b, v2
; %bb.10791:                            ;   in Loop: Header=BB4_10490 Depth=3
	s_or_b32 exec_lo, exec_lo, s14
                                        ; implicit-def: $vgpr8
                                        ; implicit-def: $vgpr4_vgpr5
                                        ; implicit-def: $vgpr2
.LBB4_10792:                            ;   in Loop: Header=BB4_10490 Depth=3
	s_and_not1_saveexec_b32 s14, s42
	s_cbranch_execz .LBB4_10798
; %bb.10793:                            ;   in Loop: Header=BB4_10490 Depth=3
	s_mov_b32 s42, exec_lo
                                        ; implicit-def: $vgpr116
	v_cmpx_ne_u64_e32 0, v[4:5]
	s_xor_b32 s42, exec_lo, s42
; %bb.10794:                            ;   in Loop: Header=BB4_10490 Depth=3
	v_or_b32_e32 v116, 0x7f, v2
                                        ; implicit-def: $vgpr8
; %bb.10795:                            ;   in Loop: Header=BB4_10490 Depth=3
	s_and_not1_saveexec_b32 s42, s42
; %bb.10796:                            ;   in Loop: Header=BB4_10490 Depth=3
	v_cmp_lt_i32_e32 vcc_lo, -1, v8
	v_cndmask_b32_e32 v116, 0xfc, v49, vcc_lo
; %bb.10797:                            ;   in Loop: Header=BB4_10490 Depth=3
	s_or_b32 exec_lo, exec_lo, s42
.LBB4_10798:                            ;   in Loop: Header=BB4_10490 Depth=3
	s_delay_alu instid0(SALU_CYCLE_1) | instskip(SKIP_2) | instid1(VALU_DEP_1)
	s_or_b32 exec_lo, exec_lo, s14
	v_dual_lshrrev_b32 v2, 16, v10 :: v_dual_mov_b32 v4, 0
	s_mov_b32 s14, exec_lo
	v_and_b32_e32 v5, 0xff, v2
	s_delay_alu instid0(VALU_DEP_1)
	v_cmpx_ne_u16_e32 0, v5
	s_cbranch_execz .LBB4_10808
; %bb.10799:                            ;   in Loop: Header=BB4_10490 Depth=3
	v_bfrev_b32_e32 v4, 1
	s_mov_b32 s42, exec_lo
	v_cmpx_ne_u16_e32 0x80, v5
	s_cbranch_execz .LBB4_10807
; %bb.10800:                            ;   in Loop: Header=BB4_10490 Depth=3
	v_and_b32_e32 v4, 0x7c0000, v10
	v_bfe_u32 v5, v10, 16, 2
	s_delay_alu instid0(VALU_DEP_2) | instskip(SKIP_1) | instid1(SALU_CYCLE_1)
	v_cmp_ne_u32_e32 vcc_lo, 0x7c0000, v4
                                        ; implicit-def: $vgpr4
	s_and_saveexec_b32 s43, vcc_lo
	s_xor_b32 s43, exec_lo, s43
	s_cbranch_execz .LBB4_10804
; %bb.10801:                            ;   in Loop: Header=BB4_10490 Depth=3
	v_bfe_u32 v4, v10, 18, 5
	s_mov_b32 s78, exec_lo
	s_delay_alu instid0(VALU_DEP_1)
	v_cmpx_eq_u32_e32 0, v4
; %bb.10802:                            ;   in Loop: Header=BB4_10490 Depth=3
	v_clz_i32_u32_e32 v4, v5
	s_delay_alu instid0(VALU_DEP_1) | instskip(NEXT) | instid1(VALU_DEP_1)
	v_min_u32_e32 v4, 32, v4
	v_subrev_nc_u32_e32 v5, 29, v4
	v_sub_nc_u32_e32 v4, 30, v4
	s_delay_alu instid0(VALU_DEP_2) | instskip(NEXT) | instid1(VALU_DEP_1)
	v_lshlrev_b64_e32 v[8:9], v5, v[2:3]
	v_and_b32_e32 v5, 3, v8
; %bb.10803:                            ;   in Loop: Header=BB4_10490 Depth=3
	s_or_b32 exec_lo, exec_lo, s78
	v_lshlrev_b32_e32 v2, 24, v2
	s_delay_alu instid0(VALU_DEP_1) | instskip(NEXT) | instid1(VALU_DEP_1)
	v_and_b32_e32 v2, 0x80000000, v2
	v_lshl_add_u32 v2, v4, 23, v2
	s_delay_alu instid0(VALU_DEP_1) | instskip(NEXT) | instid1(VALU_DEP_1)
	v_lshl_or_b32 v2, v5, 21, v2
                                        ; implicit-def: $vgpr5
	v_add_nc_u32_e32 v4, 0x38000000, v2
                                        ; implicit-def: $vgpr2
.LBB4_10804:                            ;   in Loop: Header=BB4_10490 Depth=3
	s_and_not1_saveexec_b32 s43, s43
; %bb.10805:                            ;   in Loop: Header=BB4_10490 Depth=3
	v_bfe_i32 v2, v2, 0, 8
	s_delay_alu instid0(VALU_DEP_1) | instskip(SKIP_2) | instid1(VALU_DEP_2)
	v_cmp_lt_i16_e32 vcc_lo, -1, v2
	v_cndmask_b32_e32 v2, 0xff800000, v48, vcc_lo
	v_cmp_eq_u32_e32 vcc_lo, 0, v5
	v_cndmask_b32_e32 v4, 0x7f800001, v2, vcc_lo
; %bb.10806:                            ;   in Loop: Header=BB4_10490 Depth=3
	s_or_b32 exec_lo, exec_lo, s43
.LBB4_10807:                            ;   in Loop: Header=BB4_10490 Depth=3
	s_delay_alu instid0(SALU_CYCLE_1)
	s_or_b32 exec_lo, exec_lo, s42
.LBB4_10808:                            ;   in Loop: Header=BB4_10490 Depth=3
	s_delay_alu instid0(SALU_CYCLE_1) | instskip(NEXT) | instid1(VALU_DEP_1)
	s_or_b32 exec_lo, exec_lo, s14
	v_dual_mul_f32 v8, s15, v4 :: v_dual_mov_b32 v17, v3
	v_mov_b32_e32 v5, v3
                                        ; implicit-def: $vgpr119
	s_mov_b32 s14, exec_lo
	s_delay_alu instid0(VALU_DEP_2) | instskip(SKIP_2) | instid1(VALU_DEP_3)
	v_and_b32_e32 v16, 0x7f800000, v8
	v_and_b32_e32 v4, 0x7fffff, v8
	v_lshrrev_b32_e32 v2, 24, v8
	v_cmpx_ne_u64_e32 0x7f800000, v[16:17]
	s_xor_b32 s42, exec_lo, s14
	s_cbranch_execz .LBB4_10822
; %bb.10809:                            ;   in Loop: Header=BB4_10490 Depth=3
	v_and_b32_e32 v16, 0x7fffffff, v8
	v_mov_b32_e32 v17, v3
	v_and_b32_e32 v2, 0x80, v2
                                        ; implicit-def: $vgpr119
	s_mov_b32 s14, exec_lo
	s_delay_alu instid0(VALU_DEP_2)
	v_cmpx_gt_u64_e32 0x47600001, v[16:17]
	s_xor_b32 s43, exec_lo, s14
	s_cbranch_execz .LBB4_10819
; %bb.10810:                            ;   in Loop: Header=BB4_10490 Depth=3
	v_mov_b32_e32 v119, 0
	s_mov_b32 s78, exec_lo
	v_cmpx_ne_u32_e32 0, v8
	s_cbranch_execz .LBB4_10818
; %bb.10811:                            ;   in Loop: Header=BB4_10490 Depth=3
	v_bfe_u32 v16, v8, 23, 8
	v_or_b32_e32 v18, 0x800000, v4
	s_delay_alu instid0(VALU_DEP_2) | instskip(SKIP_1) | instid1(VALU_DEP_2)
	v_sub_nc_u32_e32 v8, 0x71, v16
	v_cmp_gt_u32_e32 vcc_lo, 0x72, v16
	v_cndmask_b32_e32 v8, 0, v8, vcc_lo
	v_cmp_eq_u32_e32 vcc_lo, 0, v16
	s_delay_alu instid0(VALU_DEP_2) | instskip(NEXT) | instid1(VALU_DEP_1)
	v_cndmask_b32_e64 v17, v8, 0x70, vcc_lo
	v_dual_cndmask_b32 v4, v18, v4, vcc_lo :: v_dual_add_nc_u32 v8, 21, v17
	v_add_nc_u32_e32 v19, 20, v17
	s_delay_alu instid0(VALU_DEP_2) | instskip(NEXT) | instid1(VALU_DEP_2)
	v_lshlrev_b64_e64 v[8:9], v8, -1
	v_lshlrev_b64_e64 v[18:19], v19, 1
	s_delay_alu instid0(VALU_DEP_2) | instskip(SKIP_1) | instid1(VALU_DEP_4)
	v_bfi_b32 v8, v8, 0, v4
	v_lshrrev_b64 v[4:5], v17, v[4:5]
	v_bfi_b32 v9, v9, 0, 0
	s_delay_alu instid0(VALU_DEP_1) | instskip(NEXT) | instid1(VALU_DEP_3)
	v_cmp_eq_u64_e64 s14, v[8:9], v[18:19]
	v_mov_b64_e32 v[8:9], v[4:5]
	s_and_saveexec_b32 s79, s14
; %bb.10812:                            ;   in Loop: Header=BB4_10490 Depth=3
	v_bfe_u32 v8, v4, 21, 1
	v_mov_b32_e32 v9, v3
	s_delay_alu instid0(VALU_DEP_1) | instskip(NEXT) | instid1(VALU_DEP_1)
	v_add_nc_u64_e32 v[8:9], v[4:5], v[8:9]
	v_add_nc_u64_e32 v[8:9], -1, v[8:9]
; %bb.10813:                            ;   in Loop: Header=BB4_10490 Depth=3
	s_or_b32 exec_lo, exec_lo, s79
	v_add_nc_u32_e32 v5, 0xffffff81, v16
	v_lshrrev_b32_e32 v9, 23, v4
	s_mov_b32 s14, exec_lo
	s_delay_alu instid0(VALU_DEP_2) | instskip(NEXT) | instid1(VALU_DEP_1)
	v_cndmask_b32_e64 v5, v5, 0xffffff82, vcc_lo
	v_add3_u32 v9, v17, v5, v9
	v_and_b32_e32 v5, 0x1fffff, v8
                                        ; implicit-def: $vgpr8
	s_delay_alu instid0(VALU_DEP_1) | instskip(SKIP_1) | instid1(VALU_DEP_2)
	v_dual_add_nc_u32 v16, 14, v9 :: v_dual_add_nc_u32 v4, v5, v4
	v_mov_b32_e32 v5, v3
	v_cmpx_ne_u32_e32 0, v16
	s_xor_b32 s14, exec_lo, s14
; %bb.10814:                            ;   in Loop: Header=BB4_10490 Depth=3
	s_delay_alu instid0(VALU_DEP_2) | instskip(SKIP_2) | instid1(VALU_DEP_2)
	v_cmp_lt_u64_e32 vcc_lo, 0xffffff, v[4:5]
	v_add_nc_u32_e32 v8, 15, v9
	v_cndmask_b32_e64 v9, 0, 1, vcc_lo
	v_cndmask_b32_e32 v8, v16, v8, vcc_lo
	s_delay_alu instid0(VALU_DEP_2)
	v_lshrrev_b64 v[4:5], v9, v[4:5]
; %bb.10815:                            ;   in Loop: Header=BB4_10490 Depth=3
	s_and_not1_saveexec_b32 s14, s14
; %bb.10816:                            ;   in Loop: Header=BB4_10490 Depth=3
	s_delay_alu instid0(VALU_DEP_1)
	v_bfe_u32 v8, v4, 23, 1
; %bb.10817:                            ;   in Loop: Header=BB4_10490 Depth=3
	s_or_b32 exec_lo, exec_lo, s14
	s_delay_alu instid0(VALU_DEP_2) | instskip(NEXT) | instid1(VALU_DEP_2)
	v_lshrrev_b64 v[4:5], 21, v[4:5]
	v_cmp_gt_i32_e32 vcc_lo, 32, v8
	v_min_i32_e32 v9, 31, v8
	v_cmp_eq_u32_e64 s14, 0, v8
	s_delay_alu instid0(VALU_DEP_4) | instskip(NEXT) | instid1(VALU_DEP_3)
	v_cndmask_b32_e32 v5, 0, v5, vcc_lo
	v_dual_cndmask_b32 v4, 3, v4 :: v_dual_lshlrev_b32 v9, 2, v9
	s_delay_alu instid0(VALU_DEP_1) | instskip(NEXT) | instid1(VALU_DEP_2)
	v_and_b32_e32 v9, 0xfc, v9
	v_cmp_eq_u64_e32 vcc_lo, 0, v[4:5]
	s_delay_alu instid0(VALU_DEP_2)
	v_and_or_b32 v4, v4, 3, v9
	s_and_b32 s14, s14, vcc_lo
	s_delay_alu instid0(VALU_DEP_1) | instid1(SALU_CYCLE_1)
	v_cndmask_b32_e64 v4, v4, 0, s14
	s_delay_alu instid0(VALU_DEP_1)
	v_or_b32_e32 v119, v4, v2
.LBB4_10818:                            ;   in Loop: Header=BB4_10490 Depth=3
	s_or_b32 exec_lo, exec_lo, s78
                                        ; implicit-def: $vgpr2
.LBB4_10819:                            ;   in Loop: Header=BB4_10490 Depth=3
	s_and_not1_saveexec_b32 s14, s43
; %bb.10820:                            ;   in Loop: Header=BB4_10490 Depth=3
	v_or_b32_e32 v119, 0x7b, v2
; %bb.10821:                            ;   in Loop: Header=BB4_10490 Depth=3
	s_or_b32 exec_lo, exec_lo, s14
                                        ; implicit-def: $vgpr8
                                        ; implicit-def: $vgpr4_vgpr5
                                        ; implicit-def: $vgpr2
.LBB4_10822:                            ;   in Loop: Header=BB4_10490 Depth=3
	s_and_not1_saveexec_b32 s14, s42
	s_cbranch_execz .LBB4_10828
; %bb.10823:                            ;   in Loop: Header=BB4_10490 Depth=3
	s_mov_b32 s42, exec_lo
                                        ; implicit-def: $vgpr119
	v_cmpx_ne_u64_e32 0, v[4:5]
	s_xor_b32 s42, exec_lo, s42
; %bb.10824:                            ;   in Loop: Header=BB4_10490 Depth=3
	v_or_b32_e32 v119, 0x7f, v2
                                        ; implicit-def: $vgpr8
; %bb.10825:                            ;   in Loop: Header=BB4_10490 Depth=3
	s_and_not1_saveexec_b32 s42, s42
; %bb.10826:                            ;   in Loop: Header=BB4_10490 Depth=3
	v_cmp_lt_i32_e32 vcc_lo, -1, v8
	v_cndmask_b32_e32 v119, 0xfc, v49, vcc_lo
; %bb.10827:                            ;   in Loop: Header=BB4_10490 Depth=3
	s_or_b32 exec_lo, exec_lo, s42
.LBB4_10828:                            ;   in Loop: Header=BB4_10490 Depth=3
	s_delay_alu instid0(SALU_CYCLE_1)
	s_or_b32 exec_lo, exec_lo, s14
	v_mov_b32_e32 v4, 0
	s_mov_b32 s14, exec_lo
	v_cmpx_lt_u32_e32 0xffffff, v10
	s_cbranch_execz .LBB4_10838
; %bb.10829:                            ;   in Loop: Header=BB4_10490 Depth=3
	v_lshrrev_b32_e32 v2, 24, v10
	v_bfrev_b32_e32 v4, 1
	s_mov_b32 s42, exec_lo
	s_delay_alu instid0(VALU_DEP_2)
	v_cmpx_ne_u32_e32 0x80, v2
	s_cbranch_execz .LBB4_10837
; %bb.10830:                            ;   in Loop: Header=BB4_10490 Depth=3
	v_and_b32_e32 v4, 0x7c000000, v10
	v_bfe_u32 v5, v10, 24, 2
	s_delay_alu instid0(VALU_DEP_2) | instskip(SKIP_1) | instid1(SALU_CYCLE_1)
	v_cmp_ne_u32_e32 vcc_lo, 0x7c000000, v4
                                        ; implicit-def: $vgpr4
	s_and_saveexec_b32 s43, vcc_lo
	s_xor_b32 s43, exec_lo, s43
	s_cbranch_execz .LBB4_10834
; %bb.10831:                            ;   in Loop: Header=BB4_10490 Depth=3
	v_bfe_u32 v4, v10, 26, 5
	s_mov_b32 s78, exec_lo
	s_delay_alu instid0(VALU_DEP_1)
	v_cmpx_eq_u32_e32 0, v4
; %bb.10832:                            ;   in Loop: Header=BB4_10490 Depth=3
	v_clz_i32_u32_e32 v4, v5
	s_delay_alu instid0(VALU_DEP_1) | instskip(NEXT) | instid1(VALU_DEP_1)
	v_min_u32_e32 v4, 32, v4
	v_subrev_nc_u32_e32 v5, 29, v4
	v_sub_nc_u32_e32 v4, 30, v4
	s_delay_alu instid0(VALU_DEP_2) | instskip(NEXT) | instid1(VALU_DEP_1)
	v_lshlrev_b64_e32 v[8:9], v5, v[2:3]
	v_and_b32_e32 v5, 3, v8
; %bb.10833:                            ;   in Loop: Header=BB4_10490 Depth=3
	s_or_b32 exec_lo, exec_lo, s78
	v_and_b32_e32 v2, 0x80000000, v10
	s_delay_alu instid0(VALU_DEP_1) | instskip(NEXT) | instid1(VALU_DEP_1)
	v_lshl_add_u32 v2, v4, 23, v2
	v_lshl_or_b32 v2, v5, 21, v2
                                        ; implicit-def: $vgpr5
	s_delay_alu instid0(VALU_DEP_1)
	v_add_nc_u32_e32 v4, 0x38000000, v2
.LBB4_10834:                            ;   in Loop: Header=BB4_10490 Depth=3
	s_and_not1_saveexec_b32 s43, s43
; %bb.10835:                            ;   in Loop: Header=BB4_10490 Depth=3
	v_cmp_lt_i32_e32 vcc_lo, -1, v10
	v_cndmask_b32_e32 v2, 0xff800000, v48, vcc_lo
	v_cmp_eq_u32_e32 vcc_lo, 0, v5
	s_delay_alu instid0(VALU_DEP_2)
	v_cndmask_b32_e32 v4, 0x7f800001, v2, vcc_lo
; %bb.10836:                            ;   in Loop: Header=BB4_10490 Depth=3
	s_or_b32 exec_lo, exec_lo, s43
.LBB4_10837:                            ;   in Loop: Header=BB4_10490 Depth=3
	s_delay_alu instid0(SALU_CYCLE_1)
	s_or_b32 exec_lo, exec_lo, s42
.LBB4_10838:                            ;   in Loop: Header=BB4_10490 Depth=3
	s_delay_alu instid0(SALU_CYCLE_1) | instskip(NEXT) | instid1(VALU_DEP_1)
	s_or_b32 exec_lo, exec_lo, s14
	v_dual_mul_f32 v8, s15, v4 :: v_dual_mov_b32 v17, v3
	v_mov_b32_e32 v5, v3
                                        ; implicit-def: $vgpr41
	s_mov_b32 s14, exec_lo
	s_delay_alu instid0(VALU_DEP_2) | instskip(SKIP_2) | instid1(VALU_DEP_3)
	v_and_b32_e32 v16, 0x7f800000, v8
	v_and_b32_e32 v4, 0x7fffff, v8
	v_lshrrev_b32_e32 v2, 24, v8
	v_cmpx_ne_u64_e32 0x7f800000, v[16:17]
	s_xor_b32 s42, exec_lo, s14
	s_cbranch_execz .LBB4_10852
; %bb.10839:                            ;   in Loop: Header=BB4_10490 Depth=3
	v_and_b32_e32 v16, 0x7fffffff, v8
	v_mov_b32_e32 v17, v3
	v_and_b32_e32 v2, 0x80, v2
                                        ; implicit-def: $vgpr41
	s_mov_b32 s14, exec_lo
	s_delay_alu instid0(VALU_DEP_2)
	v_cmpx_gt_u64_e32 0x47600001, v[16:17]
	s_xor_b32 s43, exec_lo, s14
	s_cbranch_execz .LBB4_10849
; %bb.10840:                            ;   in Loop: Header=BB4_10490 Depth=3
	v_mov_b32_e32 v41, 0
	s_mov_b32 s78, exec_lo
	v_cmpx_ne_u32_e32 0, v8
	s_cbranch_execz .LBB4_10848
; %bb.10841:                            ;   in Loop: Header=BB4_10490 Depth=3
	v_bfe_u32 v16, v8, 23, 8
	v_or_b32_e32 v18, 0x800000, v4
	s_delay_alu instid0(VALU_DEP_2) | instskip(SKIP_1) | instid1(VALU_DEP_2)
	v_sub_nc_u32_e32 v8, 0x71, v16
	v_cmp_gt_u32_e32 vcc_lo, 0x72, v16
	v_cndmask_b32_e32 v8, 0, v8, vcc_lo
	v_cmp_eq_u32_e32 vcc_lo, 0, v16
	s_delay_alu instid0(VALU_DEP_2) | instskip(NEXT) | instid1(VALU_DEP_1)
	v_cndmask_b32_e64 v17, v8, 0x70, vcc_lo
	v_dual_cndmask_b32 v4, v18, v4, vcc_lo :: v_dual_add_nc_u32 v8, 21, v17
	v_add_nc_u32_e32 v19, 20, v17
	s_delay_alu instid0(VALU_DEP_2) | instskip(NEXT) | instid1(VALU_DEP_2)
	v_lshlrev_b64_e64 v[8:9], v8, -1
	v_lshlrev_b64_e64 v[18:19], v19, 1
	s_delay_alu instid0(VALU_DEP_2) | instskip(SKIP_1) | instid1(VALU_DEP_4)
	v_bfi_b32 v8, v8, 0, v4
	v_lshrrev_b64 v[4:5], v17, v[4:5]
	v_bfi_b32 v9, v9, 0, 0
	s_delay_alu instid0(VALU_DEP_1) | instskip(NEXT) | instid1(VALU_DEP_3)
	v_cmp_eq_u64_e64 s14, v[8:9], v[18:19]
	v_mov_b64_e32 v[8:9], v[4:5]
	s_and_saveexec_b32 s79, s14
; %bb.10842:                            ;   in Loop: Header=BB4_10490 Depth=3
	v_bfe_u32 v8, v4, 21, 1
	v_mov_b32_e32 v9, v3
	s_delay_alu instid0(VALU_DEP_1) | instskip(NEXT) | instid1(VALU_DEP_1)
	v_add_nc_u64_e32 v[8:9], v[4:5], v[8:9]
	v_add_nc_u64_e32 v[8:9], -1, v[8:9]
; %bb.10843:                            ;   in Loop: Header=BB4_10490 Depth=3
	s_or_b32 exec_lo, exec_lo, s79
	v_add_nc_u32_e32 v5, 0xffffff81, v16
	v_lshrrev_b32_e32 v9, 23, v4
	s_mov_b32 s14, exec_lo
	s_delay_alu instid0(VALU_DEP_2) | instskip(NEXT) | instid1(VALU_DEP_1)
	v_cndmask_b32_e64 v5, v5, 0xffffff82, vcc_lo
	v_add3_u32 v9, v17, v5, v9
	v_and_b32_e32 v5, 0x1fffff, v8
                                        ; implicit-def: $vgpr8
	s_delay_alu instid0(VALU_DEP_1) | instskip(SKIP_1) | instid1(VALU_DEP_2)
	v_dual_add_nc_u32 v16, 14, v9 :: v_dual_add_nc_u32 v4, v5, v4
	v_mov_b32_e32 v5, v3
	v_cmpx_ne_u32_e32 0, v16
	s_xor_b32 s14, exec_lo, s14
; %bb.10844:                            ;   in Loop: Header=BB4_10490 Depth=3
	s_delay_alu instid0(VALU_DEP_2) | instskip(SKIP_2) | instid1(VALU_DEP_2)
	v_cmp_lt_u64_e32 vcc_lo, 0xffffff, v[4:5]
	v_add_nc_u32_e32 v8, 15, v9
	v_cndmask_b32_e64 v9, 0, 1, vcc_lo
	v_cndmask_b32_e32 v8, v16, v8, vcc_lo
	s_delay_alu instid0(VALU_DEP_2)
	v_lshrrev_b64 v[4:5], v9, v[4:5]
; %bb.10845:                            ;   in Loop: Header=BB4_10490 Depth=3
	s_and_not1_saveexec_b32 s14, s14
; %bb.10846:                            ;   in Loop: Header=BB4_10490 Depth=3
	s_delay_alu instid0(VALU_DEP_1)
	v_bfe_u32 v8, v4, 23, 1
; %bb.10847:                            ;   in Loop: Header=BB4_10490 Depth=3
	s_or_b32 exec_lo, exec_lo, s14
	s_delay_alu instid0(VALU_DEP_2) | instskip(NEXT) | instid1(VALU_DEP_2)
	v_lshrrev_b64 v[4:5], 21, v[4:5]
	v_cmp_gt_i32_e32 vcc_lo, 32, v8
	v_min_i32_e32 v9, 31, v8
	v_cmp_eq_u32_e64 s14, 0, v8
	s_delay_alu instid0(VALU_DEP_4) | instskip(NEXT) | instid1(VALU_DEP_3)
	v_cndmask_b32_e32 v5, 0, v5, vcc_lo
	v_dual_cndmask_b32 v4, 3, v4 :: v_dual_lshlrev_b32 v9, 2, v9
	s_delay_alu instid0(VALU_DEP_1) | instskip(NEXT) | instid1(VALU_DEP_2)
	v_and_b32_e32 v9, 0xfc, v9
	v_cmp_eq_u64_e32 vcc_lo, 0, v[4:5]
	s_delay_alu instid0(VALU_DEP_2)
	v_and_or_b32 v4, v4, 3, v9
	s_and_b32 s14, s14, vcc_lo
	s_delay_alu instid0(VALU_DEP_1) | instid1(SALU_CYCLE_1)
	v_cndmask_b32_e64 v4, v4, 0, s14
	s_delay_alu instid0(VALU_DEP_1)
	v_or_b32_e32 v41, v4, v2
.LBB4_10848:                            ;   in Loop: Header=BB4_10490 Depth=3
	s_or_b32 exec_lo, exec_lo, s78
                                        ; implicit-def: $vgpr2
.LBB4_10849:                            ;   in Loop: Header=BB4_10490 Depth=3
	s_and_not1_saveexec_b32 s14, s43
; %bb.10850:                            ;   in Loop: Header=BB4_10490 Depth=3
	v_or_b32_e32 v41, 0x7b, v2
; %bb.10851:                            ;   in Loop: Header=BB4_10490 Depth=3
	s_or_b32 exec_lo, exec_lo, s14
                                        ; implicit-def: $vgpr8
                                        ; implicit-def: $vgpr4_vgpr5
                                        ; implicit-def: $vgpr2
.LBB4_10852:                            ;   in Loop: Header=BB4_10490 Depth=3
	s_and_not1_saveexec_b32 s14, s42
	s_cbranch_execz .LBB4_10858
; %bb.10853:                            ;   in Loop: Header=BB4_10490 Depth=3
	s_mov_b32 s42, exec_lo
                                        ; implicit-def: $vgpr41
	v_cmpx_ne_u64_e32 0, v[4:5]
	s_xor_b32 s42, exec_lo, s42
; %bb.10854:                            ;   in Loop: Header=BB4_10490 Depth=3
	v_or_b32_e32 v41, 0x7f, v2
                                        ; implicit-def: $vgpr8
; %bb.10855:                            ;   in Loop: Header=BB4_10490 Depth=3
	s_and_not1_saveexec_b32 s42, s42
; %bb.10856:                            ;   in Loop: Header=BB4_10490 Depth=3
	v_cmp_lt_i32_e32 vcc_lo, -1, v8
	v_cndmask_b32_e32 v41, 0xfc, v49, vcc_lo
; %bb.10857:                            ;   in Loop: Header=BB4_10490 Depth=3
	s_or_b32 exec_lo, exec_lo, s42
.LBB4_10858:                            ;   in Loop: Header=BB4_10490 Depth=3
	s_delay_alu instid0(SALU_CYCLE_1) | instskip(SKIP_4) | instid1(VALU_DEP_3)
	s_or_b32 exec_lo, exec_lo, s14
	v_and_b32_e32 v8, 0xff, v11
	v_dual_mov_b32 v4, v11 :: v_dual_mov_b32 v5, v3
	v_mov_b32_e32 v2, 0
	s_mov_b32 s14, exec_lo
	v_cmpx_ne_u16_e32 0, v8
	s_cbranch_execz .LBB4_10868
; %bb.10859:                            ;   in Loop: Header=BB4_10490 Depth=3
	v_bfrev_b32_e32 v2, 1
	s_mov_b32 s42, exec_lo
	v_cmpx_ne_u16_e32 0x80, v8
	s_cbranch_execz .LBB4_10867
; %bb.10860:                            ;   in Loop: Header=BB4_10490 Depth=3
	v_and_b32_e32 v2, 0x7c, v11
	v_and_b32_e32 v8, 3, v11
	s_delay_alu instid0(VALU_DEP_2) | instskip(SKIP_1) | instid1(SALU_CYCLE_1)
	v_cmp_ne_u32_e32 vcc_lo, 0x7c, v2
                                        ; implicit-def: $vgpr2
	s_and_saveexec_b32 s43, vcc_lo
	s_xor_b32 s43, exec_lo, s43
	s_cbranch_execz .LBB4_10864
; %bb.10861:                            ;   in Loop: Header=BB4_10490 Depth=3
	v_bfe_u32 v2, v11, 2, 5
	s_mov_b32 s78, exec_lo
	s_delay_alu instid0(VALU_DEP_1)
	v_cmpx_eq_u32_e32 0, v2
; %bb.10862:                            ;   in Loop: Header=BB4_10490 Depth=3
	v_clz_i32_u32_e32 v2, v8
	s_delay_alu instid0(VALU_DEP_1) | instskip(NEXT) | instid1(VALU_DEP_1)
	v_min_u32_e32 v2, 32, v2
	v_subrev_nc_u32_e32 v8, 29, v2
	s_delay_alu instid0(VALU_DEP_1) | instskip(NEXT) | instid1(VALU_DEP_1)
	v_lshlrev_b64_e32 v[8:9], v8, v[4:5]
	v_dual_sub_nc_u32 v2, 30, v2 :: v_dual_bitop2_b32 v8, 3, v8 bitop3:0x40
; %bb.10863:                            ;   in Loop: Header=BB4_10490 Depth=3
	s_or_b32 exec_lo, exec_lo, s78
	v_lshlrev_b32_e32 v5, 24, v11
	s_delay_alu instid0(VALU_DEP_1) | instskip(NEXT) | instid1(VALU_DEP_1)
	v_and_b32_e32 v5, 0x80000000, v5
	v_lshl_add_u32 v2, v2, 23, v5
	s_delay_alu instid0(VALU_DEP_1) | instskip(NEXT) | instid1(VALU_DEP_1)
	v_lshl_or_b32 v2, v8, 21, v2
                                        ; implicit-def: $vgpr8
	v_add_nc_u32_e32 v2, 0x38000000, v2
.LBB4_10864:                            ;   in Loop: Header=BB4_10490 Depth=3
	s_and_not1_saveexec_b32 s43, s43
; %bb.10865:                            ;   in Loop: Header=BB4_10490 Depth=3
	v_bfe_i32 v2, v11, 0, 8
	s_delay_alu instid0(VALU_DEP_1) | instskip(SKIP_2) | instid1(VALU_DEP_2)
	v_cmp_lt_i16_e32 vcc_lo, -1, v2
	v_cndmask_b32_e32 v2, 0xff800000, v48, vcc_lo
	v_cmp_eq_u32_e32 vcc_lo, 0, v8
	v_cndmask_b32_e32 v2, 0x7f800001, v2, vcc_lo
; %bb.10866:                            ;   in Loop: Header=BB4_10490 Depth=3
	s_or_b32 exec_lo, exec_lo, s43
.LBB4_10867:                            ;   in Loop: Header=BB4_10490 Depth=3
	s_delay_alu instid0(SALU_CYCLE_1)
	s_or_b32 exec_lo, exec_lo, s42
.LBB4_10868:                            ;   in Loop: Header=BB4_10490 Depth=3
	s_delay_alu instid0(SALU_CYCLE_1) | instskip(NEXT) | instid1(VALU_DEP_1)
	s_or_b32 exec_lo, exec_lo, s14
	v_dual_mul_f32 v5, s15, v2 :: v_dual_mov_b32 v17, v3
	v_mov_b32_e32 v9, v3
                                        ; implicit-def: $vgpr67
	s_mov_b32 s14, exec_lo
	s_delay_alu instid0(VALU_DEP_2) | instskip(SKIP_2) | instid1(VALU_DEP_3)
	v_and_b32_e32 v16, 0x7f800000, v5
	v_and_b32_e32 v8, 0x7fffff, v5
	v_lshrrev_b32_e32 v2, 24, v5
	v_cmpx_ne_u64_e32 0x7f800000, v[16:17]
	s_xor_b32 s42, exec_lo, s14
	s_cbranch_execz .LBB4_10882
; %bb.10869:                            ;   in Loop: Header=BB4_10490 Depth=3
	v_and_b32_e32 v16, 0x7fffffff, v5
	v_mov_b32_e32 v17, v3
	v_and_b32_e32 v2, 0x80, v2
                                        ; implicit-def: $vgpr67
	s_mov_b32 s14, exec_lo
	s_delay_alu instid0(VALU_DEP_2)
	v_cmpx_gt_u64_e32 0x47600001, v[16:17]
	s_xor_b32 s43, exec_lo, s14
	s_cbranch_execz .LBB4_10879
; %bb.10870:                            ;   in Loop: Header=BB4_10490 Depth=3
	v_mov_b32_e32 v67, 0
	s_mov_b32 s78, exec_lo
	v_cmpx_ne_u32_e32 0, v5
	s_cbranch_execz .LBB4_10878
; %bb.10871:                            ;   in Loop: Header=BB4_10490 Depth=3
	v_bfe_u32 v5, v5, 23, 8
	v_or_b32_e32 v19, 0x800000, v8
	s_delay_alu instid0(VALU_DEP_2) | instskip(SKIP_1) | instid1(VALU_DEP_2)
	v_sub_nc_u32_e32 v16, 0x71, v5
	v_cmp_gt_u32_e32 vcc_lo, 0x72, v5
	v_cndmask_b32_e32 v16, 0, v16, vcc_lo
	v_cmp_eq_u32_e32 vcc_lo, 0, v5
	s_delay_alu instid0(VALU_DEP_2) | instskip(NEXT) | instid1(VALU_DEP_1)
	v_cndmask_b32_e64 v18, v16, 0x70, vcc_lo
	v_dual_cndmask_b32 v8, v19, v8, vcc_lo :: v_dual_add_nc_u32 v16, 21, v18
	v_add_nc_u32_e32 v67, 20, v18
	s_delay_alu instid0(VALU_DEP_2) | instskip(NEXT) | instid1(VALU_DEP_2)
	v_lshlrev_b64_e64 v[16:17], v16, -1
	v_lshlrev_b64_e64 v[86:87], v67, 1
	s_delay_alu instid0(VALU_DEP_2) | instskip(SKIP_1) | instid1(VALU_DEP_4)
	v_bfi_b32 v16, v16, 0, v8
	v_lshrrev_b64 v[8:9], v18, v[8:9]
	v_bfi_b32 v17, v17, 0, 0
	s_delay_alu instid0(VALU_DEP_1) | instskip(NEXT) | instid1(VALU_DEP_3)
	v_cmp_eq_u64_e64 s14, v[16:17], v[86:87]
	v_mov_b64_e32 v[16:17], v[8:9]
	s_and_saveexec_b32 s79, s14
; %bb.10872:                            ;   in Loop: Header=BB4_10490 Depth=3
	v_bfe_u32 v16, v8, 21, 1
	v_mov_b32_e32 v17, v3
	s_delay_alu instid0(VALU_DEP_1) | instskip(NEXT) | instid1(VALU_DEP_1)
	v_add_nc_u64_e32 v[16:17], v[8:9], v[16:17]
	v_add_nc_u64_e32 v[16:17], -1, v[16:17]
; %bb.10873:                            ;   in Loop: Header=BB4_10490 Depth=3
	s_or_b32 exec_lo, exec_lo, s79
	v_add_nc_u32_e32 v5, 0xffffff81, v5
	v_lshrrev_b32_e32 v9, 23, v8
	s_mov_b32 s14, exec_lo
	s_delay_alu instid0(VALU_DEP_2) | instskip(NEXT) | instid1(VALU_DEP_1)
	v_cndmask_b32_e64 v5, v5, 0xffffff82, vcc_lo
	v_add3_u32 v17, v18, v5, v9
	v_and_b32_e32 v5, 0x1fffff, v16
	s_delay_alu instid0(VALU_DEP_2) | instskip(NEXT) | instid1(VALU_DEP_2)
	v_dual_mov_b32 v9, v3 :: v_dual_add_nc_u32 v16, 14, v17
	v_add_nc_u32_e32 v8, v5, v8
                                        ; implicit-def: $vgpr5
	s_delay_alu instid0(VALU_DEP_2)
	v_cmpx_ne_u32_e32 0, v16
	s_xor_b32 s14, exec_lo, s14
; %bb.10874:                            ;   in Loop: Header=BB4_10490 Depth=3
	s_delay_alu instid0(VALU_DEP_2) | instskip(SKIP_1) | instid1(VALU_DEP_1)
	v_cmp_lt_u64_e32 vcc_lo, 0xffffff, v[8:9]
	v_add_nc_u32_e32 v5, 15, v17
	v_cndmask_b32_e32 v5, v16, v5, vcc_lo
	v_cndmask_b32_e64 v16, 0, 1, vcc_lo
	s_delay_alu instid0(VALU_DEP_1)
	v_lshrrev_b64 v[8:9], v16, v[8:9]
; %bb.10875:                            ;   in Loop: Header=BB4_10490 Depth=3
	s_and_not1_saveexec_b32 s14, s14
; %bb.10876:                            ;   in Loop: Header=BB4_10490 Depth=3
	s_delay_alu instid0(VALU_DEP_1)
	v_bfe_u32 v5, v8, 23, 1
; %bb.10877:                            ;   in Loop: Header=BB4_10490 Depth=3
	s_or_b32 exec_lo, exec_lo, s14
	s_delay_alu instid0(VALU_DEP_2) | instskip(NEXT) | instid1(VALU_DEP_2)
	v_lshrrev_b64 v[8:9], 21, v[8:9]
	v_cmp_gt_i32_e32 vcc_lo, 32, v5
	v_min_i32_e32 v16, 31, v5
	v_cmp_eq_u32_e64 s14, 0, v5
	s_delay_alu instid0(VALU_DEP_4) | instskip(NEXT) | instid1(VALU_DEP_3)
	v_cndmask_b32_e32 v8, 3, v8, vcc_lo
	v_dual_cndmask_b32 v9, 0, v9 :: v_dual_lshlrev_b32 v16, 2, v16
	s_delay_alu instid0(VALU_DEP_1) | instskip(NEXT) | instid1(VALU_DEP_2)
	v_and_b32_e32 v16, 0xfc, v16
	v_cmp_eq_u64_e32 vcc_lo, 0, v[8:9]
	s_delay_alu instid0(VALU_DEP_2)
	v_and_or_b32 v5, v8, 3, v16
	s_and_b32 s14, s14, vcc_lo
	s_delay_alu instid0(VALU_DEP_1) | instid1(SALU_CYCLE_1)
	v_cndmask_b32_e64 v5, v5, 0, s14
	s_delay_alu instid0(VALU_DEP_1)
	v_or_b32_e32 v67, v5, v2
.LBB4_10878:                            ;   in Loop: Header=BB4_10490 Depth=3
	s_or_b32 exec_lo, exec_lo, s78
                                        ; implicit-def: $vgpr2
.LBB4_10879:                            ;   in Loop: Header=BB4_10490 Depth=3
	s_and_not1_saveexec_b32 s14, s43
; %bb.10880:                            ;   in Loop: Header=BB4_10490 Depth=3
	v_or_b32_e32 v67, 0x7b, v2
; %bb.10881:                            ;   in Loop: Header=BB4_10490 Depth=3
	s_or_b32 exec_lo, exec_lo, s14
                                        ; implicit-def: $vgpr5
                                        ; implicit-def: $vgpr8_vgpr9
                                        ; implicit-def: $vgpr2
.LBB4_10882:                            ;   in Loop: Header=BB4_10490 Depth=3
	s_and_not1_saveexec_b32 s14, s42
	s_cbranch_execz .LBB4_10888
; %bb.10883:                            ;   in Loop: Header=BB4_10490 Depth=3
	s_mov_b32 s42, exec_lo
                                        ; implicit-def: $vgpr67
	v_cmpx_ne_u64_e32 0, v[8:9]
	s_xor_b32 s42, exec_lo, s42
; %bb.10884:                            ;   in Loop: Header=BB4_10490 Depth=3
	v_or_b32_e32 v67, 0x7f, v2
                                        ; implicit-def: $vgpr5
; %bb.10885:                            ;   in Loop: Header=BB4_10490 Depth=3
	s_and_not1_saveexec_b32 s42, s42
; %bb.10886:                            ;   in Loop: Header=BB4_10490 Depth=3
	v_cmp_lt_i32_e32 vcc_lo, -1, v5
	v_cndmask_b32_e32 v67, 0xfc, v49, vcc_lo
; %bb.10887:                            ;   in Loop: Header=BB4_10490 Depth=3
	s_or_b32 exec_lo, exec_lo, s42
.LBB4_10888:                            ;   in Loop: Header=BB4_10490 Depth=3
	s_delay_alu instid0(SALU_CYCLE_1) | instskip(SKIP_3) | instid1(VALU_DEP_2)
	s_or_b32 exec_lo, exec_lo, s14
	v_lshrrev_b16 v8, 8, v4
	v_mov_b32_e32 v9, 0
	s_mov_b32 s14, exec_lo
	v_cmpx_ne_u16_e32 0, v8
	s_cbranch_execz .LBB4_10898
; %bb.10889:                            ;   in Loop: Header=BB4_10490 Depth=3
	v_bfrev_b32_e32 v9, 1
	s_mov_b32 s42, exec_lo
	v_cmpx_ne_u16_e32 0x80, v8
	s_cbranch_execz .LBB4_10897
; %bb.10890:                            ;   in Loop: Header=BB4_10490 Depth=3
	v_and_b32_e32 v5, 0xffff, v8
	s_delay_alu instid0(VALU_DEP_1) | instskip(SKIP_1) | instid1(VALU_DEP_2)
	v_and_b32_e32 v9, 0x7c, v5
	v_and_b32_e32 v2, 3, v5
	v_cmp_ne_u32_e32 vcc_lo, 0x7c, v9
                                        ; implicit-def: $vgpr9
	s_and_saveexec_b32 s43, vcc_lo
	s_delay_alu instid0(SALU_CYCLE_1)
	s_xor_b32 s43, exec_lo, s43
	s_cbranch_execz .LBB4_10894
; %bb.10891:                            ;   in Loop: Header=BB4_10490 Depth=3
	v_bfe_u32 v5, v5, 2, 5
	s_mov_b32 s78, exec_lo
	s_delay_alu instid0(VALU_DEP_1)
	v_cmpx_eq_u32_e32 0, v5
; %bb.10892:                            ;   in Loop: Header=BB4_10490 Depth=3
	v_clz_i32_u32_e32 v2, v2
	s_delay_alu instid0(VALU_DEP_1) | instskip(SKIP_1) | instid1(VALU_DEP_2)
	v_min_u32_e32 v2, 32, v2
	v_mov_b32_e32 v9, v3
	v_subrev_nc_u32_e32 v5, 29, v2
	s_delay_alu instid0(VALU_DEP_1) | instskip(NEXT) | instid1(VALU_DEP_1)
	v_lshlrev_b64_e32 v[8:9], v5, v[8:9]
	v_dual_sub_nc_u32 v5, 30, v2 :: v_dual_bitop2_b32 v2, 3, v8 bitop3:0x40
; %bb.10893:                            ;   in Loop: Header=BB4_10490 Depth=3
	s_or_b32 exec_lo, exec_lo, s78
	v_lshlrev_b32_e32 v4, 16, v4
	s_delay_alu instid0(VALU_DEP_1) | instskip(NEXT) | instid1(VALU_DEP_1)
	v_and_b32_e32 v4, 0x80000000, v4
	v_lshl_add_u32 v4, v5, 23, v4
	s_delay_alu instid0(VALU_DEP_1) | instskip(NEXT) | instid1(VALU_DEP_1)
	v_lshl_or_b32 v2, v2, 21, v4
                                        ; implicit-def: $vgpr4_vgpr5
	v_add_nc_u32_e32 v9, 0x38000000, v2
                                        ; implicit-def: $vgpr2
.LBB4_10894:                            ;   in Loop: Header=BB4_10490 Depth=3
	s_and_not1_saveexec_b32 s43, s43
; %bb.10895:                            ;   in Loop: Header=BB4_10490 Depth=3
	v_cmp_lt_i16_e32 vcc_lo, -1, v4
	v_cndmask_b32_e32 v4, 0xff800000, v48, vcc_lo
	v_cmp_eq_u32_e32 vcc_lo, 0, v2
	s_delay_alu instid0(VALU_DEP_2)
	v_cndmask_b32_e32 v9, 0x7f800001, v4, vcc_lo
; %bb.10896:                            ;   in Loop: Header=BB4_10490 Depth=3
	s_or_b32 exec_lo, exec_lo, s43
.LBB4_10897:                            ;   in Loop: Header=BB4_10490 Depth=3
	s_delay_alu instid0(SALU_CYCLE_1)
	s_or_b32 exec_lo, exec_lo, s42
.LBB4_10898:                            ;   in Loop: Header=BB4_10490 Depth=3
	s_delay_alu instid0(SALU_CYCLE_1) | instskip(NEXT) | instid1(VALU_DEP_1)
	s_or_b32 exec_lo, exec_lo, s14
	v_dual_mul_f32 v8, s15, v9 :: v_dual_mov_b32 v17, v3
	v_mov_b32_e32 v5, v3
                                        ; implicit-def: $vgpr103
	s_mov_b32 s14, exec_lo
	s_delay_alu instid0(VALU_DEP_2) | instskip(SKIP_2) | instid1(VALU_DEP_3)
	v_and_b32_e32 v16, 0x7f800000, v8
	v_and_b32_e32 v4, 0x7fffff, v8
	v_lshrrev_b32_e32 v2, 24, v8
	v_cmpx_ne_u64_e32 0x7f800000, v[16:17]
	s_xor_b32 s42, exec_lo, s14
	s_cbranch_execz .LBB4_10912
; %bb.10899:                            ;   in Loop: Header=BB4_10490 Depth=3
	v_and_b32_e32 v16, 0x7fffffff, v8
	v_mov_b32_e32 v17, v3
	v_and_b32_e32 v2, 0x80, v2
                                        ; implicit-def: $vgpr103
	s_mov_b32 s14, exec_lo
	s_delay_alu instid0(VALU_DEP_2)
	v_cmpx_gt_u64_e32 0x47600001, v[16:17]
	s_xor_b32 s43, exec_lo, s14
	s_cbranch_execz .LBB4_10909
; %bb.10900:                            ;   in Loop: Header=BB4_10490 Depth=3
	v_mov_b32_e32 v103, 0
	s_mov_b32 s78, exec_lo
	v_cmpx_ne_u32_e32 0, v8
	s_cbranch_execz .LBB4_10908
; %bb.10901:                            ;   in Loop: Header=BB4_10490 Depth=3
	v_bfe_u32 v16, v8, 23, 8
	v_or_b32_e32 v18, 0x800000, v4
	s_delay_alu instid0(VALU_DEP_2) | instskip(SKIP_1) | instid1(VALU_DEP_2)
	v_sub_nc_u32_e32 v8, 0x71, v16
	v_cmp_gt_u32_e32 vcc_lo, 0x72, v16
	v_cndmask_b32_e32 v8, 0, v8, vcc_lo
	v_cmp_eq_u32_e32 vcc_lo, 0, v16
	s_delay_alu instid0(VALU_DEP_2) | instskip(NEXT) | instid1(VALU_DEP_1)
	v_cndmask_b32_e64 v17, v8, 0x70, vcc_lo
	v_dual_cndmask_b32 v4, v18, v4, vcc_lo :: v_dual_add_nc_u32 v8, 21, v17
	v_add_nc_u32_e32 v19, 20, v17
	s_delay_alu instid0(VALU_DEP_2) | instskip(NEXT) | instid1(VALU_DEP_2)
	v_lshlrev_b64_e64 v[8:9], v8, -1
	v_lshlrev_b64_e64 v[18:19], v19, 1
	s_delay_alu instid0(VALU_DEP_2) | instskip(SKIP_1) | instid1(VALU_DEP_4)
	v_bfi_b32 v8, v8, 0, v4
	v_lshrrev_b64 v[4:5], v17, v[4:5]
	v_bfi_b32 v9, v9, 0, 0
	s_delay_alu instid0(VALU_DEP_1) | instskip(NEXT) | instid1(VALU_DEP_3)
	v_cmp_eq_u64_e64 s14, v[8:9], v[18:19]
	v_mov_b64_e32 v[8:9], v[4:5]
	s_and_saveexec_b32 s79, s14
; %bb.10902:                            ;   in Loop: Header=BB4_10490 Depth=3
	v_bfe_u32 v8, v4, 21, 1
	v_mov_b32_e32 v9, v3
	s_delay_alu instid0(VALU_DEP_1) | instskip(NEXT) | instid1(VALU_DEP_1)
	v_add_nc_u64_e32 v[8:9], v[4:5], v[8:9]
	v_add_nc_u64_e32 v[8:9], -1, v[8:9]
; %bb.10903:                            ;   in Loop: Header=BB4_10490 Depth=3
	s_or_b32 exec_lo, exec_lo, s79
	v_add_nc_u32_e32 v5, 0xffffff81, v16
	v_lshrrev_b32_e32 v9, 23, v4
	s_mov_b32 s14, exec_lo
	s_delay_alu instid0(VALU_DEP_2) | instskip(NEXT) | instid1(VALU_DEP_1)
	v_cndmask_b32_e64 v5, v5, 0xffffff82, vcc_lo
	v_add3_u32 v9, v17, v5, v9
	v_and_b32_e32 v5, 0x1fffff, v8
                                        ; implicit-def: $vgpr8
	s_delay_alu instid0(VALU_DEP_1) | instskip(SKIP_1) | instid1(VALU_DEP_2)
	v_dual_add_nc_u32 v16, 14, v9 :: v_dual_add_nc_u32 v4, v5, v4
	v_mov_b32_e32 v5, v3
	v_cmpx_ne_u32_e32 0, v16
	s_xor_b32 s14, exec_lo, s14
; %bb.10904:                            ;   in Loop: Header=BB4_10490 Depth=3
	s_delay_alu instid0(VALU_DEP_2) | instskip(SKIP_2) | instid1(VALU_DEP_2)
	v_cmp_lt_u64_e32 vcc_lo, 0xffffff, v[4:5]
	v_add_nc_u32_e32 v8, 15, v9
	v_cndmask_b32_e64 v9, 0, 1, vcc_lo
	v_cndmask_b32_e32 v8, v16, v8, vcc_lo
	s_delay_alu instid0(VALU_DEP_2)
	v_lshrrev_b64 v[4:5], v9, v[4:5]
; %bb.10905:                            ;   in Loop: Header=BB4_10490 Depth=3
	s_and_not1_saveexec_b32 s14, s14
; %bb.10906:                            ;   in Loop: Header=BB4_10490 Depth=3
	s_delay_alu instid0(VALU_DEP_1)
	v_bfe_u32 v8, v4, 23, 1
; %bb.10907:                            ;   in Loop: Header=BB4_10490 Depth=3
	s_or_b32 exec_lo, exec_lo, s14
	s_delay_alu instid0(VALU_DEP_2) | instskip(NEXT) | instid1(VALU_DEP_2)
	v_lshrrev_b64 v[4:5], 21, v[4:5]
	v_cmp_gt_i32_e32 vcc_lo, 32, v8
	v_min_i32_e32 v9, 31, v8
	v_cmp_eq_u32_e64 s14, 0, v8
	s_delay_alu instid0(VALU_DEP_4) | instskip(NEXT) | instid1(VALU_DEP_3)
	v_cndmask_b32_e32 v5, 0, v5, vcc_lo
	v_dual_cndmask_b32 v4, 3, v4 :: v_dual_lshlrev_b32 v9, 2, v9
	s_delay_alu instid0(VALU_DEP_1) | instskip(NEXT) | instid1(VALU_DEP_2)
	v_and_b32_e32 v9, 0xfc, v9
	v_cmp_eq_u64_e32 vcc_lo, 0, v[4:5]
	s_delay_alu instid0(VALU_DEP_2)
	v_and_or_b32 v4, v4, 3, v9
	s_and_b32 s14, s14, vcc_lo
	s_delay_alu instid0(VALU_DEP_1) | instid1(SALU_CYCLE_1)
	v_cndmask_b32_e64 v4, v4, 0, s14
	s_delay_alu instid0(VALU_DEP_1)
	v_or_b32_e32 v103, v4, v2
.LBB4_10908:                            ;   in Loop: Header=BB4_10490 Depth=3
	s_or_b32 exec_lo, exec_lo, s78
                                        ; implicit-def: $vgpr2
.LBB4_10909:                            ;   in Loop: Header=BB4_10490 Depth=3
	s_and_not1_saveexec_b32 s14, s43
; %bb.10910:                            ;   in Loop: Header=BB4_10490 Depth=3
	v_or_b32_e32 v103, 0x7b, v2
; %bb.10911:                            ;   in Loop: Header=BB4_10490 Depth=3
	s_or_b32 exec_lo, exec_lo, s14
                                        ; implicit-def: $vgpr8
                                        ; implicit-def: $vgpr4_vgpr5
                                        ; implicit-def: $vgpr2
.LBB4_10912:                            ;   in Loop: Header=BB4_10490 Depth=3
	s_and_not1_saveexec_b32 s14, s42
	s_cbranch_execz .LBB4_10918
; %bb.10913:                            ;   in Loop: Header=BB4_10490 Depth=3
	s_mov_b32 s42, exec_lo
                                        ; implicit-def: $vgpr103
	v_cmpx_ne_u64_e32 0, v[4:5]
	s_xor_b32 s42, exec_lo, s42
; %bb.10914:                            ;   in Loop: Header=BB4_10490 Depth=3
	v_or_b32_e32 v103, 0x7f, v2
                                        ; implicit-def: $vgpr8
; %bb.10915:                            ;   in Loop: Header=BB4_10490 Depth=3
	s_and_not1_saveexec_b32 s42, s42
; %bb.10916:                            ;   in Loop: Header=BB4_10490 Depth=3
	v_cmp_lt_i32_e32 vcc_lo, -1, v8
	v_cndmask_b32_e32 v103, 0xfc, v49, vcc_lo
; %bb.10917:                            ;   in Loop: Header=BB4_10490 Depth=3
	s_or_b32 exec_lo, exec_lo, s42
.LBB4_10918:                            ;   in Loop: Header=BB4_10490 Depth=3
	s_delay_alu instid0(SALU_CYCLE_1) | instskip(SKIP_2) | instid1(VALU_DEP_1)
	s_or_b32 exec_lo, exec_lo, s14
	v_dual_lshrrev_b32 v2, 16, v11 :: v_dual_mov_b32 v4, 0
	s_mov_b32 s14, exec_lo
	v_and_b32_e32 v5, 0xff, v2
	s_delay_alu instid0(VALU_DEP_1)
	v_cmpx_ne_u16_e32 0, v5
	s_cbranch_execz .LBB4_10928
; %bb.10919:                            ;   in Loop: Header=BB4_10490 Depth=3
	v_bfrev_b32_e32 v4, 1
	s_mov_b32 s42, exec_lo
	v_cmpx_ne_u16_e32 0x80, v5
	s_cbranch_execz .LBB4_10927
; %bb.10920:                            ;   in Loop: Header=BB4_10490 Depth=3
	v_and_b32_e32 v4, 0x7c0000, v11
	v_bfe_u32 v5, v11, 16, 2
	s_delay_alu instid0(VALU_DEP_2) | instskip(SKIP_1) | instid1(SALU_CYCLE_1)
	v_cmp_ne_u32_e32 vcc_lo, 0x7c0000, v4
                                        ; implicit-def: $vgpr4
	s_and_saveexec_b32 s43, vcc_lo
	s_xor_b32 s43, exec_lo, s43
	s_cbranch_execz .LBB4_10924
; %bb.10921:                            ;   in Loop: Header=BB4_10490 Depth=3
	v_bfe_u32 v4, v11, 18, 5
	s_mov_b32 s78, exec_lo
	s_delay_alu instid0(VALU_DEP_1)
	v_cmpx_eq_u32_e32 0, v4
; %bb.10922:                            ;   in Loop: Header=BB4_10490 Depth=3
	v_clz_i32_u32_e32 v4, v5
	s_delay_alu instid0(VALU_DEP_1) | instskip(NEXT) | instid1(VALU_DEP_1)
	v_min_u32_e32 v4, 32, v4
	v_subrev_nc_u32_e32 v5, 29, v4
	v_sub_nc_u32_e32 v4, 30, v4
	s_delay_alu instid0(VALU_DEP_2) | instskip(NEXT) | instid1(VALU_DEP_1)
	v_lshlrev_b64_e32 v[8:9], v5, v[2:3]
	v_and_b32_e32 v5, 3, v8
; %bb.10923:                            ;   in Loop: Header=BB4_10490 Depth=3
	s_or_b32 exec_lo, exec_lo, s78
	v_lshlrev_b32_e32 v2, 24, v2
	s_delay_alu instid0(VALU_DEP_1) | instskip(NEXT) | instid1(VALU_DEP_1)
	v_and_b32_e32 v2, 0x80000000, v2
	v_lshl_add_u32 v2, v4, 23, v2
	s_delay_alu instid0(VALU_DEP_1) | instskip(NEXT) | instid1(VALU_DEP_1)
	v_lshl_or_b32 v2, v5, 21, v2
                                        ; implicit-def: $vgpr5
	v_add_nc_u32_e32 v4, 0x38000000, v2
                                        ; implicit-def: $vgpr2
.LBB4_10924:                            ;   in Loop: Header=BB4_10490 Depth=3
	s_and_not1_saveexec_b32 s43, s43
; %bb.10925:                            ;   in Loop: Header=BB4_10490 Depth=3
	v_bfe_i32 v2, v2, 0, 8
	s_delay_alu instid0(VALU_DEP_1) | instskip(SKIP_2) | instid1(VALU_DEP_2)
	v_cmp_lt_i16_e32 vcc_lo, -1, v2
	v_cndmask_b32_e32 v2, 0xff800000, v48, vcc_lo
	v_cmp_eq_u32_e32 vcc_lo, 0, v5
	v_cndmask_b32_e32 v4, 0x7f800001, v2, vcc_lo
; %bb.10926:                            ;   in Loop: Header=BB4_10490 Depth=3
	s_or_b32 exec_lo, exec_lo, s43
.LBB4_10927:                            ;   in Loop: Header=BB4_10490 Depth=3
	s_delay_alu instid0(SALU_CYCLE_1)
	s_or_b32 exec_lo, exec_lo, s42
.LBB4_10928:                            ;   in Loop: Header=BB4_10490 Depth=3
	s_delay_alu instid0(SALU_CYCLE_1) | instskip(NEXT) | instid1(VALU_DEP_1)
	s_or_b32 exec_lo, exec_lo, s14
	v_dual_mul_f32 v8, s15, v4 :: v_dual_mov_b32 v17, v3
	v_mov_b32_e32 v5, v3
                                        ; implicit-def: $vgpr115
	s_mov_b32 s14, exec_lo
	s_delay_alu instid0(VALU_DEP_2) | instskip(SKIP_2) | instid1(VALU_DEP_3)
	v_and_b32_e32 v16, 0x7f800000, v8
	v_and_b32_e32 v4, 0x7fffff, v8
	v_lshrrev_b32_e32 v2, 24, v8
	v_cmpx_ne_u64_e32 0x7f800000, v[16:17]
	s_xor_b32 s42, exec_lo, s14
	s_cbranch_execz .LBB4_10942
; %bb.10929:                            ;   in Loop: Header=BB4_10490 Depth=3
	v_and_b32_e32 v16, 0x7fffffff, v8
	v_mov_b32_e32 v17, v3
	v_and_b32_e32 v2, 0x80, v2
                                        ; implicit-def: $vgpr115
	s_mov_b32 s14, exec_lo
	s_delay_alu instid0(VALU_DEP_2)
	v_cmpx_gt_u64_e32 0x47600001, v[16:17]
	s_xor_b32 s43, exec_lo, s14
	s_cbranch_execz .LBB4_10939
; %bb.10930:                            ;   in Loop: Header=BB4_10490 Depth=3
	v_mov_b32_e32 v115, 0
	s_mov_b32 s78, exec_lo
	v_cmpx_ne_u32_e32 0, v8
	s_cbranch_execz .LBB4_10938
; %bb.10931:                            ;   in Loop: Header=BB4_10490 Depth=3
	v_bfe_u32 v16, v8, 23, 8
	v_or_b32_e32 v18, 0x800000, v4
	s_delay_alu instid0(VALU_DEP_2) | instskip(SKIP_1) | instid1(VALU_DEP_2)
	v_sub_nc_u32_e32 v8, 0x71, v16
	v_cmp_gt_u32_e32 vcc_lo, 0x72, v16
	v_cndmask_b32_e32 v8, 0, v8, vcc_lo
	v_cmp_eq_u32_e32 vcc_lo, 0, v16
	s_delay_alu instid0(VALU_DEP_2) | instskip(NEXT) | instid1(VALU_DEP_1)
	v_cndmask_b32_e64 v17, v8, 0x70, vcc_lo
	v_dual_cndmask_b32 v4, v18, v4, vcc_lo :: v_dual_add_nc_u32 v8, 21, v17
	v_add_nc_u32_e32 v19, 20, v17
	s_delay_alu instid0(VALU_DEP_2) | instskip(NEXT) | instid1(VALU_DEP_2)
	v_lshlrev_b64_e64 v[8:9], v8, -1
	v_lshlrev_b64_e64 v[18:19], v19, 1
	s_delay_alu instid0(VALU_DEP_2) | instskip(SKIP_1) | instid1(VALU_DEP_4)
	v_bfi_b32 v8, v8, 0, v4
	v_lshrrev_b64 v[4:5], v17, v[4:5]
	v_bfi_b32 v9, v9, 0, 0
	s_delay_alu instid0(VALU_DEP_1) | instskip(NEXT) | instid1(VALU_DEP_3)
	v_cmp_eq_u64_e64 s14, v[8:9], v[18:19]
	v_mov_b64_e32 v[8:9], v[4:5]
	s_and_saveexec_b32 s79, s14
; %bb.10932:                            ;   in Loop: Header=BB4_10490 Depth=3
	v_bfe_u32 v8, v4, 21, 1
	v_mov_b32_e32 v9, v3
	s_delay_alu instid0(VALU_DEP_1) | instskip(NEXT) | instid1(VALU_DEP_1)
	v_add_nc_u64_e32 v[8:9], v[4:5], v[8:9]
	v_add_nc_u64_e32 v[8:9], -1, v[8:9]
; %bb.10933:                            ;   in Loop: Header=BB4_10490 Depth=3
	s_or_b32 exec_lo, exec_lo, s79
	v_add_nc_u32_e32 v5, 0xffffff81, v16
	v_lshrrev_b32_e32 v9, 23, v4
	s_mov_b32 s14, exec_lo
	s_delay_alu instid0(VALU_DEP_2) | instskip(NEXT) | instid1(VALU_DEP_1)
	v_cndmask_b32_e64 v5, v5, 0xffffff82, vcc_lo
	v_add3_u32 v9, v17, v5, v9
	v_and_b32_e32 v5, 0x1fffff, v8
                                        ; implicit-def: $vgpr8
	s_delay_alu instid0(VALU_DEP_1) | instskip(SKIP_1) | instid1(VALU_DEP_2)
	v_dual_add_nc_u32 v16, 14, v9 :: v_dual_add_nc_u32 v4, v5, v4
	v_mov_b32_e32 v5, v3
	v_cmpx_ne_u32_e32 0, v16
	s_xor_b32 s14, exec_lo, s14
; %bb.10934:                            ;   in Loop: Header=BB4_10490 Depth=3
	s_delay_alu instid0(VALU_DEP_2) | instskip(SKIP_2) | instid1(VALU_DEP_2)
	v_cmp_lt_u64_e32 vcc_lo, 0xffffff, v[4:5]
	v_add_nc_u32_e32 v8, 15, v9
	v_cndmask_b32_e64 v9, 0, 1, vcc_lo
	v_cndmask_b32_e32 v8, v16, v8, vcc_lo
	s_delay_alu instid0(VALU_DEP_2)
	v_lshrrev_b64 v[4:5], v9, v[4:5]
; %bb.10935:                            ;   in Loop: Header=BB4_10490 Depth=3
	s_and_not1_saveexec_b32 s14, s14
; %bb.10936:                            ;   in Loop: Header=BB4_10490 Depth=3
	s_delay_alu instid0(VALU_DEP_1)
	v_bfe_u32 v8, v4, 23, 1
; %bb.10937:                            ;   in Loop: Header=BB4_10490 Depth=3
	s_or_b32 exec_lo, exec_lo, s14
	s_delay_alu instid0(VALU_DEP_2) | instskip(NEXT) | instid1(VALU_DEP_2)
	v_lshrrev_b64 v[4:5], 21, v[4:5]
	v_cmp_gt_i32_e32 vcc_lo, 32, v8
	v_min_i32_e32 v9, 31, v8
	v_cmp_eq_u32_e64 s14, 0, v8
	s_delay_alu instid0(VALU_DEP_4) | instskip(NEXT) | instid1(VALU_DEP_3)
	v_cndmask_b32_e32 v5, 0, v5, vcc_lo
	v_dual_cndmask_b32 v4, 3, v4 :: v_dual_lshlrev_b32 v9, 2, v9
	s_delay_alu instid0(VALU_DEP_1) | instskip(NEXT) | instid1(VALU_DEP_2)
	v_and_b32_e32 v9, 0xfc, v9
	v_cmp_eq_u64_e32 vcc_lo, 0, v[4:5]
	s_delay_alu instid0(VALU_DEP_2)
	v_and_or_b32 v4, v4, 3, v9
	s_and_b32 s14, s14, vcc_lo
	s_delay_alu instid0(VALU_DEP_1) | instid1(SALU_CYCLE_1)
	v_cndmask_b32_e64 v4, v4, 0, s14
	s_delay_alu instid0(VALU_DEP_1)
	v_or_b32_e32 v115, v4, v2
.LBB4_10938:                            ;   in Loop: Header=BB4_10490 Depth=3
	s_or_b32 exec_lo, exec_lo, s78
                                        ; implicit-def: $vgpr2
.LBB4_10939:                            ;   in Loop: Header=BB4_10490 Depth=3
	s_and_not1_saveexec_b32 s14, s43
; %bb.10940:                            ;   in Loop: Header=BB4_10490 Depth=3
	v_or_b32_e32 v115, 0x7b, v2
; %bb.10941:                            ;   in Loop: Header=BB4_10490 Depth=3
	s_or_b32 exec_lo, exec_lo, s14
                                        ; implicit-def: $vgpr8
                                        ; implicit-def: $vgpr4_vgpr5
                                        ; implicit-def: $vgpr2
.LBB4_10942:                            ;   in Loop: Header=BB4_10490 Depth=3
	s_and_not1_saveexec_b32 s14, s42
	s_cbranch_execz .LBB4_10948
; %bb.10943:                            ;   in Loop: Header=BB4_10490 Depth=3
	s_mov_b32 s42, exec_lo
                                        ; implicit-def: $vgpr115
	v_cmpx_ne_u64_e32 0, v[4:5]
	s_xor_b32 s42, exec_lo, s42
; %bb.10944:                            ;   in Loop: Header=BB4_10490 Depth=3
	v_or_b32_e32 v115, 0x7f, v2
                                        ; implicit-def: $vgpr8
; %bb.10945:                            ;   in Loop: Header=BB4_10490 Depth=3
	s_and_not1_saveexec_b32 s42, s42
; %bb.10946:                            ;   in Loop: Header=BB4_10490 Depth=3
	v_cmp_lt_i32_e32 vcc_lo, -1, v8
	v_cndmask_b32_e32 v115, 0xfc, v49, vcc_lo
; %bb.10947:                            ;   in Loop: Header=BB4_10490 Depth=3
	s_or_b32 exec_lo, exec_lo, s42
.LBB4_10948:                            ;   in Loop: Header=BB4_10490 Depth=3
	s_delay_alu instid0(SALU_CYCLE_1)
	s_or_b32 exec_lo, exec_lo, s14
	v_mov_b32_e32 v4, 0
	s_mov_b32 s14, exec_lo
	v_cmpx_lt_u64_e64 s[22:23], v[10:11]
	s_cbranch_execz .LBB4_10958
; %bb.10949:                            ;   in Loop: Header=BB4_10490 Depth=3
	v_lshrrev_b32_e32 v2, 24, v11
	v_bfrev_b32_e32 v4, 1
	s_mov_b32 s42, exec_lo
	s_delay_alu instid0(VALU_DEP_2)
	v_cmpx_ne_u32_e32 0x80, v2
	s_cbranch_execz .LBB4_10957
; %bb.10950:                            ;   in Loop: Header=BB4_10490 Depth=3
	v_and_b32_e32 v4, 0x7c000000, v11
	v_bfe_u32 v5, v11, 24, 2
	s_delay_alu instid0(VALU_DEP_2) | instskip(SKIP_1) | instid1(SALU_CYCLE_1)
	v_cmp_ne_u32_e32 vcc_lo, 0x7c000000, v4
                                        ; implicit-def: $vgpr4
	s_and_saveexec_b32 s43, vcc_lo
	s_xor_b32 s43, exec_lo, s43
	s_cbranch_execz .LBB4_10954
; %bb.10951:                            ;   in Loop: Header=BB4_10490 Depth=3
	v_bfe_u32 v4, v11, 26, 5
	s_mov_b32 s78, exec_lo
	s_delay_alu instid0(VALU_DEP_1)
	v_cmpx_eq_u32_e32 0, v4
; %bb.10952:                            ;   in Loop: Header=BB4_10490 Depth=3
	v_clz_i32_u32_e32 v4, v5
	s_delay_alu instid0(VALU_DEP_1) | instskip(NEXT) | instid1(VALU_DEP_1)
	v_min_u32_e32 v4, 32, v4
	v_subrev_nc_u32_e32 v5, 29, v4
	v_sub_nc_u32_e32 v4, 30, v4
	s_delay_alu instid0(VALU_DEP_2) | instskip(NEXT) | instid1(VALU_DEP_1)
	v_lshlrev_b64_e32 v[8:9], v5, v[2:3]
	v_and_b32_e32 v5, 3, v8
; %bb.10953:                            ;   in Loop: Header=BB4_10490 Depth=3
	s_or_b32 exec_lo, exec_lo, s78
	v_and_b32_e32 v2, 0x80000000, v11
                                        ; implicit-def: $vgpr10_vgpr11
	s_delay_alu instid0(VALU_DEP_1) | instskip(NEXT) | instid1(VALU_DEP_1)
	v_lshl_add_u32 v2, v4, 23, v2
	v_lshl_or_b32 v2, v5, 21, v2
                                        ; implicit-def: $vgpr5
	s_delay_alu instid0(VALU_DEP_1)
	v_add_nc_u32_e32 v4, 0x38000000, v2
.LBB4_10954:                            ;   in Loop: Header=BB4_10490 Depth=3
	s_and_not1_saveexec_b32 s43, s43
; %bb.10955:                            ;   in Loop: Header=BB4_10490 Depth=3
	v_cmp_lt_i64_e32 vcc_lo, -1, v[10:11]
	v_cndmask_b32_e32 v2, 0xff800000, v48, vcc_lo
	v_cmp_eq_u32_e32 vcc_lo, 0, v5
	s_delay_alu instid0(VALU_DEP_2)
	v_cndmask_b32_e32 v4, 0x7f800001, v2, vcc_lo
; %bb.10956:                            ;   in Loop: Header=BB4_10490 Depth=3
	s_or_b32 exec_lo, exec_lo, s43
.LBB4_10957:                            ;   in Loop: Header=BB4_10490 Depth=3
	s_delay_alu instid0(SALU_CYCLE_1)
	s_or_b32 exec_lo, exec_lo, s42
.LBB4_10958:                            ;   in Loop: Header=BB4_10490 Depth=3
	s_delay_alu instid0(SALU_CYCLE_1) | instskip(NEXT) | instid1(VALU_DEP_1)
	s_or_b32 exec_lo, exec_lo, s14
	v_dual_mul_f32 v8, s15, v4 :: v_dual_mov_b32 v11, v3
	v_mov_b32_e32 v5, v3
                                        ; implicit-def: $vgpr118
	s_mov_b32 s14, exec_lo
	s_delay_alu instid0(VALU_DEP_2) | instskip(SKIP_2) | instid1(VALU_DEP_3)
	v_and_b32_e32 v10, 0x7f800000, v8
	v_and_b32_e32 v4, 0x7fffff, v8
	v_lshrrev_b32_e32 v2, 24, v8
	v_cmpx_ne_u64_e32 0x7f800000, v[10:11]
	s_xor_b32 s15, exec_lo, s14
	s_cbranch_execz .LBB4_10972
; %bb.10959:                            ;   in Loop: Header=BB4_10490 Depth=3
	v_and_b32_e32 v10, 0x7fffffff, v8
	v_mov_b32_e32 v11, v3
	v_and_b32_e32 v2, 0x80, v2
                                        ; implicit-def: $vgpr118
	s_mov_b32 s14, exec_lo
	s_delay_alu instid0(VALU_DEP_2)
	v_cmpx_gt_u64_e32 0x47600001, v[10:11]
	s_xor_b32 s42, exec_lo, s14
	s_cbranch_execz .LBB4_10969
; %bb.10960:                            ;   in Loop: Header=BB4_10490 Depth=3
	v_mov_b32_e32 v118, 0
	s_mov_b32 s43, exec_lo
	v_cmpx_ne_u32_e32 0, v8
	s_cbranch_execz .LBB4_10968
; %bb.10961:                            ;   in Loop: Header=BB4_10490 Depth=3
	v_bfe_u32 v10, v8, 23, 8
	v_or_b32_e32 v16, 0x800000, v4
	s_delay_alu instid0(VALU_DEP_2) | instskip(SKIP_1) | instid1(VALU_DEP_2)
	v_sub_nc_u32_e32 v8, 0x71, v10
	v_cmp_gt_u32_e32 vcc_lo, 0x72, v10
	v_cndmask_b32_e32 v8, 0, v8, vcc_lo
	v_cmp_eq_u32_e32 vcc_lo, 0, v10
	s_delay_alu instid0(VALU_DEP_2) | instskip(NEXT) | instid1(VALU_DEP_1)
	v_cndmask_b32_e64 v11, v8, 0x70, vcc_lo
	v_dual_cndmask_b32 v4, v16, v4, vcc_lo :: v_dual_add_nc_u32 v8, 21, v11
	v_add_nc_u32_e32 v17, 20, v11
	s_delay_alu instid0(VALU_DEP_2) | instskip(NEXT) | instid1(VALU_DEP_2)
	v_lshlrev_b64_e64 v[8:9], v8, -1
	v_lshlrev_b64_e64 v[16:17], v17, 1
	s_delay_alu instid0(VALU_DEP_2) | instskip(SKIP_1) | instid1(VALU_DEP_4)
	v_bfi_b32 v8, v8, 0, v4
	v_lshrrev_b64 v[4:5], v11, v[4:5]
	v_bfi_b32 v9, v9, 0, 0
	s_delay_alu instid0(VALU_DEP_1) | instskip(NEXT) | instid1(VALU_DEP_3)
	v_cmp_eq_u64_e64 s14, v[8:9], v[16:17]
	v_mov_b64_e32 v[8:9], v[4:5]
	s_and_saveexec_b32 s78, s14
; %bb.10962:                            ;   in Loop: Header=BB4_10490 Depth=3
	v_bfe_u32 v8, v4, 21, 1
	v_mov_b32_e32 v9, v3
	s_delay_alu instid0(VALU_DEP_1) | instskip(NEXT) | instid1(VALU_DEP_1)
	v_add_nc_u64_e32 v[8:9], v[4:5], v[8:9]
	v_add_nc_u64_e32 v[8:9], -1, v[8:9]
; %bb.10963:                            ;   in Loop: Header=BB4_10490 Depth=3
	s_or_b32 exec_lo, exec_lo, s78
	v_add_nc_u32_e32 v5, 0xffffff81, v10
	v_lshrrev_b32_e32 v9, 23, v4
	s_mov_b32 s14, exec_lo
	s_delay_alu instid0(VALU_DEP_2) | instskip(NEXT) | instid1(VALU_DEP_1)
	v_cndmask_b32_e64 v5, v5, 0xffffff82, vcc_lo
	v_add3_u32 v9, v11, v5, v9
	v_and_b32_e32 v5, 0x1fffff, v8
                                        ; implicit-def: $vgpr8
	s_delay_alu instid0(VALU_DEP_1) | instskip(SKIP_1) | instid1(VALU_DEP_2)
	v_dual_add_nc_u32 v10, 14, v9 :: v_dual_add_nc_u32 v4, v5, v4
	v_mov_b32_e32 v5, v3
	v_cmpx_ne_u32_e32 0, v10
	s_xor_b32 s14, exec_lo, s14
; %bb.10964:                            ;   in Loop: Header=BB4_10490 Depth=3
	s_delay_alu instid0(VALU_DEP_2) | instskip(SKIP_2) | instid1(VALU_DEP_2)
	v_cmp_lt_u64_e32 vcc_lo, 0xffffff, v[4:5]
	v_add_nc_u32_e32 v8, 15, v9
	v_cndmask_b32_e64 v9, 0, 1, vcc_lo
	v_cndmask_b32_e32 v8, v10, v8, vcc_lo
	s_delay_alu instid0(VALU_DEP_2)
	v_lshrrev_b64 v[4:5], v9, v[4:5]
; %bb.10965:                            ;   in Loop: Header=BB4_10490 Depth=3
	s_and_not1_saveexec_b32 s14, s14
; %bb.10966:                            ;   in Loop: Header=BB4_10490 Depth=3
	s_delay_alu instid0(VALU_DEP_1)
	v_bfe_u32 v8, v4, 23, 1
; %bb.10967:                            ;   in Loop: Header=BB4_10490 Depth=3
	s_or_b32 exec_lo, exec_lo, s14
	s_delay_alu instid0(VALU_DEP_2) | instskip(NEXT) | instid1(VALU_DEP_2)
	v_lshrrev_b64 v[4:5], 21, v[4:5]
	v_cmp_gt_i32_e32 vcc_lo, 32, v8
	v_min_i32_e32 v9, 31, v8
	v_cmp_eq_u32_e64 s14, 0, v8
	s_delay_alu instid0(VALU_DEP_4) | instskip(NEXT) | instid1(VALU_DEP_3)
	v_cndmask_b32_e32 v5, 0, v5, vcc_lo
	v_dual_cndmask_b32 v4, 3, v4 :: v_dual_lshlrev_b32 v9, 2, v9
	s_delay_alu instid0(VALU_DEP_1) | instskip(NEXT) | instid1(VALU_DEP_2)
	v_and_b32_e32 v9, 0xfc, v9
	v_cmp_eq_u64_e32 vcc_lo, 0, v[4:5]
	s_delay_alu instid0(VALU_DEP_2)
	v_and_or_b32 v4, v4, 3, v9
	s_and_b32 s14, s14, vcc_lo
	s_delay_alu instid0(VALU_DEP_1) | instid1(SALU_CYCLE_1)
	v_cndmask_b32_e64 v4, v4, 0, s14
	s_delay_alu instid0(VALU_DEP_1)
	v_or_b32_e32 v118, v4, v2
.LBB4_10968:                            ;   in Loop: Header=BB4_10490 Depth=3
	s_or_b32 exec_lo, exec_lo, s43
                                        ; implicit-def: $vgpr2
.LBB4_10969:                            ;   in Loop: Header=BB4_10490 Depth=3
	s_and_not1_saveexec_b32 s14, s42
; %bb.10970:                            ;   in Loop: Header=BB4_10490 Depth=3
	v_or_b32_e32 v118, 0x7b, v2
; %bb.10971:                            ;   in Loop: Header=BB4_10490 Depth=3
	s_or_b32 exec_lo, exec_lo, s14
                                        ; implicit-def: $vgpr8
                                        ; implicit-def: $vgpr4_vgpr5
                                        ; implicit-def: $vgpr2
.LBB4_10972:                            ;   in Loop: Header=BB4_10490 Depth=3
	s_and_not1_saveexec_b32 s14, s15
	s_cbranch_execz .LBB4_10978
; %bb.10973:                            ;   in Loop: Header=BB4_10490 Depth=3
	s_mov_b32 s15, exec_lo
                                        ; implicit-def: $vgpr118
	v_cmpx_ne_u64_e32 0, v[4:5]
	s_xor_b32 s15, exec_lo, s15
; %bb.10974:                            ;   in Loop: Header=BB4_10490 Depth=3
	v_or_b32_e32 v118, 0x7f, v2
                                        ; implicit-def: $vgpr8
; %bb.10975:                            ;   in Loop: Header=BB4_10490 Depth=3
	s_and_not1_saveexec_b32 s15, s15
; %bb.10976:                            ;   in Loop: Header=BB4_10490 Depth=3
	v_cmp_lt_i32_e32 vcc_lo, -1, v8
	v_cndmask_b32_e32 v118, 0xfc, v49, vcc_lo
; %bb.10977:                            ;   in Loop: Header=BB4_10490 Depth=3
	s_or_b32 exec_lo, exec_lo, s15
.LBB4_10978:                            ;   in Loop: Header=BB4_10490 Depth=3
	s_delay_alu instid0(SALU_CYCLE_1)
	s_or_b32 exec_lo, exec_lo, s14
	global_load_b128 v[8:11], v[46:47], off th:TH_LOAD_NT
	v_lshl_or_b32 v2, v66, 8, v21
	v_dual_lshlrev_b32 v4, 16, v100 :: v_dual_lshlrev_b32 v5, 24, v113
	s_mov_b32 s14, exec_lo
	v_mov_b32_e32 v16, 0
	s_delay_alu instid0(VALU_DEP_2)
	v_or3_b32 v4, v4, v5, v2
	v_mov_b32_e32 v5, v3
	s_wait_xcnt 0x0
	v_cmpx_ne_u32_e32 0, v21
	s_cbranch_execz .LBB4_10988
; %bb.10979:                            ;   in Loop: Header=BB4_10490 Depth=3
	v_bfrev_b32_e32 v16, 1
	s_mov_b32 s15, exec_lo
	v_cmpx_ne_u32_e32 0x80, v21
	s_cbranch_execz .LBB4_10987
; %bb.10980:                            ;   in Loop: Header=BB4_10490 Depth=3
	v_and_b32_e32 v16, 0x7c, v21
	v_and_b32_e32 v17, 3, v21
	s_delay_alu instid0(VALU_DEP_2) | instskip(SKIP_1) | instid1(SALU_CYCLE_1)
	v_cmp_ne_u32_e32 vcc_lo, 0x7c, v16
                                        ; implicit-def: $vgpr16
	s_and_saveexec_b32 s42, vcc_lo
	s_xor_b32 s42, exec_lo, s42
	s_cbranch_execz .LBB4_10984
; %bb.10981:                            ;   in Loop: Header=BB4_10490 Depth=3
	v_bfe_u32 v16, v21, 2, 5
	s_mov_b32 s43, exec_lo
	s_delay_alu instid0(VALU_DEP_1)
	v_cmpx_eq_u32_e32 0, v16
; %bb.10982:                            ;   in Loop: Header=BB4_10490 Depth=3
	v_clz_i32_u32_e32 v16, v17
	s_delay_alu instid0(VALU_DEP_1) | instskip(NEXT) | instid1(VALU_DEP_1)
	v_min_u32_e32 v16, 32, v16
	v_subrev_nc_u32_e32 v17, 29, v16
	s_delay_alu instid0(VALU_DEP_1) | instskip(NEXT) | instid1(VALU_DEP_1)
	v_lshlrev_b64_e32 v[18:19], v17, v[4:5]
	v_dual_sub_nc_u32 v16, 30, v16 :: v_dual_bitop2_b32 v17, 3, v18 bitop3:0x40
; %bb.10983:                            ;   in Loop: Header=BB4_10490 Depth=3
	s_or_b32 exec_lo, exec_lo, s43
	v_lshlrev_b32_e32 v5, 24, v21
                                        ; implicit-def: $vgpr21
	s_delay_alu instid0(VALU_DEP_1) | instskip(NEXT) | instid1(VALU_DEP_1)
	v_and_b32_e32 v5, 0x80000000, v5
	v_lshl_add_u32 v5, v16, 23, v5
	s_delay_alu instid0(VALU_DEP_1) | instskip(NEXT) | instid1(VALU_DEP_1)
	v_lshl_or_b32 v5, v17, 21, v5
                                        ; implicit-def: $vgpr17
	v_add_nc_u32_e32 v16, 0x38000000, v5
.LBB4_10984:                            ;   in Loop: Header=BB4_10490 Depth=3
	s_and_not1_saveexec_b32 s42, s42
; %bb.10985:                            ;   in Loop: Header=BB4_10490 Depth=3
	v_and_b32_e32 v5, 0x80, v21
	s_delay_alu instid0(VALU_DEP_1) | instskip(SKIP_2) | instid1(VALU_DEP_2)
	v_cmp_eq_u32_e32 vcc_lo, 0, v5
	v_cndmask_b32_e32 v5, 0xff800000, v48, vcc_lo
	v_cmp_eq_u32_e32 vcc_lo, 0, v17
	v_cndmask_b32_e32 v16, 0x7f800001, v5, vcc_lo
; %bb.10986:                            ;   in Loop: Header=BB4_10490 Depth=3
	s_or_b32 exec_lo, exec_lo, s42
.LBB4_10987:                            ;   in Loop: Header=BB4_10490 Depth=3
	s_delay_alu instid0(SALU_CYCLE_1)
	s_or_b32 exec_lo, exec_lo, s15
.LBB4_10988:                            ;   in Loop: Header=BB4_10490 Depth=3
	s_delay_alu instid0(SALU_CYCLE_1) | instskip(SKIP_4) | instid1(VALU_DEP_1)
	s_or_b32 exec_lo, exec_lo, s14
	s_wait_loadcnt 0x0
	v_and_b32_e32 v17, 0xff, v8
	s_mov_b32 s15, 0
	s_mov_b32 s14, exec_lo
	v_cmpx_lt_i16_e32 0x7f, v17
	s_xor_b32 s14, exec_lo, s14
	s_cbranch_execz .LBB4_11533
; %bb.10989:                            ;   in Loop: Header=BB4_10490 Depth=3
	s_mov_b32 s15, -1
	s_mov_b32 s42, exec_lo
	v_cmpx_eq_u16_e32 0x80, v17
; %bb.10990:                            ;   in Loop: Header=BB4_10490 Depth=3
	s_xor_b32 s15, exec_lo, -1
; %bb.10991:                            ;   in Loop: Header=BB4_10490 Depth=3
	s_or_b32 exec_lo, exec_lo, s42
	s_delay_alu instid0(SALU_CYCLE_1)
	s_and_b32 s15, s15, exec_lo
                                        ; implicit-def: $vgpr17
	s_or_saveexec_b32 s14, s14
	v_bfrev_b32_e32 v5, 1
	s_xor_b32 exec_lo, exec_lo, s14
	s_cbranch_execnz .LBB4_11534
.LBB4_10992:                            ;   in Loop: Header=BB4_10490 Depth=3
	s_or_b32 exec_lo, exec_lo, s14
	s_and_saveexec_b32 s14, s15
	s_cbranch_execz .LBB4_10994
.LBB4_10993:                            ;   in Loop: Header=BB4_10490 Depth=3
	v_and_b32_e32 v5, 3, v8
	v_bfe_u32 v21, v8, 2, 5
	s_delay_alu instid0(VALU_DEP_2) | instskip(NEXT) | instid1(VALU_DEP_2)
	v_clz_i32_u32_e32 v17, v5
	v_cmp_eq_u32_e32 vcc_lo, 0, v21
	s_delay_alu instid0(VALU_DEP_2) | instskip(NEXT) | instid1(VALU_DEP_1)
	v_min_u32_e32 v17, 32, v17
	v_subrev_nc_u32_e32 v18, 29, v17
	s_delay_alu instid0(VALU_DEP_1) | instskip(SKIP_1) | instid1(VALU_DEP_1)
	v_lshlrev_b64_e32 v[18:19], v18, v[8:9]
	v_dual_lshlrev_b32 v19, 24, v8 :: v_dual_sub_nc_u32 v17, 30, v17
	v_and_b32_e32 v19, 0x80000000, v19
	s_delay_alu instid0(VALU_DEP_2) | instskip(SKIP_1) | instid1(VALU_DEP_2)
	v_dual_cndmask_b32 v17, v21, v17, vcc_lo :: v_dual_bitop2_b32 v18, 3, v18 bitop3:0x40
	v_bfe_i32 v21, v8, 0, 8
	v_cndmask_b32_e32 v18, v5, v18, vcc_lo
	s_delay_alu instid0(VALU_DEP_3) | instskip(NEXT) | instid1(VALU_DEP_3)
	v_lshl_add_u32 v17, v17, 23, v19
	v_cmp_lt_i16_e32 vcc_lo, -1, v21
	s_delay_alu instid0(VALU_DEP_2) | instskip(SKIP_3) | instid1(VALU_DEP_4)
	v_lshl_or_b32 v17, v18, 21, v17
	v_cndmask_b32_e32 v19, 0xff800000, v48, vcc_lo
	v_and_b32_e32 v18, 0x7c, v8
	v_cmp_eq_u32_e32 vcc_lo, 0, v5
	v_add_nc_u32_e32 v17, 0x38000000, v17
	s_delay_alu instid0(VALU_DEP_4) | instskip(NEXT) | instid1(VALU_DEP_4)
	v_cndmask_b32_e32 v5, 0x7f800001, v19, vcc_lo
	v_cmp_eq_u32_e32 vcc_lo, 0x7c, v18
	s_delay_alu instid0(VALU_DEP_2)
	v_cndmask_b32_e32 v5, v17, v5, vcc_lo
.LBB4_10994:                            ;   in Loop: Header=BB4_10490 Depth=3
	s_or_b32 exec_lo, exec_lo, s14
	s_delay_alu instid0(VALU_DEP_1) | instskip(SKIP_2) | instid1(VALU_DEP_2)
	v_dual_add_f32 v18, v16, v5 :: v_dual_mov_b32 v87, v3
	v_mov_b32_e32 v17, v3
                                        ; implicit-def: $vgpr66
	s_mov_b32 s14, exec_lo
	v_and_b32_e32 v86, 0x7f800000, v18
	v_and_b32_e32 v16, 0x7fffff, v18
	v_lshrrev_b32_e32 v5, 24, v18
	s_delay_alu instid0(VALU_DEP_3)
	v_cmpx_ne_u64_e32 0x7f800000, v[86:87]
	s_xor_b32 s15, exec_lo, s14
	s_cbranch_execz .LBB4_11008
; %bb.10995:                            ;   in Loop: Header=BB4_10490 Depth=3
	v_and_b32_e32 v86, 0x7fffffff, v18
	v_mov_b32_e32 v87, v3
	v_and_b32_e32 v5, 0x80, v5
                                        ; implicit-def: $vgpr66
	s_mov_b32 s14, exec_lo
	s_delay_alu instid0(VALU_DEP_2)
	v_cmpx_gt_u64_e32 0x47600001, v[86:87]
	s_xor_b32 s42, exec_lo, s14
	s_cbranch_execz .LBB4_11005
; %bb.10996:                            ;   in Loop: Header=BB4_10490 Depth=3
	v_mov_b32_e32 v66, 0
	s_mov_b32 s43, exec_lo
	v_cmpx_ne_u32_e32 0, v18
	s_cbranch_execz .LBB4_11004
; %bb.10997:                            ;   in Loop: Header=BB4_10490 Depth=3
	v_bfe_u32 v21, v18, 23, 8
	v_or_b32_e32 v86, 0x800000, v16
	s_delay_alu instid0(VALU_DEP_2) | instskip(SKIP_1) | instid1(VALU_DEP_2)
	v_sub_nc_u32_e32 v18, 0x71, v21
	v_cmp_gt_u32_e32 vcc_lo, 0x72, v21
	v_cndmask_b32_e32 v18, 0, v18, vcc_lo
	v_cmp_eq_u32_e32 vcc_lo, 0, v21
	v_cndmask_b32_e32 v16, v86, v16, vcc_lo
	s_delay_alu instid0(VALU_DEP_3) | instskip(NEXT) | instid1(VALU_DEP_1)
	v_cndmask_b32_e64 v66, v18, 0x70, vcc_lo
	v_dual_add_nc_u32 v18, 21, v66 :: v_dual_add_nc_u32 v87, 20, v66
	s_delay_alu instid0(VALU_DEP_1) | instskip(NEXT) | instid1(VALU_DEP_2)
	v_lshlrev_b64_e64 v[18:19], v18, -1
	v_lshlrev_b64_e64 v[86:87], v87, 1
	s_delay_alu instid0(VALU_DEP_2) | instskip(SKIP_1) | instid1(VALU_DEP_4)
	v_bfi_b32 v18, v18, 0, v16
	v_lshrrev_b64 v[16:17], v66, v[16:17]
	v_bfi_b32 v19, v19, 0, 0
	s_delay_alu instid0(VALU_DEP_1) | instskip(NEXT) | instid1(VALU_DEP_3)
	v_cmp_eq_u64_e64 s14, v[18:19], v[86:87]
	v_mov_b64_e32 v[18:19], v[16:17]
	s_and_saveexec_b32 s78, s14
; %bb.10998:                            ;   in Loop: Header=BB4_10490 Depth=3
	v_bfe_u32 v18, v16, 21, 1
	v_mov_b32_e32 v19, v3
	s_delay_alu instid0(VALU_DEP_1) | instskip(NEXT) | instid1(VALU_DEP_1)
	v_add_nc_u64_e32 v[18:19], v[16:17], v[18:19]
	v_add_nc_u64_e32 v[18:19], -1, v[18:19]
; %bb.10999:                            ;   in Loop: Header=BB4_10490 Depth=3
	s_or_b32 exec_lo, exec_lo, s78
	v_add_nc_u32_e32 v17, 0xffffff81, v21
	v_lshrrev_b32_e32 v19, 23, v16
	s_mov_b32 s14, exec_lo
	s_delay_alu instid0(VALU_DEP_2) | instskip(NEXT) | instid1(VALU_DEP_1)
	v_cndmask_b32_e64 v17, v17, 0xffffff82, vcc_lo
	v_add3_u32 v19, v66, v17, v19
	v_and_b32_e32 v17, 0x1fffff, v18
                                        ; implicit-def: $vgpr18
	s_delay_alu instid0(VALU_DEP_1) | instskip(SKIP_1) | instid1(VALU_DEP_2)
	v_dual_add_nc_u32 v21, 14, v19 :: v_dual_add_nc_u32 v16, v17, v16
	v_mov_b32_e32 v17, v3
	v_cmpx_ne_u32_e32 0, v21
	s_xor_b32 s14, exec_lo, s14
; %bb.11000:                            ;   in Loop: Header=BB4_10490 Depth=3
	s_delay_alu instid0(VALU_DEP_2) | instskip(SKIP_2) | instid1(VALU_DEP_2)
	v_cmp_lt_u64_e32 vcc_lo, 0xffffff, v[16:17]
	v_add_nc_u32_e32 v18, 15, v19
	v_cndmask_b32_e64 v19, 0, 1, vcc_lo
	v_cndmask_b32_e32 v18, v21, v18, vcc_lo
	s_delay_alu instid0(VALU_DEP_2)
	v_lshrrev_b64 v[16:17], v19, v[16:17]
; %bb.11001:                            ;   in Loop: Header=BB4_10490 Depth=3
	s_and_not1_saveexec_b32 s14, s14
; %bb.11002:                            ;   in Loop: Header=BB4_10490 Depth=3
	s_delay_alu instid0(VALU_DEP_1)
	v_bfe_u32 v18, v16, 23, 1
; %bb.11003:                            ;   in Loop: Header=BB4_10490 Depth=3
	s_or_b32 exec_lo, exec_lo, s14
	s_delay_alu instid0(VALU_DEP_2) | instskip(NEXT) | instid1(VALU_DEP_2)
	v_lshrrev_b64 v[16:17], 21, v[16:17]
	v_cmp_gt_i32_e32 vcc_lo, 32, v18
	v_min_i32_e32 v19, 31, v18
	v_cmp_eq_u32_e64 s14, 0, v18
	s_delay_alu instid0(VALU_DEP_2) | instskip(SKIP_1) | instid1(VALU_DEP_2)
	v_dual_cndmask_b32 v17, 0, v17, vcc_lo :: v_dual_lshlrev_b32 v19, 2, v19
	v_cndmask_b32_e32 v16, 3, v16, vcc_lo
	v_and_b32_e32 v19, 0xfc, v19
	s_delay_alu instid0(VALU_DEP_2) | instskip(NEXT) | instid1(VALU_DEP_2)
	v_cmp_eq_u64_e32 vcc_lo, 0, v[16:17]
	v_and_or_b32 v16, v16, 3, v19
	s_and_b32 s14, s14, vcc_lo
	s_delay_alu instid0(VALU_DEP_1) | instid1(SALU_CYCLE_1)
	v_cndmask_b32_e64 v16, v16, 0, s14
	s_delay_alu instid0(VALU_DEP_1)
	v_or_b32_e32 v66, v16, v5
.LBB4_11004:                            ;   in Loop: Header=BB4_10490 Depth=3
	s_or_b32 exec_lo, exec_lo, s43
                                        ; implicit-def: $vgpr5
.LBB4_11005:                            ;   in Loop: Header=BB4_10490 Depth=3
	s_and_not1_saveexec_b32 s14, s42
; %bb.11006:                            ;   in Loop: Header=BB4_10490 Depth=3
	v_or_b32_e32 v66, 0x7b, v5
; %bb.11007:                            ;   in Loop: Header=BB4_10490 Depth=3
	s_or_b32 exec_lo, exec_lo, s14
                                        ; implicit-def: $vgpr18
                                        ; implicit-def: $vgpr16_vgpr17
                                        ; implicit-def: $vgpr5
.LBB4_11008:                            ;   in Loop: Header=BB4_10490 Depth=3
	s_and_not1_saveexec_b32 s14, s15
	s_cbranch_execz .LBB4_11014
; %bb.11009:                            ;   in Loop: Header=BB4_10490 Depth=3
	s_mov_b32 s15, exec_lo
                                        ; implicit-def: $vgpr66
	v_cmpx_ne_u64_e32 0, v[16:17]
	s_xor_b32 s15, exec_lo, s15
; %bb.11010:                            ;   in Loop: Header=BB4_10490 Depth=3
	v_or_b32_e32 v66, 0x7f, v5
                                        ; implicit-def: $vgpr18
; %bb.11011:                            ;   in Loop: Header=BB4_10490 Depth=3
	s_and_not1_saveexec_b32 s15, s15
; %bb.11012:                            ;   in Loop: Header=BB4_10490 Depth=3
	v_cmp_lt_i32_e32 vcc_lo, -1, v18
	v_cndmask_b32_e32 v66, 0xfc, v49, vcc_lo
; %bb.11013:                            ;   in Loop: Header=BB4_10490 Depth=3
	s_or_b32 exec_lo, exec_lo, s15
.LBB4_11014:                            ;   in Loop: Header=BB4_10490 Depth=3
	s_delay_alu instid0(SALU_CYCLE_1) | instskip(SKIP_3) | instid1(VALU_DEP_2)
	s_or_b32 exec_lo, exec_lo, s14
	v_lshrrev_b16 v16, 8, v2
	v_mov_b32_e32 v5, 0
	s_mov_b32 s14, exec_lo
	v_cmpx_ne_u16_e32 0, v16
	s_cbranch_execz .LBB4_11024
; %bb.11015:                            ;   in Loop: Header=BB4_10490 Depth=3
	v_bfrev_b32_e32 v5, 1
	s_mov_b32 s15, exec_lo
	v_cmpx_ne_u16_e32 0x80, v16
	s_cbranch_execz .LBB4_11023
; %bb.11016:                            ;   in Loop: Header=BB4_10490 Depth=3
	v_and_b32_e32 v18, 0xffff, v16
	s_delay_alu instid0(VALU_DEP_1) | instskip(SKIP_1) | instid1(VALU_DEP_2)
	v_and_b32_e32 v5, 0x7c, v18
	v_and_b32_e32 v17, 3, v18
	v_cmp_ne_u32_e32 vcc_lo, 0x7c, v5
                                        ; implicit-def: $vgpr5
	s_and_saveexec_b32 s42, vcc_lo
	s_delay_alu instid0(SALU_CYCLE_1)
	s_xor_b32 s42, exec_lo, s42
	s_cbranch_execz .LBB4_11020
; %bb.11017:                            ;   in Loop: Header=BB4_10490 Depth=3
	v_bfe_u32 v5, v18, 2, 5
	s_mov_b32 s43, exec_lo
	s_delay_alu instid0(VALU_DEP_1)
	v_cmpx_eq_u32_e32 0, v5
	s_cbranch_execz .LBB4_11019
; %bb.11018:                            ;   in Loop: Header=BB4_10490 Depth=3
	v_clz_i32_u32_e32 v5, v17
	s_delay_alu instid0(VALU_DEP_1) | instskip(SKIP_1) | instid1(VALU_DEP_2)
	v_min_u32_e32 v5, 32, v5
	v_mov_b32_e32 v17, v3
	v_subrev_nc_u32_e32 v18, 29, v5
	v_sub_nc_u32_e32 v5, 30, v5
	s_delay_alu instid0(VALU_DEP_2) | instskip(NEXT) | instid1(VALU_DEP_1)
	v_lshlrev_b64_e32 v[16:17], v18, v[16:17]
	v_and_b32_e32 v17, 3, v16
.LBB4_11019:                            ;   in Loop: Header=BB4_10490 Depth=3
	s_or_b32 exec_lo, exec_lo, s43
	v_lshlrev_b32_e32 v2, 16, v2
	s_delay_alu instid0(VALU_DEP_1) | instskip(NEXT) | instid1(VALU_DEP_1)
	v_and_b32_e32 v2, 0x80000000, v2
	v_lshl_add_u32 v2, v5, 23, v2
	s_delay_alu instid0(VALU_DEP_1) | instskip(NEXT) | instid1(VALU_DEP_1)
	v_lshl_or_b32 v2, v17, 21, v2
                                        ; implicit-def: $vgpr17
	v_add_nc_u32_e32 v5, 0x38000000, v2
                                        ; implicit-def: $vgpr2
.LBB4_11020:                            ;   in Loop: Header=BB4_10490 Depth=3
	s_and_not1_saveexec_b32 s42, s42
; %bb.11021:                            ;   in Loop: Header=BB4_10490 Depth=3
	v_cmp_lt_i16_e32 vcc_lo, -1, v2
	v_cndmask_b32_e32 v2, 0xff800000, v48, vcc_lo
	v_cmp_eq_u32_e32 vcc_lo, 0, v17
	s_delay_alu instid0(VALU_DEP_2)
	v_cndmask_b32_e32 v5, 0x7f800001, v2, vcc_lo
; %bb.11022:                            ;   in Loop: Header=BB4_10490 Depth=3
	s_or_b32 exec_lo, exec_lo, s42
.LBB4_11023:                            ;   in Loop: Header=BB4_10490 Depth=3
	s_delay_alu instid0(SALU_CYCLE_1)
	s_or_b32 exec_lo, exec_lo, s15
.LBB4_11024:                            ;   in Loop: Header=BB4_10490 Depth=3
	s_delay_alu instid0(SALU_CYCLE_1) | instskip(SKIP_3) | instid1(VALU_DEP_1)
	s_or_b32 exec_lo, exec_lo, s14
	v_lshrrev_b16 v16, 8, v8
	s_mov_b32 s15, 0
	s_mov_b32 s14, exec_lo
	v_cmpx_lt_i16_e32 0x7f, v16
	s_xor_b32 s14, exec_lo, s14
	s_cbranch_execz .LBB4_11535
; %bb.11025:                            ;   in Loop: Header=BB4_10490 Depth=3
	s_mov_b32 s15, -1
	s_mov_b32 s42, exec_lo
	v_cmpx_eq_u16_e32 0x80, v16
; %bb.11026:                            ;   in Loop: Header=BB4_10490 Depth=3
	s_xor_b32 s15, exec_lo, -1
; %bb.11027:                            ;   in Loop: Header=BB4_10490 Depth=3
	s_or_b32 exec_lo, exec_lo, s42
	s_delay_alu instid0(SALU_CYCLE_1)
	s_and_b32 s15, s15, exec_lo
	s_or_saveexec_b32 s14, s14
	v_bfrev_b32_e32 v2, 1
	s_xor_b32 exec_lo, exec_lo, s14
	s_cbranch_execnz .LBB4_11536
.LBB4_11028:                            ;   in Loop: Header=BB4_10490 Depth=3
	s_or_b32 exec_lo, exec_lo, s14
	s_and_saveexec_b32 s14, s15
	s_cbranch_execz .LBB4_11030
.LBB4_11029:                            ;   in Loop: Header=BB4_10490 Depth=3
	v_and_b32_e32 v2, 0xffff, v16
	s_delay_alu instid0(VALU_DEP_1) | instskip(NEXT) | instid1(VALU_DEP_1)
	v_and_b32_e32 v21, 3, v2
	v_clz_i32_u32_e32 v17, v21
	s_delay_alu instid0(VALU_DEP_1) | instskip(SKIP_1) | instid1(VALU_DEP_2)
	v_min_u32_e32 v86, 32, v17
	v_mov_b32_e32 v17, v3
	v_subrev_nc_u32_e32 v18, 29, v86
	s_delay_alu instid0(VALU_DEP_1) | instskip(SKIP_3) | instid1(VALU_DEP_3)
	v_lshlrev_b64_e32 v[18:19], v18, v[16:17]
	v_bfe_u32 v17, v2, 2, 5
	v_dual_lshlrev_b32 v16, 24, v16 :: v_dual_sub_nc_u32 v19, 30, v86
	v_and_b32_e32 v2, 0x7c, v2
	v_cmp_eq_u32_e32 vcc_lo, 0, v17
	s_delay_alu instid0(VALU_DEP_3) | instskip(NEXT) | instid1(VALU_DEP_4)
	v_and_b32_e32 v16, 0x80000000, v16
	v_dual_cndmask_b32 v17, v17, v19, vcc_lo :: v_dual_bitop2_b32 v18, 3, v18 bitop3:0x40
	s_delay_alu instid0(VALU_DEP_1) | instskip(SKIP_1) | instid1(VALU_DEP_3)
	v_cndmask_b32_e32 v18, v21, v18, vcc_lo
	v_cmp_lt_i16_e32 vcc_lo, -1, v8
	v_lshl_add_u32 v16, v17, 23, v16
	v_cndmask_b32_e32 v17, 0xff800000, v48, vcc_lo
	v_cmp_eq_u32_e32 vcc_lo, 0, v21
	s_delay_alu instid0(VALU_DEP_3) | instskip(NEXT) | instid1(VALU_DEP_3)
	v_lshl_or_b32 v16, v18, 21, v16
	v_cndmask_b32_e32 v17, 0x7f800001, v17, vcc_lo
	s_delay_alu instid0(VALU_DEP_2) | instskip(SKIP_1) | instid1(VALU_DEP_2)
	v_add_nc_u32_e32 v16, 0x38000000, v16
	v_cmp_eq_u32_e32 vcc_lo, 0x7c, v2
	v_cndmask_b32_e32 v2, v16, v17, vcc_lo
.LBB4_11030:                            ;   in Loop: Header=BB4_10490 Depth=3
	s_or_b32 exec_lo, exec_lo, s14
	s_delay_alu instid0(VALU_DEP_1) | instskip(SKIP_2) | instid1(VALU_DEP_2)
	v_dual_add_f32 v5, v5, v2 :: v_dual_mov_b32 v19, v3
	v_mov_b32_e32 v17, v3
                                        ; implicit-def: $vgpr100
	s_mov_b32 s14, exec_lo
	v_and_b32_e32 v18, 0x7f800000, v5
	v_and_b32_e32 v16, 0x7fffff, v5
	v_lshrrev_b32_e32 v2, 24, v5
	s_delay_alu instid0(VALU_DEP_3)
	v_cmpx_ne_u64_e32 0x7f800000, v[18:19]
	s_xor_b32 s15, exec_lo, s14
	s_cbranch_execz .LBB4_11044
; %bb.11031:                            ;   in Loop: Header=BB4_10490 Depth=3
	v_and_b32_e32 v18, 0x7fffffff, v5
	v_mov_b32_e32 v19, v3
	v_and_b32_e32 v2, 0x80, v2
                                        ; implicit-def: $vgpr100
	s_mov_b32 s14, exec_lo
	s_delay_alu instid0(VALU_DEP_2)
	v_cmpx_gt_u64_e32 0x47600001, v[18:19]
	s_xor_b32 s42, exec_lo, s14
	s_cbranch_execz .LBB4_11041
; %bb.11032:                            ;   in Loop: Header=BB4_10490 Depth=3
	v_mov_b32_e32 v100, 0
	s_mov_b32 s43, exec_lo
	v_cmpx_ne_u32_e32 0, v5
	s_cbranch_execz .LBB4_11040
; %bb.11033:                            ;   in Loop: Header=BB4_10490 Depth=3
	v_bfe_u32 v5, v5, 23, 8
	v_or_b32_e32 v86, 0x800000, v16
	s_delay_alu instid0(VALU_DEP_2) | instskip(SKIP_1) | instid1(VALU_DEP_2)
	v_sub_nc_u32_e32 v18, 0x71, v5
	v_cmp_gt_u32_e32 vcc_lo, 0x72, v5
	v_cndmask_b32_e32 v18, 0, v18, vcc_lo
	v_cmp_eq_u32_e32 vcc_lo, 0, v5
	s_delay_alu instid0(VALU_DEP_2) | instskip(NEXT) | instid1(VALU_DEP_1)
	v_cndmask_b32_e64 v21, v18, 0x70, vcc_lo
	v_dual_cndmask_b32 v16, v86, v16, vcc_lo :: v_dual_add_nc_u32 v18, 21, v21
	v_add_nc_u32_e32 v87, 20, v21
	s_delay_alu instid0(VALU_DEP_2) | instskip(NEXT) | instid1(VALU_DEP_2)
	v_lshlrev_b64_e64 v[18:19], v18, -1
	v_lshlrev_b64_e64 v[86:87], v87, 1
	s_delay_alu instid0(VALU_DEP_2) | instskip(SKIP_1) | instid1(VALU_DEP_4)
	v_bfi_b32 v18, v18, 0, v16
	v_lshrrev_b64 v[16:17], v21, v[16:17]
	v_bfi_b32 v19, v19, 0, 0
	s_delay_alu instid0(VALU_DEP_1) | instskip(NEXT) | instid1(VALU_DEP_3)
	v_cmp_eq_u64_e64 s14, v[18:19], v[86:87]
	v_mov_b64_e32 v[18:19], v[16:17]
	s_and_saveexec_b32 s78, s14
; %bb.11034:                            ;   in Loop: Header=BB4_10490 Depth=3
	v_bfe_u32 v18, v16, 21, 1
	v_mov_b32_e32 v19, v3
	s_delay_alu instid0(VALU_DEP_1) | instskip(NEXT) | instid1(VALU_DEP_1)
	v_add_nc_u64_e32 v[18:19], v[16:17], v[18:19]
	v_add_nc_u64_e32 v[18:19], -1, v[18:19]
; %bb.11035:                            ;   in Loop: Header=BB4_10490 Depth=3
	s_or_b32 exec_lo, exec_lo, s78
	v_add_nc_u32_e32 v5, 0xffffff81, v5
	v_lshrrev_b32_e32 v17, 23, v16
	s_mov_b32 s14, exec_lo
	s_delay_alu instid0(VALU_DEP_2) | instskip(NEXT) | instid1(VALU_DEP_1)
	v_cndmask_b32_e64 v5, v5, 0xffffff82, vcc_lo
	v_add3_u32 v19, v21, v5, v17
	v_and_b32_e32 v5, 0x1fffff, v18
	s_delay_alu instid0(VALU_DEP_2) | instskip(NEXT) | instid1(VALU_DEP_2)
	v_dual_mov_b32 v17, v3 :: v_dual_add_nc_u32 v18, 14, v19
	v_add_nc_u32_e32 v16, v5, v16
                                        ; implicit-def: $vgpr5
	s_delay_alu instid0(VALU_DEP_2)
	v_cmpx_ne_u32_e32 0, v18
	s_xor_b32 s14, exec_lo, s14
; %bb.11036:                            ;   in Loop: Header=BB4_10490 Depth=3
	s_delay_alu instid0(VALU_DEP_2) | instskip(SKIP_1) | instid1(VALU_DEP_1)
	v_cmp_lt_u64_e32 vcc_lo, 0xffffff, v[16:17]
	v_add_nc_u32_e32 v5, 15, v19
	v_cndmask_b32_e32 v5, v18, v5, vcc_lo
	v_cndmask_b32_e64 v18, 0, 1, vcc_lo
	s_delay_alu instid0(VALU_DEP_1)
	v_lshrrev_b64 v[16:17], v18, v[16:17]
; %bb.11037:                            ;   in Loop: Header=BB4_10490 Depth=3
	s_and_not1_saveexec_b32 s14, s14
; %bb.11038:                            ;   in Loop: Header=BB4_10490 Depth=3
	s_delay_alu instid0(VALU_DEP_1)
	v_bfe_u32 v5, v16, 23, 1
; %bb.11039:                            ;   in Loop: Header=BB4_10490 Depth=3
	s_or_b32 exec_lo, exec_lo, s14
	s_delay_alu instid0(VALU_DEP_2) | instskip(NEXT) | instid1(VALU_DEP_2)
	v_lshrrev_b64 v[16:17], 21, v[16:17]
	v_cmp_gt_i32_e32 vcc_lo, 32, v5
	v_min_i32_e32 v18, 31, v5
	v_cmp_eq_u32_e64 s14, 0, v5
	s_delay_alu instid0(VALU_DEP_2) | instskip(SKIP_1) | instid1(VALU_DEP_2)
	v_dual_cndmask_b32 v16, 3, v16, vcc_lo :: v_dual_lshlrev_b32 v18, 2, v18
	v_cndmask_b32_e32 v17, 0, v17, vcc_lo
	v_and_b32_e32 v18, 0xfc, v18
	s_delay_alu instid0(VALU_DEP_2) | instskip(NEXT) | instid1(VALU_DEP_2)
	v_cmp_eq_u64_e32 vcc_lo, 0, v[16:17]
	v_and_or_b32 v5, v16, 3, v18
	s_and_b32 s14, s14, vcc_lo
	s_delay_alu instid0(VALU_DEP_1) | instid1(SALU_CYCLE_1)
	v_cndmask_b32_e64 v5, v5, 0, s14
	s_delay_alu instid0(VALU_DEP_1)
	v_or_b32_e32 v100, v5, v2
.LBB4_11040:                            ;   in Loop: Header=BB4_10490 Depth=3
	s_or_b32 exec_lo, exec_lo, s43
                                        ; implicit-def: $vgpr2
.LBB4_11041:                            ;   in Loop: Header=BB4_10490 Depth=3
	s_and_not1_saveexec_b32 s14, s42
; %bb.11042:                            ;   in Loop: Header=BB4_10490 Depth=3
	v_or_b32_e32 v100, 0x7b, v2
; %bb.11043:                            ;   in Loop: Header=BB4_10490 Depth=3
	s_or_b32 exec_lo, exec_lo, s14
                                        ; implicit-def: $vgpr5
                                        ; implicit-def: $vgpr16_vgpr17
                                        ; implicit-def: $vgpr2
.LBB4_11044:                            ;   in Loop: Header=BB4_10490 Depth=3
	s_and_not1_saveexec_b32 s14, s15
	s_cbranch_execz .LBB4_11050
; %bb.11045:                            ;   in Loop: Header=BB4_10490 Depth=3
	s_mov_b32 s15, exec_lo
                                        ; implicit-def: $vgpr100
	v_cmpx_ne_u64_e32 0, v[16:17]
	s_xor_b32 s15, exec_lo, s15
; %bb.11046:                            ;   in Loop: Header=BB4_10490 Depth=3
	v_or_b32_e32 v100, 0x7f, v2
                                        ; implicit-def: $vgpr5
; %bb.11047:                            ;   in Loop: Header=BB4_10490 Depth=3
	s_and_not1_saveexec_b32 s15, s15
; %bb.11048:                            ;   in Loop: Header=BB4_10490 Depth=3
	v_cmp_lt_i32_e32 vcc_lo, -1, v5
	v_cndmask_b32_e32 v100, 0xfc, v49, vcc_lo
; %bb.11049:                            ;   in Loop: Header=BB4_10490 Depth=3
	s_or_b32 exec_lo, exec_lo, s15
.LBB4_11050:                            ;   in Loop: Header=BB4_10490 Depth=3
	s_delay_alu instid0(SALU_CYCLE_1) | instskip(SKIP_2) | instid1(VALU_DEP_1)
	s_or_b32 exec_lo, exec_lo, s14
	v_dual_mov_b32 v5, 0 :: v_dual_lshrrev_b32 v2, 16, v4
	s_mov_b32 s14, exec_lo
	v_and_b32_e32 v16, 0xff, v2
	s_delay_alu instid0(VALU_DEP_1)
	v_cmpx_ne_u16_e32 0, v16
	s_cbranch_execz .LBB4_11060
; %bb.11051:                            ;   in Loop: Header=BB4_10490 Depth=3
	v_bfrev_b32_e32 v5, 1
	s_mov_b32 s15, exec_lo
	v_cmpx_ne_u16_e32 0x80, v16
	s_cbranch_execz .LBB4_11059
; %bb.11052:                            ;   in Loop: Header=BB4_10490 Depth=3
	v_and_b32_e32 v5, 0x7c0000, v4
	v_bfe_u32 v16, v4, 16, 2
	s_delay_alu instid0(VALU_DEP_2) | instskip(SKIP_1) | instid1(SALU_CYCLE_1)
	v_cmp_ne_u32_e32 vcc_lo, 0x7c0000, v5
                                        ; implicit-def: $vgpr5
	s_and_saveexec_b32 s42, vcc_lo
	s_xor_b32 s42, exec_lo, s42
	s_cbranch_execz .LBB4_11056
; %bb.11053:                            ;   in Loop: Header=BB4_10490 Depth=3
	v_bfe_u32 v5, v4, 18, 5
	v_lshrrev_b32_e32 v2, 16, v4
	s_mov_b32 s43, exec_lo
	s_delay_alu instid0(VALU_DEP_2)
	v_cmpx_eq_u32_e32 0, v5
; %bb.11054:                            ;   in Loop: Header=BB4_10490 Depth=3
	v_clz_i32_u32_e32 v5, v16
	s_delay_alu instid0(VALU_DEP_1) | instskip(NEXT) | instid1(VALU_DEP_1)
	v_min_u32_e32 v5, 32, v5
	v_subrev_nc_u32_e32 v16, 29, v5
	s_delay_alu instid0(VALU_DEP_1) | instskip(NEXT) | instid1(VALU_DEP_1)
	v_lshlrev_b64_e32 v[16:17], v16, v[2:3]
	v_dual_sub_nc_u32 v5, 30, v5 :: v_dual_bitop2_b32 v16, 3, v16 bitop3:0x40
; %bb.11055:                            ;   in Loop: Header=BB4_10490 Depth=3
	s_or_b32 exec_lo, exec_lo, s43
	v_lshlrev_b32_e32 v2, 24, v2
	s_delay_alu instid0(VALU_DEP_1) | instskip(NEXT) | instid1(VALU_DEP_1)
	v_and_b32_e32 v2, 0x80000000, v2
	v_lshl_add_u32 v2, v5, 23, v2
	s_delay_alu instid0(VALU_DEP_1) | instskip(NEXT) | instid1(VALU_DEP_1)
	v_lshl_or_b32 v2, v16, 21, v2
                                        ; implicit-def: $vgpr16
	v_add_nc_u32_e32 v5, 0x38000000, v2
                                        ; implicit-def: $vgpr2
.LBB4_11056:                            ;   in Loop: Header=BB4_10490 Depth=3
	s_and_not1_saveexec_b32 s42, s42
; %bb.11057:                            ;   in Loop: Header=BB4_10490 Depth=3
	v_bfe_i32 v2, v2, 0, 8
	s_delay_alu instid0(VALU_DEP_1) | instskip(SKIP_2) | instid1(VALU_DEP_2)
	v_cmp_lt_i16_e32 vcc_lo, -1, v2
	v_cndmask_b32_e32 v2, 0xff800000, v48, vcc_lo
	v_cmp_eq_u32_e32 vcc_lo, 0, v16
	v_cndmask_b32_e32 v5, 0x7f800001, v2, vcc_lo
; %bb.11058:                            ;   in Loop: Header=BB4_10490 Depth=3
	s_or_b32 exec_lo, exec_lo, s42
.LBB4_11059:                            ;   in Loop: Header=BB4_10490 Depth=3
	s_delay_alu instid0(SALU_CYCLE_1)
	s_or_b32 exec_lo, exec_lo, s15
.LBB4_11060:                            ;   in Loop: Header=BB4_10490 Depth=3
	s_delay_alu instid0(SALU_CYCLE_1) | instskip(SKIP_3) | instid1(VALU_DEP_1)
	s_or_b32 exec_lo, exec_lo, s14
	v_lshrrev_b32_e32 v2, 16, v8
	s_mov_b32 s15, 0
	s_mov_b32 s14, exec_lo
	v_and_b32_e32 v17, 0xff, v2
	s_delay_alu instid0(VALU_DEP_1)
	v_cmpx_lt_i16_e32 0x7f, v17
	s_xor_b32 s14, exec_lo, s14
	s_cbranch_execz .LBB4_11537
; %bb.11061:                            ;   in Loop: Header=BB4_10490 Depth=3
	s_mov_b32 s15, -1
	s_mov_b32 s42, exec_lo
	v_cmpx_eq_u16_e32 0x80, v17
; %bb.11062:                            ;   in Loop: Header=BB4_10490 Depth=3
	s_xor_b32 s15, exec_lo, -1
; %bb.11063:                            ;   in Loop: Header=BB4_10490 Depth=3
	s_or_b32 exec_lo, exec_lo, s42
	s_delay_alu instid0(SALU_CYCLE_1)
	s_and_b32 s15, s15, exec_lo
                                        ; implicit-def: $vgpr17
	s_or_saveexec_b32 s14, s14
	v_bfrev_b32_e32 v16, 1
	s_xor_b32 exec_lo, exec_lo, s14
	s_cbranch_execnz .LBB4_11538
.LBB4_11064:                            ;   in Loop: Header=BB4_10490 Depth=3
	s_or_b32 exec_lo, exec_lo, s14
	s_and_saveexec_b32 s14, s15
	s_cbranch_execz .LBB4_11066
.LBB4_11065:                            ;   in Loop: Header=BB4_10490 Depth=3
	v_and_b32_e32 v18, 3, v2
	v_bfe_u32 v21, v8, 18, 5
	s_delay_alu instid0(VALU_DEP_2) | instskip(NEXT) | instid1(VALU_DEP_2)
	v_clz_i32_u32_e32 v16, v18
	v_cmp_eq_u32_e32 vcc_lo, 0, v21
	s_delay_alu instid0(VALU_DEP_2) | instskip(NEXT) | instid1(VALU_DEP_1)
	v_min_u32_e32 v19, 32, v16
	v_subrev_nc_u32_e32 v16, 29, v19
	s_delay_alu instid0(VALU_DEP_1) | instskip(SKIP_2) | instid1(VALU_DEP_2)
	v_lshlrev_b64_e32 v[16:17], v16, v[2:3]
	v_dual_lshlrev_b32 v17, 24, v2 :: v_dual_sub_nc_u32 v19, 30, v19
	v_bfe_i32 v2, v2, 0, 8
	v_and_b32_e32 v17, 0x80000000, v17
	s_delay_alu instid0(VALU_DEP_3) | instskip(NEXT) | instid1(VALU_DEP_1)
	v_dual_cndmask_b32 v19, v21, v19, vcc_lo :: v_dual_bitop2_b32 v16, 3, v16 bitop3:0x40
	v_cndmask_b32_e32 v16, v18, v16, vcc_lo
	s_delay_alu instid0(VALU_DEP_2) | instskip(SKIP_1) | instid1(VALU_DEP_2)
	v_lshl_add_u32 v17, v19, 23, v17
	v_cmp_lt_i16_e32 vcc_lo, -1, v2
	v_lshl_or_b32 v16, v16, 21, v17
	v_cndmask_b32_e32 v2, 0xff800000, v48, vcc_lo
	v_and_b32_e32 v17, 0x7c0000, v8
	v_cmp_eq_u32_e32 vcc_lo, 0, v18
	s_delay_alu instid0(VALU_DEP_4) | instskip(NEXT) | instid1(VALU_DEP_4)
	v_add_nc_u32_e32 v16, 0x38000000, v16
	v_cndmask_b32_e32 v2, 0x7f800001, v2, vcc_lo
	s_delay_alu instid0(VALU_DEP_4) | instskip(NEXT) | instid1(VALU_DEP_2)
	v_cmp_eq_u32_e32 vcc_lo, 0x7c0000, v17
	v_cndmask_b32_e32 v16, v16, v2, vcc_lo
.LBB4_11066:                            ;   in Loop: Header=BB4_10490 Depth=3
	s_or_b32 exec_lo, exec_lo, s14
	s_delay_alu instid0(VALU_DEP_1) | instskip(SKIP_2) | instid1(VALU_DEP_2)
	v_dual_add_f32 v5, v5, v16 :: v_dual_mov_b32 v19, v3
	v_mov_b32_e32 v17, v3
                                        ; implicit-def: $vgpr113
	s_mov_b32 s14, exec_lo
	v_and_b32_e32 v18, 0x7f800000, v5
	v_and_b32_e32 v16, 0x7fffff, v5
	v_lshrrev_b32_e32 v2, 24, v5
	s_delay_alu instid0(VALU_DEP_3)
	v_cmpx_ne_u64_e32 0x7f800000, v[18:19]
	s_xor_b32 s15, exec_lo, s14
	s_cbranch_execz .LBB4_11080
; %bb.11067:                            ;   in Loop: Header=BB4_10490 Depth=3
	v_and_b32_e32 v18, 0x7fffffff, v5
	v_mov_b32_e32 v19, v3
	v_and_b32_e32 v2, 0x80, v2
                                        ; implicit-def: $vgpr113
	s_mov_b32 s14, exec_lo
	s_delay_alu instid0(VALU_DEP_2)
	v_cmpx_gt_u64_e32 0x47600001, v[18:19]
	s_xor_b32 s42, exec_lo, s14
	s_cbranch_execz .LBB4_11077
; %bb.11068:                            ;   in Loop: Header=BB4_10490 Depth=3
	v_mov_b32_e32 v113, 0
	s_mov_b32 s43, exec_lo
	v_cmpx_ne_u32_e32 0, v5
	s_cbranch_execz .LBB4_11076
; %bb.11069:                            ;   in Loop: Header=BB4_10490 Depth=3
	v_bfe_u32 v5, v5, 23, 8
	v_or_b32_e32 v86, 0x800000, v16
	s_delay_alu instid0(VALU_DEP_2) | instskip(SKIP_1) | instid1(VALU_DEP_2)
	v_sub_nc_u32_e32 v18, 0x71, v5
	v_cmp_gt_u32_e32 vcc_lo, 0x72, v5
	v_cndmask_b32_e32 v18, 0, v18, vcc_lo
	v_cmp_eq_u32_e32 vcc_lo, 0, v5
	s_delay_alu instid0(VALU_DEP_2) | instskip(NEXT) | instid1(VALU_DEP_1)
	v_cndmask_b32_e64 v21, v18, 0x70, vcc_lo
	v_dual_cndmask_b32 v16, v86, v16, vcc_lo :: v_dual_add_nc_u32 v18, 21, v21
	v_add_nc_u32_e32 v87, 20, v21
	s_delay_alu instid0(VALU_DEP_2) | instskip(NEXT) | instid1(VALU_DEP_2)
	v_lshlrev_b64_e64 v[18:19], v18, -1
	v_lshlrev_b64_e64 v[86:87], v87, 1
	s_delay_alu instid0(VALU_DEP_2) | instskip(SKIP_1) | instid1(VALU_DEP_4)
	v_bfi_b32 v18, v18, 0, v16
	v_lshrrev_b64 v[16:17], v21, v[16:17]
	v_bfi_b32 v19, v19, 0, 0
	s_delay_alu instid0(VALU_DEP_1) | instskip(NEXT) | instid1(VALU_DEP_3)
	v_cmp_eq_u64_e64 s14, v[18:19], v[86:87]
	v_mov_b64_e32 v[18:19], v[16:17]
	s_and_saveexec_b32 s78, s14
; %bb.11070:                            ;   in Loop: Header=BB4_10490 Depth=3
	v_bfe_u32 v18, v16, 21, 1
	v_mov_b32_e32 v19, v3
	s_delay_alu instid0(VALU_DEP_1) | instskip(NEXT) | instid1(VALU_DEP_1)
	v_add_nc_u64_e32 v[18:19], v[16:17], v[18:19]
	v_add_nc_u64_e32 v[18:19], -1, v[18:19]
; %bb.11071:                            ;   in Loop: Header=BB4_10490 Depth=3
	s_or_b32 exec_lo, exec_lo, s78
	v_add_nc_u32_e32 v5, 0xffffff81, v5
	v_lshrrev_b32_e32 v17, 23, v16
	s_mov_b32 s14, exec_lo
	s_delay_alu instid0(VALU_DEP_2) | instskip(NEXT) | instid1(VALU_DEP_1)
	v_cndmask_b32_e64 v5, v5, 0xffffff82, vcc_lo
	v_add3_u32 v19, v21, v5, v17
	v_and_b32_e32 v5, 0x1fffff, v18
	s_delay_alu instid0(VALU_DEP_2) | instskip(NEXT) | instid1(VALU_DEP_2)
	v_dual_mov_b32 v17, v3 :: v_dual_add_nc_u32 v18, 14, v19
	v_add_nc_u32_e32 v16, v5, v16
                                        ; implicit-def: $vgpr5
	s_delay_alu instid0(VALU_DEP_2)
	v_cmpx_ne_u32_e32 0, v18
	s_xor_b32 s14, exec_lo, s14
; %bb.11072:                            ;   in Loop: Header=BB4_10490 Depth=3
	s_delay_alu instid0(VALU_DEP_2) | instskip(SKIP_1) | instid1(VALU_DEP_1)
	v_cmp_lt_u64_e32 vcc_lo, 0xffffff, v[16:17]
	v_add_nc_u32_e32 v5, 15, v19
	v_cndmask_b32_e32 v5, v18, v5, vcc_lo
	v_cndmask_b32_e64 v18, 0, 1, vcc_lo
	s_delay_alu instid0(VALU_DEP_1)
	v_lshrrev_b64 v[16:17], v18, v[16:17]
; %bb.11073:                            ;   in Loop: Header=BB4_10490 Depth=3
	s_and_not1_saveexec_b32 s14, s14
; %bb.11074:                            ;   in Loop: Header=BB4_10490 Depth=3
	s_delay_alu instid0(VALU_DEP_1)
	v_bfe_u32 v5, v16, 23, 1
; %bb.11075:                            ;   in Loop: Header=BB4_10490 Depth=3
	s_or_b32 exec_lo, exec_lo, s14
	s_delay_alu instid0(VALU_DEP_2) | instskip(NEXT) | instid1(VALU_DEP_2)
	v_lshrrev_b64 v[16:17], 21, v[16:17]
	v_cmp_gt_i32_e32 vcc_lo, 32, v5
	v_min_i32_e32 v18, 31, v5
	v_cmp_eq_u32_e64 s14, 0, v5
	s_delay_alu instid0(VALU_DEP_2) | instskip(SKIP_1) | instid1(VALU_DEP_2)
	v_dual_cndmask_b32 v16, 3, v16, vcc_lo :: v_dual_lshlrev_b32 v18, 2, v18
	v_cndmask_b32_e32 v17, 0, v17, vcc_lo
	v_and_b32_e32 v18, 0xfc, v18
	s_delay_alu instid0(VALU_DEP_2) | instskip(NEXT) | instid1(VALU_DEP_2)
	v_cmp_eq_u64_e32 vcc_lo, 0, v[16:17]
	v_and_or_b32 v5, v16, 3, v18
	s_and_b32 s14, s14, vcc_lo
	s_delay_alu instid0(VALU_DEP_1) | instid1(SALU_CYCLE_1)
	v_cndmask_b32_e64 v5, v5, 0, s14
	s_delay_alu instid0(VALU_DEP_1)
	v_or_b32_e32 v113, v5, v2
.LBB4_11076:                            ;   in Loop: Header=BB4_10490 Depth=3
	s_or_b32 exec_lo, exec_lo, s43
                                        ; implicit-def: $vgpr2
.LBB4_11077:                            ;   in Loop: Header=BB4_10490 Depth=3
	s_and_not1_saveexec_b32 s14, s42
; %bb.11078:                            ;   in Loop: Header=BB4_10490 Depth=3
	v_or_b32_e32 v113, 0x7b, v2
; %bb.11079:                            ;   in Loop: Header=BB4_10490 Depth=3
	s_or_b32 exec_lo, exec_lo, s14
                                        ; implicit-def: $vgpr5
                                        ; implicit-def: $vgpr16_vgpr17
                                        ; implicit-def: $vgpr2
.LBB4_11080:                            ;   in Loop: Header=BB4_10490 Depth=3
	s_and_not1_saveexec_b32 s14, s15
	s_cbranch_execz .LBB4_11086
; %bb.11081:                            ;   in Loop: Header=BB4_10490 Depth=3
	s_mov_b32 s15, exec_lo
                                        ; implicit-def: $vgpr113
	v_cmpx_ne_u64_e32 0, v[16:17]
	s_xor_b32 s15, exec_lo, s15
; %bb.11082:                            ;   in Loop: Header=BB4_10490 Depth=3
	v_or_b32_e32 v113, 0x7f, v2
                                        ; implicit-def: $vgpr5
; %bb.11083:                            ;   in Loop: Header=BB4_10490 Depth=3
	s_and_not1_saveexec_b32 s15, s15
; %bb.11084:                            ;   in Loop: Header=BB4_10490 Depth=3
	v_cmp_lt_i32_e32 vcc_lo, -1, v5
	v_cndmask_b32_e32 v113, 0xfc, v49, vcc_lo
; %bb.11085:                            ;   in Loop: Header=BB4_10490 Depth=3
	s_or_b32 exec_lo, exec_lo, s15
.LBB4_11086:                            ;   in Loop: Header=BB4_10490 Depth=3
	s_delay_alu instid0(SALU_CYCLE_1)
	s_or_b32 exec_lo, exec_lo, s14
	v_mov_b32_e32 v16, 0
	s_mov_b32 s14, exec_lo
	v_cmpx_lt_u32_e32 0xffffff, v4
	s_cbranch_execz .LBB4_11096
; %bb.11087:                            ;   in Loop: Header=BB4_10490 Depth=3
	v_lshrrev_b32_e32 v2, 24, v4
	v_bfrev_b32_e32 v16, 1
	s_mov_b32 s15, exec_lo
	s_delay_alu instid0(VALU_DEP_2)
	v_cmpx_ne_u32_e32 0x80, v2
	s_cbranch_execz .LBB4_11095
; %bb.11088:                            ;   in Loop: Header=BB4_10490 Depth=3
	v_and_b32_e32 v5, 0x7c000000, v4
	v_bfe_u32 v17, v4, 24, 2
	s_mov_b32 s42, exec_lo
                                        ; implicit-def: $vgpr16
	s_delay_alu instid0(VALU_DEP_2)
	v_cmpx_ne_u32_e32 0x7c000000, v5
	s_xor_b32 s42, exec_lo, s42
	s_cbranch_execz .LBB4_11092
; %bb.11089:                            ;   in Loop: Header=BB4_10490 Depth=3
	v_bfe_u32 v5, v4, 26, 5
	s_mov_b32 s43, exec_lo
	s_delay_alu instid0(VALU_DEP_1)
	v_cmpx_eq_u32_e32 0, v5
; %bb.11090:                            ;   in Loop: Header=BB4_10490 Depth=3
	v_clz_i32_u32_e32 v5, v17
	s_delay_alu instid0(VALU_DEP_1) | instskip(NEXT) | instid1(VALU_DEP_1)
	v_min_u32_e32 v5, 32, v5
	v_subrev_nc_u32_e32 v16, 29, v5
	s_delay_alu instid0(VALU_DEP_1) | instskip(NEXT) | instid1(VALU_DEP_1)
	v_lshlrev_b64_e32 v[16:17], v16, v[2:3]
	v_dual_sub_nc_u32 v5, 30, v5 :: v_dual_bitop2_b32 v17, 3, v16 bitop3:0x40
; %bb.11091:                            ;   in Loop: Header=BB4_10490 Depth=3
	s_or_b32 exec_lo, exec_lo, s43
	v_and_b32_e32 v2, 0x80000000, v4
	s_delay_alu instid0(VALU_DEP_1) | instskip(NEXT) | instid1(VALU_DEP_1)
	v_lshl_add_u32 v2, v5, 23, v2
                                        ; implicit-def: $vgpr4_vgpr5
	v_lshl_or_b32 v2, v17, 21, v2
                                        ; implicit-def: $vgpr17
	s_delay_alu instid0(VALU_DEP_1)
	v_add_nc_u32_e32 v16, 0x38000000, v2
.LBB4_11092:                            ;   in Loop: Header=BB4_10490 Depth=3
	s_and_not1_saveexec_b32 s42, s42
; %bb.11093:                            ;   in Loop: Header=BB4_10490 Depth=3
	v_cmp_lt_i32_e32 vcc_lo, -1, v4
	v_cndmask_b32_e32 v2, 0xff800000, v48, vcc_lo
	v_cmp_eq_u32_e32 vcc_lo, 0, v17
	s_delay_alu instid0(VALU_DEP_2)
	v_cndmask_b32_e32 v16, 0x7f800001, v2, vcc_lo
; %bb.11094:                            ;   in Loop: Header=BB4_10490 Depth=3
	s_or_b32 exec_lo, exec_lo, s42
.LBB4_11095:                            ;   in Loop: Header=BB4_10490 Depth=3
	s_delay_alu instid0(SALU_CYCLE_1)
	s_or_b32 exec_lo, exec_lo, s15
.LBB4_11096:                            ;   in Loop: Header=BB4_10490 Depth=3
	s_delay_alu instid0(SALU_CYCLE_1) | instskip(SKIP_3) | instid1(VALU_DEP_2)
	s_or_b32 exec_lo, exec_lo, s14
	v_bfe_u32 v17, v8, 24, 2
	v_bfe_u32 v19, v8, 26, 5
                                        ; implicit-def: $vgpr117
	s_mov_b32 s14, exec_lo
	v_clz_i32_u32_e32 v2, v17
	s_delay_alu instid0(VALU_DEP_2) | instskip(NEXT) | instid1(VALU_DEP_2)
	v_cmp_eq_u32_e32 vcc_lo, 0, v19
	v_min_u32_e32 v18, 32, v2
	v_lshrrev_b32_e32 v2, 24, v8
	s_delay_alu instid0(VALU_DEP_2) | instskip(NEXT) | instid1(VALU_DEP_1)
	v_subrev_nc_u32_e32 v4, 29, v18
	v_lshlrev_b64_e32 v[4:5], v4, v[2:3]
	v_sub_nc_u32_e32 v5, 30, v18
	v_and_b32_e32 v18, 0x80000000, v8
	s_delay_alu instid0(VALU_DEP_2) | instskip(SKIP_1) | instid1(VALU_DEP_2)
	v_dual_cndmask_b32 v5, v19, v5, vcc_lo :: v_dual_bitop2_b32 v4, 3, v4 bitop3:0x40
	v_mov_b32_e32 v19, v3
	v_lshl_add_u32 v5, v5, 23, v18
	s_delay_alu instid0(VALU_DEP_3) | instskip(SKIP_1) | instid1(VALU_DEP_2)
	v_cndmask_b32_e32 v4, v17, v4, vcc_lo
	v_cmp_lt_i32_e32 vcc_lo, -1, v8
	v_lshl_or_b32 v4, v4, 21, v5
	v_cndmask_b32_e32 v18, 0xff800000, v48, vcc_lo
	v_and_b32_e32 v5, 0x7c000000, v8
	v_cmp_eq_u32_e32 vcc_lo, 0, v17
	s_delay_alu instid0(VALU_DEP_4) | instskip(NEXT) | instid1(VALU_DEP_4)
	v_add_nc_u32_e32 v4, 0x38000000, v4
	v_cndmask_b32_e32 v17, 0x7f800001, v18, vcc_lo
	s_delay_alu instid0(VALU_DEP_4) | instskip(NEXT) | instid1(VALU_DEP_2)
	v_cmp_eq_u32_e32 vcc_lo, 0x7c000000, v5
	v_dual_mov_b32 v5, v3 :: v_dual_cndmask_b32 v4, v4, v17
	v_cmp_ne_u32_e32 vcc_lo, 0x80, v2
	s_delay_alu instid0(VALU_DEP_2) | instskip(SKIP_1) | instid1(VALU_DEP_2)
	v_cndmask_b32_e32 v2, 0x80000000, v4, vcc_lo
	v_cmp_lt_u32_e32 vcc_lo, 0xffffff, v8
	v_cndmask_b32_e32 v2, 0, v2, vcc_lo
	s_delay_alu instid0(VALU_DEP_1) | instskip(NEXT) | instid1(VALU_DEP_1)
	v_add_f32_e32 v16, v2, v16
	v_and_b32_e32 v18, 0x7f800000, v16
	v_and_b32_e32 v4, 0x7fffff, v16
	v_lshrrev_b32_e32 v2, 24, v16
	s_delay_alu instid0(VALU_DEP_3)
	v_cmpx_ne_u64_e32 0x7f800000, v[18:19]
	s_xor_b32 s15, exec_lo, s14
	s_cbranch_execz .LBB4_11110
; %bb.11097:                            ;   in Loop: Header=BB4_10490 Depth=3
	v_and_b32_e32 v18, 0x7fffffff, v16
	v_mov_b32_e32 v19, v3
	v_and_b32_e32 v2, 0x80, v2
                                        ; implicit-def: $vgpr117
	s_mov_b32 s14, exec_lo
	s_delay_alu instid0(VALU_DEP_2)
	v_cmpx_gt_u64_e32 0x47600001, v[18:19]
	s_xor_b32 s42, exec_lo, s14
	s_cbranch_execz .LBB4_11107
; %bb.11098:                            ;   in Loop: Header=BB4_10490 Depth=3
	v_mov_b32_e32 v117, 0
	s_mov_b32 s43, exec_lo
	v_cmpx_ne_u32_e32 0, v16
	s_cbranch_execz .LBB4_11106
; %bb.11099:                            ;   in Loop: Header=BB4_10490 Depth=3
	v_bfe_u32 v18, v16, 23, 8
	v_or_b32_e32 v21, 0x800000, v4
	s_delay_alu instid0(VALU_DEP_2) | instskip(SKIP_1) | instid1(VALU_DEP_2)
	v_sub_nc_u32_e32 v16, 0x71, v18
	v_cmp_gt_u32_e32 vcc_lo, 0x72, v18
	v_cndmask_b32_e32 v16, 0, v16, vcc_lo
	v_cmp_eq_u32_e32 vcc_lo, 0, v18
	s_delay_alu instid0(VALU_DEP_2) | instskip(NEXT) | instid1(VALU_DEP_1)
	v_cndmask_b32_e64 v19, v16, 0x70, vcc_lo
	v_dual_cndmask_b32 v4, v21, v4, vcc_lo :: v_dual_add_nc_u32 v16, 21, v19
	v_add_nc_u32_e32 v86, 20, v19
	s_delay_alu instid0(VALU_DEP_2) | instskip(NEXT) | instid1(VALU_DEP_2)
	v_lshlrev_b64_e64 v[16:17], v16, -1
	v_lshlrev_b64_e64 v[86:87], v86, 1
	s_delay_alu instid0(VALU_DEP_2) | instskip(SKIP_1) | instid1(VALU_DEP_4)
	v_bfi_b32 v16, v16, 0, v4
	v_lshrrev_b64 v[4:5], v19, v[4:5]
	v_bfi_b32 v17, v17, 0, 0
	s_delay_alu instid0(VALU_DEP_1) | instskip(NEXT) | instid1(VALU_DEP_3)
	v_cmp_eq_u64_e64 s14, v[16:17], v[86:87]
	v_mov_b64_e32 v[16:17], v[4:5]
	s_and_saveexec_b32 s78, s14
; %bb.11100:                            ;   in Loop: Header=BB4_10490 Depth=3
	v_bfe_u32 v16, v4, 21, 1
	v_mov_b32_e32 v17, v3
	s_delay_alu instid0(VALU_DEP_1) | instskip(NEXT) | instid1(VALU_DEP_1)
	v_add_nc_u64_e32 v[16:17], v[4:5], v[16:17]
	v_add_nc_u64_e32 v[16:17], -1, v[16:17]
; %bb.11101:                            ;   in Loop: Header=BB4_10490 Depth=3
	s_or_b32 exec_lo, exec_lo, s78
	v_add_nc_u32_e32 v5, 0xffffff81, v18
	v_lshrrev_b32_e32 v17, 23, v4
	s_mov_b32 s14, exec_lo
	s_delay_alu instid0(VALU_DEP_2) | instskip(NEXT) | instid1(VALU_DEP_1)
	v_cndmask_b32_e64 v5, v5, 0xffffff82, vcc_lo
	v_add3_u32 v17, v19, v5, v17
	v_and_b32_e32 v5, 0x1fffff, v16
                                        ; implicit-def: $vgpr16
	s_delay_alu instid0(VALU_DEP_1) | instskip(SKIP_1) | instid1(VALU_DEP_2)
	v_dual_add_nc_u32 v18, 14, v17 :: v_dual_add_nc_u32 v4, v5, v4
	v_mov_b32_e32 v5, v3
	v_cmpx_ne_u32_e32 0, v18
	s_xor_b32 s14, exec_lo, s14
; %bb.11102:                            ;   in Loop: Header=BB4_10490 Depth=3
	s_delay_alu instid0(VALU_DEP_2) | instskip(SKIP_2) | instid1(VALU_DEP_2)
	v_cmp_lt_u64_e32 vcc_lo, 0xffffff, v[4:5]
	v_add_nc_u32_e32 v16, 15, v17
	v_cndmask_b32_e64 v17, 0, 1, vcc_lo
	v_cndmask_b32_e32 v16, v18, v16, vcc_lo
	s_delay_alu instid0(VALU_DEP_2)
	v_lshrrev_b64 v[4:5], v17, v[4:5]
; %bb.11103:                            ;   in Loop: Header=BB4_10490 Depth=3
	s_and_not1_saveexec_b32 s14, s14
; %bb.11104:                            ;   in Loop: Header=BB4_10490 Depth=3
	s_delay_alu instid0(VALU_DEP_1)
	v_bfe_u32 v16, v4, 23, 1
; %bb.11105:                            ;   in Loop: Header=BB4_10490 Depth=3
	s_or_b32 exec_lo, exec_lo, s14
	s_delay_alu instid0(VALU_DEP_2) | instskip(NEXT) | instid1(VALU_DEP_2)
	v_lshrrev_b64 v[4:5], 21, v[4:5]
	v_cmp_gt_i32_e32 vcc_lo, 32, v16
	v_min_i32_e32 v17, 31, v16
	v_cmp_eq_u32_e64 s14, 0, v16
	s_delay_alu instid0(VALU_DEP_4) | instskip(NEXT) | instid1(VALU_DEP_3)
	v_cndmask_b32_e32 v5, 0, v5, vcc_lo
	v_dual_cndmask_b32 v4, 3, v4 :: v_dual_lshlrev_b32 v17, 2, v17
	s_delay_alu instid0(VALU_DEP_1) | instskip(NEXT) | instid1(VALU_DEP_2)
	v_and_b32_e32 v17, 0xfc, v17
	v_cmp_eq_u64_e32 vcc_lo, 0, v[4:5]
	s_delay_alu instid0(VALU_DEP_2)
	v_and_or_b32 v4, v4, 3, v17
	s_and_b32 s14, s14, vcc_lo
	s_delay_alu instid0(VALU_DEP_1) | instid1(SALU_CYCLE_1)
	v_cndmask_b32_e64 v4, v4, 0, s14
	s_delay_alu instid0(VALU_DEP_1)
	v_or_b32_e32 v117, v4, v2
.LBB4_11106:                            ;   in Loop: Header=BB4_10490 Depth=3
	s_or_b32 exec_lo, exec_lo, s43
                                        ; implicit-def: $vgpr2
.LBB4_11107:                            ;   in Loop: Header=BB4_10490 Depth=3
	s_and_not1_saveexec_b32 s14, s42
; %bb.11108:                            ;   in Loop: Header=BB4_10490 Depth=3
	v_or_b32_e32 v117, 0x7b, v2
; %bb.11109:                            ;   in Loop: Header=BB4_10490 Depth=3
	s_or_b32 exec_lo, exec_lo, s14
                                        ; implicit-def: $vgpr16
                                        ; implicit-def: $vgpr4_vgpr5
                                        ; implicit-def: $vgpr2
.LBB4_11110:                            ;   in Loop: Header=BB4_10490 Depth=3
	s_and_not1_saveexec_b32 s14, s15
	s_cbranch_execz .LBB4_11116
; %bb.11111:                            ;   in Loop: Header=BB4_10490 Depth=3
	s_mov_b32 s15, exec_lo
                                        ; implicit-def: $vgpr117
	v_cmpx_ne_u64_e32 0, v[4:5]
	s_xor_b32 s15, exec_lo, s15
; %bb.11112:                            ;   in Loop: Header=BB4_10490 Depth=3
	v_or_b32_e32 v117, 0x7f, v2
                                        ; implicit-def: $vgpr16
; %bb.11113:                            ;   in Loop: Header=BB4_10490 Depth=3
	s_and_not1_saveexec_b32 s15, s15
; %bb.11114:                            ;   in Loop: Header=BB4_10490 Depth=3
	v_cmp_lt_i32_e32 vcc_lo, -1, v16
	v_cndmask_b32_e32 v117, 0xfc, v49, vcc_lo
; %bb.11115:                            ;   in Loop: Header=BB4_10490 Depth=3
	s_or_b32 exec_lo, exec_lo, s15
.LBB4_11116:                            ;   in Loop: Header=BB4_10490 Depth=3
	s_delay_alu instid0(SALU_CYCLE_1) | instskip(SKIP_4) | instid1(VALU_DEP_2)
	s_or_b32 exec_lo, exec_lo, s14
	v_lshl_or_b32 v2, v40, 8, v20
	v_dual_lshlrev_b32 v4, 16, v56 :: v_dual_lshlrev_b32 v16, 24, v57
	v_dual_mov_b32 v5, v3 :: v_dual_mov_b32 v18, 0
	s_mov_b32 s14, exec_lo
	v_or3_b32 v4, v4, v16, v2
	v_cmpx_ne_u32_e32 0, v20
	s_cbranch_execz .LBB4_11126
; %bb.11117:                            ;   in Loop: Header=BB4_10490 Depth=3
	v_bfrev_b32_e32 v18, 1
	s_mov_b32 s15, exec_lo
	v_cmpx_ne_u32_e32 0x80, v20
	s_cbranch_execz .LBB4_11125
; %bb.11118:                            ;   in Loop: Header=BB4_10490 Depth=3
	v_and_b32_e32 v17, 0x7c, v20
	v_and_b32_e32 v16, 3, v20
	s_mov_b32 s42, exec_lo
                                        ; implicit-def: $vgpr18
	s_delay_alu instid0(VALU_DEP_2)
	v_cmpx_ne_u32_e32 0x7c, v17
	s_xor_b32 s42, exec_lo, s42
	s_cbranch_execz .LBB4_11122
; %bb.11119:                            ;   in Loop: Header=BB4_10490 Depth=3
	v_bfe_u32 v17, v20, 2, 5
	s_mov_b32 s43, exec_lo
	s_delay_alu instid0(VALU_DEP_1)
	v_cmpx_eq_u32_e32 0, v17
; %bb.11120:                            ;   in Loop: Header=BB4_10490 Depth=3
	v_clz_i32_u32_e32 v16, v16
	s_delay_alu instid0(VALU_DEP_1) | instskip(NEXT) | instid1(VALU_DEP_1)
	v_min_u32_e32 v18, 32, v16
	v_subrev_nc_u32_e32 v16, 29, v18
	s_delay_alu instid0(VALU_DEP_1) | instskip(NEXT) | instid1(VALU_DEP_1)
	v_lshlrev_b64_e32 v[16:17], v16, v[4:5]
	v_dual_sub_nc_u32 v17, 30, v18 :: v_dual_bitop2_b32 v16, 3, v16 bitop3:0x40
; %bb.11121:                            ;   in Loop: Header=BB4_10490 Depth=3
	s_or_b32 exec_lo, exec_lo, s43
	v_lshlrev_b32_e32 v5, 24, v20
                                        ; implicit-def: $vgpr20
	s_delay_alu instid0(VALU_DEP_1) | instskip(NEXT) | instid1(VALU_DEP_1)
	v_and_b32_e32 v5, 0x80000000, v5
	v_lshl_add_u32 v5, v17, 23, v5
	s_delay_alu instid0(VALU_DEP_1) | instskip(NEXT) | instid1(VALU_DEP_1)
	v_lshl_or_b32 v5, v16, 21, v5
                                        ; implicit-def: $vgpr16
	v_add_nc_u32_e32 v18, 0x38000000, v5
.LBB4_11122:                            ;   in Loop: Header=BB4_10490 Depth=3
	s_and_not1_saveexec_b32 s42, s42
; %bb.11123:                            ;   in Loop: Header=BB4_10490 Depth=3
	v_and_b32_e32 v5, 0x80, v20
	s_delay_alu instid0(VALU_DEP_1) | instskip(SKIP_2) | instid1(VALU_DEP_2)
	v_cmp_eq_u32_e32 vcc_lo, 0, v5
	v_cndmask_b32_e32 v5, 0xff800000, v48, vcc_lo
	v_cmp_eq_u32_e32 vcc_lo, 0, v16
	v_cndmask_b32_e32 v18, 0x7f800001, v5, vcc_lo
; %bb.11124:                            ;   in Loop: Header=BB4_10490 Depth=3
	s_or_b32 exec_lo, exec_lo, s42
.LBB4_11125:                            ;   in Loop: Header=BB4_10490 Depth=3
	s_delay_alu instid0(SALU_CYCLE_1)
	s_or_b32 exec_lo, exec_lo, s15
.LBB4_11126:                            ;   in Loop: Header=BB4_10490 Depth=3
	s_delay_alu instid0(SALU_CYCLE_1) | instskip(SKIP_4) | instid1(VALU_DEP_2)
	s_or_b32 exec_lo, exec_lo, s14
	v_and_b32_e32 v17, 0xff, v9
	v_mov_b32_e32 v16, v9
	s_mov_b32 s15, 0
	s_mov_b32 s14, exec_lo
	v_cmpx_lt_i16_e32 0x7f, v17
	s_xor_b32 s14, exec_lo, s14
	s_cbranch_execz .LBB4_11539
; %bb.11127:                            ;   in Loop: Header=BB4_10490 Depth=3
	s_mov_b32 s15, -1
	s_mov_b32 s42, exec_lo
	v_cmpx_eq_u16_e32 0x80, v17
; %bb.11128:                            ;   in Loop: Header=BB4_10490 Depth=3
	s_xor_b32 s15, exec_lo, -1
; %bb.11129:                            ;   in Loop: Header=BB4_10490 Depth=3
	s_or_b32 exec_lo, exec_lo, s42
	s_delay_alu instid0(SALU_CYCLE_1)
	s_and_b32 s15, s15, exec_lo
                                        ; implicit-def: $vgpr17
	s_or_saveexec_b32 s14, s14
	v_bfrev_b32_e32 v5, 1
	s_xor_b32 exec_lo, exec_lo, s14
	s_cbranch_execnz .LBB4_11540
.LBB4_11130:                            ;   in Loop: Header=BB4_10490 Depth=3
	s_or_b32 exec_lo, exec_lo, s14
	v_mov_b32_e32 v17, v3
	s_and_saveexec_b32 s14, s15
	s_cbranch_execz .LBB4_11132
.LBB4_11131:                            ;   in Loop: Header=BB4_10490 Depth=3
	v_and_b32_e32 v5, 3, v9
	s_delay_alu instid0(VALU_DEP_1) | instskip(NEXT) | instid1(VALU_DEP_1)
	v_clz_i32_u32_e32 v19, v5
	v_min_u32_e32 v19, 32, v19
	s_delay_alu instid0(VALU_DEP_1) | instskip(NEXT) | instid1(VALU_DEP_1)
	v_subrev_nc_u32_e32 v20, 29, v19
	v_lshlrev_b64_e32 v[20:21], v20, v[16:17]
	v_bfe_u32 v21, v9, 2, 5
	v_dual_lshlrev_b32 v17, 24, v9 :: v_dual_sub_nc_u32 v19, 30, v19
	s_delay_alu instid0(VALU_DEP_2) | instskip(NEXT) | instid1(VALU_DEP_2)
	v_cmp_eq_u32_e32 vcc_lo, 0, v21
	v_and_b32_e32 v17, 0x80000000, v17
	s_delay_alu instid0(VALU_DEP_3) | instskip(SKIP_1) | instid1(VALU_DEP_2)
	v_dual_cndmask_b32 v19, v21, v19, vcc_lo :: v_dual_bitop2_b32 v20, 3, v20 bitop3:0x40
	v_bfe_i32 v21, v9, 0, 8
	v_cndmask_b32_e32 v20, v5, v20, vcc_lo
	s_delay_alu instid0(VALU_DEP_3) | instskip(NEXT) | instid1(VALU_DEP_3)
	v_lshl_add_u32 v17, v19, 23, v17
	v_cmp_lt_i16_e32 vcc_lo, -1, v21
	s_delay_alu instid0(VALU_DEP_2) | instskip(SKIP_3) | instid1(VALU_DEP_4)
	v_lshl_or_b32 v17, v20, 21, v17
	v_cndmask_b32_e32 v19, 0xff800000, v48, vcc_lo
	v_and_b32_e32 v20, 0x7c, v9
	v_cmp_eq_u32_e32 vcc_lo, 0, v5
	v_add_nc_u32_e32 v17, 0x38000000, v17
	s_delay_alu instid0(VALU_DEP_4) | instskip(NEXT) | instid1(VALU_DEP_4)
	v_cndmask_b32_e32 v5, 0x7f800001, v19, vcc_lo
	v_cmp_eq_u32_e32 vcc_lo, 0x7c, v20
	s_delay_alu instid0(VALU_DEP_2)
	v_cndmask_b32_e32 v5, v17, v5, vcc_lo
.LBB4_11132:                            ;   in Loop: Header=BB4_10490 Depth=3
	s_or_b32 exec_lo, exec_lo, s14
	s_delay_alu instid0(VALU_DEP_1) | instskip(NEXT) | instid1(VALU_DEP_1)
	v_dual_add_f32 v17, v18, v5 :: v_dual_mov_b32 v21, v3
	v_dual_mov_b32 v19, v3 :: v_dual_lshrrev_b32 v5, 24, v17
	v_and_b32_e32 v20, 0x7f800000, v17
	v_and_b32_e32 v18, 0x7fffff, v17
	s_delay_alu instid0(VALU_DEP_2) | instskip(SKIP_1) | instid1(SALU_CYCLE_1)
	v_cmp_ne_u64_e32 vcc_lo, 0x7f800000, v[20:21]
                                        ; implicit-def: $vgpr20
	s_and_saveexec_b32 s14, vcc_lo
	s_xor_b32 s15, exec_lo, s14
	s_cbranch_execz .LBB4_11146
; %bb.11133:                            ;   in Loop: Header=BB4_10490 Depth=3
	v_and_b32_e32 v20, 0x7fffffff, v17
	v_mov_b32_e32 v21, v3
	v_and_b32_e32 v5, 0x80, v5
	s_delay_alu instid0(VALU_DEP_2) | instskip(SKIP_1) | instid1(SALU_CYCLE_1)
	v_cmp_gt_u64_e32 vcc_lo, 0x47600001, v[20:21]
                                        ; implicit-def: $vgpr20
	s_and_saveexec_b32 s14, vcc_lo
	s_xor_b32 s42, exec_lo, s14
	s_cbranch_execz .LBB4_11143
; %bb.11134:                            ;   in Loop: Header=BB4_10490 Depth=3
	v_mov_b32_e32 v20, 0
	s_mov_b32 s43, exec_lo
	v_cmpx_ne_u32_e32 0, v17
	s_cbranch_execz .LBB4_11142
; %bb.11135:                            ;   in Loop: Header=BB4_10490 Depth=3
	v_bfe_u32 v17, v17, 23, 8
	v_or_b32_e32 v87, 0x800000, v18
	s_delay_alu instid0(VALU_DEP_2) | instskip(SKIP_1) | instid1(VALU_DEP_2)
	v_sub_nc_u32_e32 v20, 0x71, v17
	v_cmp_gt_u32_e32 vcc_lo, 0x72, v17
	v_cndmask_b32_e32 v20, 0, v20, vcc_lo
	v_cmp_eq_u32_e32 vcc_lo, 0, v17
	s_delay_alu instid0(VALU_DEP_2) | instskip(SKIP_1) | instid1(VALU_DEP_2)
	v_cndmask_b32_e64 v86, v20, 0x70, vcc_lo
	v_cndmask_b32_e32 v18, v87, v18, vcc_lo
	v_dual_add_nc_u32 v20, 21, v86 :: v_dual_add_nc_u32 v96, 20, v86
	s_delay_alu instid0(VALU_DEP_1) | instskip(NEXT) | instid1(VALU_DEP_2)
	v_lshlrev_b64_e64 v[20:21], v20, -1
	v_lshlrev_b64_e64 v[96:97], v96, 1
	s_delay_alu instid0(VALU_DEP_2) | instskip(SKIP_1) | instid1(VALU_DEP_4)
	v_bfi_b32 v20, v20, 0, v18
	v_lshrrev_b64 v[18:19], v86, v[18:19]
	v_bfi_b32 v21, v21, 0, 0
	s_delay_alu instid0(VALU_DEP_1) | instskip(NEXT) | instid1(VALU_DEP_3)
	v_cmp_eq_u64_e64 s14, v[20:21], v[96:97]
	v_mov_b64_e32 v[20:21], v[18:19]
	s_and_saveexec_b32 s78, s14
; %bb.11136:                            ;   in Loop: Header=BB4_10490 Depth=3
	v_bfe_u32 v20, v18, 21, 1
	v_mov_b32_e32 v21, v3
	s_delay_alu instid0(VALU_DEP_1) | instskip(NEXT) | instid1(VALU_DEP_1)
	v_add_nc_u64_e32 v[20:21], v[18:19], v[20:21]
	v_add_nc_u64_e32 v[20:21], -1, v[20:21]
; %bb.11137:                            ;   in Loop: Header=BB4_10490 Depth=3
	s_or_b32 exec_lo, exec_lo, s78
	v_add_nc_u32_e32 v17, 0xffffff81, v17
	v_lshrrev_b32_e32 v19, 23, v18
	s_mov_b32 s14, exec_lo
	s_delay_alu instid0(VALU_DEP_2) | instskip(NEXT) | instid1(VALU_DEP_1)
	v_cndmask_b32_e64 v17, v17, 0xffffff82, vcc_lo
	v_add3_u32 v21, v86, v17, v19
	v_and_b32_e32 v17, 0x1fffff, v20
	s_delay_alu instid0(VALU_DEP_2) | instskip(NEXT) | instid1(VALU_DEP_2)
	v_dual_mov_b32 v19, v3 :: v_dual_add_nc_u32 v20, 14, v21
	v_add_nc_u32_e32 v18, v17, v18
                                        ; implicit-def: $vgpr17
	s_delay_alu instid0(VALU_DEP_2)
	v_cmpx_ne_u32_e32 0, v20
	s_xor_b32 s14, exec_lo, s14
; %bb.11138:                            ;   in Loop: Header=BB4_10490 Depth=3
	s_delay_alu instid0(VALU_DEP_2) | instskip(SKIP_1) | instid1(VALU_DEP_1)
	v_cmp_lt_u64_e32 vcc_lo, 0xffffff, v[18:19]
	v_add_nc_u32_e32 v17, 15, v21
	v_cndmask_b32_e32 v17, v20, v17, vcc_lo
	v_cndmask_b32_e64 v20, 0, 1, vcc_lo
	s_delay_alu instid0(VALU_DEP_1)
	v_lshrrev_b64 v[18:19], v20, v[18:19]
; %bb.11139:                            ;   in Loop: Header=BB4_10490 Depth=3
	s_and_not1_saveexec_b32 s14, s14
; %bb.11140:                            ;   in Loop: Header=BB4_10490 Depth=3
	s_delay_alu instid0(VALU_DEP_1)
	v_bfe_u32 v17, v18, 23, 1
; %bb.11141:                            ;   in Loop: Header=BB4_10490 Depth=3
	s_or_b32 exec_lo, exec_lo, s14
	s_delay_alu instid0(VALU_DEP_2) | instskip(NEXT) | instid1(VALU_DEP_2)
	v_lshrrev_b64 v[18:19], 21, v[18:19]
	v_cmp_gt_i32_e32 vcc_lo, 32, v17
	v_min_i32_e32 v20, 31, v17
	v_cmp_eq_u32_e64 s14, 0, v17
	s_delay_alu instid0(VALU_DEP_2) | instskip(SKIP_1) | instid1(VALU_DEP_2)
	v_dual_cndmask_b32 v19, 0, v19 :: v_dual_lshlrev_b32 v20, 2, v20
	v_cndmask_b32_e32 v18, 3, v18, vcc_lo
	v_and_b32_e32 v20, 0xfc, v20
	s_delay_alu instid0(VALU_DEP_2) | instskip(NEXT) | instid1(VALU_DEP_2)
	v_cmp_eq_u64_e32 vcc_lo, 0, v[18:19]
	v_and_or_b32 v17, v18, 3, v20
	s_and_b32 s14, s14, vcc_lo
	s_delay_alu instid0(VALU_DEP_1) | instid1(SALU_CYCLE_1)
	v_cndmask_b32_e64 v17, v17, 0, s14
	s_delay_alu instid0(VALU_DEP_1)
	v_or_b32_e32 v20, v17, v5
.LBB4_11142:                            ;   in Loop: Header=BB4_10490 Depth=3
	s_or_b32 exec_lo, exec_lo, s43
                                        ; implicit-def: $vgpr5
.LBB4_11143:                            ;   in Loop: Header=BB4_10490 Depth=3
	s_and_not1_saveexec_b32 s14, s42
; %bb.11144:                            ;   in Loop: Header=BB4_10490 Depth=3
	v_or_b32_e32 v20, 0x7b, v5
; %bb.11145:                            ;   in Loop: Header=BB4_10490 Depth=3
	s_or_b32 exec_lo, exec_lo, s14
                                        ; implicit-def: $vgpr17
                                        ; implicit-def: $vgpr18_vgpr19
                                        ; implicit-def: $vgpr5
.LBB4_11146:                            ;   in Loop: Header=BB4_10490 Depth=3
	s_and_not1_saveexec_b32 s14, s15
	s_cbranch_execz .LBB4_11152
; %bb.11147:                            ;   in Loop: Header=BB4_10490 Depth=3
	s_mov_b32 s15, exec_lo
                                        ; implicit-def: $vgpr20
	v_cmpx_ne_u64_e32 0, v[18:19]
	s_xor_b32 s15, exec_lo, s15
; %bb.11148:                            ;   in Loop: Header=BB4_10490 Depth=3
	v_or_b32_e32 v20, 0x7f, v5
                                        ; implicit-def: $vgpr17
; %bb.11149:                            ;   in Loop: Header=BB4_10490 Depth=3
	s_and_not1_saveexec_b32 s15, s15
; %bb.11150:                            ;   in Loop: Header=BB4_10490 Depth=3
	v_cmp_lt_i32_e32 vcc_lo, -1, v17
	v_cndmask_b32_e32 v20, 0xfc, v49, vcc_lo
; %bb.11151:                            ;   in Loop: Header=BB4_10490 Depth=3
	s_or_b32 exec_lo, exec_lo, s15
.LBB4_11152:                            ;   in Loop: Header=BB4_10490 Depth=3
	s_delay_alu instid0(SALU_CYCLE_1) | instskip(SKIP_3) | instid1(VALU_DEP_2)
	s_or_b32 exec_lo, exec_lo, s14
	v_lshrrev_b16 v18, 8, v2
	v_mov_b32_e32 v5, 0
	s_mov_b32 s14, exec_lo
	v_cmpx_ne_u16_e32 0, v18
	s_cbranch_execz .LBB4_11162
; %bb.11153:                            ;   in Loop: Header=BB4_10490 Depth=3
	v_bfrev_b32_e32 v5, 1
	s_mov_b32 s15, exec_lo
	v_cmpx_ne_u16_e32 0x80, v18
	s_cbranch_execz .LBB4_11161
; %bb.11154:                            ;   in Loop: Header=BB4_10490 Depth=3
	v_and_b32_e32 v19, 0xffff, v18
	s_delay_alu instid0(VALU_DEP_1) | instskip(SKIP_1) | instid1(VALU_DEP_2)
	v_and_b32_e32 v5, 0x7c, v19
	v_and_b32_e32 v17, 3, v19
	v_cmp_ne_u32_e32 vcc_lo, 0x7c, v5
                                        ; implicit-def: $vgpr5
	s_and_saveexec_b32 s42, vcc_lo
	s_delay_alu instid0(SALU_CYCLE_1)
	s_xor_b32 s42, exec_lo, s42
	s_cbranch_execz .LBB4_11158
; %bb.11155:                            ;   in Loop: Header=BB4_10490 Depth=3
	v_bfe_u32 v5, v19, 2, 5
	s_mov_b32 s43, exec_lo
	s_delay_alu instid0(VALU_DEP_1)
	v_cmpx_eq_u32_e32 0, v5
	s_cbranch_execz .LBB4_11157
; %bb.11156:                            ;   in Loop: Header=BB4_10490 Depth=3
	v_clz_i32_u32_e32 v5, v17
	s_delay_alu instid0(VALU_DEP_1) | instskip(SKIP_1) | instid1(VALU_DEP_2)
	v_min_u32_e32 v5, 32, v5
	v_mov_b32_e32 v19, v3
	v_subrev_nc_u32_e32 v17, 29, v5
	v_sub_nc_u32_e32 v5, 30, v5
	s_delay_alu instid0(VALU_DEP_2) | instskip(NEXT) | instid1(VALU_DEP_1)
	v_lshlrev_b64_e32 v[18:19], v17, v[18:19]
	v_and_b32_e32 v17, 3, v18
.LBB4_11157:                            ;   in Loop: Header=BB4_10490 Depth=3
	s_or_b32 exec_lo, exec_lo, s43
	v_lshlrev_b32_e32 v2, 16, v2
	s_delay_alu instid0(VALU_DEP_1) | instskip(NEXT) | instid1(VALU_DEP_1)
	v_and_b32_e32 v2, 0x80000000, v2
	v_lshl_add_u32 v2, v5, 23, v2
	s_delay_alu instid0(VALU_DEP_1) | instskip(NEXT) | instid1(VALU_DEP_1)
	v_lshl_or_b32 v2, v17, 21, v2
                                        ; implicit-def: $vgpr17
	v_add_nc_u32_e32 v5, 0x38000000, v2
                                        ; implicit-def: $vgpr2
.LBB4_11158:                            ;   in Loop: Header=BB4_10490 Depth=3
	s_and_not1_saveexec_b32 s42, s42
; %bb.11159:                            ;   in Loop: Header=BB4_10490 Depth=3
	v_cmp_lt_i16_e32 vcc_lo, -1, v2
	v_cndmask_b32_e32 v2, 0xff800000, v48, vcc_lo
	v_cmp_eq_u32_e32 vcc_lo, 0, v17
	s_delay_alu instid0(VALU_DEP_2)
	v_cndmask_b32_e32 v5, 0x7f800001, v2, vcc_lo
; %bb.11160:                            ;   in Loop: Header=BB4_10490 Depth=3
	s_or_b32 exec_lo, exec_lo, s42
.LBB4_11161:                            ;   in Loop: Header=BB4_10490 Depth=3
	s_delay_alu instid0(SALU_CYCLE_1)
	s_or_b32 exec_lo, exec_lo, s15
.LBB4_11162:                            ;   in Loop: Header=BB4_10490 Depth=3
	s_delay_alu instid0(SALU_CYCLE_1) | instskip(SKIP_3) | instid1(VALU_DEP_1)
	s_or_b32 exec_lo, exec_lo, s14
	v_lshrrev_b16 v18, 8, v16
	s_mov_b32 s15, 0
	s_mov_b32 s14, exec_lo
	v_cmpx_lt_i16_e32 0x7f, v18
	s_xor_b32 s14, exec_lo, s14
	s_cbranch_execz .LBB4_11541
; %bb.11163:                            ;   in Loop: Header=BB4_10490 Depth=3
	s_mov_b32 s15, -1
	s_mov_b32 s42, exec_lo
	v_cmpx_eq_u16_e32 0x80, v18
; %bb.11164:                            ;   in Loop: Header=BB4_10490 Depth=3
	s_xor_b32 s15, exec_lo, -1
; %bb.11165:                            ;   in Loop: Header=BB4_10490 Depth=3
	s_or_b32 exec_lo, exec_lo, s42
	s_delay_alu instid0(SALU_CYCLE_1)
	s_and_b32 s15, s15, exec_lo
	s_or_saveexec_b32 s14, s14
	v_bfrev_b32_e32 v2, 1
	s_xor_b32 exec_lo, exec_lo, s14
	s_cbranch_execnz .LBB4_11542
.LBB4_11166:                            ;   in Loop: Header=BB4_10490 Depth=3
	s_or_b32 exec_lo, exec_lo, s14
	s_and_saveexec_b32 s14, s15
	s_cbranch_execz .LBB4_11168
.LBB4_11167:                            ;   in Loop: Header=BB4_10490 Depth=3
	v_and_b32_e32 v2, 0xffff, v18
	s_delay_alu instid0(VALU_DEP_1) | instskip(NEXT) | instid1(VALU_DEP_1)
	v_and_b32_e32 v17, 3, v2
	v_clz_i32_u32_e32 v19, v17
	s_delay_alu instid0(VALU_DEP_1) | instskip(SKIP_1) | instid1(VALU_DEP_2)
	v_min_u32_e32 v21, 32, v19
	v_mov_b32_e32 v19, v3
	v_subrev_nc_u32_e32 v86, 29, v21
	v_sub_nc_u32_e32 v21, 30, v21
	s_delay_alu instid0(VALU_DEP_2) | instskip(SKIP_3) | instid1(VALU_DEP_3)
	v_lshlrev_b64_e32 v[86:87], v86, v[18:19]
	v_bfe_u32 v19, v2, 2, 5
	v_lshlrev_b32_e32 v18, 24, v18
	v_and_b32_e32 v2, 0x7c, v2
	v_cmp_eq_u32_e32 vcc_lo, 0, v19
	s_delay_alu instid0(VALU_DEP_3) | instskip(SKIP_1) | instid1(VALU_DEP_1)
	v_and_b32_e32 v18, 0x80000000, v18
	v_dual_cndmask_b32 v19, v19, v21, vcc_lo :: v_dual_bitop2_b32 v86, 3, v86 bitop3:0x40
	v_cndmask_b32_e32 v21, v17, v86, vcc_lo
	v_cmp_lt_i16_e32 vcc_lo, -1, v16
	s_delay_alu instid0(VALU_DEP_3) | instskip(SKIP_2) | instid1(VALU_DEP_3)
	v_lshl_add_u32 v18, v19, 23, v18
	v_cndmask_b32_e32 v16, 0xff800000, v48, vcc_lo
	v_cmp_eq_u32_e32 vcc_lo, 0, v17
	v_lshl_or_b32 v18, v21, 21, v18
	s_delay_alu instid0(VALU_DEP_3) | instskip(NEXT) | instid1(VALU_DEP_2)
	v_cndmask_b32_e32 v16, 0x7f800001, v16, vcc_lo
	v_add_nc_u32_e32 v17, 0x38000000, v18
	v_cmp_eq_u32_e32 vcc_lo, 0x7c, v2
	s_delay_alu instid0(VALU_DEP_2)
	v_cndmask_b32_e32 v2, v17, v16, vcc_lo
.LBB4_11168:                            ;   in Loop: Header=BB4_10490 Depth=3
	s_or_b32 exec_lo, exec_lo, s14
	s_delay_alu instid0(VALU_DEP_1) | instskip(SKIP_2) | instid1(VALU_DEP_2)
	v_dual_add_f32 v5, v5, v2 :: v_dual_mov_b32 v19, v3
	v_mov_b32_e32 v17, v3
                                        ; implicit-def: $vgpr21
	s_mov_b32 s14, exec_lo
	v_and_b32_e32 v18, 0x7f800000, v5
	v_and_b32_e32 v16, 0x7fffff, v5
	v_lshrrev_b32_e32 v2, 24, v5
	s_delay_alu instid0(VALU_DEP_3)
	v_cmpx_ne_u64_e32 0x7f800000, v[18:19]
	s_xor_b32 s15, exec_lo, s14
	s_cbranch_execz .LBB4_11182
; %bb.11169:                            ;   in Loop: Header=BB4_10490 Depth=3
	v_and_b32_e32 v18, 0x7fffffff, v5
	v_mov_b32_e32 v19, v3
	v_and_b32_e32 v2, 0x80, v2
                                        ; implicit-def: $vgpr21
	s_mov_b32 s14, exec_lo
	s_delay_alu instid0(VALU_DEP_2)
	v_cmpx_gt_u64_e32 0x47600001, v[18:19]
	s_xor_b32 s42, exec_lo, s14
	s_cbranch_execz .LBB4_11179
; %bb.11170:                            ;   in Loop: Header=BB4_10490 Depth=3
	v_mov_b32_e32 v21, 0
	s_mov_b32 s43, exec_lo
	v_cmpx_ne_u32_e32 0, v5
	s_cbranch_execz .LBB4_11178
; %bb.11171:                            ;   in Loop: Header=BB4_10490 Depth=3
	v_bfe_u32 v5, v5, 23, 8
	v_or_b32_e32 v86, 0x800000, v16
	s_delay_alu instid0(VALU_DEP_2) | instskip(SKIP_1) | instid1(VALU_DEP_2)
	v_sub_nc_u32_e32 v18, 0x71, v5
	v_cmp_gt_u32_e32 vcc_lo, 0x72, v5
	v_cndmask_b32_e32 v18, 0, v18, vcc_lo
	v_cmp_eq_u32_e32 vcc_lo, 0, v5
	s_delay_alu instid0(VALU_DEP_2) | instskip(NEXT) | instid1(VALU_DEP_1)
	v_cndmask_b32_e64 v21, v18, 0x70, vcc_lo
	v_dual_cndmask_b32 v16, v86, v16, vcc_lo :: v_dual_add_nc_u32 v18, 21, v21
	v_add_nc_u32_e32 v87, 20, v21
	s_delay_alu instid0(VALU_DEP_2) | instskip(NEXT) | instid1(VALU_DEP_2)
	v_lshlrev_b64_e64 v[18:19], v18, -1
	v_lshlrev_b64_e64 v[86:87], v87, 1
	s_delay_alu instid0(VALU_DEP_2) | instskip(SKIP_1) | instid1(VALU_DEP_4)
	v_bfi_b32 v18, v18, 0, v16
	v_lshrrev_b64 v[16:17], v21, v[16:17]
	v_bfi_b32 v19, v19, 0, 0
	s_delay_alu instid0(VALU_DEP_1) | instskip(NEXT) | instid1(VALU_DEP_3)
	v_cmp_eq_u64_e64 s14, v[18:19], v[86:87]
	v_mov_b64_e32 v[18:19], v[16:17]
	s_and_saveexec_b32 s78, s14
; %bb.11172:                            ;   in Loop: Header=BB4_10490 Depth=3
	v_bfe_u32 v18, v16, 21, 1
	v_mov_b32_e32 v19, v3
	s_delay_alu instid0(VALU_DEP_1) | instskip(NEXT) | instid1(VALU_DEP_1)
	v_add_nc_u64_e32 v[18:19], v[16:17], v[18:19]
	v_add_nc_u64_e32 v[18:19], -1, v[18:19]
; %bb.11173:                            ;   in Loop: Header=BB4_10490 Depth=3
	s_or_b32 exec_lo, exec_lo, s78
	v_add_nc_u32_e32 v5, 0xffffff81, v5
	v_lshrrev_b32_e32 v17, 23, v16
	s_mov_b32 s14, exec_lo
	s_delay_alu instid0(VALU_DEP_2) | instskip(NEXT) | instid1(VALU_DEP_1)
	v_cndmask_b32_e64 v5, v5, 0xffffff82, vcc_lo
	v_add3_u32 v19, v21, v5, v17
	v_and_b32_e32 v5, 0x1fffff, v18
	s_delay_alu instid0(VALU_DEP_2) | instskip(NEXT) | instid1(VALU_DEP_2)
	v_dual_mov_b32 v17, v3 :: v_dual_add_nc_u32 v18, 14, v19
	v_add_nc_u32_e32 v16, v5, v16
                                        ; implicit-def: $vgpr5
	s_delay_alu instid0(VALU_DEP_2)
	v_cmpx_ne_u32_e32 0, v18
	s_xor_b32 s14, exec_lo, s14
; %bb.11174:                            ;   in Loop: Header=BB4_10490 Depth=3
	s_delay_alu instid0(VALU_DEP_2) | instskip(SKIP_1) | instid1(VALU_DEP_1)
	v_cmp_lt_u64_e32 vcc_lo, 0xffffff, v[16:17]
	v_add_nc_u32_e32 v5, 15, v19
	v_cndmask_b32_e32 v5, v18, v5, vcc_lo
	v_cndmask_b32_e64 v18, 0, 1, vcc_lo
	s_delay_alu instid0(VALU_DEP_1)
	v_lshrrev_b64 v[16:17], v18, v[16:17]
; %bb.11175:                            ;   in Loop: Header=BB4_10490 Depth=3
	s_and_not1_saveexec_b32 s14, s14
; %bb.11176:                            ;   in Loop: Header=BB4_10490 Depth=3
	s_delay_alu instid0(VALU_DEP_1)
	v_bfe_u32 v5, v16, 23, 1
; %bb.11177:                            ;   in Loop: Header=BB4_10490 Depth=3
	s_or_b32 exec_lo, exec_lo, s14
	s_delay_alu instid0(VALU_DEP_2) | instskip(NEXT) | instid1(VALU_DEP_2)
	v_lshrrev_b64 v[16:17], 21, v[16:17]
	v_cmp_gt_i32_e32 vcc_lo, 32, v5
	v_min_i32_e32 v18, 31, v5
	v_cmp_eq_u32_e64 s14, 0, v5
	s_delay_alu instid0(VALU_DEP_2) | instskip(SKIP_1) | instid1(VALU_DEP_2)
	v_dual_cndmask_b32 v16, 3, v16, vcc_lo :: v_dual_lshlrev_b32 v18, 2, v18
	v_cndmask_b32_e32 v17, 0, v17, vcc_lo
	v_and_b32_e32 v18, 0xfc, v18
	s_delay_alu instid0(VALU_DEP_2) | instskip(NEXT) | instid1(VALU_DEP_2)
	v_cmp_eq_u64_e32 vcc_lo, 0, v[16:17]
	v_and_or_b32 v5, v16, 3, v18
	s_and_b32 s14, s14, vcc_lo
	s_delay_alu instid0(VALU_DEP_1) | instid1(SALU_CYCLE_1)
	v_cndmask_b32_e64 v5, v5, 0, s14
	s_delay_alu instid0(VALU_DEP_1)
	v_or_b32_e32 v21, v5, v2
.LBB4_11178:                            ;   in Loop: Header=BB4_10490 Depth=3
	s_or_b32 exec_lo, exec_lo, s43
                                        ; implicit-def: $vgpr2
.LBB4_11179:                            ;   in Loop: Header=BB4_10490 Depth=3
	s_and_not1_saveexec_b32 s14, s42
; %bb.11180:                            ;   in Loop: Header=BB4_10490 Depth=3
	v_or_b32_e32 v21, 0x7b, v2
; %bb.11181:                            ;   in Loop: Header=BB4_10490 Depth=3
	s_or_b32 exec_lo, exec_lo, s14
                                        ; implicit-def: $vgpr5
                                        ; implicit-def: $vgpr16_vgpr17
                                        ; implicit-def: $vgpr2
.LBB4_11182:                            ;   in Loop: Header=BB4_10490 Depth=3
	s_and_not1_saveexec_b32 s14, s15
	s_cbranch_execz .LBB4_11188
; %bb.11183:                            ;   in Loop: Header=BB4_10490 Depth=3
	s_mov_b32 s15, exec_lo
                                        ; implicit-def: $vgpr21
	v_cmpx_ne_u64_e32 0, v[16:17]
	s_xor_b32 s15, exec_lo, s15
; %bb.11184:                            ;   in Loop: Header=BB4_10490 Depth=3
	v_or_b32_e32 v21, 0x7f, v2
                                        ; implicit-def: $vgpr5
; %bb.11185:                            ;   in Loop: Header=BB4_10490 Depth=3
	s_and_not1_saveexec_b32 s15, s15
; %bb.11186:                            ;   in Loop: Header=BB4_10490 Depth=3
	v_cmp_lt_i32_e32 vcc_lo, -1, v5
	v_cndmask_b32_e32 v21, 0xfc, v49, vcc_lo
; %bb.11187:                            ;   in Loop: Header=BB4_10490 Depth=3
	s_or_b32 exec_lo, exec_lo, s15
.LBB4_11188:                            ;   in Loop: Header=BB4_10490 Depth=3
	s_delay_alu instid0(SALU_CYCLE_1) | instskip(SKIP_2) | instid1(VALU_DEP_1)
	s_or_b32 exec_lo, exec_lo, s14
	v_dual_mov_b32 v5, 0 :: v_dual_lshrrev_b32 v2, 16, v4
	s_mov_b32 s14, exec_lo
	v_and_b32_e32 v16, 0xff, v2
	s_delay_alu instid0(VALU_DEP_1)
	v_cmpx_ne_u16_e32 0, v16
	s_cbranch_execz .LBB4_11198
; %bb.11189:                            ;   in Loop: Header=BB4_10490 Depth=3
	v_bfrev_b32_e32 v5, 1
	s_mov_b32 s15, exec_lo
	v_cmpx_ne_u16_e32 0x80, v16
	s_cbranch_execz .LBB4_11197
; %bb.11190:                            ;   in Loop: Header=BB4_10490 Depth=3
	v_and_b32_e32 v5, 0x7c0000, v4
	v_bfe_u32 v16, v4, 16, 2
	s_delay_alu instid0(VALU_DEP_2) | instskip(SKIP_1) | instid1(SALU_CYCLE_1)
	v_cmp_ne_u32_e32 vcc_lo, 0x7c0000, v5
                                        ; implicit-def: $vgpr5
	s_and_saveexec_b32 s42, vcc_lo
	s_xor_b32 s42, exec_lo, s42
	s_cbranch_execz .LBB4_11194
; %bb.11191:                            ;   in Loop: Header=BB4_10490 Depth=3
	v_bfe_u32 v5, v4, 18, 5
	s_mov_b32 s43, exec_lo
	s_delay_alu instid0(VALU_DEP_1)
	v_cmpx_eq_u32_e32 0, v5
; %bb.11192:                            ;   in Loop: Header=BB4_10490 Depth=3
	v_clz_i32_u32_e32 v5, v16
	s_delay_alu instid0(VALU_DEP_1) | instskip(NEXT) | instid1(VALU_DEP_1)
	v_min_u32_e32 v5, 32, v5
	v_subrev_nc_u32_e32 v16, 29, v5
	s_delay_alu instid0(VALU_DEP_1) | instskip(NEXT) | instid1(VALU_DEP_1)
	v_lshlrev_b64_e32 v[16:17], v16, v[2:3]
	v_dual_sub_nc_u32 v5, 30, v5 :: v_dual_bitop2_b32 v16, 3, v16 bitop3:0x40
; %bb.11193:                            ;   in Loop: Header=BB4_10490 Depth=3
	s_or_b32 exec_lo, exec_lo, s43
	v_lshlrev_b32_e32 v2, 24, v2
	s_delay_alu instid0(VALU_DEP_1) | instskip(NEXT) | instid1(VALU_DEP_1)
	v_and_b32_e32 v2, 0x80000000, v2
	v_lshl_add_u32 v2, v5, 23, v2
	s_delay_alu instid0(VALU_DEP_1) | instskip(NEXT) | instid1(VALU_DEP_1)
	v_lshl_or_b32 v2, v16, 21, v2
                                        ; implicit-def: $vgpr16
	v_add_nc_u32_e32 v5, 0x38000000, v2
                                        ; implicit-def: $vgpr2
.LBB4_11194:                            ;   in Loop: Header=BB4_10490 Depth=3
	s_and_not1_saveexec_b32 s42, s42
; %bb.11195:                            ;   in Loop: Header=BB4_10490 Depth=3
	v_bfe_i32 v2, v2, 0, 8
	s_delay_alu instid0(VALU_DEP_1) | instskip(SKIP_2) | instid1(VALU_DEP_2)
	v_cmp_lt_i16_e32 vcc_lo, -1, v2
	v_cndmask_b32_e32 v2, 0xff800000, v48, vcc_lo
	v_cmp_eq_u32_e32 vcc_lo, 0, v16
	v_cndmask_b32_e32 v5, 0x7f800001, v2, vcc_lo
; %bb.11196:                            ;   in Loop: Header=BB4_10490 Depth=3
	s_or_b32 exec_lo, exec_lo, s42
.LBB4_11197:                            ;   in Loop: Header=BB4_10490 Depth=3
	s_delay_alu instid0(SALU_CYCLE_1)
	s_or_b32 exec_lo, exec_lo, s15
.LBB4_11198:                            ;   in Loop: Header=BB4_10490 Depth=3
	s_delay_alu instid0(SALU_CYCLE_1) | instskip(SKIP_3) | instid1(VALU_DEP_1)
	s_or_b32 exec_lo, exec_lo, s14
	v_lshrrev_b32_e32 v2, 16, v9
	s_mov_b32 s15, 0
	s_mov_b32 s14, exec_lo
	v_and_b32_e32 v17, 0xff, v2
	s_delay_alu instid0(VALU_DEP_1)
	v_cmpx_lt_i16_e32 0x7f, v17
	s_xor_b32 s14, exec_lo, s14
	s_cbranch_execz .LBB4_11543
; %bb.11199:                            ;   in Loop: Header=BB4_10490 Depth=3
	s_mov_b32 s15, -1
	s_mov_b32 s42, exec_lo
	v_cmpx_eq_u16_e32 0x80, v17
; %bb.11200:                            ;   in Loop: Header=BB4_10490 Depth=3
	s_xor_b32 s15, exec_lo, -1
; %bb.11201:                            ;   in Loop: Header=BB4_10490 Depth=3
	s_or_b32 exec_lo, exec_lo, s42
	s_delay_alu instid0(SALU_CYCLE_1)
	s_and_b32 s15, s15, exec_lo
                                        ; implicit-def: $vgpr17
	s_or_saveexec_b32 s14, s14
	v_bfrev_b32_e32 v16, 1
	s_xor_b32 exec_lo, exec_lo, s14
	s_cbranch_execnz .LBB4_11544
.LBB4_11202:                            ;   in Loop: Header=BB4_10490 Depth=3
	s_or_b32 exec_lo, exec_lo, s14
	s_and_saveexec_b32 s14, s15
	s_cbranch_execz .LBB4_11204
.LBB4_11203:                            ;   in Loop: Header=BB4_10490 Depth=3
	v_and_b32_e32 v18, 3, v2
	v_bfe_u32 v86, v9, 18, 5
	s_delay_alu instid0(VALU_DEP_2) | instskip(NEXT) | instid1(VALU_DEP_2)
	v_clz_i32_u32_e32 v16, v18
	v_cmp_eq_u32_e32 vcc_lo, 0, v86
	s_delay_alu instid0(VALU_DEP_2) | instskip(NEXT) | instid1(VALU_DEP_1)
	v_min_u32_e32 v19, 32, v16
	v_subrev_nc_u32_e32 v16, 29, v19
	s_delay_alu instid0(VALU_DEP_1) | instskip(SKIP_2) | instid1(VALU_DEP_2)
	v_lshlrev_b64_e32 v[16:17], v16, v[2:3]
	v_dual_lshlrev_b32 v17, 24, v2 :: v_dual_sub_nc_u32 v19, 30, v19
	v_bfe_i32 v2, v2, 0, 8
	v_and_b32_e32 v17, 0x80000000, v17
	s_delay_alu instid0(VALU_DEP_3) | instskip(NEXT) | instid1(VALU_DEP_1)
	v_dual_cndmask_b32 v19, v86, v19, vcc_lo :: v_dual_bitop2_b32 v16, 3, v16 bitop3:0x40
	v_cndmask_b32_e32 v16, v18, v16, vcc_lo
	s_delay_alu instid0(VALU_DEP_2) | instskip(SKIP_1) | instid1(VALU_DEP_2)
	v_lshl_add_u32 v17, v19, 23, v17
	v_cmp_lt_i16_e32 vcc_lo, -1, v2
	v_lshl_or_b32 v16, v16, 21, v17
	v_cndmask_b32_e32 v2, 0xff800000, v48, vcc_lo
	v_and_b32_e32 v17, 0x7c0000, v9
	v_cmp_eq_u32_e32 vcc_lo, 0, v18
	s_delay_alu instid0(VALU_DEP_4) | instskip(NEXT) | instid1(VALU_DEP_4)
	v_add_nc_u32_e32 v16, 0x38000000, v16
	v_cndmask_b32_e32 v2, 0x7f800001, v2, vcc_lo
	s_delay_alu instid0(VALU_DEP_4) | instskip(NEXT) | instid1(VALU_DEP_2)
	v_cmp_eq_u32_e32 vcc_lo, 0x7c0000, v17
	v_cndmask_b32_e32 v16, v16, v2, vcc_lo
.LBB4_11204:                            ;   in Loop: Header=BB4_10490 Depth=3
	s_or_b32 exec_lo, exec_lo, s14
	s_delay_alu instid0(VALU_DEP_1) | instskip(SKIP_2) | instid1(VALU_DEP_2)
	v_dual_add_f32 v5, v5, v16 :: v_dual_mov_b32 v19, v3
	v_mov_b32_e32 v17, v3
                                        ; implicit-def: $vgpr40
	s_mov_b32 s14, exec_lo
	v_and_b32_e32 v18, 0x7f800000, v5
	v_and_b32_e32 v16, 0x7fffff, v5
	v_lshrrev_b32_e32 v2, 24, v5
	s_delay_alu instid0(VALU_DEP_3)
	v_cmpx_ne_u64_e32 0x7f800000, v[18:19]
	s_xor_b32 s15, exec_lo, s14
	s_cbranch_execz .LBB4_11218
; %bb.11205:                            ;   in Loop: Header=BB4_10490 Depth=3
	v_and_b32_e32 v18, 0x7fffffff, v5
	v_mov_b32_e32 v19, v3
	v_and_b32_e32 v2, 0x80, v2
                                        ; implicit-def: $vgpr40
	s_mov_b32 s14, exec_lo
	s_delay_alu instid0(VALU_DEP_2)
	v_cmpx_gt_u64_e32 0x47600001, v[18:19]
	s_xor_b32 s42, exec_lo, s14
	s_cbranch_execz .LBB4_11215
; %bb.11206:                            ;   in Loop: Header=BB4_10490 Depth=3
	v_mov_b32_e32 v40, 0
	s_mov_b32 s43, exec_lo
	v_cmpx_ne_u32_e32 0, v5
	s_cbranch_execz .LBB4_11214
; %bb.11207:                            ;   in Loop: Header=BB4_10490 Depth=3
	v_bfe_u32 v5, v5, 23, 8
	v_or_b32_e32 v87, 0x800000, v16
	s_delay_alu instid0(VALU_DEP_2) | instskip(SKIP_1) | instid1(VALU_DEP_2)
	v_sub_nc_u32_e32 v18, 0x71, v5
	v_cmp_gt_u32_e32 vcc_lo, 0x72, v5
	v_cndmask_b32_e32 v18, 0, v18, vcc_lo
	v_cmp_eq_u32_e32 vcc_lo, 0, v5
	v_cndmask_b32_e32 v16, v87, v16, vcc_lo
	s_delay_alu instid0(VALU_DEP_3) | instskip(NEXT) | instid1(VALU_DEP_1)
	v_cndmask_b32_e64 v86, v18, 0x70, vcc_lo
	v_dual_add_nc_u32 v18, 21, v86 :: v_dual_add_nc_u32 v96, 20, v86
	s_delay_alu instid0(VALU_DEP_1) | instskip(NEXT) | instid1(VALU_DEP_2)
	v_lshlrev_b64_e64 v[18:19], v18, -1
	v_lshlrev_b64_e64 v[96:97], v96, 1
	s_delay_alu instid0(VALU_DEP_2) | instskip(SKIP_1) | instid1(VALU_DEP_4)
	v_bfi_b32 v18, v18, 0, v16
	v_lshrrev_b64 v[16:17], v86, v[16:17]
	v_bfi_b32 v19, v19, 0, 0
	s_delay_alu instid0(VALU_DEP_1) | instskip(NEXT) | instid1(VALU_DEP_3)
	v_cmp_eq_u64_e64 s14, v[18:19], v[96:97]
	v_mov_b64_e32 v[18:19], v[16:17]
	s_and_saveexec_b32 s78, s14
; %bb.11208:                            ;   in Loop: Header=BB4_10490 Depth=3
	v_bfe_u32 v18, v16, 21, 1
	v_mov_b32_e32 v19, v3
	s_delay_alu instid0(VALU_DEP_1) | instskip(NEXT) | instid1(VALU_DEP_1)
	v_add_nc_u64_e32 v[18:19], v[16:17], v[18:19]
	v_add_nc_u64_e32 v[18:19], -1, v[18:19]
; %bb.11209:                            ;   in Loop: Header=BB4_10490 Depth=3
	s_or_b32 exec_lo, exec_lo, s78
	v_add_nc_u32_e32 v5, 0xffffff81, v5
	v_lshrrev_b32_e32 v17, 23, v16
	s_mov_b32 s14, exec_lo
	s_delay_alu instid0(VALU_DEP_2) | instskip(NEXT) | instid1(VALU_DEP_1)
	v_cndmask_b32_e64 v5, v5, 0xffffff82, vcc_lo
	v_add3_u32 v19, v86, v5, v17
	v_and_b32_e32 v5, 0x1fffff, v18
	s_delay_alu instid0(VALU_DEP_2) | instskip(NEXT) | instid1(VALU_DEP_2)
	v_dual_mov_b32 v17, v3 :: v_dual_add_nc_u32 v18, 14, v19
	v_add_nc_u32_e32 v16, v5, v16
                                        ; implicit-def: $vgpr5
	s_delay_alu instid0(VALU_DEP_2)
	v_cmpx_ne_u32_e32 0, v18
	s_xor_b32 s14, exec_lo, s14
; %bb.11210:                            ;   in Loop: Header=BB4_10490 Depth=3
	s_delay_alu instid0(VALU_DEP_2) | instskip(SKIP_1) | instid1(VALU_DEP_1)
	v_cmp_lt_u64_e32 vcc_lo, 0xffffff, v[16:17]
	v_add_nc_u32_e32 v5, 15, v19
	v_cndmask_b32_e32 v5, v18, v5, vcc_lo
	v_cndmask_b32_e64 v18, 0, 1, vcc_lo
	s_delay_alu instid0(VALU_DEP_1)
	v_lshrrev_b64 v[16:17], v18, v[16:17]
; %bb.11211:                            ;   in Loop: Header=BB4_10490 Depth=3
	s_and_not1_saveexec_b32 s14, s14
; %bb.11212:                            ;   in Loop: Header=BB4_10490 Depth=3
	s_delay_alu instid0(VALU_DEP_1)
	v_bfe_u32 v5, v16, 23, 1
; %bb.11213:                            ;   in Loop: Header=BB4_10490 Depth=3
	s_or_b32 exec_lo, exec_lo, s14
	s_delay_alu instid0(VALU_DEP_2) | instskip(NEXT) | instid1(VALU_DEP_2)
	v_lshrrev_b64 v[16:17], 21, v[16:17]
	v_cmp_gt_i32_e32 vcc_lo, 32, v5
	v_min_i32_e32 v18, 31, v5
	v_cmp_eq_u32_e64 s14, 0, v5
	s_delay_alu instid0(VALU_DEP_2) | instskip(SKIP_1) | instid1(VALU_DEP_2)
	v_dual_cndmask_b32 v16, 3, v16, vcc_lo :: v_dual_lshlrev_b32 v18, 2, v18
	v_cndmask_b32_e32 v17, 0, v17, vcc_lo
	v_and_b32_e32 v18, 0xfc, v18
	s_delay_alu instid0(VALU_DEP_2) | instskip(NEXT) | instid1(VALU_DEP_2)
	v_cmp_eq_u64_e32 vcc_lo, 0, v[16:17]
	v_and_or_b32 v5, v16, 3, v18
	s_and_b32 s14, s14, vcc_lo
	s_delay_alu instid0(VALU_DEP_1) | instid1(SALU_CYCLE_1)
	v_cndmask_b32_e64 v5, v5, 0, s14
	s_delay_alu instid0(VALU_DEP_1)
	v_or_b32_e32 v40, v5, v2
.LBB4_11214:                            ;   in Loop: Header=BB4_10490 Depth=3
	s_or_b32 exec_lo, exec_lo, s43
                                        ; implicit-def: $vgpr2
.LBB4_11215:                            ;   in Loop: Header=BB4_10490 Depth=3
	s_and_not1_saveexec_b32 s14, s42
; %bb.11216:                            ;   in Loop: Header=BB4_10490 Depth=3
	v_or_b32_e32 v40, 0x7b, v2
; %bb.11217:                            ;   in Loop: Header=BB4_10490 Depth=3
	s_or_b32 exec_lo, exec_lo, s14
                                        ; implicit-def: $vgpr5
                                        ; implicit-def: $vgpr16_vgpr17
                                        ; implicit-def: $vgpr2
.LBB4_11218:                            ;   in Loop: Header=BB4_10490 Depth=3
	s_and_not1_saveexec_b32 s14, s15
	s_cbranch_execz .LBB4_11224
; %bb.11219:                            ;   in Loop: Header=BB4_10490 Depth=3
	s_mov_b32 s15, exec_lo
                                        ; implicit-def: $vgpr40
	v_cmpx_ne_u64_e32 0, v[16:17]
	s_xor_b32 s15, exec_lo, s15
; %bb.11220:                            ;   in Loop: Header=BB4_10490 Depth=3
	v_or_b32_e32 v40, 0x7f, v2
                                        ; implicit-def: $vgpr5
; %bb.11221:                            ;   in Loop: Header=BB4_10490 Depth=3
	s_and_not1_saveexec_b32 s15, s15
; %bb.11222:                            ;   in Loop: Header=BB4_10490 Depth=3
	v_cmp_lt_i32_e32 vcc_lo, -1, v5
	v_cndmask_b32_e32 v40, 0xfc, v49, vcc_lo
; %bb.11223:                            ;   in Loop: Header=BB4_10490 Depth=3
	s_or_b32 exec_lo, exec_lo, s15
.LBB4_11224:                            ;   in Loop: Header=BB4_10490 Depth=3
	s_delay_alu instid0(SALU_CYCLE_1)
	s_or_b32 exec_lo, exec_lo, s14
	v_mov_b32_e32 v16, 0
	s_mov_b32 s14, exec_lo
	v_cmpx_lt_u32_e32 0xffffff, v4
	s_cbranch_execz .LBB4_11234
; %bb.11225:                            ;   in Loop: Header=BB4_10490 Depth=3
	v_lshrrev_b32_e32 v2, 24, v4
	v_bfrev_b32_e32 v16, 1
	s_mov_b32 s15, exec_lo
	s_delay_alu instid0(VALU_DEP_2)
	v_cmpx_ne_u32_e32 0x80, v2
	s_cbranch_execz .LBB4_11233
; %bb.11226:                            ;   in Loop: Header=BB4_10490 Depth=3
	v_and_b32_e32 v5, 0x7c000000, v4
	v_bfe_u32 v17, v4, 24, 2
	s_mov_b32 s42, exec_lo
                                        ; implicit-def: $vgpr16
	s_delay_alu instid0(VALU_DEP_2)
	v_cmpx_ne_u32_e32 0x7c000000, v5
	s_xor_b32 s42, exec_lo, s42
	s_cbranch_execz .LBB4_11230
; %bb.11227:                            ;   in Loop: Header=BB4_10490 Depth=3
	v_bfe_u32 v5, v4, 26, 5
	s_mov_b32 s43, exec_lo
	s_delay_alu instid0(VALU_DEP_1)
	v_cmpx_eq_u32_e32 0, v5
; %bb.11228:                            ;   in Loop: Header=BB4_10490 Depth=3
	v_clz_i32_u32_e32 v5, v17
	s_delay_alu instid0(VALU_DEP_1) | instskip(NEXT) | instid1(VALU_DEP_1)
	v_min_u32_e32 v5, 32, v5
	v_subrev_nc_u32_e32 v16, 29, v5
	s_delay_alu instid0(VALU_DEP_1) | instskip(NEXT) | instid1(VALU_DEP_1)
	v_lshlrev_b64_e32 v[16:17], v16, v[2:3]
	v_dual_sub_nc_u32 v5, 30, v5 :: v_dual_bitop2_b32 v17, 3, v16 bitop3:0x40
; %bb.11229:                            ;   in Loop: Header=BB4_10490 Depth=3
	s_or_b32 exec_lo, exec_lo, s43
	v_and_b32_e32 v2, 0x80000000, v4
	s_delay_alu instid0(VALU_DEP_1) | instskip(NEXT) | instid1(VALU_DEP_1)
	v_lshl_add_u32 v2, v5, 23, v2
                                        ; implicit-def: $vgpr4_vgpr5
	v_lshl_or_b32 v2, v17, 21, v2
                                        ; implicit-def: $vgpr17
	s_delay_alu instid0(VALU_DEP_1)
	v_add_nc_u32_e32 v16, 0x38000000, v2
.LBB4_11230:                            ;   in Loop: Header=BB4_10490 Depth=3
	s_and_not1_saveexec_b32 s42, s42
; %bb.11231:                            ;   in Loop: Header=BB4_10490 Depth=3
	v_cmp_lt_i32_e32 vcc_lo, -1, v4
	v_cndmask_b32_e32 v2, 0xff800000, v48, vcc_lo
	v_cmp_eq_u32_e32 vcc_lo, 0, v17
	s_delay_alu instid0(VALU_DEP_2)
	v_cndmask_b32_e32 v16, 0x7f800001, v2, vcc_lo
; %bb.11232:                            ;   in Loop: Header=BB4_10490 Depth=3
	s_or_b32 exec_lo, exec_lo, s42
.LBB4_11233:                            ;   in Loop: Header=BB4_10490 Depth=3
	s_delay_alu instid0(SALU_CYCLE_1)
	s_or_b32 exec_lo, exec_lo, s15
.LBB4_11234:                            ;   in Loop: Header=BB4_10490 Depth=3
	s_delay_alu instid0(SALU_CYCLE_1) | instskip(SKIP_3) | instid1(VALU_DEP_2)
	s_or_b32 exec_lo, exec_lo, s14
	v_bfe_u32 v17, v9, 24, 2
	v_bfe_u32 v19, v9, 26, 5
                                        ; implicit-def: $vgpr56
	s_mov_b32 s14, exec_lo
	v_clz_i32_u32_e32 v2, v17
	s_delay_alu instid0(VALU_DEP_2) | instskip(NEXT) | instid1(VALU_DEP_2)
	v_cmp_eq_u32_e32 vcc_lo, 0, v19
	v_min_u32_e32 v18, 32, v2
	v_lshrrev_b32_e32 v2, 24, v9
	s_delay_alu instid0(VALU_DEP_2) | instskip(NEXT) | instid1(VALU_DEP_1)
	v_subrev_nc_u32_e32 v4, 29, v18
	v_lshlrev_b64_e32 v[4:5], v4, v[2:3]
	v_sub_nc_u32_e32 v5, 30, v18
	v_and_b32_e32 v18, 0x80000000, v9
	s_delay_alu instid0(VALU_DEP_2) | instskip(NEXT) | instid1(VALU_DEP_1)
	v_dual_cndmask_b32 v5, v19, v5, vcc_lo :: v_dual_bitop2_b32 v4, 3, v4 bitop3:0x40
	v_lshl_add_u32 v5, v5, 23, v18
	s_delay_alu instid0(VALU_DEP_2) | instskip(SKIP_1) | instid1(VALU_DEP_2)
	v_cndmask_b32_e32 v4, v17, v4, vcc_lo
	v_cmp_lt_i64_e32 vcc_lo, -1, v[8:9]
	v_lshl_or_b32 v4, v4, 21, v5
	v_and_b32_e32 v5, 0x7c000000, v9
	v_cndmask_b32_e32 v18, 0xff800000, v48, vcc_lo
	v_cmp_eq_u32_e32 vcc_lo, 0, v17
	s_delay_alu instid0(VALU_DEP_4) | instskip(NEXT) | instid1(VALU_DEP_3)
	v_add_nc_u32_e32 v4, 0x38000000, v4
	v_cndmask_b32_e32 v17, 0x7f800001, v18, vcc_lo
	v_cmp_eq_u32_e32 vcc_lo, 0x7c000000, v5
	s_delay_alu instid0(VALU_DEP_2) | instskip(SKIP_1) | instid1(VALU_DEP_2)
	v_dual_mov_b32 v5, v3 :: v_dual_cndmask_b32 v4, v4, v17
	v_cmp_ne_u32_e32 vcc_lo, 0x80, v2
	v_dual_mov_b32 v17, v3 :: v_dual_cndmask_b32 v2, 0x80000000, v4
	v_cmp_lt_u64_e32 vcc_lo, s[22:23], v[8:9]
	s_delay_alu instid0(VALU_DEP_2) | instskip(NEXT) | instid1(VALU_DEP_1)
	v_cndmask_b32_e32 v2, 0, v2, vcc_lo
	v_add_f32_e32 v8, v2, v16
	s_delay_alu instid0(VALU_DEP_1) | instskip(SKIP_2) | instid1(VALU_DEP_3)
	v_and_b32_e32 v16, 0x7f800000, v8
	v_and_b32_e32 v4, 0x7fffff, v8
	v_lshrrev_b32_e32 v2, 24, v8
	v_cmpx_ne_u64_e32 0x7f800000, v[16:17]
	s_xor_b32 s15, exec_lo, s14
	s_cbranch_execz .LBB4_11248
; %bb.11235:                            ;   in Loop: Header=BB4_10490 Depth=3
	v_and_b32_e32 v16, 0x7fffffff, v8
	v_mov_b32_e32 v17, v3
	v_and_b32_e32 v2, 0x80, v2
                                        ; implicit-def: $vgpr56
	s_mov_b32 s14, exec_lo
	s_delay_alu instid0(VALU_DEP_2)
	v_cmpx_gt_u64_e32 0x47600001, v[16:17]
	s_xor_b32 s42, exec_lo, s14
	s_cbranch_execz .LBB4_11245
; %bb.11236:                            ;   in Loop: Header=BB4_10490 Depth=3
	v_mov_b32_e32 v56, 0
	s_mov_b32 s43, exec_lo
	v_cmpx_ne_u32_e32 0, v8
	s_cbranch_execz .LBB4_11244
; %bb.11237:                            ;   in Loop: Header=BB4_10490 Depth=3
	v_bfe_u32 v16, v8, 23, 8
	v_or_b32_e32 v18, 0x800000, v4
	s_delay_alu instid0(VALU_DEP_2) | instskip(SKIP_1) | instid1(VALU_DEP_2)
	v_sub_nc_u32_e32 v8, 0x71, v16
	v_cmp_gt_u32_e32 vcc_lo, 0x72, v16
	v_cndmask_b32_e32 v8, 0, v8, vcc_lo
	v_cmp_eq_u32_e32 vcc_lo, 0, v16
	s_delay_alu instid0(VALU_DEP_2) | instskip(NEXT) | instid1(VALU_DEP_1)
	v_cndmask_b32_e64 v17, v8, 0x70, vcc_lo
	v_dual_cndmask_b32 v4, v18, v4, vcc_lo :: v_dual_add_nc_u32 v8, 21, v17
	v_add_nc_u32_e32 v19, 20, v17
	s_delay_alu instid0(VALU_DEP_2) | instskip(NEXT) | instid1(VALU_DEP_2)
	v_lshlrev_b64_e64 v[8:9], v8, -1
	v_lshlrev_b64_e64 v[18:19], v19, 1
	s_delay_alu instid0(VALU_DEP_2) | instskip(SKIP_1) | instid1(VALU_DEP_4)
	v_bfi_b32 v8, v8, 0, v4
	v_lshrrev_b64 v[4:5], v17, v[4:5]
	v_bfi_b32 v9, v9, 0, 0
	s_delay_alu instid0(VALU_DEP_1) | instskip(NEXT) | instid1(VALU_DEP_3)
	v_cmp_eq_u64_e64 s14, v[8:9], v[18:19]
	v_mov_b64_e32 v[8:9], v[4:5]
	s_and_saveexec_b32 s78, s14
; %bb.11238:                            ;   in Loop: Header=BB4_10490 Depth=3
	v_bfe_u32 v8, v4, 21, 1
	v_mov_b32_e32 v9, v3
	s_delay_alu instid0(VALU_DEP_1) | instskip(NEXT) | instid1(VALU_DEP_1)
	v_add_nc_u64_e32 v[8:9], v[4:5], v[8:9]
	v_add_nc_u64_e32 v[8:9], -1, v[8:9]
; %bb.11239:                            ;   in Loop: Header=BB4_10490 Depth=3
	s_or_b32 exec_lo, exec_lo, s78
	v_add_nc_u32_e32 v5, 0xffffff81, v16
	v_lshrrev_b32_e32 v9, 23, v4
	s_mov_b32 s14, exec_lo
	s_delay_alu instid0(VALU_DEP_2) | instskip(NEXT) | instid1(VALU_DEP_1)
	v_cndmask_b32_e64 v5, v5, 0xffffff82, vcc_lo
	v_add3_u32 v9, v17, v5, v9
	v_and_b32_e32 v5, 0x1fffff, v8
                                        ; implicit-def: $vgpr8
	s_delay_alu instid0(VALU_DEP_1) | instskip(SKIP_1) | instid1(VALU_DEP_2)
	v_dual_add_nc_u32 v16, 14, v9 :: v_dual_add_nc_u32 v4, v5, v4
	v_mov_b32_e32 v5, v3
	v_cmpx_ne_u32_e32 0, v16
	s_xor_b32 s14, exec_lo, s14
; %bb.11240:                            ;   in Loop: Header=BB4_10490 Depth=3
	s_delay_alu instid0(VALU_DEP_2) | instskip(SKIP_2) | instid1(VALU_DEP_2)
	v_cmp_lt_u64_e32 vcc_lo, 0xffffff, v[4:5]
	v_add_nc_u32_e32 v8, 15, v9
	v_cndmask_b32_e64 v9, 0, 1, vcc_lo
	v_cndmask_b32_e32 v8, v16, v8, vcc_lo
	s_delay_alu instid0(VALU_DEP_2)
	v_lshrrev_b64 v[4:5], v9, v[4:5]
; %bb.11241:                            ;   in Loop: Header=BB4_10490 Depth=3
	s_and_not1_saveexec_b32 s14, s14
; %bb.11242:                            ;   in Loop: Header=BB4_10490 Depth=3
	s_delay_alu instid0(VALU_DEP_1)
	v_bfe_u32 v8, v4, 23, 1
; %bb.11243:                            ;   in Loop: Header=BB4_10490 Depth=3
	s_or_b32 exec_lo, exec_lo, s14
	s_delay_alu instid0(VALU_DEP_2) | instskip(NEXT) | instid1(VALU_DEP_2)
	v_lshrrev_b64 v[4:5], 21, v[4:5]
	v_cmp_gt_i32_e32 vcc_lo, 32, v8
	v_min_i32_e32 v9, 31, v8
	v_cmp_eq_u32_e64 s14, 0, v8
	s_delay_alu instid0(VALU_DEP_4) | instskip(NEXT) | instid1(VALU_DEP_3)
	v_cndmask_b32_e32 v5, 0, v5, vcc_lo
	v_dual_cndmask_b32 v4, 3, v4 :: v_dual_lshlrev_b32 v9, 2, v9
	s_delay_alu instid0(VALU_DEP_1) | instskip(NEXT) | instid1(VALU_DEP_2)
	v_and_b32_e32 v9, 0xfc, v9
	v_cmp_eq_u64_e32 vcc_lo, 0, v[4:5]
	s_delay_alu instid0(VALU_DEP_2)
	v_and_or_b32 v4, v4, 3, v9
	s_and_b32 s14, s14, vcc_lo
	s_delay_alu instid0(VALU_DEP_1) | instid1(SALU_CYCLE_1)
	v_cndmask_b32_e64 v4, v4, 0, s14
	s_delay_alu instid0(VALU_DEP_1)
	v_or_b32_e32 v56, v4, v2
.LBB4_11244:                            ;   in Loop: Header=BB4_10490 Depth=3
	s_or_b32 exec_lo, exec_lo, s43
                                        ; implicit-def: $vgpr2
.LBB4_11245:                            ;   in Loop: Header=BB4_10490 Depth=3
	s_and_not1_saveexec_b32 s14, s42
; %bb.11246:                            ;   in Loop: Header=BB4_10490 Depth=3
	v_or_b32_e32 v56, 0x7b, v2
; %bb.11247:                            ;   in Loop: Header=BB4_10490 Depth=3
	s_or_b32 exec_lo, exec_lo, s14
                                        ; implicit-def: $vgpr8
                                        ; implicit-def: $vgpr4_vgpr5
                                        ; implicit-def: $vgpr2
.LBB4_11248:                            ;   in Loop: Header=BB4_10490 Depth=3
	s_and_not1_saveexec_b32 s14, s15
	s_cbranch_execz .LBB4_11254
; %bb.11249:                            ;   in Loop: Header=BB4_10490 Depth=3
	s_mov_b32 s15, exec_lo
                                        ; implicit-def: $vgpr56
	v_cmpx_ne_u64_e32 0, v[4:5]
	s_xor_b32 s15, exec_lo, s15
; %bb.11250:                            ;   in Loop: Header=BB4_10490 Depth=3
	v_or_b32_e32 v56, 0x7f, v2
                                        ; implicit-def: $vgpr8
; %bb.11251:                            ;   in Loop: Header=BB4_10490 Depth=3
	s_and_not1_saveexec_b32 s15, s15
; %bb.11252:                            ;   in Loop: Header=BB4_10490 Depth=3
	v_cmp_lt_i32_e32 vcc_lo, -1, v8
	v_cndmask_b32_e32 v56, 0xfc, v49, vcc_lo
; %bb.11253:                            ;   in Loop: Header=BB4_10490 Depth=3
	s_or_b32 exec_lo, exec_lo, s15
.LBB4_11254:                            ;   in Loop: Header=BB4_10490 Depth=3
	s_delay_alu instid0(SALU_CYCLE_1) | instskip(SKIP_4) | instid1(VALU_DEP_2)
	s_or_b32 exec_lo, exec_lo, s14
	v_lshl_or_b32 v2, v116, 8, v101
	v_dual_lshlrev_b32 v4, 16, v119 :: v_dual_lshlrev_b32 v8, 24, v41
	v_mov_b32_e32 v5, v3
	s_mov_b32 s14, exec_lo
	v_or3_b32 v4, v4, v8, v2
	v_mov_b32_e32 v8, 0
	v_cmpx_ne_u32_e32 0, v101
	s_cbranch_execz .LBB4_11264
; %bb.11255:                            ;   in Loop: Header=BB4_10490 Depth=3
	v_bfrev_b32_e32 v8, 1
	s_mov_b32 s15, exec_lo
	v_cmpx_ne_u32_e32 0x80, v101
	s_cbranch_execz .LBB4_11263
; %bb.11256:                            ;   in Loop: Header=BB4_10490 Depth=3
	v_and_b32_e32 v8, 0x7c, v101
	v_and_b32_e32 v9, 3, v101
	s_delay_alu instid0(VALU_DEP_2) | instskip(SKIP_1) | instid1(SALU_CYCLE_1)
	v_cmp_ne_u32_e32 vcc_lo, 0x7c, v8
                                        ; implicit-def: $vgpr8
	s_and_saveexec_b32 s42, vcc_lo
	s_xor_b32 s42, exec_lo, s42
	s_cbranch_execz .LBB4_11260
; %bb.11257:                            ;   in Loop: Header=BB4_10490 Depth=3
	v_bfe_u32 v8, v101, 2, 5
	s_mov_b32 s43, exec_lo
	s_delay_alu instid0(VALU_DEP_1)
	v_cmpx_eq_u32_e32 0, v8
; %bb.11258:                            ;   in Loop: Header=BB4_10490 Depth=3
	v_clz_i32_u32_e32 v8, v9
	s_delay_alu instid0(VALU_DEP_1) | instskip(NEXT) | instid1(VALU_DEP_1)
	v_min_u32_e32 v8, 32, v8
	v_subrev_nc_u32_e32 v9, 29, v8
	v_sub_nc_u32_e32 v8, 30, v8
	s_delay_alu instid0(VALU_DEP_2) | instskip(NEXT) | instid1(VALU_DEP_1)
	v_lshlrev_b64_e32 v[16:17], v9, v[4:5]
	v_and_b32_e32 v9, 3, v16
; %bb.11259:                            ;   in Loop: Header=BB4_10490 Depth=3
	s_or_b32 exec_lo, exec_lo, s43
	v_lshlrev_b32_e32 v5, 24, v101
                                        ; implicit-def: $vgpr101
	s_delay_alu instid0(VALU_DEP_1) | instskip(NEXT) | instid1(VALU_DEP_1)
	v_and_b32_e32 v5, 0x80000000, v5
	v_lshl_add_u32 v5, v8, 23, v5
	s_delay_alu instid0(VALU_DEP_1) | instskip(NEXT) | instid1(VALU_DEP_1)
	v_lshl_or_b32 v5, v9, 21, v5
                                        ; implicit-def: $vgpr9
	v_add_nc_u32_e32 v8, 0x38000000, v5
.LBB4_11260:                            ;   in Loop: Header=BB4_10490 Depth=3
	s_and_not1_saveexec_b32 s42, s42
; %bb.11261:                            ;   in Loop: Header=BB4_10490 Depth=3
	v_and_b32_e32 v5, 0x80, v101
	s_delay_alu instid0(VALU_DEP_1) | instskip(SKIP_2) | instid1(VALU_DEP_2)
	v_cmp_eq_u32_e32 vcc_lo, 0, v5
	v_cndmask_b32_e32 v5, 0xff800000, v48, vcc_lo
	v_cmp_eq_u32_e32 vcc_lo, 0, v9
	v_cndmask_b32_e32 v8, 0x7f800001, v5, vcc_lo
; %bb.11262:                            ;   in Loop: Header=BB4_10490 Depth=3
	s_or_b32 exec_lo, exec_lo, s42
.LBB4_11263:                            ;   in Loop: Header=BB4_10490 Depth=3
	s_delay_alu instid0(SALU_CYCLE_1)
	s_or_b32 exec_lo, exec_lo, s15
.LBB4_11264:                            ;   in Loop: Header=BB4_10490 Depth=3
	s_delay_alu instid0(SALU_CYCLE_1) | instskip(SKIP_3) | instid1(VALU_DEP_1)
	s_or_b32 exec_lo, exec_lo, s14
	v_and_b32_e32 v9, 0xff, v10
	s_mov_b32 s15, 0
	s_mov_b32 s14, exec_lo
	v_cmpx_lt_i16_e32 0x7f, v9
	s_xor_b32 s14, exec_lo, s14
	s_cbranch_execz .LBB4_11545
; %bb.11265:                            ;   in Loop: Header=BB4_10490 Depth=3
	s_mov_b32 s15, -1
	s_mov_b32 s42, exec_lo
	v_cmpx_eq_u16_e32 0x80, v9
; %bb.11266:                            ;   in Loop: Header=BB4_10490 Depth=3
	s_xor_b32 s15, exec_lo, -1
; %bb.11267:                            ;   in Loop: Header=BB4_10490 Depth=3
	s_or_b32 exec_lo, exec_lo, s42
	s_delay_alu instid0(SALU_CYCLE_1)
	s_and_b32 s15, s15, exec_lo
                                        ; implicit-def: $vgpr9
	s_or_saveexec_b32 s14, s14
	v_bfrev_b32_e32 v5, 1
	s_xor_b32 exec_lo, exec_lo, s14
	s_cbranch_execnz .LBB4_11546
.LBB4_11268:                            ;   in Loop: Header=BB4_10490 Depth=3
	s_or_b32 exec_lo, exec_lo, s14
	s_and_saveexec_b32 s14, s15
	s_cbranch_execz .LBB4_11270
.LBB4_11269:                            ;   in Loop: Header=BB4_10490 Depth=3
	v_and_b32_e32 v5, 3, v10
	v_bfe_u32 v18, v10, 2, 5
	s_delay_alu instid0(VALU_DEP_2) | instskip(NEXT) | instid1(VALU_DEP_2)
	v_clz_i32_u32_e32 v9, v5
	v_cmp_eq_u32_e32 vcc_lo, 0, v18
	s_delay_alu instid0(VALU_DEP_2) | instskip(NEXT) | instid1(VALU_DEP_1)
	v_min_u32_e32 v9, 32, v9
	v_subrev_nc_u32_e32 v16, 29, v9
	s_delay_alu instid0(VALU_DEP_1) | instskip(SKIP_1) | instid1(VALU_DEP_1)
	v_lshlrev_b64_e32 v[16:17], v16, v[10:11]
	v_dual_lshlrev_b32 v17, 24, v10 :: v_dual_sub_nc_u32 v9, 30, v9
	v_and_b32_e32 v17, 0x80000000, v17
	s_delay_alu instid0(VALU_DEP_2) | instskip(SKIP_1) | instid1(VALU_DEP_2)
	v_dual_cndmask_b32 v9, v18, v9, vcc_lo :: v_dual_bitop2_b32 v16, 3, v16 bitop3:0x40
	v_bfe_i32 v18, v10, 0, 8
	v_cndmask_b32_e32 v16, v5, v16, vcc_lo
	s_delay_alu instid0(VALU_DEP_3) | instskip(NEXT) | instid1(VALU_DEP_3)
	v_lshl_add_u32 v9, v9, 23, v17
	v_cmp_lt_i16_e32 vcc_lo, -1, v18
	s_delay_alu instid0(VALU_DEP_2) | instskip(SKIP_3) | instid1(VALU_DEP_4)
	v_lshl_or_b32 v9, v16, 21, v9
	v_cndmask_b32_e32 v17, 0xff800000, v48, vcc_lo
	v_and_b32_e32 v16, 0x7c, v10
	v_cmp_eq_u32_e32 vcc_lo, 0, v5
	v_add_nc_u32_e32 v9, 0x38000000, v9
	s_delay_alu instid0(VALU_DEP_4) | instskip(NEXT) | instid1(VALU_DEP_4)
	v_cndmask_b32_e32 v5, 0x7f800001, v17, vcc_lo
	v_cmp_eq_u32_e32 vcc_lo, 0x7c, v16
	s_delay_alu instid0(VALU_DEP_2)
	v_cndmask_b32_e32 v5, v9, v5, vcc_lo
.LBB4_11270:                            ;   in Loop: Header=BB4_10490 Depth=3
	s_or_b32 exec_lo, exec_lo, s14
	s_delay_alu instid0(VALU_DEP_1) | instskip(SKIP_2) | instid1(VALU_DEP_2)
	v_dual_add_f32 v16, v8, v5 :: v_dual_mov_b32 v19, v3
	v_mov_b32_e32 v9, v3
                                        ; implicit-def: $vgpr101
	s_mov_b32 s14, exec_lo
	v_and_b32_e32 v18, 0x7f800000, v16
	v_and_b32_e32 v8, 0x7fffff, v16
	v_lshrrev_b32_e32 v5, 24, v16
	s_delay_alu instid0(VALU_DEP_3)
	v_cmpx_ne_u64_e32 0x7f800000, v[18:19]
	s_xor_b32 s15, exec_lo, s14
	s_cbranch_execz .LBB4_11284
; %bb.11271:                            ;   in Loop: Header=BB4_10490 Depth=3
	v_and_b32_e32 v18, 0x7fffffff, v16
	v_mov_b32_e32 v19, v3
	v_and_b32_e32 v5, 0x80, v5
                                        ; implicit-def: $vgpr101
	s_mov_b32 s14, exec_lo
	s_delay_alu instid0(VALU_DEP_2)
	v_cmpx_gt_u64_e32 0x47600001, v[18:19]
	s_xor_b32 s42, exec_lo, s14
	s_cbranch_execz .LBB4_11281
; %bb.11272:                            ;   in Loop: Header=BB4_10490 Depth=3
	v_mov_b32_e32 v101, 0
	s_mov_b32 s43, exec_lo
	v_cmpx_ne_u32_e32 0, v16
	s_cbranch_execz .LBB4_11280
; %bb.11273:                            ;   in Loop: Header=BB4_10490 Depth=3
	v_bfe_u32 v18, v16, 23, 8
	v_or_b32_e32 v86, 0x800000, v8
	s_delay_alu instid0(VALU_DEP_2) | instskip(SKIP_1) | instid1(VALU_DEP_2)
	v_sub_nc_u32_e32 v16, 0x71, v18
	v_cmp_gt_u32_e32 vcc_lo, 0x72, v18
	v_cndmask_b32_e32 v16, 0, v16, vcc_lo
	v_cmp_eq_u32_e32 vcc_lo, 0, v18
	s_delay_alu instid0(VALU_DEP_2) | instskip(NEXT) | instid1(VALU_DEP_1)
	v_cndmask_b32_e64 v19, v16, 0x70, vcc_lo
	v_dual_cndmask_b32 v8, v86, v8, vcc_lo :: v_dual_add_nc_u32 v16, 21, v19
	v_add_nc_u32_e32 v87, 20, v19
	s_delay_alu instid0(VALU_DEP_2) | instskip(NEXT) | instid1(VALU_DEP_2)
	v_lshlrev_b64_e64 v[16:17], v16, -1
	v_lshlrev_b64_e64 v[86:87], v87, 1
	s_delay_alu instid0(VALU_DEP_2) | instskip(SKIP_1) | instid1(VALU_DEP_4)
	v_bfi_b32 v16, v16, 0, v8
	v_lshrrev_b64 v[8:9], v19, v[8:9]
	v_bfi_b32 v17, v17, 0, 0
	s_delay_alu instid0(VALU_DEP_1) | instskip(NEXT) | instid1(VALU_DEP_3)
	v_cmp_eq_u64_e64 s14, v[16:17], v[86:87]
	v_mov_b64_e32 v[16:17], v[8:9]
	s_and_saveexec_b32 s78, s14
; %bb.11274:                            ;   in Loop: Header=BB4_10490 Depth=3
	v_bfe_u32 v16, v8, 21, 1
	v_mov_b32_e32 v17, v3
	s_delay_alu instid0(VALU_DEP_1) | instskip(NEXT) | instid1(VALU_DEP_1)
	v_add_nc_u64_e32 v[16:17], v[8:9], v[16:17]
	v_add_nc_u64_e32 v[16:17], -1, v[16:17]
; %bb.11275:                            ;   in Loop: Header=BB4_10490 Depth=3
	s_or_b32 exec_lo, exec_lo, s78
	v_add_nc_u32_e32 v9, 0xffffff81, v18
	v_lshrrev_b32_e32 v17, 23, v8
	s_mov_b32 s14, exec_lo
	s_delay_alu instid0(VALU_DEP_2) | instskip(NEXT) | instid1(VALU_DEP_1)
	v_cndmask_b32_e64 v9, v9, 0xffffff82, vcc_lo
	v_add3_u32 v17, v19, v9, v17
	v_and_b32_e32 v9, 0x1fffff, v16
                                        ; implicit-def: $vgpr16
	s_delay_alu instid0(VALU_DEP_1) | instskip(SKIP_1) | instid1(VALU_DEP_2)
	v_dual_add_nc_u32 v18, 14, v17 :: v_dual_add_nc_u32 v8, v9, v8
	v_mov_b32_e32 v9, v3
	v_cmpx_ne_u32_e32 0, v18
	s_xor_b32 s14, exec_lo, s14
; %bb.11276:                            ;   in Loop: Header=BB4_10490 Depth=3
	s_delay_alu instid0(VALU_DEP_2) | instskip(SKIP_2) | instid1(VALU_DEP_2)
	v_cmp_lt_u64_e32 vcc_lo, 0xffffff, v[8:9]
	v_add_nc_u32_e32 v16, 15, v17
	v_cndmask_b32_e64 v17, 0, 1, vcc_lo
	v_cndmask_b32_e32 v16, v18, v16, vcc_lo
	s_delay_alu instid0(VALU_DEP_2)
	v_lshrrev_b64 v[8:9], v17, v[8:9]
; %bb.11277:                            ;   in Loop: Header=BB4_10490 Depth=3
	s_and_not1_saveexec_b32 s14, s14
; %bb.11278:                            ;   in Loop: Header=BB4_10490 Depth=3
	s_delay_alu instid0(VALU_DEP_1)
	v_bfe_u32 v16, v8, 23, 1
; %bb.11279:                            ;   in Loop: Header=BB4_10490 Depth=3
	s_or_b32 exec_lo, exec_lo, s14
	s_delay_alu instid0(VALU_DEP_2) | instskip(NEXT) | instid1(VALU_DEP_2)
	v_lshrrev_b64 v[8:9], 21, v[8:9]
	v_cmp_gt_i32_e32 vcc_lo, 32, v16
	v_min_i32_e32 v17, 31, v16
	v_cmp_eq_u32_e64 s14, 0, v16
	s_delay_alu instid0(VALU_DEP_4) | instskip(NEXT) | instid1(VALU_DEP_3)
	v_cndmask_b32_e32 v9, 0, v9, vcc_lo
	v_dual_cndmask_b32 v8, 3, v8 :: v_dual_lshlrev_b32 v17, 2, v17
	s_delay_alu instid0(VALU_DEP_1) | instskip(NEXT) | instid1(VALU_DEP_2)
	v_and_b32_e32 v17, 0xfc, v17
	v_cmp_eq_u64_e32 vcc_lo, 0, v[8:9]
	s_delay_alu instid0(VALU_DEP_2)
	v_and_or_b32 v8, v8, 3, v17
	s_and_b32 s14, s14, vcc_lo
	s_delay_alu instid0(VALU_DEP_1) | instid1(SALU_CYCLE_1)
	v_cndmask_b32_e64 v8, v8, 0, s14
	s_delay_alu instid0(VALU_DEP_1)
	v_or_b32_e32 v101, v8, v5
.LBB4_11280:                            ;   in Loop: Header=BB4_10490 Depth=3
	s_or_b32 exec_lo, exec_lo, s43
                                        ; implicit-def: $vgpr5
.LBB4_11281:                            ;   in Loop: Header=BB4_10490 Depth=3
	s_and_not1_saveexec_b32 s14, s42
; %bb.11282:                            ;   in Loop: Header=BB4_10490 Depth=3
	v_or_b32_e32 v101, 0x7b, v5
; %bb.11283:                            ;   in Loop: Header=BB4_10490 Depth=3
	s_or_b32 exec_lo, exec_lo, s14
                                        ; implicit-def: $vgpr16
                                        ; implicit-def: $vgpr8_vgpr9
                                        ; implicit-def: $vgpr5
.LBB4_11284:                            ;   in Loop: Header=BB4_10490 Depth=3
	s_and_not1_saveexec_b32 s14, s15
	s_cbranch_execz .LBB4_11290
; %bb.11285:                            ;   in Loop: Header=BB4_10490 Depth=3
	s_mov_b32 s15, exec_lo
                                        ; implicit-def: $vgpr101
	v_cmpx_ne_u64_e32 0, v[8:9]
	s_xor_b32 s15, exec_lo, s15
; %bb.11286:                            ;   in Loop: Header=BB4_10490 Depth=3
	v_or_b32_e32 v101, 0x7f, v5
                                        ; implicit-def: $vgpr16
; %bb.11287:                            ;   in Loop: Header=BB4_10490 Depth=3
	s_and_not1_saveexec_b32 s15, s15
; %bb.11288:                            ;   in Loop: Header=BB4_10490 Depth=3
	v_cmp_lt_i32_e32 vcc_lo, -1, v16
	v_cndmask_b32_e32 v101, 0xfc, v49, vcc_lo
; %bb.11289:                            ;   in Loop: Header=BB4_10490 Depth=3
	s_or_b32 exec_lo, exec_lo, s15
.LBB4_11290:                            ;   in Loop: Header=BB4_10490 Depth=3
	s_delay_alu instid0(SALU_CYCLE_1) | instskip(SKIP_3) | instid1(VALU_DEP_2)
	s_or_b32 exec_lo, exec_lo, s14
	v_lshrrev_b16 v8, 8, v2
	v_mov_b32_e32 v5, 0
	s_mov_b32 s14, exec_lo
	v_cmpx_ne_u16_e32 0, v8
	s_cbranch_execz .LBB4_11300
; %bb.11291:                            ;   in Loop: Header=BB4_10490 Depth=3
	v_bfrev_b32_e32 v5, 1
	s_mov_b32 s15, exec_lo
	v_cmpx_ne_u16_e32 0x80, v8
	s_cbranch_execz .LBB4_11299
; %bb.11292:                            ;   in Loop: Header=BB4_10490 Depth=3
	v_and_b32_e32 v16, 0xffff, v8
	s_delay_alu instid0(VALU_DEP_1) | instskip(SKIP_1) | instid1(VALU_DEP_2)
	v_and_b32_e32 v5, 0x7c, v16
	v_and_b32_e32 v9, 3, v16
	v_cmp_ne_u32_e32 vcc_lo, 0x7c, v5
                                        ; implicit-def: $vgpr5
	s_and_saveexec_b32 s42, vcc_lo
	s_delay_alu instid0(SALU_CYCLE_1)
	s_xor_b32 s42, exec_lo, s42
	s_cbranch_execz .LBB4_11296
; %bb.11293:                            ;   in Loop: Header=BB4_10490 Depth=3
	v_bfe_u32 v5, v16, 2, 5
	s_mov_b32 s43, exec_lo
	s_delay_alu instid0(VALU_DEP_1)
	v_cmpx_eq_u32_e32 0, v5
	s_cbranch_execz .LBB4_11295
; %bb.11294:                            ;   in Loop: Header=BB4_10490 Depth=3
	v_clz_i32_u32_e32 v5, v9
	s_delay_alu instid0(VALU_DEP_1) | instskip(SKIP_1) | instid1(VALU_DEP_2)
	v_min_u32_e32 v5, 32, v5
	v_mov_b32_e32 v9, v3
	v_subrev_nc_u32_e32 v16, 29, v5
	v_sub_nc_u32_e32 v5, 30, v5
	s_delay_alu instid0(VALU_DEP_2) | instskip(NEXT) | instid1(VALU_DEP_1)
	v_lshlrev_b64_e32 v[8:9], v16, v[8:9]
	v_and_b32_e32 v9, 3, v8
.LBB4_11295:                            ;   in Loop: Header=BB4_10490 Depth=3
	s_or_b32 exec_lo, exec_lo, s43
	v_lshlrev_b32_e32 v2, 16, v2
	s_delay_alu instid0(VALU_DEP_1) | instskip(NEXT) | instid1(VALU_DEP_1)
	v_and_b32_e32 v2, 0x80000000, v2
	v_lshl_add_u32 v2, v5, 23, v2
	s_delay_alu instid0(VALU_DEP_1) | instskip(NEXT) | instid1(VALU_DEP_1)
	v_lshl_or_b32 v2, v9, 21, v2
                                        ; implicit-def: $vgpr9
	v_add_nc_u32_e32 v5, 0x38000000, v2
                                        ; implicit-def: $vgpr2
.LBB4_11296:                            ;   in Loop: Header=BB4_10490 Depth=3
	s_and_not1_saveexec_b32 s42, s42
; %bb.11297:                            ;   in Loop: Header=BB4_10490 Depth=3
	v_cmp_lt_i16_e32 vcc_lo, -1, v2
	v_cndmask_b32_e32 v2, 0xff800000, v48, vcc_lo
	v_cmp_eq_u32_e32 vcc_lo, 0, v9
	s_delay_alu instid0(VALU_DEP_2)
	v_cndmask_b32_e32 v5, 0x7f800001, v2, vcc_lo
; %bb.11298:                            ;   in Loop: Header=BB4_10490 Depth=3
	s_or_b32 exec_lo, exec_lo, s42
.LBB4_11299:                            ;   in Loop: Header=BB4_10490 Depth=3
	s_delay_alu instid0(SALU_CYCLE_1)
	s_or_b32 exec_lo, exec_lo, s15
.LBB4_11300:                            ;   in Loop: Header=BB4_10490 Depth=3
	s_delay_alu instid0(SALU_CYCLE_1) | instskip(SKIP_3) | instid1(VALU_DEP_1)
	s_or_b32 exec_lo, exec_lo, s14
	v_lshrrev_b16 v8, 8, v10
	s_mov_b32 s15, 0
	s_mov_b32 s14, exec_lo
	v_cmpx_lt_i16_e32 0x7f, v8
	s_xor_b32 s14, exec_lo, s14
	s_cbranch_execz .LBB4_11547
; %bb.11301:                            ;   in Loop: Header=BB4_10490 Depth=3
	s_mov_b32 s15, -1
	s_mov_b32 s42, exec_lo
	v_cmpx_eq_u16_e32 0x80, v8
; %bb.11302:                            ;   in Loop: Header=BB4_10490 Depth=3
	s_xor_b32 s15, exec_lo, -1
; %bb.11303:                            ;   in Loop: Header=BB4_10490 Depth=3
	s_or_b32 exec_lo, exec_lo, s42
	s_delay_alu instid0(SALU_CYCLE_1)
	s_and_b32 s15, s15, exec_lo
	s_or_saveexec_b32 s14, s14
	v_bfrev_b32_e32 v2, 1
	s_xor_b32 exec_lo, exec_lo, s14
	s_cbranch_execnz .LBB4_11548
.LBB4_11304:                            ;   in Loop: Header=BB4_10490 Depth=3
	s_or_b32 exec_lo, exec_lo, s14
	s_and_saveexec_b32 s14, s15
	s_cbranch_execz .LBB4_11306
.LBB4_11305:                            ;   in Loop: Header=BB4_10490 Depth=3
	v_and_b32_e32 v2, 0xffff, v8
	s_delay_alu instid0(VALU_DEP_1) | instskip(NEXT) | instid1(VALU_DEP_1)
	v_and_b32_e32 v18, 3, v2
	v_clz_i32_u32_e32 v9, v18
	s_delay_alu instid0(VALU_DEP_1) | instskip(SKIP_1) | instid1(VALU_DEP_2)
	v_min_u32_e32 v19, 32, v9
	v_mov_b32_e32 v9, v3
	v_subrev_nc_u32_e32 v16, 29, v19
	s_delay_alu instid0(VALU_DEP_1) | instskip(SKIP_3) | instid1(VALU_DEP_3)
	v_lshlrev_b64_e32 v[16:17], v16, v[8:9]
	v_bfe_u32 v9, v2, 2, 5
	v_dual_lshlrev_b32 v8, 24, v8 :: v_dual_sub_nc_u32 v17, 30, v19
	v_and_b32_e32 v2, 0x7c, v2
	v_cmp_eq_u32_e32 vcc_lo, 0, v9
	s_delay_alu instid0(VALU_DEP_3) | instskip(NEXT) | instid1(VALU_DEP_4)
	v_and_b32_e32 v8, 0x80000000, v8
	v_dual_cndmask_b32 v9, v9, v17, vcc_lo :: v_dual_bitop2_b32 v16, 3, v16 bitop3:0x40
	s_delay_alu instid0(VALU_DEP_1) | instskip(SKIP_1) | instid1(VALU_DEP_3)
	v_cndmask_b32_e32 v16, v18, v16, vcc_lo
	v_cmp_lt_i16_e32 vcc_lo, -1, v10
	v_lshl_add_u32 v8, v9, 23, v8
	v_cndmask_b32_e32 v9, 0xff800000, v48, vcc_lo
	v_cmp_eq_u32_e32 vcc_lo, 0, v18
	s_delay_alu instid0(VALU_DEP_3) | instskip(NEXT) | instid1(VALU_DEP_3)
	v_lshl_or_b32 v8, v16, 21, v8
	v_cndmask_b32_e32 v9, 0x7f800001, v9, vcc_lo
	s_delay_alu instid0(VALU_DEP_2) | instskip(SKIP_1) | instid1(VALU_DEP_2)
	v_add_nc_u32_e32 v8, 0x38000000, v8
	v_cmp_eq_u32_e32 vcc_lo, 0x7c, v2
	v_cndmask_b32_e32 v2, v8, v9, vcc_lo
.LBB4_11306:                            ;   in Loop: Header=BB4_10490 Depth=3
	s_or_b32 exec_lo, exec_lo, s14
	s_delay_alu instid0(VALU_DEP_1) | instskip(SKIP_2) | instid1(VALU_DEP_2)
	v_dual_add_f32 v5, v5, v2 :: v_dual_mov_b32 v17, v3
	v_mov_b32_e32 v9, v3
                                        ; implicit-def: $vgpr116
	s_mov_b32 s14, exec_lo
	v_and_b32_e32 v16, 0x7f800000, v5
	v_and_b32_e32 v8, 0x7fffff, v5
	v_lshrrev_b32_e32 v2, 24, v5
	s_delay_alu instid0(VALU_DEP_3)
	v_cmpx_ne_u64_e32 0x7f800000, v[16:17]
	s_xor_b32 s15, exec_lo, s14
	s_cbranch_execz .LBB4_11320
; %bb.11307:                            ;   in Loop: Header=BB4_10490 Depth=3
	v_and_b32_e32 v16, 0x7fffffff, v5
	v_mov_b32_e32 v17, v3
	v_and_b32_e32 v2, 0x80, v2
                                        ; implicit-def: $vgpr116
	s_mov_b32 s14, exec_lo
	s_delay_alu instid0(VALU_DEP_2)
	v_cmpx_gt_u64_e32 0x47600001, v[16:17]
	s_xor_b32 s42, exec_lo, s14
	s_cbranch_execz .LBB4_11317
; %bb.11308:                            ;   in Loop: Header=BB4_10490 Depth=3
	v_mov_b32_e32 v116, 0
	s_mov_b32 s43, exec_lo
	v_cmpx_ne_u32_e32 0, v5
	s_cbranch_execz .LBB4_11316
; %bb.11309:                            ;   in Loop: Header=BB4_10490 Depth=3
	v_bfe_u32 v5, v5, 23, 8
	v_or_b32_e32 v19, 0x800000, v8
	s_delay_alu instid0(VALU_DEP_2) | instskip(SKIP_1) | instid1(VALU_DEP_2)
	v_sub_nc_u32_e32 v16, 0x71, v5
	v_cmp_gt_u32_e32 vcc_lo, 0x72, v5
	v_cndmask_b32_e32 v16, 0, v16, vcc_lo
	v_cmp_eq_u32_e32 vcc_lo, 0, v5
	s_delay_alu instid0(VALU_DEP_2) | instskip(NEXT) | instid1(VALU_DEP_1)
	v_cndmask_b32_e64 v18, v16, 0x70, vcc_lo
	v_dual_cndmask_b32 v8, v19, v8, vcc_lo :: v_dual_add_nc_u32 v16, 21, v18
	v_add_nc_u32_e32 v86, 20, v18
	s_delay_alu instid0(VALU_DEP_2) | instskip(NEXT) | instid1(VALU_DEP_2)
	v_lshlrev_b64_e64 v[16:17], v16, -1
	v_lshlrev_b64_e64 v[86:87], v86, 1
	s_delay_alu instid0(VALU_DEP_2) | instskip(SKIP_1) | instid1(VALU_DEP_4)
	v_bfi_b32 v16, v16, 0, v8
	v_lshrrev_b64 v[8:9], v18, v[8:9]
	v_bfi_b32 v17, v17, 0, 0
	s_delay_alu instid0(VALU_DEP_1) | instskip(NEXT) | instid1(VALU_DEP_3)
	v_cmp_eq_u64_e64 s14, v[16:17], v[86:87]
	v_mov_b64_e32 v[16:17], v[8:9]
	s_and_saveexec_b32 s78, s14
; %bb.11310:                            ;   in Loop: Header=BB4_10490 Depth=3
	v_bfe_u32 v16, v8, 21, 1
	v_mov_b32_e32 v17, v3
	s_delay_alu instid0(VALU_DEP_1) | instskip(NEXT) | instid1(VALU_DEP_1)
	v_add_nc_u64_e32 v[16:17], v[8:9], v[16:17]
	v_add_nc_u64_e32 v[16:17], -1, v[16:17]
; %bb.11311:                            ;   in Loop: Header=BB4_10490 Depth=3
	s_or_b32 exec_lo, exec_lo, s78
	v_add_nc_u32_e32 v5, 0xffffff81, v5
	v_lshrrev_b32_e32 v9, 23, v8
	s_mov_b32 s14, exec_lo
	s_delay_alu instid0(VALU_DEP_2) | instskip(NEXT) | instid1(VALU_DEP_1)
	v_cndmask_b32_e64 v5, v5, 0xffffff82, vcc_lo
	v_add3_u32 v17, v18, v5, v9
	v_and_b32_e32 v5, 0x1fffff, v16
	s_delay_alu instid0(VALU_DEP_2) | instskip(NEXT) | instid1(VALU_DEP_2)
	v_dual_mov_b32 v9, v3 :: v_dual_add_nc_u32 v16, 14, v17
	v_add_nc_u32_e32 v8, v5, v8
                                        ; implicit-def: $vgpr5
	s_delay_alu instid0(VALU_DEP_2)
	v_cmpx_ne_u32_e32 0, v16
	s_xor_b32 s14, exec_lo, s14
; %bb.11312:                            ;   in Loop: Header=BB4_10490 Depth=3
	s_delay_alu instid0(VALU_DEP_2) | instskip(SKIP_1) | instid1(VALU_DEP_1)
	v_cmp_lt_u64_e32 vcc_lo, 0xffffff, v[8:9]
	v_add_nc_u32_e32 v5, 15, v17
	v_cndmask_b32_e32 v5, v16, v5, vcc_lo
	v_cndmask_b32_e64 v16, 0, 1, vcc_lo
	s_delay_alu instid0(VALU_DEP_1)
	v_lshrrev_b64 v[8:9], v16, v[8:9]
; %bb.11313:                            ;   in Loop: Header=BB4_10490 Depth=3
	s_and_not1_saveexec_b32 s14, s14
; %bb.11314:                            ;   in Loop: Header=BB4_10490 Depth=3
	s_delay_alu instid0(VALU_DEP_1)
	v_bfe_u32 v5, v8, 23, 1
; %bb.11315:                            ;   in Loop: Header=BB4_10490 Depth=3
	s_or_b32 exec_lo, exec_lo, s14
	s_delay_alu instid0(VALU_DEP_2) | instskip(NEXT) | instid1(VALU_DEP_2)
	v_lshrrev_b64 v[8:9], 21, v[8:9]
	v_cmp_gt_i32_e32 vcc_lo, 32, v5
	v_min_i32_e32 v16, 31, v5
	v_cmp_eq_u32_e64 s14, 0, v5
	s_delay_alu instid0(VALU_DEP_4) | instskip(NEXT) | instid1(VALU_DEP_3)
	v_cndmask_b32_e32 v8, 3, v8, vcc_lo
	v_dual_cndmask_b32 v9, 0, v9 :: v_dual_lshlrev_b32 v16, 2, v16
	s_delay_alu instid0(VALU_DEP_1) | instskip(NEXT) | instid1(VALU_DEP_2)
	v_and_b32_e32 v16, 0xfc, v16
	v_cmp_eq_u64_e32 vcc_lo, 0, v[8:9]
	s_delay_alu instid0(VALU_DEP_2)
	v_and_or_b32 v5, v8, 3, v16
	s_and_b32 s14, s14, vcc_lo
	s_delay_alu instid0(VALU_DEP_1) | instid1(SALU_CYCLE_1)
	v_cndmask_b32_e64 v5, v5, 0, s14
	s_delay_alu instid0(VALU_DEP_1)
	v_or_b32_e32 v116, v5, v2
.LBB4_11316:                            ;   in Loop: Header=BB4_10490 Depth=3
	s_or_b32 exec_lo, exec_lo, s43
                                        ; implicit-def: $vgpr2
.LBB4_11317:                            ;   in Loop: Header=BB4_10490 Depth=3
	s_and_not1_saveexec_b32 s14, s42
; %bb.11318:                            ;   in Loop: Header=BB4_10490 Depth=3
	v_or_b32_e32 v116, 0x7b, v2
; %bb.11319:                            ;   in Loop: Header=BB4_10490 Depth=3
	s_or_b32 exec_lo, exec_lo, s14
                                        ; implicit-def: $vgpr5
                                        ; implicit-def: $vgpr8_vgpr9
                                        ; implicit-def: $vgpr2
.LBB4_11320:                            ;   in Loop: Header=BB4_10490 Depth=3
	s_and_not1_saveexec_b32 s14, s15
	s_cbranch_execz .LBB4_11326
; %bb.11321:                            ;   in Loop: Header=BB4_10490 Depth=3
	s_mov_b32 s15, exec_lo
                                        ; implicit-def: $vgpr116
	v_cmpx_ne_u64_e32 0, v[8:9]
	s_xor_b32 s15, exec_lo, s15
; %bb.11322:                            ;   in Loop: Header=BB4_10490 Depth=3
	v_or_b32_e32 v116, 0x7f, v2
                                        ; implicit-def: $vgpr5
; %bb.11323:                            ;   in Loop: Header=BB4_10490 Depth=3
	s_and_not1_saveexec_b32 s15, s15
; %bb.11324:                            ;   in Loop: Header=BB4_10490 Depth=3
	v_cmp_lt_i32_e32 vcc_lo, -1, v5
	v_cndmask_b32_e32 v116, 0xfc, v49, vcc_lo
; %bb.11325:                            ;   in Loop: Header=BB4_10490 Depth=3
	s_or_b32 exec_lo, exec_lo, s15
.LBB4_11326:                            ;   in Loop: Header=BB4_10490 Depth=3
	s_delay_alu instid0(SALU_CYCLE_1) | instskip(SKIP_2) | instid1(VALU_DEP_1)
	s_or_b32 exec_lo, exec_lo, s14
	v_dual_mov_b32 v5, 0 :: v_dual_lshrrev_b32 v2, 16, v4
	s_mov_b32 s14, exec_lo
	v_and_b32_e32 v8, 0xff, v2
	s_delay_alu instid0(VALU_DEP_1)
	v_cmpx_ne_u16_e32 0, v8
	s_cbranch_execz .LBB4_11336
; %bb.11327:                            ;   in Loop: Header=BB4_10490 Depth=3
	v_bfrev_b32_e32 v5, 1
	s_mov_b32 s15, exec_lo
	v_cmpx_ne_u16_e32 0x80, v8
	s_cbranch_execz .LBB4_11335
; %bb.11328:                            ;   in Loop: Header=BB4_10490 Depth=3
	v_and_b32_e32 v5, 0x7c0000, v4
	v_bfe_u32 v8, v4, 16, 2
	s_delay_alu instid0(VALU_DEP_2) | instskip(SKIP_1) | instid1(SALU_CYCLE_1)
	v_cmp_ne_u32_e32 vcc_lo, 0x7c0000, v5
                                        ; implicit-def: $vgpr5
	s_and_saveexec_b32 s42, vcc_lo
	s_xor_b32 s42, exec_lo, s42
	s_cbranch_execz .LBB4_11332
; %bb.11329:                            ;   in Loop: Header=BB4_10490 Depth=3
	v_bfe_u32 v5, v4, 18, 5
	s_mov_b32 s43, exec_lo
	s_delay_alu instid0(VALU_DEP_1)
	v_cmpx_eq_u32_e32 0, v5
; %bb.11330:                            ;   in Loop: Header=BB4_10490 Depth=3
	v_clz_i32_u32_e32 v5, v8
	s_delay_alu instid0(VALU_DEP_1) | instskip(NEXT) | instid1(VALU_DEP_1)
	v_min_u32_e32 v5, 32, v5
	v_subrev_nc_u32_e32 v8, 29, v5
	s_delay_alu instid0(VALU_DEP_1) | instskip(NEXT) | instid1(VALU_DEP_1)
	v_lshlrev_b64_e32 v[8:9], v8, v[2:3]
	v_dual_sub_nc_u32 v5, 30, v5 :: v_dual_bitop2_b32 v8, 3, v8 bitop3:0x40
; %bb.11331:                            ;   in Loop: Header=BB4_10490 Depth=3
	s_or_b32 exec_lo, exec_lo, s43
	v_lshlrev_b32_e32 v2, 24, v2
	s_delay_alu instid0(VALU_DEP_1) | instskip(NEXT) | instid1(VALU_DEP_1)
	v_and_b32_e32 v2, 0x80000000, v2
	v_lshl_add_u32 v2, v5, 23, v2
	s_delay_alu instid0(VALU_DEP_1) | instskip(NEXT) | instid1(VALU_DEP_1)
	v_lshl_or_b32 v2, v8, 21, v2
                                        ; implicit-def: $vgpr8
	v_add_nc_u32_e32 v5, 0x38000000, v2
                                        ; implicit-def: $vgpr2
.LBB4_11332:                            ;   in Loop: Header=BB4_10490 Depth=3
	s_and_not1_saveexec_b32 s42, s42
; %bb.11333:                            ;   in Loop: Header=BB4_10490 Depth=3
	v_bfe_i32 v2, v2, 0, 8
	s_delay_alu instid0(VALU_DEP_1) | instskip(SKIP_2) | instid1(VALU_DEP_2)
	v_cmp_lt_i16_e32 vcc_lo, -1, v2
	v_cndmask_b32_e32 v2, 0xff800000, v48, vcc_lo
	v_cmp_eq_u32_e32 vcc_lo, 0, v8
	v_cndmask_b32_e32 v5, 0x7f800001, v2, vcc_lo
; %bb.11334:                            ;   in Loop: Header=BB4_10490 Depth=3
	s_or_b32 exec_lo, exec_lo, s42
.LBB4_11335:                            ;   in Loop: Header=BB4_10490 Depth=3
	s_delay_alu instid0(SALU_CYCLE_1)
	s_or_b32 exec_lo, exec_lo, s15
.LBB4_11336:                            ;   in Loop: Header=BB4_10490 Depth=3
	s_delay_alu instid0(SALU_CYCLE_1) | instskip(SKIP_3) | instid1(VALU_DEP_1)
	s_or_b32 exec_lo, exec_lo, s14
	v_lshrrev_b32_e32 v2, 16, v10
	s_mov_b32 s15, 0
	s_mov_b32 s14, exec_lo
	v_and_b32_e32 v9, 0xff, v2
	s_delay_alu instid0(VALU_DEP_1)
	v_cmpx_lt_i16_e32 0x7f, v9
	s_xor_b32 s14, exec_lo, s14
	s_cbranch_execz .LBB4_11549
; %bb.11337:                            ;   in Loop: Header=BB4_10490 Depth=3
	s_mov_b32 s15, -1
	s_mov_b32 s42, exec_lo
	v_cmpx_eq_u16_e32 0x80, v9
; %bb.11338:                            ;   in Loop: Header=BB4_10490 Depth=3
	s_xor_b32 s15, exec_lo, -1
; %bb.11339:                            ;   in Loop: Header=BB4_10490 Depth=3
	s_or_b32 exec_lo, exec_lo, s42
	s_delay_alu instid0(SALU_CYCLE_1)
	s_and_b32 s15, s15, exec_lo
                                        ; implicit-def: $vgpr9
	s_or_saveexec_b32 s14, s14
	v_bfrev_b32_e32 v8, 1
	s_xor_b32 exec_lo, exec_lo, s14
	s_cbranch_execnz .LBB4_11550
.LBB4_11340:                            ;   in Loop: Header=BB4_10490 Depth=3
	s_or_b32 exec_lo, exec_lo, s14
	s_and_saveexec_b32 s14, s15
	s_cbranch_execz .LBB4_11342
.LBB4_11341:                            ;   in Loop: Header=BB4_10490 Depth=3
	v_and_b32_e32 v16, 3, v2
	v_bfe_u32 v18, v10, 18, 5
	s_delay_alu instid0(VALU_DEP_2) | instskip(NEXT) | instid1(VALU_DEP_2)
	v_clz_i32_u32_e32 v8, v16
	v_cmp_eq_u32_e32 vcc_lo, 0, v18
	s_delay_alu instid0(VALU_DEP_2) | instskip(NEXT) | instid1(VALU_DEP_1)
	v_min_u32_e32 v17, 32, v8
	v_subrev_nc_u32_e32 v8, 29, v17
	s_delay_alu instid0(VALU_DEP_1) | instskip(SKIP_2) | instid1(VALU_DEP_2)
	v_lshlrev_b64_e32 v[8:9], v8, v[2:3]
	v_dual_lshlrev_b32 v9, 24, v2 :: v_dual_sub_nc_u32 v17, 30, v17
	v_bfe_i32 v2, v2, 0, 8
	v_and_b32_e32 v9, 0x80000000, v9
	s_delay_alu instid0(VALU_DEP_3) | instskip(NEXT) | instid1(VALU_DEP_1)
	v_dual_cndmask_b32 v17, v18, v17, vcc_lo :: v_dual_bitop2_b32 v8, 3, v8 bitop3:0x40
	v_cndmask_b32_e32 v8, v16, v8, vcc_lo
	s_delay_alu instid0(VALU_DEP_2) | instskip(SKIP_1) | instid1(VALU_DEP_2)
	v_lshl_add_u32 v9, v17, 23, v9
	v_cmp_lt_i16_e32 vcc_lo, -1, v2
	v_lshl_or_b32 v8, v8, 21, v9
	v_cndmask_b32_e32 v2, 0xff800000, v48, vcc_lo
	v_and_b32_e32 v9, 0x7c0000, v10
	v_cmp_eq_u32_e32 vcc_lo, 0, v16
	s_delay_alu instid0(VALU_DEP_4) | instskip(NEXT) | instid1(VALU_DEP_4)
	v_add_nc_u32_e32 v8, 0x38000000, v8
	v_cndmask_b32_e32 v2, 0x7f800001, v2, vcc_lo
	s_delay_alu instid0(VALU_DEP_4) | instskip(NEXT) | instid1(VALU_DEP_2)
	v_cmp_eq_u32_e32 vcc_lo, 0x7c0000, v9
	v_cndmask_b32_e32 v8, v8, v2, vcc_lo
.LBB4_11342:                            ;   in Loop: Header=BB4_10490 Depth=3
	s_or_b32 exec_lo, exec_lo, s14
	s_delay_alu instid0(VALU_DEP_1) | instskip(SKIP_2) | instid1(VALU_DEP_2)
	v_dual_add_f32 v5, v5, v8 :: v_dual_mov_b32 v17, v3
	v_mov_b32_e32 v9, v3
                                        ; implicit-def: $vgpr119
	s_mov_b32 s14, exec_lo
	v_and_b32_e32 v16, 0x7f800000, v5
	v_and_b32_e32 v8, 0x7fffff, v5
	v_lshrrev_b32_e32 v2, 24, v5
	s_delay_alu instid0(VALU_DEP_3)
	v_cmpx_ne_u64_e32 0x7f800000, v[16:17]
	s_xor_b32 s15, exec_lo, s14
	s_cbranch_execz .LBB4_11356
; %bb.11343:                            ;   in Loop: Header=BB4_10490 Depth=3
	v_and_b32_e32 v16, 0x7fffffff, v5
	v_mov_b32_e32 v17, v3
	v_and_b32_e32 v2, 0x80, v2
                                        ; implicit-def: $vgpr119
	s_mov_b32 s14, exec_lo
	s_delay_alu instid0(VALU_DEP_2)
	v_cmpx_gt_u64_e32 0x47600001, v[16:17]
	s_xor_b32 s42, exec_lo, s14
	s_cbranch_execz .LBB4_11353
; %bb.11344:                            ;   in Loop: Header=BB4_10490 Depth=3
	v_mov_b32_e32 v119, 0
	s_mov_b32 s43, exec_lo
	v_cmpx_ne_u32_e32 0, v5
	s_cbranch_execz .LBB4_11352
; %bb.11345:                            ;   in Loop: Header=BB4_10490 Depth=3
	v_bfe_u32 v5, v5, 23, 8
	v_or_b32_e32 v19, 0x800000, v8
	s_delay_alu instid0(VALU_DEP_2) | instskip(SKIP_1) | instid1(VALU_DEP_2)
	v_sub_nc_u32_e32 v16, 0x71, v5
	v_cmp_gt_u32_e32 vcc_lo, 0x72, v5
	v_cndmask_b32_e32 v16, 0, v16, vcc_lo
	v_cmp_eq_u32_e32 vcc_lo, 0, v5
	s_delay_alu instid0(VALU_DEP_2) | instskip(NEXT) | instid1(VALU_DEP_1)
	v_cndmask_b32_e64 v18, v16, 0x70, vcc_lo
	v_dual_cndmask_b32 v8, v19, v8, vcc_lo :: v_dual_add_nc_u32 v16, 21, v18
	v_add_nc_u32_e32 v86, 20, v18
	s_delay_alu instid0(VALU_DEP_2) | instskip(NEXT) | instid1(VALU_DEP_2)
	v_lshlrev_b64_e64 v[16:17], v16, -1
	v_lshlrev_b64_e64 v[86:87], v86, 1
	s_delay_alu instid0(VALU_DEP_2) | instskip(SKIP_1) | instid1(VALU_DEP_4)
	v_bfi_b32 v16, v16, 0, v8
	v_lshrrev_b64 v[8:9], v18, v[8:9]
	v_bfi_b32 v17, v17, 0, 0
	s_delay_alu instid0(VALU_DEP_1) | instskip(NEXT) | instid1(VALU_DEP_3)
	v_cmp_eq_u64_e64 s14, v[16:17], v[86:87]
	v_mov_b64_e32 v[16:17], v[8:9]
	s_and_saveexec_b32 s78, s14
; %bb.11346:                            ;   in Loop: Header=BB4_10490 Depth=3
	v_bfe_u32 v16, v8, 21, 1
	v_mov_b32_e32 v17, v3
	s_delay_alu instid0(VALU_DEP_1) | instskip(NEXT) | instid1(VALU_DEP_1)
	v_add_nc_u64_e32 v[16:17], v[8:9], v[16:17]
	v_add_nc_u64_e32 v[16:17], -1, v[16:17]
; %bb.11347:                            ;   in Loop: Header=BB4_10490 Depth=3
	s_or_b32 exec_lo, exec_lo, s78
	v_add_nc_u32_e32 v5, 0xffffff81, v5
	v_lshrrev_b32_e32 v9, 23, v8
	s_mov_b32 s14, exec_lo
	s_delay_alu instid0(VALU_DEP_2) | instskip(NEXT) | instid1(VALU_DEP_1)
	v_cndmask_b32_e64 v5, v5, 0xffffff82, vcc_lo
	v_add3_u32 v17, v18, v5, v9
	v_and_b32_e32 v5, 0x1fffff, v16
	s_delay_alu instid0(VALU_DEP_2) | instskip(NEXT) | instid1(VALU_DEP_2)
	v_dual_mov_b32 v9, v3 :: v_dual_add_nc_u32 v16, 14, v17
	v_add_nc_u32_e32 v8, v5, v8
                                        ; implicit-def: $vgpr5
	s_delay_alu instid0(VALU_DEP_2)
	v_cmpx_ne_u32_e32 0, v16
	s_xor_b32 s14, exec_lo, s14
; %bb.11348:                            ;   in Loop: Header=BB4_10490 Depth=3
	s_delay_alu instid0(VALU_DEP_2) | instskip(SKIP_1) | instid1(VALU_DEP_1)
	v_cmp_lt_u64_e32 vcc_lo, 0xffffff, v[8:9]
	v_add_nc_u32_e32 v5, 15, v17
	v_cndmask_b32_e32 v5, v16, v5, vcc_lo
	v_cndmask_b32_e64 v16, 0, 1, vcc_lo
	s_delay_alu instid0(VALU_DEP_1)
	v_lshrrev_b64 v[8:9], v16, v[8:9]
; %bb.11349:                            ;   in Loop: Header=BB4_10490 Depth=3
	s_and_not1_saveexec_b32 s14, s14
; %bb.11350:                            ;   in Loop: Header=BB4_10490 Depth=3
	s_delay_alu instid0(VALU_DEP_1)
	v_bfe_u32 v5, v8, 23, 1
; %bb.11351:                            ;   in Loop: Header=BB4_10490 Depth=3
	s_or_b32 exec_lo, exec_lo, s14
	s_delay_alu instid0(VALU_DEP_2) | instskip(NEXT) | instid1(VALU_DEP_2)
	v_lshrrev_b64 v[8:9], 21, v[8:9]
	v_cmp_gt_i32_e32 vcc_lo, 32, v5
	v_min_i32_e32 v16, 31, v5
	v_cmp_eq_u32_e64 s14, 0, v5
	s_delay_alu instid0(VALU_DEP_4) | instskip(NEXT) | instid1(VALU_DEP_3)
	v_cndmask_b32_e32 v8, 3, v8, vcc_lo
	v_dual_cndmask_b32 v9, 0, v9 :: v_dual_lshlrev_b32 v16, 2, v16
	s_delay_alu instid0(VALU_DEP_1) | instskip(NEXT) | instid1(VALU_DEP_2)
	v_and_b32_e32 v16, 0xfc, v16
	v_cmp_eq_u64_e32 vcc_lo, 0, v[8:9]
	s_delay_alu instid0(VALU_DEP_2)
	v_and_or_b32 v5, v8, 3, v16
	s_and_b32 s14, s14, vcc_lo
	s_delay_alu instid0(VALU_DEP_1) | instid1(SALU_CYCLE_1)
	v_cndmask_b32_e64 v5, v5, 0, s14
	s_delay_alu instid0(VALU_DEP_1)
	v_or_b32_e32 v119, v5, v2
.LBB4_11352:                            ;   in Loop: Header=BB4_10490 Depth=3
	s_or_b32 exec_lo, exec_lo, s43
                                        ; implicit-def: $vgpr2
.LBB4_11353:                            ;   in Loop: Header=BB4_10490 Depth=3
	s_and_not1_saveexec_b32 s14, s42
; %bb.11354:                            ;   in Loop: Header=BB4_10490 Depth=3
	v_or_b32_e32 v119, 0x7b, v2
; %bb.11355:                            ;   in Loop: Header=BB4_10490 Depth=3
	s_or_b32 exec_lo, exec_lo, s14
                                        ; implicit-def: $vgpr5
                                        ; implicit-def: $vgpr8_vgpr9
                                        ; implicit-def: $vgpr2
.LBB4_11356:                            ;   in Loop: Header=BB4_10490 Depth=3
	s_and_not1_saveexec_b32 s14, s15
	s_cbranch_execz .LBB4_11362
; %bb.11357:                            ;   in Loop: Header=BB4_10490 Depth=3
	s_mov_b32 s15, exec_lo
                                        ; implicit-def: $vgpr119
	v_cmpx_ne_u64_e32 0, v[8:9]
	s_xor_b32 s15, exec_lo, s15
; %bb.11358:                            ;   in Loop: Header=BB4_10490 Depth=3
	v_or_b32_e32 v119, 0x7f, v2
                                        ; implicit-def: $vgpr5
; %bb.11359:                            ;   in Loop: Header=BB4_10490 Depth=3
	s_and_not1_saveexec_b32 s15, s15
; %bb.11360:                            ;   in Loop: Header=BB4_10490 Depth=3
	v_cmp_lt_i32_e32 vcc_lo, -1, v5
	v_cndmask_b32_e32 v119, 0xfc, v49, vcc_lo
; %bb.11361:                            ;   in Loop: Header=BB4_10490 Depth=3
	s_or_b32 exec_lo, exec_lo, s15
.LBB4_11362:                            ;   in Loop: Header=BB4_10490 Depth=3
	s_delay_alu instid0(SALU_CYCLE_1)
	s_or_b32 exec_lo, exec_lo, s14
	v_mov_b32_e32 v8, 0
	s_mov_b32 s14, exec_lo
	v_cmpx_lt_u32_e32 0xffffff, v4
	s_cbranch_execz .LBB4_11372
; %bb.11363:                            ;   in Loop: Header=BB4_10490 Depth=3
	v_lshrrev_b32_e32 v2, 24, v4
	v_bfrev_b32_e32 v8, 1
	s_mov_b32 s15, exec_lo
	s_delay_alu instid0(VALU_DEP_2)
	v_cmpx_ne_u32_e32 0x80, v2
	s_cbranch_execz .LBB4_11371
; %bb.11364:                            ;   in Loop: Header=BB4_10490 Depth=3
	v_and_b32_e32 v5, 0x7c000000, v4
	v_bfe_u32 v9, v4, 24, 2
	s_mov_b32 s42, exec_lo
                                        ; implicit-def: $vgpr8
	s_delay_alu instid0(VALU_DEP_2)
	v_cmpx_ne_u32_e32 0x7c000000, v5
	s_xor_b32 s42, exec_lo, s42
	s_cbranch_execz .LBB4_11368
; %bb.11365:                            ;   in Loop: Header=BB4_10490 Depth=3
	v_bfe_u32 v5, v4, 26, 5
	s_mov_b32 s43, exec_lo
	s_delay_alu instid0(VALU_DEP_1)
	v_cmpx_eq_u32_e32 0, v5
; %bb.11366:                            ;   in Loop: Header=BB4_10490 Depth=3
	v_clz_i32_u32_e32 v5, v9
	s_delay_alu instid0(VALU_DEP_1) | instskip(NEXT) | instid1(VALU_DEP_1)
	v_min_u32_e32 v5, 32, v5
	v_subrev_nc_u32_e32 v8, 29, v5
	s_delay_alu instid0(VALU_DEP_1) | instskip(NEXT) | instid1(VALU_DEP_1)
	v_lshlrev_b64_e32 v[8:9], v8, v[2:3]
	v_dual_sub_nc_u32 v5, 30, v5 :: v_dual_bitop2_b32 v9, 3, v8 bitop3:0x40
; %bb.11367:                            ;   in Loop: Header=BB4_10490 Depth=3
	s_or_b32 exec_lo, exec_lo, s43
	v_and_b32_e32 v2, 0x80000000, v4
	s_delay_alu instid0(VALU_DEP_1) | instskip(NEXT) | instid1(VALU_DEP_1)
	v_lshl_add_u32 v2, v5, 23, v2
                                        ; implicit-def: $vgpr4_vgpr5
	v_lshl_or_b32 v2, v9, 21, v2
                                        ; implicit-def: $vgpr9
	s_delay_alu instid0(VALU_DEP_1)
	v_add_nc_u32_e32 v8, 0x38000000, v2
.LBB4_11368:                            ;   in Loop: Header=BB4_10490 Depth=3
	s_and_not1_saveexec_b32 s42, s42
; %bb.11369:                            ;   in Loop: Header=BB4_10490 Depth=3
	v_cmp_lt_i32_e32 vcc_lo, -1, v4
	v_cndmask_b32_e32 v2, 0xff800000, v48, vcc_lo
	v_cmp_eq_u32_e32 vcc_lo, 0, v9
	s_delay_alu instid0(VALU_DEP_2)
	v_cndmask_b32_e32 v8, 0x7f800001, v2, vcc_lo
; %bb.11370:                            ;   in Loop: Header=BB4_10490 Depth=3
	s_or_b32 exec_lo, exec_lo, s42
.LBB4_11371:                            ;   in Loop: Header=BB4_10490 Depth=3
	s_delay_alu instid0(SALU_CYCLE_1)
	s_or_b32 exec_lo, exec_lo, s15
.LBB4_11372:                            ;   in Loop: Header=BB4_10490 Depth=3
	s_delay_alu instid0(SALU_CYCLE_1) | instskip(SKIP_3) | instid1(VALU_DEP_2)
	s_or_b32 exec_lo, exec_lo, s14
	v_bfe_u32 v9, v10, 24, 2
	v_bfe_u32 v17, v10, 26, 5
                                        ; implicit-def: $vgpr41
	s_mov_b32 s14, exec_lo
	v_clz_i32_u32_e32 v2, v9
	s_delay_alu instid0(VALU_DEP_2) | instskip(NEXT) | instid1(VALU_DEP_2)
	v_cmp_eq_u32_e32 vcc_lo, 0, v17
	v_min_u32_e32 v16, 32, v2
	v_lshrrev_b32_e32 v2, 24, v10
	s_delay_alu instid0(VALU_DEP_2) | instskip(NEXT) | instid1(VALU_DEP_1)
	v_subrev_nc_u32_e32 v4, 29, v16
	v_lshlrev_b64_e32 v[4:5], v4, v[2:3]
	v_sub_nc_u32_e32 v5, 30, v16
	v_and_b32_e32 v16, 0x80000000, v10
	s_delay_alu instid0(VALU_DEP_2) | instskip(SKIP_1) | instid1(VALU_DEP_2)
	v_dual_cndmask_b32 v5, v17, v5, vcc_lo :: v_dual_bitop2_b32 v4, 3, v4 bitop3:0x40
	v_mov_b32_e32 v17, v3
	v_lshl_add_u32 v5, v5, 23, v16
	s_delay_alu instid0(VALU_DEP_3) | instskip(SKIP_1) | instid1(VALU_DEP_2)
	v_cndmask_b32_e32 v4, v9, v4, vcc_lo
	v_cmp_lt_i32_e32 vcc_lo, -1, v10
	v_lshl_or_b32 v4, v4, 21, v5
	v_cndmask_b32_e32 v16, 0xff800000, v48, vcc_lo
	v_and_b32_e32 v5, 0x7c000000, v10
	v_cmp_eq_u32_e32 vcc_lo, 0, v9
	s_delay_alu instid0(VALU_DEP_4) | instskip(NEXT) | instid1(VALU_DEP_4)
	v_add_nc_u32_e32 v4, 0x38000000, v4
	v_cndmask_b32_e32 v9, 0x7f800001, v16, vcc_lo
	s_delay_alu instid0(VALU_DEP_4) | instskip(NEXT) | instid1(VALU_DEP_2)
	v_cmp_eq_u32_e32 vcc_lo, 0x7c000000, v5
	v_dual_mov_b32 v5, v3 :: v_dual_cndmask_b32 v4, v4, v9
	v_cmp_ne_u32_e32 vcc_lo, 0x80, v2
	s_delay_alu instid0(VALU_DEP_2) | instskip(SKIP_1) | instid1(VALU_DEP_2)
	v_cndmask_b32_e32 v2, 0x80000000, v4, vcc_lo
	v_cmp_lt_u32_e32 vcc_lo, 0xffffff, v10
	v_cndmask_b32_e32 v2, 0, v2, vcc_lo
	s_delay_alu instid0(VALU_DEP_1) | instskip(NEXT) | instid1(VALU_DEP_1)
	v_add_f32_e32 v8, v2, v8
	v_and_b32_e32 v16, 0x7f800000, v8
	v_and_b32_e32 v4, 0x7fffff, v8
	v_lshrrev_b32_e32 v2, 24, v8
	s_delay_alu instid0(VALU_DEP_3)
	v_cmpx_ne_u64_e32 0x7f800000, v[16:17]
	s_xor_b32 s15, exec_lo, s14
	s_cbranch_execz .LBB4_11386
; %bb.11373:                            ;   in Loop: Header=BB4_10490 Depth=3
	v_and_b32_e32 v16, 0x7fffffff, v8
	v_mov_b32_e32 v17, v3
	v_and_b32_e32 v2, 0x80, v2
                                        ; implicit-def: $vgpr41
	s_mov_b32 s14, exec_lo
	s_delay_alu instid0(VALU_DEP_2)
	v_cmpx_gt_u64_e32 0x47600001, v[16:17]
	s_xor_b32 s42, exec_lo, s14
	s_cbranch_execz .LBB4_11383
; %bb.11374:                            ;   in Loop: Header=BB4_10490 Depth=3
	v_mov_b32_e32 v41, 0
	s_mov_b32 s43, exec_lo
	v_cmpx_ne_u32_e32 0, v8
	s_cbranch_execz .LBB4_11382
; %bb.11375:                            ;   in Loop: Header=BB4_10490 Depth=3
	v_bfe_u32 v16, v8, 23, 8
	v_or_b32_e32 v18, 0x800000, v4
	s_delay_alu instid0(VALU_DEP_2) | instskip(SKIP_1) | instid1(VALU_DEP_2)
	v_sub_nc_u32_e32 v8, 0x71, v16
	v_cmp_gt_u32_e32 vcc_lo, 0x72, v16
	v_cndmask_b32_e32 v8, 0, v8, vcc_lo
	v_cmp_eq_u32_e32 vcc_lo, 0, v16
	s_delay_alu instid0(VALU_DEP_2) | instskip(NEXT) | instid1(VALU_DEP_1)
	v_cndmask_b32_e64 v17, v8, 0x70, vcc_lo
	v_dual_cndmask_b32 v4, v18, v4, vcc_lo :: v_dual_add_nc_u32 v8, 21, v17
	v_add_nc_u32_e32 v19, 20, v17
	s_delay_alu instid0(VALU_DEP_2) | instskip(NEXT) | instid1(VALU_DEP_2)
	v_lshlrev_b64_e64 v[8:9], v8, -1
	v_lshlrev_b64_e64 v[18:19], v19, 1
	s_delay_alu instid0(VALU_DEP_2) | instskip(SKIP_1) | instid1(VALU_DEP_4)
	v_bfi_b32 v8, v8, 0, v4
	v_lshrrev_b64 v[4:5], v17, v[4:5]
	v_bfi_b32 v9, v9, 0, 0
	s_delay_alu instid0(VALU_DEP_1) | instskip(NEXT) | instid1(VALU_DEP_3)
	v_cmp_eq_u64_e64 s14, v[8:9], v[18:19]
	v_mov_b64_e32 v[8:9], v[4:5]
	s_and_saveexec_b32 s78, s14
; %bb.11376:                            ;   in Loop: Header=BB4_10490 Depth=3
	v_bfe_u32 v8, v4, 21, 1
	v_mov_b32_e32 v9, v3
	s_delay_alu instid0(VALU_DEP_1) | instskip(NEXT) | instid1(VALU_DEP_1)
	v_add_nc_u64_e32 v[8:9], v[4:5], v[8:9]
	v_add_nc_u64_e32 v[8:9], -1, v[8:9]
; %bb.11377:                            ;   in Loop: Header=BB4_10490 Depth=3
	s_or_b32 exec_lo, exec_lo, s78
	v_add_nc_u32_e32 v5, 0xffffff81, v16
	v_lshrrev_b32_e32 v9, 23, v4
	s_mov_b32 s14, exec_lo
	s_delay_alu instid0(VALU_DEP_2) | instskip(NEXT) | instid1(VALU_DEP_1)
	v_cndmask_b32_e64 v5, v5, 0xffffff82, vcc_lo
	v_add3_u32 v9, v17, v5, v9
	v_and_b32_e32 v5, 0x1fffff, v8
                                        ; implicit-def: $vgpr8
	s_delay_alu instid0(VALU_DEP_1) | instskip(SKIP_1) | instid1(VALU_DEP_2)
	v_dual_add_nc_u32 v16, 14, v9 :: v_dual_add_nc_u32 v4, v5, v4
	v_mov_b32_e32 v5, v3
	v_cmpx_ne_u32_e32 0, v16
	s_xor_b32 s14, exec_lo, s14
; %bb.11378:                            ;   in Loop: Header=BB4_10490 Depth=3
	s_delay_alu instid0(VALU_DEP_2) | instskip(SKIP_2) | instid1(VALU_DEP_2)
	v_cmp_lt_u64_e32 vcc_lo, 0xffffff, v[4:5]
	v_add_nc_u32_e32 v8, 15, v9
	v_cndmask_b32_e64 v9, 0, 1, vcc_lo
	v_cndmask_b32_e32 v8, v16, v8, vcc_lo
	s_delay_alu instid0(VALU_DEP_2)
	v_lshrrev_b64 v[4:5], v9, v[4:5]
; %bb.11379:                            ;   in Loop: Header=BB4_10490 Depth=3
	s_and_not1_saveexec_b32 s14, s14
; %bb.11380:                            ;   in Loop: Header=BB4_10490 Depth=3
	s_delay_alu instid0(VALU_DEP_1)
	v_bfe_u32 v8, v4, 23, 1
; %bb.11381:                            ;   in Loop: Header=BB4_10490 Depth=3
	s_or_b32 exec_lo, exec_lo, s14
	s_delay_alu instid0(VALU_DEP_2) | instskip(NEXT) | instid1(VALU_DEP_2)
	v_lshrrev_b64 v[4:5], 21, v[4:5]
	v_cmp_gt_i32_e32 vcc_lo, 32, v8
	v_min_i32_e32 v9, 31, v8
	v_cmp_eq_u32_e64 s14, 0, v8
	s_delay_alu instid0(VALU_DEP_4) | instskip(NEXT) | instid1(VALU_DEP_3)
	v_cndmask_b32_e32 v5, 0, v5, vcc_lo
	v_dual_cndmask_b32 v4, 3, v4 :: v_dual_lshlrev_b32 v9, 2, v9
	s_delay_alu instid0(VALU_DEP_1) | instskip(NEXT) | instid1(VALU_DEP_2)
	v_and_b32_e32 v9, 0xfc, v9
	v_cmp_eq_u64_e32 vcc_lo, 0, v[4:5]
	s_delay_alu instid0(VALU_DEP_2)
	v_and_or_b32 v4, v4, 3, v9
	s_and_b32 s14, s14, vcc_lo
	s_delay_alu instid0(VALU_DEP_1) | instid1(SALU_CYCLE_1)
	v_cndmask_b32_e64 v4, v4, 0, s14
	s_delay_alu instid0(VALU_DEP_1)
	v_or_b32_e32 v41, v4, v2
.LBB4_11382:                            ;   in Loop: Header=BB4_10490 Depth=3
	s_or_b32 exec_lo, exec_lo, s43
                                        ; implicit-def: $vgpr2
.LBB4_11383:                            ;   in Loop: Header=BB4_10490 Depth=3
	s_and_not1_saveexec_b32 s14, s42
; %bb.11384:                            ;   in Loop: Header=BB4_10490 Depth=3
	v_or_b32_e32 v41, 0x7b, v2
; %bb.11385:                            ;   in Loop: Header=BB4_10490 Depth=3
	s_or_b32 exec_lo, exec_lo, s14
                                        ; implicit-def: $vgpr8
                                        ; implicit-def: $vgpr4_vgpr5
                                        ; implicit-def: $vgpr2
.LBB4_11386:                            ;   in Loop: Header=BB4_10490 Depth=3
	s_and_not1_saveexec_b32 s14, s15
	s_cbranch_execz .LBB4_11392
; %bb.11387:                            ;   in Loop: Header=BB4_10490 Depth=3
	s_mov_b32 s15, exec_lo
                                        ; implicit-def: $vgpr41
	v_cmpx_ne_u64_e32 0, v[4:5]
	s_xor_b32 s15, exec_lo, s15
; %bb.11388:                            ;   in Loop: Header=BB4_10490 Depth=3
	v_or_b32_e32 v41, 0x7f, v2
                                        ; implicit-def: $vgpr8
; %bb.11389:                            ;   in Loop: Header=BB4_10490 Depth=3
	s_and_not1_saveexec_b32 s15, s15
; %bb.11390:                            ;   in Loop: Header=BB4_10490 Depth=3
	v_cmp_lt_i32_e32 vcc_lo, -1, v8
	v_cndmask_b32_e32 v41, 0xfc, v49, vcc_lo
; %bb.11391:                            ;   in Loop: Header=BB4_10490 Depth=3
	s_or_b32 exec_lo, exec_lo, s15
.LBB4_11392:                            ;   in Loop: Header=BB4_10490 Depth=3
	s_delay_alu instid0(SALU_CYCLE_1) | instskip(SKIP_4) | instid1(VALU_DEP_2)
	s_or_b32 exec_lo, exec_lo, s14
	v_dual_lshlrev_b32 v4, 24, v118 :: v_dual_lshlrev_b32 v8, 16, v115
	v_lshl_or_b32 v2, v103, 8, v67
	v_dual_mov_b32 v5, v3 :: v_dual_mov_b32 v16, 0
	s_mov_b32 s14, exec_lo
	v_or3_b32 v4, v8, v4, v2
	v_cmpx_ne_u32_e32 0, v67
	s_cbranch_execz .LBB4_11402
; %bb.11393:                            ;   in Loop: Header=BB4_10490 Depth=3
	v_bfrev_b32_e32 v16, 1
	s_mov_b32 s15, exec_lo
	v_cmpx_ne_u32_e32 0x80, v67
	s_cbranch_execz .LBB4_11401
; %bb.11394:                            ;   in Loop: Header=BB4_10490 Depth=3
	v_and_b32_e32 v9, 0x7c, v67
	v_and_b32_e32 v8, 3, v67
	s_mov_b32 s42, exec_lo
                                        ; implicit-def: $vgpr16
	s_delay_alu instid0(VALU_DEP_2)
	v_cmpx_ne_u32_e32 0x7c, v9
	s_xor_b32 s42, exec_lo, s42
	s_cbranch_execz .LBB4_11398
; %bb.11395:                            ;   in Loop: Header=BB4_10490 Depth=3
	v_bfe_u32 v9, v67, 2, 5
	s_mov_b32 s43, exec_lo
	s_delay_alu instid0(VALU_DEP_1)
	v_cmpx_eq_u32_e32 0, v9
; %bb.11396:                            ;   in Loop: Header=BB4_10490 Depth=3
	v_clz_i32_u32_e32 v8, v8
	s_delay_alu instid0(VALU_DEP_1) | instskip(NEXT) | instid1(VALU_DEP_1)
	v_min_u32_e32 v16, 32, v8
	v_subrev_nc_u32_e32 v8, 29, v16
	s_delay_alu instid0(VALU_DEP_1) | instskip(SKIP_1) | instid1(VALU_DEP_2)
	v_lshlrev_b64_e32 v[8:9], v8, v[4:5]
	v_sub_nc_u32_e32 v9, 30, v16
	v_and_b32_e32 v8, 3, v8
; %bb.11397:                            ;   in Loop: Header=BB4_10490 Depth=3
	s_or_b32 exec_lo, exec_lo, s43
	v_lshlrev_b32_e32 v5, 24, v67
                                        ; implicit-def: $vgpr67
	s_delay_alu instid0(VALU_DEP_1) | instskip(NEXT) | instid1(VALU_DEP_1)
	v_and_b32_e32 v5, 0x80000000, v5
	v_lshl_add_u32 v5, v9, 23, v5
	s_delay_alu instid0(VALU_DEP_1) | instskip(NEXT) | instid1(VALU_DEP_1)
	v_lshl_or_b32 v5, v8, 21, v5
                                        ; implicit-def: $vgpr8
	v_add_nc_u32_e32 v16, 0x38000000, v5
.LBB4_11398:                            ;   in Loop: Header=BB4_10490 Depth=3
	s_and_not1_saveexec_b32 s42, s42
; %bb.11399:                            ;   in Loop: Header=BB4_10490 Depth=3
	v_and_b32_e32 v5, 0x80, v67
	s_delay_alu instid0(VALU_DEP_1) | instskip(SKIP_2) | instid1(VALU_DEP_2)
	v_cmp_eq_u32_e32 vcc_lo, 0, v5
	v_cndmask_b32_e32 v5, 0xff800000, v48, vcc_lo
	v_cmp_eq_u32_e32 vcc_lo, 0, v8
	v_cndmask_b32_e32 v16, 0x7f800001, v5, vcc_lo
; %bb.11400:                            ;   in Loop: Header=BB4_10490 Depth=3
	s_or_b32 exec_lo, exec_lo, s42
.LBB4_11401:                            ;   in Loop: Header=BB4_10490 Depth=3
	s_delay_alu instid0(SALU_CYCLE_1)
	s_or_b32 exec_lo, exec_lo, s15
.LBB4_11402:                            ;   in Loop: Header=BB4_10490 Depth=3
	s_delay_alu instid0(SALU_CYCLE_1) | instskip(SKIP_4) | instid1(VALU_DEP_2)
	s_or_b32 exec_lo, exec_lo, s14
	v_and_b32_e32 v9, 0xff, v11
	v_mov_b32_e32 v8, v11
	s_mov_b32 s15, 0
	s_mov_b32 s14, exec_lo
	v_cmpx_lt_i16_e32 0x7f, v9
	s_xor_b32 s14, exec_lo, s14
	s_cbranch_execz .LBB4_11551
; %bb.11403:                            ;   in Loop: Header=BB4_10490 Depth=3
	s_mov_b32 s15, -1
	s_mov_b32 s42, exec_lo
	v_cmpx_eq_u16_e32 0x80, v9
; %bb.11404:                            ;   in Loop: Header=BB4_10490 Depth=3
	s_xor_b32 s15, exec_lo, -1
; %bb.11405:                            ;   in Loop: Header=BB4_10490 Depth=3
	s_or_b32 exec_lo, exec_lo, s42
	s_delay_alu instid0(SALU_CYCLE_1)
	s_and_b32 s15, s15, exec_lo
                                        ; implicit-def: $vgpr9
	s_or_saveexec_b32 s14, s14
	v_bfrev_b32_e32 v5, 1
	s_xor_b32 exec_lo, exec_lo, s14
	s_cbranch_execnz .LBB4_11552
.LBB4_11406:                            ;   in Loop: Header=BB4_10490 Depth=3
	s_or_b32 exec_lo, exec_lo, s14
	v_mov_b32_e32 v9, v3
	s_and_saveexec_b32 s14, s15
	s_cbranch_execz .LBB4_11408
.LBB4_11407:                            ;   in Loop: Header=BB4_10490 Depth=3
	v_and_b32_e32 v5, 3, v11
	s_delay_alu instid0(VALU_DEP_1) | instskip(NEXT) | instid1(VALU_DEP_1)
	v_clz_i32_u32_e32 v17, v5
	v_min_u32_e32 v17, 32, v17
	s_delay_alu instid0(VALU_DEP_1) | instskip(NEXT) | instid1(VALU_DEP_1)
	v_subrev_nc_u32_e32 v18, 29, v17
	v_lshlrev_b64_e32 v[18:19], v18, v[8:9]
	v_bfe_u32 v19, v11, 2, 5
	v_dual_lshlrev_b32 v9, 24, v11 :: v_dual_sub_nc_u32 v17, 30, v17
	s_delay_alu instid0(VALU_DEP_2) | instskip(NEXT) | instid1(VALU_DEP_2)
	v_cmp_eq_u32_e32 vcc_lo, 0, v19
	v_and_b32_e32 v9, 0x80000000, v9
	s_delay_alu instid0(VALU_DEP_3) | instskip(SKIP_1) | instid1(VALU_DEP_2)
	v_dual_cndmask_b32 v17, v19, v17, vcc_lo :: v_dual_bitop2_b32 v18, 3, v18 bitop3:0x40
	v_bfe_i32 v19, v11, 0, 8
	v_cndmask_b32_e32 v18, v5, v18, vcc_lo
	s_delay_alu instid0(VALU_DEP_3) | instskip(NEXT) | instid1(VALU_DEP_3)
	v_lshl_add_u32 v9, v17, 23, v9
	v_cmp_lt_i16_e32 vcc_lo, -1, v19
	s_delay_alu instid0(VALU_DEP_2) | instskip(SKIP_3) | instid1(VALU_DEP_4)
	v_lshl_or_b32 v9, v18, 21, v9
	v_cndmask_b32_e32 v17, 0xff800000, v48, vcc_lo
	v_and_b32_e32 v18, 0x7c, v11
	v_cmp_eq_u32_e32 vcc_lo, 0, v5
	v_add_nc_u32_e32 v9, 0x38000000, v9
	s_delay_alu instid0(VALU_DEP_4) | instskip(NEXT) | instid1(VALU_DEP_4)
	v_cndmask_b32_e32 v5, 0x7f800001, v17, vcc_lo
	v_cmp_eq_u32_e32 vcc_lo, 0x7c, v18
	s_delay_alu instid0(VALU_DEP_2)
	v_cndmask_b32_e32 v5, v9, v5, vcc_lo
.LBB4_11408:                            ;   in Loop: Header=BB4_10490 Depth=3
	s_or_b32 exec_lo, exec_lo, s14
	s_delay_alu instid0(VALU_DEP_1) | instskip(NEXT) | instid1(VALU_DEP_1)
	v_dual_add_f32 v9, v16, v5 :: v_dual_mov_b32 v19, v3
	v_dual_mov_b32 v17, v3 :: v_dual_lshrrev_b32 v5, 24, v9
	v_and_b32_e32 v18, 0x7f800000, v9
	v_and_b32_e32 v16, 0x7fffff, v9
	s_delay_alu instid0(VALU_DEP_2) | instskip(SKIP_1) | instid1(SALU_CYCLE_1)
	v_cmp_ne_u64_e32 vcc_lo, 0x7f800000, v[18:19]
                                        ; implicit-def: $vgpr18
	s_and_saveexec_b32 s14, vcc_lo
	s_xor_b32 s15, exec_lo, s14
	s_cbranch_execz .LBB4_11422
; %bb.11409:                            ;   in Loop: Header=BB4_10490 Depth=3
	v_and_b32_e32 v18, 0x7fffffff, v9
	v_mov_b32_e32 v19, v3
	v_and_b32_e32 v5, 0x80, v5
	s_delay_alu instid0(VALU_DEP_2) | instskip(SKIP_1) | instid1(SALU_CYCLE_1)
	v_cmp_gt_u64_e32 vcc_lo, 0x47600001, v[18:19]
                                        ; implicit-def: $vgpr18
	s_and_saveexec_b32 s14, vcc_lo
	s_xor_b32 s42, exec_lo, s14
	s_cbranch_execz .LBB4_11419
; %bb.11410:                            ;   in Loop: Header=BB4_10490 Depth=3
	v_mov_b32_e32 v18, 0
	s_mov_b32 s43, exec_lo
	v_cmpx_ne_u32_e32 0, v9
	s_cbranch_execz .LBB4_11418
; %bb.11411:                            ;   in Loop: Header=BB4_10490 Depth=3
	v_bfe_u32 v9, v9, 23, 8
	v_or_b32_e32 v86, 0x800000, v16
	s_delay_alu instid0(VALU_DEP_2) | instskip(SKIP_1) | instid1(VALU_DEP_2)
	v_sub_nc_u32_e32 v18, 0x71, v9
	v_cmp_gt_u32_e32 vcc_lo, 0x72, v9
	v_cndmask_b32_e32 v18, 0, v18, vcc_lo
	v_cmp_eq_u32_e32 vcc_lo, 0, v9
	s_delay_alu instid0(VALU_DEP_2) | instskip(NEXT) | instid1(VALU_DEP_1)
	v_cndmask_b32_e64 v67, v18, 0x70, vcc_lo
	v_dual_cndmask_b32 v16, v86, v16, vcc_lo :: v_dual_add_nc_u32 v18, 21, v67
	v_add_nc_u32_e32 v87, 20, v67
	s_delay_alu instid0(VALU_DEP_2) | instskip(NEXT) | instid1(VALU_DEP_2)
	v_lshlrev_b64_e64 v[18:19], v18, -1
	v_lshlrev_b64_e64 v[86:87], v87, 1
	s_delay_alu instid0(VALU_DEP_2) | instskip(SKIP_1) | instid1(VALU_DEP_4)
	v_bfi_b32 v18, v18, 0, v16
	v_lshrrev_b64 v[16:17], v67, v[16:17]
	v_bfi_b32 v19, v19, 0, 0
	s_delay_alu instid0(VALU_DEP_1) | instskip(NEXT) | instid1(VALU_DEP_3)
	v_cmp_eq_u64_e64 s14, v[18:19], v[86:87]
	v_mov_b64_e32 v[18:19], v[16:17]
	s_and_saveexec_b32 s78, s14
; %bb.11412:                            ;   in Loop: Header=BB4_10490 Depth=3
	v_bfe_u32 v18, v16, 21, 1
	v_mov_b32_e32 v19, v3
	s_delay_alu instid0(VALU_DEP_1) | instskip(NEXT) | instid1(VALU_DEP_1)
	v_add_nc_u64_e32 v[18:19], v[16:17], v[18:19]
	v_add_nc_u64_e32 v[18:19], -1, v[18:19]
; %bb.11413:                            ;   in Loop: Header=BB4_10490 Depth=3
	s_or_b32 exec_lo, exec_lo, s78
	v_add_nc_u32_e32 v9, 0xffffff81, v9
	v_lshrrev_b32_e32 v17, 23, v16
	s_mov_b32 s14, exec_lo
	s_delay_alu instid0(VALU_DEP_2) | instskip(NEXT) | instid1(VALU_DEP_1)
	v_cndmask_b32_e64 v9, v9, 0xffffff82, vcc_lo
	v_add3_u32 v19, v67, v9, v17
	v_and_b32_e32 v9, 0x1fffff, v18
	s_delay_alu instid0(VALU_DEP_2) | instskip(NEXT) | instid1(VALU_DEP_2)
	v_dual_mov_b32 v17, v3 :: v_dual_add_nc_u32 v18, 14, v19
	v_add_nc_u32_e32 v16, v9, v16
                                        ; implicit-def: $vgpr9
	s_delay_alu instid0(VALU_DEP_2)
	v_cmpx_ne_u32_e32 0, v18
	s_xor_b32 s14, exec_lo, s14
; %bb.11414:                            ;   in Loop: Header=BB4_10490 Depth=3
	s_delay_alu instid0(VALU_DEP_2) | instskip(SKIP_1) | instid1(VALU_DEP_1)
	v_cmp_lt_u64_e32 vcc_lo, 0xffffff, v[16:17]
	v_add_nc_u32_e32 v9, 15, v19
	v_cndmask_b32_e32 v9, v18, v9, vcc_lo
	v_cndmask_b32_e64 v18, 0, 1, vcc_lo
	s_delay_alu instid0(VALU_DEP_1)
	v_lshrrev_b64 v[16:17], v18, v[16:17]
; %bb.11415:                            ;   in Loop: Header=BB4_10490 Depth=3
	s_and_not1_saveexec_b32 s14, s14
; %bb.11416:                            ;   in Loop: Header=BB4_10490 Depth=3
	s_delay_alu instid0(VALU_DEP_1)
	v_bfe_u32 v9, v16, 23, 1
; %bb.11417:                            ;   in Loop: Header=BB4_10490 Depth=3
	s_or_b32 exec_lo, exec_lo, s14
	s_delay_alu instid0(VALU_DEP_2) | instskip(NEXT) | instid1(VALU_DEP_2)
	v_lshrrev_b64 v[16:17], 21, v[16:17]
	v_cmp_gt_i32_e32 vcc_lo, 32, v9
	v_min_i32_e32 v18, 31, v9
	v_cmp_eq_u32_e64 s14, 0, v9
	s_delay_alu instid0(VALU_DEP_2) | instskip(SKIP_1) | instid1(VALU_DEP_2)
	v_dual_cndmask_b32 v16, 3, v16, vcc_lo :: v_dual_lshlrev_b32 v18, 2, v18
	v_cndmask_b32_e32 v17, 0, v17, vcc_lo
	v_and_b32_e32 v18, 0xfc, v18
	s_delay_alu instid0(VALU_DEP_2) | instskip(NEXT) | instid1(VALU_DEP_2)
	v_cmp_eq_u64_e32 vcc_lo, 0, v[16:17]
	v_and_or_b32 v9, v16, 3, v18
	s_and_b32 s14, s14, vcc_lo
	s_delay_alu instid0(VALU_DEP_1) | instid1(SALU_CYCLE_1)
	v_cndmask_b32_e64 v9, v9, 0, s14
	s_delay_alu instid0(VALU_DEP_1)
	v_or_b32_e32 v18, v9, v5
.LBB4_11418:                            ;   in Loop: Header=BB4_10490 Depth=3
	s_or_b32 exec_lo, exec_lo, s43
                                        ; implicit-def: $vgpr5
.LBB4_11419:                            ;   in Loop: Header=BB4_10490 Depth=3
	s_and_not1_saveexec_b32 s14, s42
; %bb.11420:                            ;   in Loop: Header=BB4_10490 Depth=3
	v_or_b32_e32 v18, 0x7b, v5
; %bb.11421:                            ;   in Loop: Header=BB4_10490 Depth=3
	s_or_b32 exec_lo, exec_lo, s14
                                        ; implicit-def: $vgpr9
                                        ; implicit-def: $vgpr16_vgpr17
                                        ; implicit-def: $vgpr5
.LBB4_11422:                            ;   in Loop: Header=BB4_10490 Depth=3
	s_and_not1_saveexec_b32 s14, s15
	s_cbranch_execz .LBB4_11428
; %bb.11423:                            ;   in Loop: Header=BB4_10490 Depth=3
	s_mov_b32 s15, exec_lo
                                        ; implicit-def: $vgpr18
	v_cmpx_ne_u64_e32 0, v[16:17]
	s_xor_b32 s15, exec_lo, s15
; %bb.11424:                            ;   in Loop: Header=BB4_10490 Depth=3
	v_or_b32_e32 v18, 0x7f, v5
                                        ; implicit-def: $vgpr9
; %bb.11425:                            ;   in Loop: Header=BB4_10490 Depth=3
	s_and_not1_saveexec_b32 s15, s15
; %bb.11426:                            ;   in Loop: Header=BB4_10490 Depth=3
	v_cmp_lt_i32_e32 vcc_lo, -1, v9
	v_cndmask_b32_e32 v18, 0xfc, v49, vcc_lo
; %bb.11427:                            ;   in Loop: Header=BB4_10490 Depth=3
	s_or_b32 exec_lo, exec_lo, s15
.LBB4_11428:                            ;   in Loop: Header=BB4_10490 Depth=3
	s_delay_alu instid0(SALU_CYCLE_1) | instskip(SKIP_3) | instid1(VALU_DEP_2)
	s_or_b32 exec_lo, exec_lo, s14
	v_lshrrev_b16 v16, 8, v2
	v_mov_b32_e32 v5, 0
	s_mov_b32 s14, exec_lo
	v_cmpx_ne_u16_e32 0, v16
	s_cbranch_execz .LBB4_11438
; %bb.11429:                            ;   in Loop: Header=BB4_10490 Depth=3
	v_bfrev_b32_e32 v5, 1
	s_mov_b32 s15, exec_lo
	v_cmpx_ne_u16_e32 0x80, v16
	s_cbranch_execz .LBB4_11437
; %bb.11430:                            ;   in Loop: Header=BB4_10490 Depth=3
	v_and_b32_e32 v17, 0xffff, v16
	s_delay_alu instid0(VALU_DEP_1) | instskip(SKIP_1) | instid1(VALU_DEP_2)
	v_and_b32_e32 v5, 0x7c, v17
	v_and_b32_e32 v9, 3, v17
	v_cmp_ne_u32_e32 vcc_lo, 0x7c, v5
                                        ; implicit-def: $vgpr5
	s_and_saveexec_b32 s42, vcc_lo
	s_delay_alu instid0(SALU_CYCLE_1)
	s_xor_b32 s42, exec_lo, s42
	s_cbranch_execz .LBB4_11434
; %bb.11431:                            ;   in Loop: Header=BB4_10490 Depth=3
	v_bfe_u32 v5, v17, 2, 5
	s_mov_b32 s43, exec_lo
	s_delay_alu instid0(VALU_DEP_1)
	v_cmpx_eq_u32_e32 0, v5
	s_cbranch_execz .LBB4_11433
; %bb.11432:                            ;   in Loop: Header=BB4_10490 Depth=3
	v_clz_i32_u32_e32 v5, v9
	s_delay_alu instid0(VALU_DEP_1) | instskip(SKIP_1) | instid1(VALU_DEP_2)
	v_min_u32_e32 v5, 32, v5
	v_mov_b32_e32 v17, v3
	v_subrev_nc_u32_e32 v9, 29, v5
	v_sub_nc_u32_e32 v5, 30, v5
	s_delay_alu instid0(VALU_DEP_2) | instskip(NEXT) | instid1(VALU_DEP_1)
	v_lshlrev_b64_e32 v[16:17], v9, v[16:17]
	v_and_b32_e32 v9, 3, v16
.LBB4_11433:                            ;   in Loop: Header=BB4_10490 Depth=3
	s_or_b32 exec_lo, exec_lo, s43
	v_lshlrev_b32_e32 v2, 16, v2
	s_delay_alu instid0(VALU_DEP_1) | instskip(NEXT) | instid1(VALU_DEP_1)
	v_and_b32_e32 v2, 0x80000000, v2
	v_lshl_add_u32 v2, v5, 23, v2
	s_delay_alu instid0(VALU_DEP_1) | instskip(NEXT) | instid1(VALU_DEP_1)
	v_lshl_or_b32 v2, v9, 21, v2
                                        ; implicit-def: $vgpr9
	v_add_nc_u32_e32 v5, 0x38000000, v2
                                        ; implicit-def: $vgpr2
.LBB4_11434:                            ;   in Loop: Header=BB4_10490 Depth=3
	s_and_not1_saveexec_b32 s42, s42
; %bb.11435:                            ;   in Loop: Header=BB4_10490 Depth=3
	v_cmp_lt_i16_e32 vcc_lo, -1, v2
	v_cndmask_b32_e32 v2, 0xff800000, v48, vcc_lo
	v_cmp_eq_u32_e32 vcc_lo, 0, v9
	s_delay_alu instid0(VALU_DEP_2)
	v_cndmask_b32_e32 v5, 0x7f800001, v2, vcc_lo
; %bb.11436:                            ;   in Loop: Header=BB4_10490 Depth=3
	s_or_b32 exec_lo, exec_lo, s42
.LBB4_11437:                            ;   in Loop: Header=BB4_10490 Depth=3
	s_delay_alu instid0(SALU_CYCLE_1)
	s_or_b32 exec_lo, exec_lo, s15
.LBB4_11438:                            ;   in Loop: Header=BB4_10490 Depth=3
	s_delay_alu instid0(SALU_CYCLE_1) | instskip(SKIP_3) | instid1(VALU_DEP_1)
	s_or_b32 exec_lo, exec_lo, s14
	v_lshrrev_b16 v16, 8, v8
	s_mov_b32 s15, 0
	s_mov_b32 s14, exec_lo
	v_cmpx_lt_i16_e32 0x7f, v16
	s_xor_b32 s14, exec_lo, s14
	s_cbranch_execz .LBB4_11553
; %bb.11439:                            ;   in Loop: Header=BB4_10490 Depth=3
	s_mov_b32 s15, -1
	s_mov_b32 s42, exec_lo
	v_cmpx_eq_u16_e32 0x80, v16
; %bb.11440:                            ;   in Loop: Header=BB4_10490 Depth=3
	s_xor_b32 s15, exec_lo, -1
; %bb.11441:                            ;   in Loop: Header=BB4_10490 Depth=3
	s_or_b32 exec_lo, exec_lo, s42
	s_delay_alu instid0(SALU_CYCLE_1)
	s_and_b32 s15, s15, exec_lo
	s_or_saveexec_b32 s14, s14
	v_bfrev_b32_e32 v2, 1
	s_xor_b32 exec_lo, exec_lo, s14
	s_cbranch_execnz .LBB4_11554
.LBB4_11442:                            ;   in Loop: Header=BB4_10490 Depth=3
	s_or_b32 exec_lo, exec_lo, s14
	s_and_saveexec_b32 s14, s15
	s_cbranch_execz .LBB4_11444
.LBB4_11443:                            ;   in Loop: Header=BB4_10490 Depth=3
	v_and_b32_e32 v2, 0xffff, v16
	s_delay_alu instid0(VALU_DEP_1) | instskip(NEXT) | instid1(VALU_DEP_1)
	v_and_b32_e32 v9, 3, v2
	v_clz_i32_u32_e32 v17, v9
	s_delay_alu instid0(VALU_DEP_1) | instskip(SKIP_1) | instid1(VALU_DEP_2)
	v_min_u32_e32 v19, 32, v17
	v_mov_b32_e32 v17, v3
	v_subrev_nc_u32_e32 v67, 29, v19
	v_sub_nc_u32_e32 v19, 30, v19
	s_delay_alu instid0(VALU_DEP_2) | instskip(SKIP_3) | instid1(VALU_DEP_3)
	v_lshlrev_b64_e32 v[86:87], v67, v[16:17]
	v_bfe_u32 v17, v2, 2, 5
	v_lshlrev_b32_e32 v16, 24, v16
	v_and_b32_e32 v2, 0x7c, v2
	v_cmp_eq_u32_e32 vcc_lo, 0, v17
	s_delay_alu instid0(VALU_DEP_3) | instskip(SKIP_1) | instid1(VALU_DEP_1)
	v_and_b32_e32 v16, 0x80000000, v16
	v_dual_cndmask_b32 v17, v17, v19, vcc_lo :: v_dual_bitop2_b32 v67, 3, v86 bitop3:0x40
	v_cndmask_b32_e32 v19, v9, v67, vcc_lo
	v_cmp_lt_i16_e32 vcc_lo, -1, v8
	s_delay_alu instid0(VALU_DEP_3) | instskip(SKIP_2) | instid1(VALU_DEP_3)
	v_lshl_add_u32 v16, v17, 23, v16
	v_cndmask_b32_e32 v8, 0xff800000, v48, vcc_lo
	v_cmp_eq_u32_e32 vcc_lo, 0, v9
	v_lshl_or_b32 v16, v19, 21, v16
	s_delay_alu instid0(VALU_DEP_3) | instskip(NEXT) | instid1(VALU_DEP_2)
	v_cndmask_b32_e32 v8, 0x7f800001, v8, vcc_lo
	v_add_nc_u32_e32 v9, 0x38000000, v16
	v_cmp_eq_u32_e32 vcc_lo, 0x7c, v2
	s_delay_alu instid0(VALU_DEP_2)
	v_cndmask_b32_e32 v2, v9, v8, vcc_lo
.LBB4_11444:                            ;   in Loop: Header=BB4_10490 Depth=3
	s_or_b32 exec_lo, exec_lo, s14
	s_delay_alu instid0(VALU_DEP_1) | instskip(SKIP_2) | instid1(VALU_DEP_2)
	v_dual_add_f32 v5, v5, v2 :: v_dual_mov_b32 v17, v3
	v_mov_b32_e32 v9, v3
                                        ; implicit-def: $vgpr19
	s_mov_b32 s14, exec_lo
	v_and_b32_e32 v16, 0x7f800000, v5
	v_and_b32_e32 v8, 0x7fffff, v5
	v_lshrrev_b32_e32 v2, 24, v5
	s_delay_alu instid0(VALU_DEP_3)
	v_cmpx_ne_u64_e32 0x7f800000, v[16:17]
	s_xor_b32 s15, exec_lo, s14
	s_cbranch_execz .LBB4_11458
; %bb.11445:                            ;   in Loop: Header=BB4_10490 Depth=3
	v_and_b32_e32 v16, 0x7fffffff, v5
	v_mov_b32_e32 v17, v3
	v_and_b32_e32 v2, 0x80, v2
                                        ; implicit-def: $vgpr19
	s_mov_b32 s14, exec_lo
	s_delay_alu instid0(VALU_DEP_2)
	v_cmpx_gt_u64_e32 0x47600001, v[16:17]
	s_xor_b32 s42, exec_lo, s14
	s_cbranch_execz .LBB4_11455
; %bb.11446:                            ;   in Loop: Header=BB4_10490 Depth=3
	v_mov_b32_e32 v19, 0
	s_mov_b32 s43, exec_lo
	v_cmpx_ne_u32_e32 0, v5
	s_cbranch_execz .LBB4_11454
; %bb.11447:                            ;   in Loop: Header=BB4_10490 Depth=3
	v_bfe_u32 v5, v5, 23, 8
	v_or_b32_e32 v67, 0x800000, v8
	s_delay_alu instid0(VALU_DEP_2) | instskip(SKIP_1) | instid1(VALU_DEP_2)
	v_sub_nc_u32_e32 v16, 0x71, v5
	v_cmp_gt_u32_e32 vcc_lo, 0x72, v5
	v_cndmask_b32_e32 v16, 0, v16, vcc_lo
	v_cmp_eq_u32_e32 vcc_lo, 0, v5
	s_delay_alu instid0(VALU_DEP_2) | instskip(NEXT) | instid1(VALU_DEP_1)
	v_cndmask_b32_e64 v19, v16, 0x70, vcc_lo
	v_dual_cndmask_b32 v8, v67, v8, vcc_lo :: v_dual_add_nc_u32 v16, 21, v19
	v_add_nc_u32_e32 v86, 20, v19
	s_delay_alu instid0(VALU_DEP_2) | instskip(NEXT) | instid1(VALU_DEP_2)
	v_lshlrev_b64_e64 v[16:17], v16, -1
	v_lshlrev_b64_e64 v[86:87], v86, 1
	s_delay_alu instid0(VALU_DEP_2) | instskip(SKIP_1) | instid1(VALU_DEP_4)
	v_bfi_b32 v16, v16, 0, v8
	v_lshrrev_b64 v[8:9], v19, v[8:9]
	v_bfi_b32 v17, v17, 0, 0
	s_delay_alu instid0(VALU_DEP_1) | instskip(NEXT) | instid1(VALU_DEP_3)
	v_cmp_eq_u64_e64 s14, v[16:17], v[86:87]
	v_mov_b64_e32 v[16:17], v[8:9]
	s_and_saveexec_b32 s78, s14
; %bb.11448:                            ;   in Loop: Header=BB4_10490 Depth=3
	v_bfe_u32 v16, v8, 21, 1
	v_mov_b32_e32 v17, v3
	s_delay_alu instid0(VALU_DEP_1) | instskip(NEXT) | instid1(VALU_DEP_1)
	v_add_nc_u64_e32 v[16:17], v[8:9], v[16:17]
	v_add_nc_u64_e32 v[16:17], -1, v[16:17]
; %bb.11449:                            ;   in Loop: Header=BB4_10490 Depth=3
	s_or_b32 exec_lo, exec_lo, s78
	v_add_nc_u32_e32 v5, 0xffffff81, v5
	v_lshrrev_b32_e32 v9, 23, v8
	s_mov_b32 s14, exec_lo
	s_delay_alu instid0(VALU_DEP_2) | instskip(NEXT) | instid1(VALU_DEP_1)
	v_cndmask_b32_e64 v5, v5, 0xffffff82, vcc_lo
	v_add3_u32 v17, v19, v5, v9
	v_and_b32_e32 v5, 0x1fffff, v16
	s_delay_alu instid0(VALU_DEP_2) | instskip(NEXT) | instid1(VALU_DEP_2)
	v_dual_mov_b32 v9, v3 :: v_dual_add_nc_u32 v16, 14, v17
	v_add_nc_u32_e32 v8, v5, v8
                                        ; implicit-def: $vgpr5
	s_delay_alu instid0(VALU_DEP_2)
	v_cmpx_ne_u32_e32 0, v16
	s_xor_b32 s14, exec_lo, s14
; %bb.11450:                            ;   in Loop: Header=BB4_10490 Depth=3
	s_delay_alu instid0(VALU_DEP_2) | instskip(SKIP_1) | instid1(VALU_DEP_1)
	v_cmp_lt_u64_e32 vcc_lo, 0xffffff, v[8:9]
	v_add_nc_u32_e32 v5, 15, v17
	v_cndmask_b32_e32 v5, v16, v5, vcc_lo
	v_cndmask_b32_e64 v16, 0, 1, vcc_lo
	s_delay_alu instid0(VALU_DEP_1)
	v_lshrrev_b64 v[8:9], v16, v[8:9]
; %bb.11451:                            ;   in Loop: Header=BB4_10490 Depth=3
	s_and_not1_saveexec_b32 s14, s14
; %bb.11452:                            ;   in Loop: Header=BB4_10490 Depth=3
	s_delay_alu instid0(VALU_DEP_1)
	v_bfe_u32 v5, v8, 23, 1
; %bb.11453:                            ;   in Loop: Header=BB4_10490 Depth=3
	s_or_b32 exec_lo, exec_lo, s14
	s_delay_alu instid0(VALU_DEP_2) | instskip(NEXT) | instid1(VALU_DEP_2)
	v_lshrrev_b64 v[8:9], 21, v[8:9]
	v_cmp_gt_i32_e32 vcc_lo, 32, v5
	v_min_i32_e32 v16, 31, v5
	v_cmp_eq_u32_e64 s14, 0, v5
	s_delay_alu instid0(VALU_DEP_4) | instskip(NEXT) | instid1(VALU_DEP_3)
	v_cndmask_b32_e32 v8, 3, v8, vcc_lo
	v_dual_cndmask_b32 v9, 0, v9 :: v_dual_lshlrev_b32 v16, 2, v16
	s_delay_alu instid0(VALU_DEP_1) | instskip(NEXT) | instid1(VALU_DEP_2)
	v_and_b32_e32 v16, 0xfc, v16
	v_cmp_eq_u64_e32 vcc_lo, 0, v[8:9]
	s_delay_alu instid0(VALU_DEP_2)
	v_and_or_b32 v5, v8, 3, v16
	s_and_b32 s14, s14, vcc_lo
	s_delay_alu instid0(VALU_DEP_1) | instid1(SALU_CYCLE_1)
	v_cndmask_b32_e64 v5, v5, 0, s14
	s_delay_alu instid0(VALU_DEP_1)
	v_or_b32_e32 v19, v5, v2
.LBB4_11454:                            ;   in Loop: Header=BB4_10490 Depth=3
	s_or_b32 exec_lo, exec_lo, s43
                                        ; implicit-def: $vgpr2
.LBB4_11455:                            ;   in Loop: Header=BB4_10490 Depth=3
	s_and_not1_saveexec_b32 s14, s42
; %bb.11456:                            ;   in Loop: Header=BB4_10490 Depth=3
	v_or_b32_e32 v19, 0x7b, v2
; %bb.11457:                            ;   in Loop: Header=BB4_10490 Depth=3
	s_or_b32 exec_lo, exec_lo, s14
                                        ; implicit-def: $vgpr5
                                        ; implicit-def: $vgpr8_vgpr9
                                        ; implicit-def: $vgpr2
.LBB4_11458:                            ;   in Loop: Header=BB4_10490 Depth=3
	s_and_not1_saveexec_b32 s14, s15
	s_cbranch_execz .LBB4_11464
; %bb.11459:                            ;   in Loop: Header=BB4_10490 Depth=3
	s_mov_b32 s15, exec_lo
                                        ; implicit-def: $vgpr19
	v_cmpx_ne_u64_e32 0, v[8:9]
	s_xor_b32 s15, exec_lo, s15
; %bb.11460:                            ;   in Loop: Header=BB4_10490 Depth=3
	v_or_b32_e32 v19, 0x7f, v2
                                        ; implicit-def: $vgpr5
; %bb.11461:                            ;   in Loop: Header=BB4_10490 Depth=3
	s_and_not1_saveexec_b32 s15, s15
; %bb.11462:                            ;   in Loop: Header=BB4_10490 Depth=3
	v_cmp_lt_i32_e32 vcc_lo, -1, v5
	v_cndmask_b32_e32 v19, 0xfc, v49, vcc_lo
; %bb.11463:                            ;   in Loop: Header=BB4_10490 Depth=3
	s_or_b32 exec_lo, exec_lo, s15
.LBB4_11464:                            ;   in Loop: Header=BB4_10490 Depth=3
	s_delay_alu instid0(SALU_CYCLE_1) | instskip(SKIP_2) | instid1(VALU_DEP_1)
	s_or_b32 exec_lo, exec_lo, s14
	v_dual_mov_b32 v5, 0 :: v_dual_lshrrev_b32 v2, 16, v4
	s_mov_b32 s14, exec_lo
	v_and_b32_e32 v8, 0xff, v2
	s_delay_alu instid0(VALU_DEP_1)
	v_cmpx_ne_u16_e32 0, v8
	s_cbranch_execz .LBB4_11474
; %bb.11465:                            ;   in Loop: Header=BB4_10490 Depth=3
	v_bfrev_b32_e32 v5, 1
	s_mov_b32 s15, exec_lo
	v_cmpx_ne_u16_e32 0x80, v8
	s_cbranch_execz .LBB4_11473
; %bb.11466:                            ;   in Loop: Header=BB4_10490 Depth=3
	v_and_b32_e32 v5, 0x7c0000, v4
	v_bfe_u32 v8, v4, 16, 2
	s_delay_alu instid0(VALU_DEP_2) | instskip(SKIP_1) | instid1(SALU_CYCLE_1)
	v_cmp_ne_u32_e32 vcc_lo, 0x7c0000, v5
                                        ; implicit-def: $vgpr5
	s_and_saveexec_b32 s42, vcc_lo
	s_xor_b32 s42, exec_lo, s42
	s_cbranch_execz .LBB4_11470
; %bb.11467:                            ;   in Loop: Header=BB4_10490 Depth=3
	v_bfe_u32 v5, v4, 18, 5
	s_mov_b32 s43, exec_lo
	s_delay_alu instid0(VALU_DEP_1)
	v_cmpx_eq_u32_e32 0, v5
; %bb.11468:                            ;   in Loop: Header=BB4_10490 Depth=3
	v_clz_i32_u32_e32 v5, v8
	s_delay_alu instid0(VALU_DEP_1) | instskip(NEXT) | instid1(VALU_DEP_1)
	v_min_u32_e32 v5, 32, v5
	v_subrev_nc_u32_e32 v8, 29, v5
	s_delay_alu instid0(VALU_DEP_1) | instskip(NEXT) | instid1(VALU_DEP_1)
	v_lshlrev_b64_e32 v[8:9], v8, v[2:3]
	v_dual_sub_nc_u32 v5, 30, v5 :: v_dual_bitop2_b32 v8, 3, v8 bitop3:0x40
; %bb.11469:                            ;   in Loop: Header=BB4_10490 Depth=3
	s_or_b32 exec_lo, exec_lo, s43
	v_lshlrev_b32_e32 v2, 24, v2
	s_delay_alu instid0(VALU_DEP_1) | instskip(NEXT) | instid1(VALU_DEP_1)
	v_and_b32_e32 v2, 0x80000000, v2
	v_lshl_add_u32 v2, v5, 23, v2
	s_delay_alu instid0(VALU_DEP_1) | instskip(NEXT) | instid1(VALU_DEP_1)
	v_lshl_or_b32 v2, v8, 21, v2
                                        ; implicit-def: $vgpr8
	v_add_nc_u32_e32 v5, 0x38000000, v2
                                        ; implicit-def: $vgpr2
.LBB4_11470:                            ;   in Loop: Header=BB4_10490 Depth=3
	s_and_not1_saveexec_b32 s42, s42
; %bb.11471:                            ;   in Loop: Header=BB4_10490 Depth=3
	v_bfe_i32 v2, v2, 0, 8
	s_delay_alu instid0(VALU_DEP_1) | instskip(SKIP_2) | instid1(VALU_DEP_2)
	v_cmp_lt_i16_e32 vcc_lo, -1, v2
	v_cndmask_b32_e32 v2, 0xff800000, v48, vcc_lo
	v_cmp_eq_u32_e32 vcc_lo, 0, v8
	v_cndmask_b32_e32 v5, 0x7f800001, v2, vcc_lo
; %bb.11472:                            ;   in Loop: Header=BB4_10490 Depth=3
	s_or_b32 exec_lo, exec_lo, s42
.LBB4_11473:                            ;   in Loop: Header=BB4_10490 Depth=3
	s_delay_alu instid0(SALU_CYCLE_1)
	s_or_b32 exec_lo, exec_lo, s15
.LBB4_11474:                            ;   in Loop: Header=BB4_10490 Depth=3
	s_delay_alu instid0(SALU_CYCLE_1) | instskip(SKIP_3) | instid1(VALU_DEP_1)
	s_or_b32 exec_lo, exec_lo, s14
	v_lshrrev_b32_e32 v2, 16, v11
	s_mov_b32 s15, 0
	s_mov_b32 s14, exec_lo
	v_and_b32_e32 v9, 0xff, v2
	s_delay_alu instid0(VALU_DEP_1)
	v_cmpx_lt_i16_e32 0x7f, v9
	s_xor_b32 s14, exec_lo, s14
	s_cbranch_execz .LBB4_11555
; %bb.11475:                            ;   in Loop: Header=BB4_10490 Depth=3
	s_mov_b32 s15, -1
	s_mov_b32 s42, exec_lo
	v_cmpx_eq_u16_e32 0x80, v9
; %bb.11476:                            ;   in Loop: Header=BB4_10490 Depth=3
	s_xor_b32 s15, exec_lo, -1
; %bb.11477:                            ;   in Loop: Header=BB4_10490 Depth=3
	s_or_b32 exec_lo, exec_lo, s42
	s_delay_alu instid0(SALU_CYCLE_1)
	s_and_b32 s15, s15, exec_lo
                                        ; implicit-def: $vgpr9
	s_or_saveexec_b32 s14, s14
	v_bfrev_b32_e32 v8, 1
	s_xor_b32 exec_lo, exec_lo, s14
	s_cbranch_execnz .LBB4_11556
.LBB4_11478:                            ;   in Loop: Header=BB4_10490 Depth=3
	s_or_b32 exec_lo, exec_lo, s14
	s_and_saveexec_b32 s14, s15
	s_cbranch_execz .LBB4_11480
.LBB4_11479:                            ;   in Loop: Header=BB4_10490 Depth=3
	v_and_b32_e32 v16, 3, v2
	v_bfe_u32 v67, v11, 18, 5
	s_delay_alu instid0(VALU_DEP_2) | instskip(NEXT) | instid1(VALU_DEP_2)
	v_clz_i32_u32_e32 v8, v16
	v_cmp_eq_u32_e32 vcc_lo, 0, v67
	s_delay_alu instid0(VALU_DEP_2) | instskip(NEXT) | instid1(VALU_DEP_1)
	v_min_u32_e32 v17, 32, v8
	v_subrev_nc_u32_e32 v8, 29, v17
	s_delay_alu instid0(VALU_DEP_1) | instskip(SKIP_2) | instid1(VALU_DEP_2)
	v_lshlrev_b64_e32 v[8:9], v8, v[2:3]
	v_dual_lshlrev_b32 v9, 24, v2 :: v_dual_sub_nc_u32 v17, 30, v17
	v_bfe_i32 v2, v2, 0, 8
	v_and_b32_e32 v9, 0x80000000, v9
	s_delay_alu instid0(VALU_DEP_3) | instskip(NEXT) | instid1(VALU_DEP_1)
	v_dual_cndmask_b32 v17, v67, v17, vcc_lo :: v_dual_bitop2_b32 v8, 3, v8 bitop3:0x40
	v_cndmask_b32_e32 v8, v16, v8, vcc_lo
	s_delay_alu instid0(VALU_DEP_2) | instskip(SKIP_1) | instid1(VALU_DEP_2)
	v_lshl_add_u32 v9, v17, 23, v9
	v_cmp_lt_i16_e32 vcc_lo, -1, v2
	v_lshl_or_b32 v8, v8, 21, v9
	v_cndmask_b32_e32 v2, 0xff800000, v48, vcc_lo
	v_and_b32_e32 v9, 0x7c0000, v11
	v_cmp_eq_u32_e32 vcc_lo, 0, v16
	s_delay_alu instid0(VALU_DEP_4) | instskip(NEXT) | instid1(VALU_DEP_4)
	v_add_nc_u32_e32 v8, 0x38000000, v8
	v_cndmask_b32_e32 v2, 0x7f800001, v2, vcc_lo
	s_delay_alu instid0(VALU_DEP_4) | instskip(NEXT) | instid1(VALU_DEP_2)
	v_cmp_eq_u32_e32 vcc_lo, 0x7c0000, v9
	v_cndmask_b32_e32 v8, v8, v2, vcc_lo
.LBB4_11480:                            ;   in Loop: Header=BB4_10490 Depth=3
	s_or_b32 exec_lo, exec_lo, s14
	s_delay_alu instid0(VALU_DEP_1) | instskip(NEXT) | instid1(VALU_DEP_1)
	v_dual_add_f32 v5, v5, v8 :: v_dual_mov_b32 v17, v3
	v_dual_mov_b32 v9, v3 :: v_dual_lshrrev_b32 v2, 24, v5
	v_and_b32_e32 v16, 0x7f800000, v5
	v_and_b32_e32 v8, 0x7fffff, v5
	s_delay_alu instid0(VALU_DEP_2) | instskip(SKIP_1) | instid1(SALU_CYCLE_1)
	v_cmp_ne_u64_e32 vcc_lo, 0x7f800000, v[16:17]
                                        ; implicit-def: $vgpr16
	s_and_saveexec_b32 s14, vcc_lo
	s_xor_b32 s15, exec_lo, s14
	s_cbranch_execz .LBB4_11494
; %bb.11481:                            ;   in Loop: Header=BB4_10490 Depth=3
	v_and_b32_e32 v16, 0x7fffffff, v5
	v_mov_b32_e32 v17, v3
	v_and_b32_e32 v2, 0x80, v2
	s_delay_alu instid0(VALU_DEP_2) | instskip(SKIP_1) | instid1(SALU_CYCLE_1)
	v_cmp_gt_u64_e32 vcc_lo, 0x47600001, v[16:17]
                                        ; implicit-def: $vgpr16
	s_and_saveexec_b32 s14, vcc_lo
	s_xor_b32 s42, exec_lo, s14
	s_cbranch_execz .LBB4_11491
; %bb.11482:                            ;   in Loop: Header=BB4_10490 Depth=3
	v_mov_b32_e32 v16, 0
	s_mov_b32 s43, exec_lo
	v_cmpx_ne_u32_e32 0, v5
	s_cbranch_execz .LBB4_11490
; %bb.11483:                            ;   in Loop: Header=BB4_10490 Depth=3
	v_bfe_u32 v5, v5, 23, 8
	v_or_b32_e32 v86, 0x800000, v8
	s_delay_alu instid0(VALU_DEP_2) | instskip(SKIP_1) | instid1(VALU_DEP_2)
	v_sub_nc_u32_e32 v16, 0x71, v5
	v_cmp_gt_u32_e32 vcc_lo, 0x72, v5
	v_cndmask_b32_e32 v16, 0, v16, vcc_lo
	v_cmp_eq_u32_e32 vcc_lo, 0, v5
	s_delay_alu instid0(VALU_DEP_2) | instskip(NEXT) | instid1(VALU_DEP_1)
	v_cndmask_b32_e64 v67, v16, 0x70, vcc_lo
	v_dual_cndmask_b32 v8, v86, v8, vcc_lo :: v_dual_add_nc_u32 v16, 21, v67
	v_add_nc_u32_e32 v87, 20, v67
	s_delay_alu instid0(VALU_DEP_2) | instskip(NEXT) | instid1(VALU_DEP_2)
	v_lshlrev_b64_e64 v[16:17], v16, -1
	v_lshlrev_b64_e64 v[86:87], v87, 1
	s_delay_alu instid0(VALU_DEP_2) | instskip(SKIP_1) | instid1(VALU_DEP_4)
	v_bfi_b32 v16, v16, 0, v8
	v_lshrrev_b64 v[8:9], v67, v[8:9]
	v_bfi_b32 v17, v17, 0, 0
	s_delay_alu instid0(VALU_DEP_1) | instskip(NEXT) | instid1(VALU_DEP_3)
	v_cmp_eq_u64_e64 s14, v[16:17], v[86:87]
	v_mov_b64_e32 v[16:17], v[8:9]
	s_and_saveexec_b32 s78, s14
; %bb.11484:                            ;   in Loop: Header=BB4_10490 Depth=3
	v_bfe_u32 v16, v8, 21, 1
	v_mov_b32_e32 v17, v3
	s_delay_alu instid0(VALU_DEP_1) | instskip(NEXT) | instid1(VALU_DEP_1)
	v_add_nc_u64_e32 v[16:17], v[8:9], v[16:17]
	v_add_nc_u64_e32 v[16:17], -1, v[16:17]
; %bb.11485:                            ;   in Loop: Header=BB4_10490 Depth=3
	s_or_b32 exec_lo, exec_lo, s78
	v_add_nc_u32_e32 v5, 0xffffff81, v5
	v_lshrrev_b32_e32 v9, 23, v8
	s_mov_b32 s14, exec_lo
	s_delay_alu instid0(VALU_DEP_2) | instskip(NEXT) | instid1(VALU_DEP_1)
	v_cndmask_b32_e64 v5, v5, 0xffffff82, vcc_lo
	v_add3_u32 v17, v67, v5, v9
	v_and_b32_e32 v5, 0x1fffff, v16
	s_delay_alu instid0(VALU_DEP_2) | instskip(NEXT) | instid1(VALU_DEP_2)
	v_dual_mov_b32 v9, v3 :: v_dual_add_nc_u32 v16, 14, v17
	v_add_nc_u32_e32 v8, v5, v8
                                        ; implicit-def: $vgpr5
	s_delay_alu instid0(VALU_DEP_2)
	v_cmpx_ne_u32_e32 0, v16
	s_xor_b32 s14, exec_lo, s14
; %bb.11486:                            ;   in Loop: Header=BB4_10490 Depth=3
	s_delay_alu instid0(VALU_DEP_2) | instskip(SKIP_1) | instid1(VALU_DEP_1)
	v_cmp_lt_u64_e32 vcc_lo, 0xffffff, v[8:9]
	v_add_nc_u32_e32 v5, 15, v17
	v_cndmask_b32_e32 v5, v16, v5, vcc_lo
	v_cndmask_b32_e64 v16, 0, 1, vcc_lo
	s_delay_alu instid0(VALU_DEP_1)
	v_lshrrev_b64 v[8:9], v16, v[8:9]
; %bb.11487:                            ;   in Loop: Header=BB4_10490 Depth=3
	s_and_not1_saveexec_b32 s14, s14
; %bb.11488:                            ;   in Loop: Header=BB4_10490 Depth=3
	s_delay_alu instid0(VALU_DEP_1)
	v_bfe_u32 v5, v8, 23, 1
; %bb.11489:                            ;   in Loop: Header=BB4_10490 Depth=3
	s_or_b32 exec_lo, exec_lo, s14
	s_delay_alu instid0(VALU_DEP_2) | instskip(NEXT) | instid1(VALU_DEP_2)
	v_lshrrev_b64 v[8:9], 21, v[8:9]
	v_cmp_gt_i32_e32 vcc_lo, 32, v5
	v_min_i32_e32 v16, 31, v5
	v_cmp_eq_u32_e64 s14, 0, v5
	s_delay_alu instid0(VALU_DEP_4) | instskip(NEXT) | instid1(VALU_DEP_3)
	v_cndmask_b32_e32 v8, 3, v8, vcc_lo
	v_dual_cndmask_b32 v9, 0, v9 :: v_dual_lshlrev_b32 v16, 2, v16
	s_delay_alu instid0(VALU_DEP_1) | instskip(NEXT) | instid1(VALU_DEP_2)
	v_and_b32_e32 v16, 0xfc, v16
	v_cmp_eq_u64_e32 vcc_lo, 0, v[8:9]
	s_delay_alu instid0(VALU_DEP_2)
	v_and_or_b32 v5, v8, 3, v16
	s_and_b32 s14, s14, vcc_lo
	s_delay_alu instid0(VALU_DEP_1) | instid1(SALU_CYCLE_1)
	v_cndmask_b32_e64 v5, v5, 0, s14
	s_delay_alu instid0(VALU_DEP_1)
	v_or_b32_e32 v16, v5, v2
.LBB4_11490:                            ;   in Loop: Header=BB4_10490 Depth=3
	s_or_b32 exec_lo, exec_lo, s43
                                        ; implicit-def: $vgpr2
.LBB4_11491:                            ;   in Loop: Header=BB4_10490 Depth=3
	s_and_not1_saveexec_b32 s14, s42
; %bb.11492:                            ;   in Loop: Header=BB4_10490 Depth=3
	v_or_b32_e32 v16, 0x7b, v2
; %bb.11493:                            ;   in Loop: Header=BB4_10490 Depth=3
	s_or_b32 exec_lo, exec_lo, s14
                                        ; implicit-def: $vgpr5
                                        ; implicit-def: $vgpr8_vgpr9
                                        ; implicit-def: $vgpr2
.LBB4_11494:                            ;   in Loop: Header=BB4_10490 Depth=3
	s_and_not1_saveexec_b32 s14, s15
	s_cbranch_execz .LBB4_11500
; %bb.11495:                            ;   in Loop: Header=BB4_10490 Depth=3
	s_mov_b32 s15, exec_lo
                                        ; implicit-def: $vgpr16
	v_cmpx_ne_u64_e32 0, v[8:9]
	s_xor_b32 s15, exec_lo, s15
; %bb.11496:                            ;   in Loop: Header=BB4_10490 Depth=3
	v_or_b32_e32 v16, 0x7f, v2
                                        ; implicit-def: $vgpr5
; %bb.11497:                            ;   in Loop: Header=BB4_10490 Depth=3
	s_and_not1_saveexec_b32 s15, s15
; %bb.11498:                            ;   in Loop: Header=BB4_10490 Depth=3
	v_cmp_lt_i32_e32 vcc_lo, -1, v5
	v_cndmask_b32_e32 v16, 0xfc, v49, vcc_lo
; %bb.11499:                            ;   in Loop: Header=BB4_10490 Depth=3
	s_or_b32 exec_lo, exec_lo, s15
.LBB4_11500:                            ;   in Loop: Header=BB4_10490 Depth=3
	s_delay_alu instid0(SALU_CYCLE_1)
	s_or_b32 exec_lo, exec_lo, s14
	v_mov_b32_e32 v8, 0
	s_mov_b32 s14, exec_lo
	v_cmpx_lt_u32_e32 0xffffff, v4
	s_cbranch_execz .LBB4_11510
; %bb.11501:                            ;   in Loop: Header=BB4_10490 Depth=3
	v_lshrrev_b32_e32 v2, 24, v4
	v_bfrev_b32_e32 v8, 1
	s_mov_b32 s15, exec_lo
	s_delay_alu instid0(VALU_DEP_2)
	v_cmpx_ne_u32_e32 0x80, v2
	s_cbranch_execz .LBB4_11509
; %bb.11502:                            ;   in Loop: Header=BB4_10490 Depth=3
	v_and_b32_e32 v5, 0x7c000000, v4
	v_bfe_u32 v9, v4, 24, 2
	s_mov_b32 s42, exec_lo
                                        ; implicit-def: $vgpr8
	s_delay_alu instid0(VALU_DEP_2)
	v_cmpx_ne_u32_e32 0x7c000000, v5
	s_xor_b32 s42, exec_lo, s42
	s_cbranch_execz .LBB4_11506
; %bb.11503:                            ;   in Loop: Header=BB4_10490 Depth=3
	v_bfe_u32 v5, v4, 26, 5
	s_mov_b32 s43, exec_lo
	s_delay_alu instid0(VALU_DEP_1)
	v_cmpx_eq_u32_e32 0, v5
; %bb.11504:                            ;   in Loop: Header=BB4_10490 Depth=3
	v_clz_i32_u32_e32 v5, v9
	s_delay_alu instid0(VALU_DEP_1) | instskip(NEXT) | instid1(VALU_DEP_1)
	v_min_u32_e32 v5, 32, v5
	v_subrev_nc_u32_e32 v8, 29, v5
	s_delay_alu instid0(VALU_DEP_1) | instskip(NEXT) | instid1(VALU_DEP_1)
	v_lshlrev_b64_e32 v[8:9], v8, v[2:3]
	v_dual_sub_nc_u32 v5, 30, v5 :: v_dual_bitop2_b32 v9, 3, v8 bitop3:0x40
; %bb.11505:                            ;   in Loop: Header=BB4_10490 Depth=3
	s_or_b32 exec_lo, exec_lo, s43
	v_and_b32_e32 v2, 0x80000000, v4
	s_delay_alu instid0(VALU_DEP_1) | instskip(NEXT) | instid1(VALU_DEP_1)
	v_lshl_add_u32 v2, v5, 23, v2
                                        ; implicit-def: $vgpr4_vgpr5
	v_lshl_or_b32 v2, v9, 21, v2
                                        ; implicit-def: $vgpr9
	s_delay_alu instid0(VALU_DEP_1)
	v_add_nc_u32_e32 v8, 0x38000000, v2
.LBB4_11506:                            ;   in Loop: Header=BB4_10490 Depth=3
	s_and_not1_saveexec_b32 s42, s42
; %bb.11507:                            ;   in Loop: Header=BB4_10490 Depth=3
	v_cmp_lt_i32_e32 vcc_lo, -1, v4
	v_cndmask_b32_e32 v2, 0xff800000, v48, vcc_lo
	v_cmp_eq_u32_e32 vcc_lo, 0, v9
	s_delay_alu instid0(VALU_DEP_2)
	v_cndmask_b32_e32 v8, 0x7f800001, v2, vcc_lo
; %bb.11508:                            ;   in Loop: Header=BB4_10490 Depth=3
	s_or_b32 exec_lo, exec_lo, s42
.LBB4_11509:                            ;   in Loop: Header=BB4_10490 Depth=3
	s_delay_alu instid0(SALU_CYCLE_1)
	s_or_b32 exec_lo, exec_lo, s15
.LBB4_11510:                            ;   in Loop: Header=BB4_10490 Depth=3
	s_delay_alu instid0(SALU_CYCLE_1) | instskip(SKIP_3) | instid1(VALU_DEP_2)
	s_or_b32 exec_lo, exec_lo, s14
	v_bfe_u32 v9, v11, 24, 2
	v_bfe_u32 v67, v11, 26, 5
	s_mov_b32 s14, exec_lo
	v_clz_i32_u32_e32 v2, v9
	s_delay_alu instid0(VALU_DEP_2) | instskip(NEXT) | instid1(VALU_DEP_2)
	v_cmp_eq_u32_e32 vcc_lo, 0, v67
	v_min_u32_e32 v17, 32, v2
	v_lshrrev_b32_e32 v2, 24, v11
	s_delay_alu instid0(VALU_DEP_2) | instskip(NEXT) | instid1(VALU_DEP_1)
	v_subrev_nc_u32_e32 v4, 29, v17
	v_lshlrev_b64_e32 v[4:5], v4, v[2:3]
	v_sub_nc_u32_e32 v5, 30, v17
	v_and_b32_e32 v17, 0x80000000, v11
	s_delay_alu instid0(VALU_DEP_2) | instskip(NEXT) | instid1(VALU_DEP_1)
	v_dual_cndmask_b32 v5, v67, v5, vcc_lo :: v_dual_bitop2_b32 v4, 3, v4 bitop3:0x40
	v_lshl_add_u32 v5, v5, 23, v17
	s_delay_alu instid0(VALU_DEP_2) | instskip(SKIP_1) | instid1(VALU_DEP_2)
	v_cndmask_b32_e32 v4, v9, v4, vcc_lo
	v_cmp_lt_i64_e32 vcc_lo, -1, v[10:11]
	v_lshl_or_b32 v4, v4, 21, v5
	v_and_b32_e32 v5, 0x7c000000, v11
	v_cndmask_b32_e32 v17, 0xff800000, v48, vcc_lo
	v_cmp_eq_u32_e32 vcc_lo, 0, v9
	s_delay_alu instid0(VALU_DEP_4) | instskip(NEXT) | instid1(VALU_DEP_3)
	v_add_nc_u32_e32 v4, 0x38000000, v4
	v_cndmask_b32_e32 v9, 0x7f800001, v17, vcc_lo
	v_cmp_eq_u32_e32 vcc_lo, 0x7c000000, v5
	s_delay_alu instid0(VALU_DEP_2) | instskip(SKIP_1) | instid1(VALU_DEP_2)
	v_dual_mov_b32 v5, v3 :: v_dual_cndmask_b32 v4, v4, v9
	v_cmp_ne_u32_e32 vcc_lo, 0x80, v2
	v_cndmask_b32_e32 v2, 0x80000000, v4, vcc_lo
	v_cmp_lt_u64_e32 vcc_lo, s[22:23], v[10:11]
	s_delay_alu instid0(VALU_DEP_2) | instskip(NEXT) | instid1(VALU_DEP_1)
	v_dual_mov_b32 v11, v3 :: v_dual_cndmask_b32 v2, 0, v2
	v_add_f32_e32 v9, v2, v8
                                        ; implicit-def: $vgpr8
	s_delay_alu instid0(VALU_DEP_1) | instskip(SKIP_2) | instid1(VALU_DEP_3)
	v_and_b32_e32 v10, 0x7f800000, v9
	v_and_b32_e32 v4, 0x7fffff, v9
	v_lshrrev_b32_e32 v2, 24, v9
	v_cmpx_ne_u64_e32 0x7f800000, v[10:11]
	s_xor_b32 s15, exec_lo, s14
	s_cbranch_execz .LBB4_11524
; %bb.11511:                            ;   in Loop: Header=BB4_10490 Depth=3
	v_and_b32_e32 v10, 0x7fffffff, v9
	v_mov_b32_e32 v11, v3
	v_and_b32_e32 v2, 0x80, v2
                                        ; implicit-def: $vgpr8
	s_mov_b32 s14, exec_lo
	s_delay_alu instid0(VALU_DEP_2)
	v_cmpx_gt_u64_e32 0x47600001, v[10:11]
	s_xor_b32 s42, exec_lo, s14
	s_cbranch_execz .LBB4_11521
; %bb.11512:                            ;   in Loop: Header=BB4_10490 Depth=3
	v_mov_b32_e32 v8, 0
	s_mov_b32 s43, exec_lo
	v_cmpx_ne_u32_e32 0, v9
	s_cbranch_execz .LBB4_11520
; %bb.11513:                            ;   in Loop: Header=BB4_10490 Depth=3
	v_bfe_u32 v10, v9, 23, 8
	v_or_b32_e32 v17, 0x800000, v4
	s_delay_alu instid0(VALU_DEP_2) | instskip(SKIP_1) | instid1(VALU_DEP_2)
	v_sub_nc_u32_e32 v8, 0x71, v10
	v_cmp_gt_u32_e32 vcc_lo, 0x72, v10
	v_cndmask_b32_e32 v8, 0, v8, vcc_lo
	v_cmp_eq_u32_e32 vcc_lo, 0, v10
	s_delay_alu instid0(VALU_DEP_2) | instskip(NEXT) | instid1(VALU_DEP_1)
	v_cndmask_b32_e64 v11, v8, 0x70, vcc_lo
	v_dual_cndmask_b32 v4, v17, v4, vcc_lo :: v_dual_add_nc_u32 v8, 21, v11
	v_add_nc_u32_e32 v67, 20, v11
	s_delay_alu instid0(VALU_DEP_2) | instskip(NEXT) | instid1(VALU_DEP_2)
	v_lshlrev_b64_e64 v[8:9], v8, -1
	v_lshlrev_b64_e64 v[86:87], v67, 1
	s_delay_alu instid0(VALU_DEP_2) | instskip(SKIP_1) | instid1(VALU_DEP_4)
	v_bfi_b32 v8, v8, 0, v4
	v_lshrrev_b64 v[4:5], v11, v[4:5]
	v_bfi_b32 v9, v9, 0, 0
	s_delay_alu instid0(VALU_DEP_1) | instskip(NEXT) | instid1(VALU_DEP_3)
	v_cmp_eq_u64_e64 s14, v[8:9], v[86:87]
	v_mov_b64_e32 v[8:9], v[4:5]
	s_and_saveexec_b32 s78, s14
; %bb.11514:                            ;   in Loop: Header=BB4_10490 Depth=3
	v_bfe_u32 v8, v4, 21, 1
	v_mov_b32_e32 v9, v3
	s_delay_alu instid0(VALU_DEP_1) | instskip(NEXT) | instid1(VALU_DEP_1)
	v_add_nc_u64_e32 v[8:9], v[4:5], v[8:9]
	v_add_nc_u64_e32 v[8:9], -1, v[8:9]
; %bb.11515:                            ;   in Loop: Header=BB4_10490 Depth=3
	s_or_b32 exec_lo, exec_lo, s78
	v_add_nc_u32_e32 v5, 0xffffff81, v10
	v_lshrrev_b32_e32 v9, 23, v4
	s_mov_b32 s14, exec_lo
	s_delay_alu instid0(VALU_DEP_2) | instskip(NEXT) | instid1(VALU_DEP_1)
	v_cndmask_b32_e64 v5, v5, 0xffffff82, vcc_lo
	v_add3_u32 v9, v11, v5, v9
	v_and_b32_e32 v5, 0x1fffff, v8
                                        ; implicit-def: $vgpr8
	s_delay_alu instid0(VALU_DEP_1) | instskip(SKIP_1) | instid1(VALU_DEP_2)
	v_dual_add_nc_u32 v10, 14, v9 :: v_dual_add_nc_u32 v4, v5, v4
	v_mov_b32_e32 v5, v3
	v_cmpx_ne_u32_e32 0, v10
	s_xor_b32 s14, exec_lo, s14
; %bb.11516:                            ;   in Loop: Header=BB4_10490 Depth=3
	s_delay_alu instid0(VALU_DEP_2) | instskip(SKIP_2) | instid1(VALU_DEP_2)
	v_cmp_lt_u64_e32 vcc_lo, 0xffffff, v[4:5]
	v_add_nc_u32_e32 v8, 15, v9
	v_cndmask_b32_e64 v9, 0, 1, vcc_lo
	v_cndmask_b32_e32 v8, v10, v8, vcc_lo
	s_delay_alu instid0(VALU_DEP_2)
	v_lshrrev_b64 v[4:5], v9, v[4:5]
; %bb.11517:                            ;   in Loop: Header=BB4_10490 Depth=3
	s_and_not1_saveexec_b32 s14, s14
; %bb.11518:                            ;   in Loop: Header=BB4_10490 Depth=3
	s_delay_alu instid0(VALU_DEP_1)
	v_bfe_u32 v8, v4, 23, 1
; %bb.11519:                            ;   in Loop: Header=BB4_10490 Depth=3
	s_or_b32 exec_lo, exec_lo, s14
	s_delay_alu instid0(VALU_DEP_2) | instskip(NEXT) | instid1(VALU_DEP_2)
	v_lshrrev_b64 v[4:5], 21, v[4:5]
	v_cmp_gt_i32_e32 vcc_lo, 32, v8
	v_min_i32_e32 v9, 31, v8
	v_cmp_eq_u32_e64 s14, 0, v8
	s_delay_alu instid0(VALU_DEP_4) | instskip(NEXT) | instid1(VALU_DEP_3)
	v_cndmask_b32_e32 v5, 0, v5, vcc_lo
	v_dual_cndmask_b32 v4, 3, v4 :: v_dual_lshlrev_b32 v9, 2, v9
	s_delay_alu instid0(VALU_DEP_1) | instskip(NEXT) | instid1(VALU_DEP_2)
	v_and_b32_e32 v9, 0xfc, v9
	v_cmp_eq_u64_e32 vcc_lo, 0, v[4:5]
	s_delay_alu instid0(VALU_DEP_2)
	v_and_or_b32 v4, v4, 3, v9
	s_and_b32 s14, s14, vcc_lo
	s_delay_alu instid0(VALU_DEP_1) | instid1(SALU_CYCLE_1)
	v_cndmask_b32_e64 v4, v4, 0, s14
	s_delay_alu instid0(VALU_DEP_1)
	v_or_b32_e32 v8, v4, v2
.LBB4_11520:                            ;   in Loop: Header=BB4_10490 Depth=3
	s_or_b32 exec_lo, exec_lo, s43
                                        ; implicit-def: $vgpr2
.LBB4_11521:                            ;   in Loop: Header=BB4_10490 Depth=3
	s_and_not1_saveexec_b32 s14, s42
; %bb.11522:                            ;   in Loop: Header=BB4_10490 Depth=3
	v_or_b32_e32 v8, 0x7b, v2
; %bb.11523:                            ;   in Loop: Header=BB4_10490 Depth=3
	s_or_b32 exec_lo, exec_lo, s14
                                        ; implicit-def: $vgpr9
                                        ; implicit-def: $vgpr4_vgpr5
                                        ; implicit-def: $vgpr2
.LBB4_11524:                            ;   in Loop: Header=BB4_10490 Depth=3
	s_and_not1_saveexec_b32 s14, s15
	s_cbranch_execz .LBB4_11530
; %bb.11525:                            ;   in Loop: Header=BB4_10490 Depth=3
	s_mov_b32 s15, exec_lo
                                        ; implicit-def: $vgpr8
	v_cmpx_ne_u64_e32 0, v[4:5]
	s_xor_b32 s15, exec_lo, s15
; %bb.11526:                            ;   in Loop: Header=BB4_10490 Depth=3
	v_or_b32_e32 v8, 0x7f, v2
                                        ; implicit-def: $vgpr9
; %bb.11527:                            ;   in Loop: Header=BB4_10490 Depth=3
	s_and_not1_saveexec_b32 s15, s15
; %bb.11528:                            ;   in Loop: Header=BB4_10490 Depth=3
	v_cmp_lt_i32_e32 vcc_lo, -1, v9
	v_cndmask_b32_e32 v8, 0xfc, v49, vcc_lo
; %bb.11529:                            ;   in Loop: Header=BB4_10490 Depth=3
	s_or_b32 exec_lo, exec_lo, s15
.LBB4_11530:                            ;   in Loop: Header=BB4_10490 Depth=3
	s_delay_alu instid0(SALU_CYCLE_1)
	s_or_b32 exec_lo, exec_lo, s14
	v_lshl_or_b32 v2, v21, 8, v20
	v_dual_lshlrev_b32 v4, 16, v40 :: v_dual_lshlrev_b32 v11, 16, v113
	v_dual_lshlrev_b32 v5, 24, v56 :: v_dual_lshlrev_b32 v17, 24, v117
	v_lshl_or_b32 v10, v100, 8, v66
	v_lshl_or_b32 v20, v116, 8, v101
	v_dual_lshlrev_b32 v21, 16, v119 :: v_dual_lshlrev_b32 v66, 24, v41
	v_lshlrev_b32_e32 v67, 24, v8
	v_lshlrev_b32_e32 v16, 16, v16
	v_lshl_or_b32 v18, v19, 8, v18
	v_or3_b32 v9, v2, v4, v5
	v_or3_b32 v8, v10, v11, v17
	;; [unrolled: 1-line block ×3, first 2 shown]
	s_mov_b64 s[42:43], 0
	v_or3_b32 v11, v18, v16, v67
	s_mov_b32 s78, -1
.LBB4_11531:                            ;   Parent Loop BB4_47 Depth=1
                                        ;     Parent Loop BB4_8155 Depth=2
                                        ;       Parent Loop BB4_10490 Depth=3
                                        ; =>      This Inner Loop Header: Depth=4
	s_cmp_eq_u32 s42, 1
	s_cselect_b32 vcc_lo, -1, 0
	s_cmp_eq_u32 s42, 0
	s_wait_xcnt 0x0
	v_dual_cndmask_b32 v5, v15, v45 :: v_dual_cndmask_b32 v4, v14, v44
	s_cselect_b32 s14, -1, 0
	s_and_b32 s15, exec_lo, s78
	s_mov_b64 s[42:43], 1
	s_mov_b32 s78, 0
	v_add_nc_u64_e32 v[16:17], 0x200, v[4:5]
	global_store_b128 v[4:5], v[8:11], off th:TH_STORE_NT
	v_dual_cndmask_b32 v45, v45, v17 :: v_dual_cndmask_b32 v44, v44, v16
	v_dual_cndmask_b32 v15, v15, v17, s14 :: v_dual_cndmask_b32 v14, v14, v16, s14
	s_mov_b32 vcc_lo, s15
	s_cbranch_vccnz .LBB4_11531
; %bb.11532:                            ;   in Loop: Header=BB4_10490 Depth=3
	s_wait_xcnt 0x0
	v_add_nc_u64_e32 v[4:5], 0x200, v[82:83]
	v_dual_sub_nc_u32 v65, v65, v54 :: v_dual_sub_nc_u32 v64, v64, v36
	v_add_nc_u64_e32 v[14:15], v[14:15], v[82:83]
	v_add_nc_u64_e32 v[44:45], v[44:45], v[82:83]
	s_delay_alu instid0(VALU_DEP_3) | instskip(SKIP_3) | instid1(SALU_CYCLE_1)
	v_cmp_gt_i32_e32 vcc_lo, 16, v65
	v_add_nc_u64_e32 v[12:13], v[12:13], v[4:5]
	v_add_nc_u64_e32 v[46:47], v[46:47], v[4:5]
	s_or_b32 s75, vcc_lo, s75
	s_and_not1_b32 exec_lo, exec_lo, s75
	s_cbranch_execnz .LBB4_10490
	s_branch .LBB4_11557
.LBB4_11533:                            ;   in Loop: Header=BB4_10490 Depth=3
	s_or_saveexec_b32 s14, s14
	v_bfrev_b32_e32 v5, 1
	s_xor_b32 exec_lo, exec_lo, s14
	s_cbranch_execz .LBB4_10992
.LBB4_11534:                            ;   in Loop: Header=BB4_10490 Depth=3
	v_cmp_ne_u16_e32 vcc_lo, 0, v17
	v_mov_b32_e32 v5, 0
	s_and_not1_b32 s15, s15, exec_lo
	s_and_b32 s42, vcc_lo, exec_lo
	s_delay_alu instid0(SALU_CYCLE_1)
	s_or_b32 s15, s15, s42
	s_or_b32 exec_lo, exec_lo, s14
	s_and_saveexec_b32 s14, s15
	s_cbranch_execnz .LBB4_10993
	s_branch .LBB4_10994
.LBB4_11535:                            ;   in Loop: Header=BB4_10490 Depth=3
	s_or_saveexec_b32 s14, s14
	v_bfrev_b32_e32 v2, 1
	s_xor_b32 exec_lo, exec_lo, s14
	s_cbranch_execz .LBB4_11028
.LBB4_11536:                            ;   in Loop: Header=BB4_10490 Depth=3
	v_cmp_ne_u16_e32 vcc_lo, 0, v16
	v_mov_b32_e32 v2, 0
	s_and_not1_b32 s15, s15, exec_lo
	s_and_b32 s42, vcc_lo, exec_lo
	s_delay_alu instid0(SALU_CYCLE_1)
	s_or_b32 s15, s15, s42
	s_or_b32 exec_lo, exec_lo, s14
	s_and_saveexec_b32 s14, s15
	s_cbranch_execnz .LBB4_11029
	s_branch .LBB4_11030
.LBB4_11537:                            ;   in Loop: Header=BB4_10490 Depth=3
	s_or_saveexec_b32 s14, s14
	v_bfrev_b32_e32 v16, 1
	s_xor_b32 exec_lo, exec_lo, s14
	s_cbranch_execz .LBB4_11064
.LBB4_11538:                            ;   in Loop: Header=BB4_10490 Depth=3
	v_cmp_ne_u16_e32 vcc_lo, 0, v17
	v_mov_b32_e32 v16, 0
	s_and_not1_b32 s15, s15, exec_lo
	s_and_b32 s42, vcc_lo, exec_lo
	s_delay_alu instid0(SALU_CYCLE_1)
	s_or_b32 s15, s15, s42
	s_or_b32 exec_lo, exec_lo, s14
	s_and_saveexec_b32 s14, s15
	s_cbranch_execnz .LBB4_11065
	s_branch .LBB4_11066
.LBB4_11539:                            ;   in Loop: Header=BB4_10490 Depth=3
	s_or_saveexec_b32 s14, s14
	v_bfrev_b32_e32 v5, 1
	s_xor_b32 exec_lo, exec_lo, s14
	s_cbranch_execz .LBB4_11130
.LBB4_11540:                            ;   in Loop: Header=BB4_10490 Depth=3
	v_cmp_ne_u16_e32 vcc_lo, 0, v17
	v_mov_b32_e32 v5, 0
	s_and_not1_b32 s15, s15, exec_lo
	s_and_b32 s42, vcc_lo, exec_lo
	s_delay_alu instid0(SALU_CYCLE_1)
	s_or_b32 s15, s15, s42
	s_or_b32 exec_lo, exec_lo, s14
	v_mov_b32_e32 v17, v3
	s_and_saveexec_b32 s14, s15
	s_cbranch_execnz .LBB4_11131
	s_branch .LBB4_11132
.LBB4_11541:                            ;   in Loop: Header=BB4_10490 Depth=3
	s_or_saveexec_b32 s14, s14
	v_bfrev_b32_e32 v2, 1
	s_xor_b32 exec_lo, exec_lo, s14
	s_cbranch_execz .LBB4_11166
.LBB4_11542:                            ;   in Loop: Header=BB4_10490 Depth=3
	v_cmp_ne_u16_e32 vcc_lo, 0, v18
	v_mov_b32_e32 v2, 0
	s_and_not1_b32 s15, s15, exec_lo
	s_and_b32 s42, vcc_lo, exec_lo
	s_delay_alu instid0(SALU_CYCLE_1)
	s_or_b32 s15, s15, s42
	s_or_b32 exec_lo, exec_lo, s14
	s_and_saveexec_b32 s14, s15
	s_cbranch_execnz .LBB4_11167
	s_branch .LBB4_11168
.LBB4_11543:                            ;   in Loop: Header=BB4_10490 Depth=3
	s_or_saveexec_b32 s14, s14
	v_bfrev_b32_e32 v16, 1
	s_xor_b32 exec_lo, exec_lo, s14
	s_cbranch_execz .LBB4_11202
.LBB4_11544:                            ;   in Loop: Header=BB4_10490 Depth=3
	v_cmp_ne_u16_e32 vcc_lo, 0, v17
	v_mov_b32_e32 v16, 0
	s_and_not1_b32 s15, s15, exec_lo
	s_and_b32 s42, vcc_lo, exec_lo
	s_delay_alu instid0(SALU_CYCLE_1)
	s_or_b32 s15, s15, s42
	s_or_b32 exec_lo, exec_lo, s14
	s_and_saveexec_b32 s14, s15
	s_cbranch_execnz .LBB4_11203
	s_branch .LBB4_11204
.LBB4_11545:                            ;   in Loop: Header=BB4_10490 Depth=3
	s_or_saveexec_b32 s14, s14
	v_bfrev_b32_e32 v5, 1
	s_xor_b32 exec_lo, exec_lo, s14
	s_cbranch_execz .LBB4_11268
.LBB4_11546:                            ;   in Loop: Header=BB4_10490 Depth=3
	v_cmp_ne_u16_e32 vcc_lo, 0, v9
	v_mov_b32_e32 v5, 0
	s_and_not1_b32 s15, s15, exec_lo
	s_and_b32 s42, vcc_lo, exec_lo
	s_delay_alu instid0(SALU_CYCLE_1)
	s_or_b32 s15, s15, s42
	s_or_b32 exec_lo, exec_lo, s14
	s_and_saveexec_b32 s14, s15
	s_cbranch_execnz .LBB4_11269
	s_branch .LBB4_11270
.LBB4_11547:                            ;   in Loop: Header=BB4_10490 Depth=3
	s_or_saveexec_b32 s14, s14
	v_bfrev_b32_e32 v2, 1
	s_xor_b32 exec_lo, exec_lo, s14
	s_cbranch_execz .LBB4_11304
.LBB4_11548:                            ;   in Loop: Header=BB4_10490 Depth=3
	v_cmp_ne_u16_e32 vcc_lo, 0, v8
	v_mov_b32_e32 v2, 0
	s_and_not1_b32 s15, s15, exec_lo
	s_and_b32 s42, vcc_lo, exec_lo
	s_delay_alu instid0(SALU_CYCLE_1)
	s_or_b32 s15, s15, s42
	s_or_b32 exec_lo, exec_lo, s14
	s_and_saveexec_b32 s14, s15
	s_cbranch_execnz .LBB4_11305
	s_branch .LBB4_11306
.LBB4_11549:                            ;   in Loop: Header=BB4_10490 Depth=3
	s_or_saveexec_b32 s14, s14
	v_bfrev_b32_e32 v8, 1
	s_xor_b32 exec_lo, exec_lo, s14
	s_cbranch_execz .LBB4_11340
.LBB4_11550:                            ;   in Loop: Header=BB4_10490 Depth=3
	v_cmp_ne_u16_e32 vcc_lo, 0, v9
	v_mov_b32_e32 v8, 0
	s_and_not1_b32 s15, s15, exec_lo
	s_and_b32 s42, vcc_lo, exec_lo
	s_delay_alu instid0(SALU_CYCLE_1)
	s_or_b32 s15, s15, s42
	s_or_b32 exec_lo, exec_lo, s14
	s_and_saveexec_b32 s14, s15
	s_cbranch_execnz .LBB4_11341
	s_branch .LBB4_11342
.LBB4_11551:                            ;   in Loop: Header=BB4_10490 Depth=3
	s_or_saveexec_b32 s14, s14
	v_bfrev_b32_e32 v5, 1
	s_xor_b32 exec_lo, exec_lo, s14
	s_cbranch_execz .LBB4_11406
.LBB4_11552:                            ;   in Loop: Header=BB4_10490 Depth=3
	v_cmp_ne_u16_e32 vcc_lo, 0, v9
	v_mov_b32_e32 v5, 0
	s_and_not1_b32 s15, s15, exec_lo
	s_and_b32 s42, vcc_lo, exec_lo
	s_delay_alu instid0(SALU_CYCLE_1)
	s_or_b32 s15, s15, s42
	s_or_b32 exec_lo, exec_lo, s14
	v_mov_b32_e32 v9, v3
	s_and_saveexec_b32 s14, s15
	s_cbranch_execnz .LBB4_11407
	s_branch .LBB4_11408
.LBB4_11553:                            ;   in Loop: Header=BB4_10490 Depth=3
	s_or_saveexec_b32 s14, s14
	v_bfrev_b32_e32 v2, 1
	s_xor_b32 exec_lo, exec_lo, s14
	s_cbranch_execz .LBB4_11442
.LBB4_11554:                            ;   in Loop: Header=BB4_10490 Depth=3
	v_cmp_ne_u16_e32 vcc_lo, 0, v16
	v_mov_b32_e32 v2, 0
	s_and_not1_b32 s15, s15, exec_lo
	s_and_b32 s42, vcc_lo, exec_lo
	s_delay_alu instid0(SALU_CYCLE_1)
	s_or_b32 s15, s15, s42
	s_or_b32 exec_lo, exec_lo, s14
	s_and_saveexec_b32 s14, s15
	s_cbranch_execnz .LBB4_11443
	s_branch .LBB4_11444
.LBB4_11555:                            ;   in Loop: Header=BB4_10490 Depth=3
	s_or_saveexec_b32 s14, s14
	v_bfrev_b32_e32 v8, 1
	s_xor_b32 exec_lo, exec_lo, s14
	s_cbranch_execz .LBB4_11478
.LBB4_11556:                            ;   in Loop: Header=BB4_10490 Depth=3
	v_cmp_ne_u16_e32 vcc_lo, 0, v9
	v_mov_b32_e32 v8, 0
	s_and_not1_b32 s15, s15, exec_lo
	s_and_b32 s42, vcc_lo, exec_lo
	s_delay_alu instid0(SALU_CYCLE_1)
	s_or_b32 s15, s15, s42
	s_or_b32 exec_lo, exec_lo, s14
	s_and_saveexec_b32 s14, s15
	s_cbranch_execnz .LBB4_11479
	s_branch .LBB4_11480
.LBB4_11557:                            ;   in Loop: Header=BB4_8155 Depth=2
	s_or_b32 exec_lo, exec_lo, s75
	v_mov_b32_e32 v47, v58
.LBB4_11558:                            ;   in Loop: Header=BB4_8155 Depth=2
	s_or_b32 exec_lo, exec_lo, s74
	s_delay_alu instid0(VALU_DEP_2) | instskip(NEXT) | instid1(VALU_DEP_2)
	v_cmp_lt_i32_e32 vcc_lo, 0, v64
	v_dual_cndmask_b32 v5, 0, v36, vcc_lo :: v_dual_bitop2_b32 v2, 15, v47 bitop3:0x40
	s_delay_alu instid0(VALU_DEP_1) | instskip(NEXT) | instid1(VALU_DEP_1)
	v_dual_sub_nc_u32 v4, v51, v2 :: v_dual_cndmask_b32 v113, v51, v2, s13
	v_cndmask_b32_e64 v2, 0, v4, s13
	s_delay_alu instid0(VALU_DEP_3) | instskip(NEXT) | instid1(VALU_DEP_3)
	v_sub_nc_u32_e32 v4, v5, v64
	v_cmp_ne_u32_e32 vcc_lo, 0, v113
	s_delay_alu instid0(VALU_DEP_3) | instskip(NEXT) | instid1(VALU_DEP_3)
	v_add3_u32 v2, v50, v30, v2
	v_lshl_add_u32 v115, v4, 5, v31
	s_and_b32 s13, vcc_lo, exec_lo
.LBB4_11559:                            ;   in Loop: Header=BB4_8155 Depth=2
	s_or_b32 exec_lo, exec_lo, s73
	s_and_saveexec_b32 s73, s13
	s_cbranch_execz .LBB4_12912
.LBB4_11560:                            ;   in Loop: Header=BB4_8155 Depth=2
	v_dual_ashrrev_i32 v4, 31, v115 :: v_dual_ashrrev_i32 v5, 31, v113
	s_mov_b32 s42, exec_lo
	s_delay_alu instid0(VALU_DEP_1) | instskip(NEXT) | instid1(VALU_DEP_1)
	v_dual_lshrrev_b32 v4, 27, v4 :: v_dual_lshrrev_b32 v5, 23, v5
	v_dual_add_nc_u32 v4, v115, v4 :: v_dual_add_nc_u32 v5, v113, v5
	s_delay_alu instid0(VALU_DEP_1) | instskip(NEXT) | instid1(VALU_DEP_1)
	v_dual_ashrrev_i32 v103, 5, v4 :: v_dual_ashrrev_i32 v119, 9, v5
	v_sub_nc_u32_e32 v118, v119, v103
	s_delay_alu instid0(VALU_DEP_1)
	v_cmpx_lt_i32_e32 0, v118
	s_cbranch_execz .LBB4_12820
; %bb.11561:                            ;   in Loop: Header=BB4_8155 Depth=2
	v_and_b32_e32 v8, 0xffffffe0, v4
	s_trap 2
	ds_load_b64 v[4:5], v0
	v_lshlrev_b32_e32 v9, 9, v103
	s_mov_b32 s43, 0
	v_sub_nc_u32_e32 v8, v115, v8
	s_delay_alu instid0(VALU_DEP_1) | instskip(SKIP_3) | instid1(VALU_DEP_1)
	v_add3_u32 v14, v2, v8, v9
	scratch_load_b64 v[8:9], off, s33 offset:220 ; 8-byte Folded Reload
	v_ashrrev_i32_e32 v15, 31, v14
	s_wait_dscnt 0x0
	v_add_nc_u64_e32 v[10:11], v[4:5], v[14:15]
	scratch_load_b64 v[4:5], off, s33 offset:228 ; 8-byte Folded Reload
	s_wait_loadcnt 0x1
	v_add_nc_u64_e32 v[8:9], v[14:15], v[8:9]
	s_wait_loadcnt 0x0
	v_add_nc_u64_e32 v[12:13], v[14:15], v[4:5]
	v_add_nc_u64_e32 v[14:15], v[14:15], v[42:43]
	s_branch .LBB4_11564
.LBB4_11562:                            ;   in Loop: Header=BB4_11564 Depth=3
	s_or_b32 exec_lo, exec_lo, s14
.LBB4_11563:                            ;   in Loop: Header=BB4_11564 Depth=3
	s_delay_alu instid0(SALU_CYCLE_1)
	s_or_b32 exec_lo, exec_lo, s13
	v_sub_nc_u32_e32 v118, v118, v36
	s_clause 0xf
	flat_store_b8 v[12:13], v66 th:TH_STORE_NT
	flat_store_b8 v[12:13], v67 offset:32 th:TH_STORE_NT
	flat_store_b8 v[12:13], v116 offset:64 th:TH_STORE_NT
	;; [unrolled: 1-line block ×15, first 2 shown]
	s_clause 0xf
	flat_store_b8 v[14:15], v66 th:TH_STORE_NT
	flat_store_b8 v[14:15], v67 offset:32 th:TH_STORE_NT
	flat_store_b8 v[14:15], v116 offset:64 th:TH_STORE_NT
	;; [unrolled: 1-line block ×15, first 2 shown]
	v_add_nc_u64_e32 v[8:9], v[8:9], v[54:55]
	v_add_nc_u64_e32 v[10:11], v[10:11], v[54:55]
	s_wait_xcnt 0x10
	v_add_nc_u64_e32 v[12:13], v[12:13], v[54:55]
	v_cmp_gt_i32_e32 vcc_lo, 1, v118
	s_wait_xcnt 0x0
	v_add_nc_u64_e32 v[14:15], v[14:15], v[54:55]
	s_or_b32 s43, vcc_lo, s43
	s_delay_alu instid0(SALU_CYCLE_1)
	s_and_not1_b32 exec_lo, exec_lo, s43
	s_cbranch_execz .LBB4_12819
.LBB4_11564:                            ;   Parent Loop BB4_47 Depth=1
                                        ;     Parent Loop BB4_8155 Depth=2
                                        ; =>    This Inner Loop Header: Depth=3
	s_trap 2
	ds_load_b64 v[4:5], v0
	s_mov_b32 s74, 0
	s_wait_dscnt 0x0
	v_and_b32_e32 v16, 0xff, v4
	v_readfirstlane_b32 s14, v4
	v_readfirstlane_b32 s15, v5
	s_delay_alu instid0(VALU_DEP_3)
	v_cmp_eq_u32_e32 vcc_lo, 0, v16
	s_cbranch_vccnz .LBB4_11572
; %bb.11565:                            ;   in Loop: Header=BB4_11564 Depth=3
	s_bfe_i32 s75, s14, 0x80000
	s_brev_b32 s74, 1
	s_and_b32 s13, 0xffff, s75
	s_delay_alu instid0(SALU_CYCLE_1)
	s_cmp_eq_u32 s13, 0xff80
	s_cbranch_scc1 .LBB4_11572
; %bb.11566:                            ;   in Loop: Header=BB4_11564 Depth=3
	s_and_b32 s74, s14, 0x7c
	s_and_b32 s13, s14, 3
	s_mov_b32 s76, -1
	s_cmp_lg_u32 s74, 0x7c
	s_sext_i32_i16 s75, s75
                                        ; implicit-def: $sgpr74
	s_cbranch_scc0 .LBB4_11570
; %bb.11567:                            ;   in Loop: Header=BB4_11564 Depth=3
	s_bfe_u32 s74, s14, 0x50002
	s_mov_b32 s76, s13
	s_cmp_lg_u32 s74, 0
	s_cbranch_scc1 .LBB4_11569
; %bb.11568:                            ;   in Loop: Header=BB4_11564 Depth=3
	s_clz_i32_u32 s74, s13
	s_delay_alu instid0(SALU_CYCLE_1) | instskip(NEXT) | instid1(SALU_CYCLE_1)
	s_min_u32 s74, s74, 32
	s_sub_co_i32 s76, s74, 29
	s_sub_co_i32 s74, 30, s74
	s_lshl_b64 s[14:15], s[14:15], s76
	s_delay_alu instid0(SALU_CYCLE_1)
	s_and_b32 s76, s14, 3
.LBB4_11569:                            ;   in Loop: Header=BB4_11564 Depth=3
	s_and_b32 s14, s75, 0x80000000
	s_lshl_b32 s15, s74, 23
	s_lshl_b32 s74, s76, 21
	s_add_co_i32 s15, s15, s14
	s_mov_b32 s76, 0
	s_or_b32 s14, s15, s74
	s_delay_alu instid0(SALU_CYCLE_1)
	s_add_co_i32 s74, s14, 0x38000000
.LBB4_11570:                            ;   in Loop: Header=BB4_11564 Depth=3
	s_and_b32 vcc_lo, exec_lo, s76
	s_cbranch_vccz .LBB4_11572
; %bb.11571:                            ;   in Loop: Header=BB4_11564 Depth=3
	s_cmp_gt_i32 s75, -1
	s_cselect_b32 s14, s47, 0xff800000
	s_cmp_eq_u32 s13, 0
	s_cselect_b32 s74, s14, 0x7f800001
.LBB4_11572:                            ;   in Loop: Header=BB4_11564 Depth=3
	flat_load_i8 v4, v[8:9] th:TH_LOAD_NT
	v_mov_b32_e32 v16, 0
	s_mov_b32 s13, exec_lo
	s_wait_loadcnt_dscnt 0x0
	v_cmpx_ne_u16_e32 0, v4
	s_cbranch_execz .LBB4_11582
; %bb.11573:                            ;   in Loop: Header=BB4_11564 Depth=3
	v_bfrev_b32_e32 v16, 1
	s_mov_b32 s14, exec_lo
	v_cmpx_ne_u16_e32 0xff80, v4
	s_cbranch_execz .LBB4_11581
; %bb.11574:                            ;   in Loop: Header=BB4_11564 Depth=3
	v_and_b32_e32 v16, 0x7c, v4
	v_and_b32_e32 v5, 3, v4
	s_delay_alu instid0(VALU_DEP_2) | instskip(SKIP_1) | instid1(SALU_CYCLE_1)
	v_cmp_ne_u32_e32 vcc_lo, 0x7c, v16
                                        ; implicit-def: $vgpr16
	s_and_saveexec_b32 s15, vcc_lo
	s_xor_b32 s15, exec_lo, s15
	s_cbranch_execz .LBB4_11578
; %bb.11575:                            ;   in Loop: Header=BB4_11564 Depth=3
	v_and_b32_e32 v16, 0xff, v4
	s_mov_b32 s75, exec_lo
	s_delay_alu instid0(VALU_DEP_1) | instskip(NEXT) | instid1(VALU_DEP_1)
	v_bfe_u32 v16, v16, 2, 5
	v_cmpx_eq_u32_e32 0, v16
	s_cbranch_execz .LBB4_11577
; %bb.11576:                            ;   in Loop: Header=BB4_11564 Depth=3
	v_clz_i32_u32_e32 v5, v5
	s_delay_alu instid0(VALU_DEP_1) | instskip(SKIP_1) | instid1(VALU_DEP_2)
	v_min_u32_e32 v16, 32, v5
	v_mov_b32_e32 v5, v3
	v_subrev_nc_u32_e32 v17, 29, v16
	v_sub_nc_u32_e32 v16, 30, v16
	s_delay_alu instid0(VALU_DEP_2) | instskip(NEXT) | instid1(VALU_DEP_1)
	v_lshlrev_b64_e32 v[18:19], v17, v[4:5]
	v_and_b32_e32 v5, 3, v18
.LBB4_11577:                            ;   in Loop: Header=BB4_11564 Depth=3
	s_or_b32 exec_lo, exec_lo, s75
	v_bfe_i32 v4, v4, 0, 16
	s_delay_alu instid0(VALU_DEP_1) | instskip(NEXT) | instid1(VALU_DEP_1)
	v_and_b32_e32 v4, 0x80000000, v4
	v_lshl_add_u32 v4, v16, 23, v4
	s_delay_alu instid0(VALU_DEP_1) | instskip(NEXT) | instid1(VALU_DEP_1)
	v_lshl_or_b32 v4, v5, 21, v4
                                        ; implicit-def: $vgpr5
	v_add_nc_u32_e32 v16, 0x38000000, v4
                                        ; implicit-def: $vgpr4
.LBB4_11578:                            ;   in Loop: Header=BB4_11564 Depth=3
	s_and_not1_saveexec_b32 s15, s15
; %bb.11579:                            ;   in Loop: Header=BB4_11564 Depth=3
	v_cmp_lt_i16_e32 vcc_lo, -1, v4
	v_cndmask_b32_e32 v4, 0xff800000, v48, vcc_lo
	v_cmp_eq_u32_e32 vcc_lo, 0, v5
	s_delay_alu instid0(VALU_DEP_2)
	v_cndmask_b32_e32 v16, 0x7f800001, v4, vcc_lo
; %bb.11580:                            ;   in Loop: Header=BB4_11564 Depth=3
	s_or_b32 exec_lo, exec_lo, s15
.LBB4_11581:                            ;   in Loop: Header=BB4_11564 Depth=3
	s_delay_alu instid0(SALU_CYCLE_1)
	s_or_b32 exec_lo, exec_lo, s14
.LBB4_11582:                            ;   in Loop: Header=BB4_11564 Depth=3
	s_delay_alu instid0(SALU_CYCLE_1) | instskip(NEXT) | instid1(VALU_DEP_1)
	s_or_b32 exec_lo, exec_lo, s13
	v_dual_mul_f32 v16, s74, v16 :: v_dual_mov_b32 v5, v3
                                        ; implicit-def: $vgpr120
	s_delay_alu instid0(VALU_DEP_1) | instskip(NEXT) | instid1(VALU_DEP_1)
	v_and_b32_e32 v4, 0x7f800000, v16
	v_cmp_ne_u64_e32 vcc_lo, 0x7f800000, v[4:5]
	v_and_b32_e32 v4, 0x7fffff, v16
	s_and_saveexec_b32 s13, vcc_lo
	s_delay_alu instid0(SALU_CYCLE_1)
	s_xor_b32 s14, exec_lo, s13
	s_cbranch_execz .LBB4_11600
; %bb.11583:                            ;   in Loop: Header=BB4_11564 Depth=3
	v_and_b32_e32 v18, 0x7fffffff, v16
	v_dual_mov_b32 v19, v3 :: v_dual_lshrrev_b32 v17, 24, v16
                                        ; implicit-def: $vgpr120
	s_delay_alu instid0(VALU_DEP_1) | instskip(NEXT) | instid1(VALU_DEP_2)
	v_cmp_gt_u64_e32 vcc_lo, 0x47600001, v[18:19]
	v_and_b32_e32 v18, 0x80, v17
	s_and_saveexec_b32 s13, vcc_lo
	s_delay_alu instid0(SALU_CYCLE_1)
	s_xor_b32 s15, exec_lo, s13
	s_cbranch_execz .LBB4_11597
; %bb.11584:                            ;   in Loop: Header=BB4_11564 Depth=3
	v_mov_b32_e32 v120, 0
	s_mov_b32 s75, exec_lo
	v_cmpx_ne_u32_e32 0, v16
	s_cbranch_execz .LBB4_11596
; %bb.11585:                            ;   in Loop: Header=BB4_11564 Depth=3
	v_bfe_u32 v19, v16, 23, 8
	v_or_b32_e32 v21, 0x800000, v4
	s_delay_alu instid0(VALU_DEP_2) | instskip(SKIP_1) | instid1(VALU_DEP_2)
	v_sub_nc_u32_e32 v16, 0x71, v19
	v_cmp_gt_u32_e32 vcc_lo, 0x72, v19
	v_cndmask_b32_e32 v16, 0, v16, vcc_lo
	v_cmp_eq_u32_e32 vcc_lo, 0, v19
	s_delay_alu instid0(VALU_DEP_2) | instskip(SKIP_1) | instid1(VALU_DEP_2)
	v_cndmask_b32_e64 v20, v16, 0x70, vcc_lo
	v_cndmask_b32_e32 v4, v21, v4, vcc_lo
	v_dual_add_nc_u32 v16, 21, v20 :: v_dual_add_nc_u32 v30, 20, v20
	s_delay_alu instid0(VALU_DEP_1) | instskip(NEXT) | instid1(VALU_DEP_2)
	v_lshlrev_b64_e64 v[16:17], v16, -1
	v_lshlrev_b64_e64 v[30:31], v30, 1
	s_delay_alu instid0(VALU_DEP_2) | instskip(SKIP_1) | instid1(VALU_DEP_4)
	v_bfi_b32 v16, v16, 0, v4
	v_lshrrev_b64 v[4:5], v20, v[4:5]
	v_bfi_b32 v17, v17, 0, 0
	s_delay_alu instid0(VALU_DEP_1) | instskip(NEXT) | instid1(VALU_DEP_3)
	v_cmp_eq_u64_e64 s13, v[16:17], v[30:31]
	v_mov_b64_e32 v[16:17], v[4:5]
	s_and_saveexec_b32 s76, s13
; %bb.11586:                            ;   in Loop: Header=BB4_11564 Depth=3
	v_bfe_u32 v16, v4, 21, 1
	v_mov_b32_e32 v17, v3
	s_delay_alu instid0(VALU_DEP_1) | instskip(NEXT) | instid1(VALU_DEP_1)
	v_add_nc_u64_e32 v[16:17], v[4:5], v[16:17]
	v_add_nc_u64_e32 v[16:17], -1, v[16:17]
; %bb.11587:                            ;   in Loop: Header=BB4_11564 Depth=3
	s_or_b32 exec_lo, exec_lo, s76
	v_add_nc_u32_e32 v5, 0xffffff81, v19
	v_lshrrev_b32_e32 v17, 23, v4
	s_mov_b32 s13, exec_lo
	s_delay_alu instid0(VALU_DEP_2) | instskip(NEXT) | instid1(VALU_DEP_1)
	v_cndmask_b32_e64 v5, v5, 0xffffff82, vcc_lo
	v_add3_u32 v17, v20, v5, v17
	v_and_b32_e32 v5, 0x1fffff, v16
                                        ; implicit-def: $vgpr16
	s_delay_alu instid0(VALU_DEP_1) | instskip(SKIP_1) | instid1(VALU_DEP_2)
	v_dual_add_nc_u32 v19, 14, v17 :: v_dual_add_nc_u32 v4, v5, v4
	v_mov_b32_e32 v5, v3
	v_cmpx_ne_u32_e32 0, v19
	s_xor_b32 s13, exec_lo, s13
; %bb.11588:                            ;   in Loop: Header=BB4_11564 Depth=3
	s_delay_alu instid0(VALU_DEP_2) | instskip(SKIP_2) | instid1(VALU_DEP_2)
	v_cmp_lt_u64_e32 vcc_lo, 0xffffff, v[4:5]
	v_add_nc_u32_e32 v16, 15, v17
	v_cndmask_b32_e64 v17, 0, 1, vcc_lo
	v_cndmask_b32_e32 v16, v19, v16, vcc_lo
	s_delay_alu instid0(VALU_DEP_2)
	v_lshrrev_b64 v[4:5], v17, v[4:5]
; %bb.11589:                            ;   in Loop: Header=BB4_11564 Depth=3
	s_and_not1_saveexec_b32 s13, s13
; %bb.11590:                            ;   in Loop: Header=BB4_11564 Depth=3
	s_delay_alu instid0(VALU_DEP_1)
	v_bfe_u32 v16, v4, 23, 1
; %bb.11591:                            ;   in Loop: Header=BB4_11564 Depth=3
	s_or_b32 exec_lo, exec_lo, s13
	s_delay_alu instid0(VALU_DEP_2) | instskip(NEXT) | instid1(VALU_DEP_2)
	v_lshrrev_b64 v[4:5], 21, v[4:5]
	v_cmp_gt_i32_e32 vcc_lo, 32, v16
	v_cmp_ne_u32_e64 s13, 0, v16
                                        ; implicit-def: $vgpr120
	s_delay_alu instid0(VALU_DEP_3) | instskip(NEXT) | instid1(VALU_DEP_1)
	v_dual_cndmask_b32 v5, 0, v5 :: v_dual_cndmask_b32 v4, 3, v4
	v_cmp_ne_u64_e32 vcc_lo, 0, v[4:5]
	s_or_b32 s13, s13, vcc_lo
	s_delay_alu instid0(SALU_CYCLE_1) | instskip(NEXT) | instid1(SALU_CYCLE_1)
	s_and_saveexec_b32 s76, s13
	s_xor_b32 s13, exec_lo, s76
; %bb.11592:                            ;   in Loop: Header=BB4_11564 Depth=3
	v_min_i32_e32 v5, 31, v16
	s_delay_alu instid0(VALU_DEP_1) | instskip(NEXT) | instid1(VALU_DEP_1)
	v_lshl_or_b32 v5, v5, 2, v18
                                        ; implicit-def: $vgpr18
	v_and_or_b32 v120, v4, 3, v5
; %bb.11593:                            ;   in Loop: Header=BB4_11564 Depth=3
	s_and_not1_saveexec_b32 s13, s13
; %bb.11594:                            ;   in Loop: Header=BB4_11564 Depth=3
	v_mov_b32_e32 v120, v18
; %bb.11595:                            ;   in Loop: Header=BB4_11564 Depth=3
	s_or_b32 exec_lo, exec_lo, s13
.LBB4_11596:                            ;   in Loop: Header=BB4_11564 Depth=3
	s_delay_alu instid0(SALU_CYCLE_1)
	s_or_b32 exec_lo, exec_lo, s75
                                        ; implicit-def: $vgpr18
.LBB4_11597:                            ;   in Loop: Header=BB4_11564 Depth=3
	s_and_not1_saveexec_b32 s13, s15
; %bb.11598:                            ;   in Loop: Header=BB4_11564 Depth=3
	v_or_b32_e32 v120, 0x7b, v18
; %bb.11599:                            ;   in Loop: Header=BB4_11564 Depth=3
	s_or_b32 exec_lo, exec_lo, s13
                                        ; implicit-def: $vgpr16
                                        ; implicit-def: $vgpr4_vgpr5
.LBB4_11600:                            ;   in Loop: Header=BB4_11564 Depth=3
	s_and_not1_saveexec_b32 s13, s14
	s_cbranch_execz .LBB4_11606
; %bb.11601:                            ;   in Loop: Header=BB4_11564 Depth=3
	s_mov_b32 s14, exec_lo
                                        ; implicit-def: $vgpr120
	v_cmpx_ne_u64_e32 0, v[4:5]
	s_xor_b32 s14, exec_lo, s14
; %bb.11602:                            ;   in Loop: Header=BB4_11564 Depth=3
	v_lshrrev_b32_e32 v4, 24, v16
                                        ; implicit-def: $vgpr16
	s_delay_alu instid0(VALU_DEP_1)
	v_or_b32_e32 v120, 0x7f, v4
; %bb.11603:                            ;   in Loop: Header=BB4_11564 Depth=3
	s_and_not1_saveexec_b32 s14, s14
; %bb.11604:                            ;   in Loop: Header=BB4_11564 Depth=3
	v_cmp_lt_i32_e32 vcc_lo, -1, v16
	v_cndmask_b32_e64 v120, -4, 0x7c, vcc_lo
; %bb.11605:                            ;   in Loop: Header=BB4_11564 Depth=3
	s_or_b32 exec_lo, exec_lo, s14
.LBB4_11606:                            ;   in Loop: Header=BB4_11564 Depth=3
	s_delay_alu instid0(SALU_CYCLE_1)
	s_or_b32 exec_lo, exec_lo, s13
	flat_load_i8 v4, v[8:9] offset:32 th:TH_LOAD_NT
	v_mov_b32_e32 v16, 0
	s_mov_b32 s13, exec_lo
	s_wait_loadcnt_dscnt 0x0
	v_cmpx_ne_u16_e32 0, v4
	s_cbranch_execz .LBB4_11616
; %bb.11607:                            ;   in Loop: Header=BB4_11564 Depth=3
	v_bfrev_b32_e32 v16, 1
	s_mov_b32 s14, exec_lo
	v_cmpx_ne_u16_e32 0xff80, v4
	s_cbranch_execz .LBB4_11615
; %bb.11608:                            ;   in Loop: Header=BB4_11564 Depth=3
	v_and_b32_e32 v16, 0x7c, v4
	v_and_b32_e32 v5, 3, v4
	s_delay_alu instid0(VALU_DEP_2) | instskip(SKIP_1) | instid1(SALU_CYCLE_1)
	v_cmp_ne_u32_e32 vcc_lo, 0x7c, v16
                                        ; implicit-def: $vgpr16
	s_and_saveexec_b32 s15, vcc_lo
	s_xor_b32 s15, exec_lo, s15
	s_cbranch_execz .LBB4_11612
; %bb.11609:                            ;   in Loop: Header=BB4_11564 Depth=3
	v_and_b32_e32 v16, 0xff, v4
	s_mov_b32 s75, exec_lo
	s_delay_alu instid0(VALU_DEP_1) | instskip(NEXT) | instid1(VALU_DEP_1)
	v_bfe_u32 v16, v16, 2, 5
	v_cmpx_eq_u32_e32 0, v16
	s_cbranch_execz .LBB4_11611
; %bb.11610:                            ;   in Loop: Header=BB4_11564 Depth=3
	v_clz_i32_u32_e32 v5, v5
	s_delay_alu instid0(VALU_DEP_1) | instskip(SKIP_1) | instid1(VALU_DEP_2)
	v_min_u32_e32 v16, 32, v5
	v_mov_b32_e32 v5, v3
	v_subrev_nc_u32_e32 v17, 29, v16
	v_sub_nc_u32_e32 v16, 30, v16
	s_delay_alu instid0(VALU_DEP_2) | instskip(NEXT) | instid1(VALU_DEP_1)
	v_lshlrev_b64_e32 v[18:19], v17, v[4:5]
	v_and_b32_e32 v5, 3, v18
.LBB4_11611:                            ;   in Loop: Header=BB4_11564 Depth=3
	s_or_b32 exec_lo, exec_lo, s75
	v_bfe_i32 v4, v4, 0, 16
	s_delay_alu instid0(VALU_DEP_1) | instskip(NEXT) | instid1(VALU_DEP_1)
	v_and_b32_e32 v4, 0x80000000, v4
	v_lshl_add_u32 v4, v16, 23, v4
	s_delay_alu instid0(VALU_DEP_1) | instskip(NEXT) | instid1(VALU_DEP_1)
	v_lshl_or_b32 v4, v5, 21, v4
                                        ; implicit-def: $vgpr5
	v_add_nc_u32_e32 v16, 0x38000000, v4
                                        ; implicit-def: $vgpr4
.LBB4_11612:                            ;   in Loop: Header=BB4_11564 Depth=3
	s_and_not1_saveexec_b32 s15, s15
; %bb.11613:                            ;   in Loop: Header=BB4_11564 Depth=3
	v_cmp_lt_i16_e32 vcc_lo, -1, v4
	v_cndmask_b32_e32 v4, 0xff800000, v48, vcc_lo
	v_cmp_eq_u32_e32 vcc_lo, 0, v5
	s_delay_alu instid0(VALU_DEP_2)
	v_cndmask_b32_e32 v16, 0x7f800001, v4, vcc_lo
; %bb.11614:                            ;   in Loop: Header=BB4_11564 Depth=3
	s_or_b32 exec_lo, exec_lo, s15
.LBB4_11615:                            ;   in Loop: Header=BB4_11564 Depth=3
	s_delay_alu instid0(SALU_CYCLE_1)
	s_or_b32 exec_lo, exec_lo, s14
.LBB4_11616:                            ;   in Loop: Header=BB4_11564 Depth=3
	s_delay_alu instid0(SALU_CYCLE_1) | instskip(NEXT) | instid1(VALU_DEP_1)
	s_or_b32 exec_lo, exec_lo, s13
	v_dual_mul_f32 v16, s74, v16 :: v_dual_mov_b32 v5, v3
                                        ; implicit-def: $vgpr110
	s_delay_alu instid0(VALU_DEP_1) | instskip(NEXT) | instid1(VALU_DEP_1)
	v_and_b32_e32 v4, 0x7f800000, v16
	v_cmp_ne_u64_e32 vcc_lo, 0x7f800000, v[4:5]
	v_and_b32_e32 v4, 0x7fffff, v16
	s_and_saveexec_b32 s13, vcc_lo
	s_delay_alu instid0(SALU_CYCLE_1)
	s_xor_b32 s14, exec_lo, s13
	s_cbranch_execz .LBB4_11634
; %bb.11617:                            ;   in Loop: Header=BB4_11564 Depth=3
	v_and_b32_e32 v18, 0x7fffffff, v16
	v_dual_mov_b32 v19, v3 :: v_dual_lshrrev_b32 v17, 24, v16
                                        ; implicit-def: $vgpr110
	s_delay_alu instid0(VALU_DEP_1) | instskip(NEXT) | instid1(VALU_DEP_2)
	v_cmp_gt_u64_e32 vcc_lo, 0x47600001, v[18:19]
	v_and_b32_e32 v18, 0x80, v17
	s_and_saveexec_b32 s13, vcc_lo
	s_delay_alu instid0(SALU_CYCLE_1)
	s_xor_b32 s15, exec_lo, s13
	s_cbranch_execz .LBB4_11631
; %bb.11618:                            ;   in Loop: Header=BB4_11564 Depth=3
	v_mov_b32_e32 v110, 0
	s_mov_b32 s75, exec_lo
	v_cmpx_ne_u32_e32 0, v16
	s_cbranch_execz .LBB4_11630
; %bb.11619:                            ;   in Loop: Header=BB4_11564 Depth=3
	v_bfe_u32 v19, v16, 23, 8
	v_or_b32_e32 v21, 0x800000, v4
	s_delay_alu instid0(VALU_DEP_2) | instskip(SKIP_1) | instid1(VALU_DEP_2)
	v_sub_nc_u32_e32 v16, 0x71, v19
	v_cmp_gt_u32_e32 vcc_lo, 0x72, v19
	v_cndmask_b32_e32 v16, 0, v16, vcc_lo
	v_cmp_eq_u32_e32 vcc_lo, 0, v19
	s_delay_alu instid0(VALU_DEP_2) | instskip(SKIP_1) | instid1(VALU_DEP_2)
	v_cndmask_b32_e64 v20, v16, 0x70, vcc_lo
	v_cndmask_b32_e32 v4, v21, v4, vcc_lo
	v_dual_add_nc_u32 v16, 21, v20 :: v_dual_add_nc_u32 v30, 20, v20
	s_delay_alu instid0(VALU_DEP_1) | instskip(NEXT) | instid1(VALU_DEP_2)
	v_lshlrev_b64_e64 v[16:17], v16, -1
	v_lshlrev_b64_e64 v[30:31], v30, 1
	s_delay_alu instid0(VALU_DEP_2) | instskip(SKIP_1) | instid1(VALU_DEP_4)
	v_bfi_b32 v16, v16, 0, v4
	v_lshrrev_b64 v[4:5], v20, v[4:5]
	v_bfi_b32 v17, v17, 0, 0
	s_delay_alu instid0(VALU_DEP_1) | instskip(NEXT) | instid1(VALU_DEP_3)
	v_cmp_eq_u64_e64 s13, v[16:17], v[30:31]
	v_mov_b64_e32 v[16:17], v[4:5]
	s_and_saveexec_b32 s76, s13
; %bb.11620:                            ;   in Loop: Header=BB4_11564 Depth=3
	v_bfe_u32 v16, v4, 21, 1
	v_mov_b32_e32 v17, v3
	s_delay_alu instid0(VALU_DEP_1) | instskip(NEXT) | instid1(VALU_DEP_1)
	v_add_nc_u64_e32 v[16:17], v[4:5], v[16:17]
	v_add_nc_u64_e32 v[16:17], -1, v[16:17]
; %bb.11621:                            ;   in Loop: Header=BB4_11564 Depth=3
	s_or_b32 exec_lo, exec_lo, s76
	v_add_nc_u32_e32 v5, 0xffffff81, v19
	v_lshrrev_b32_e32 v17, 23, v4
	s_mov_b32 s13, exec_lo
	s_delay_alu instid0(VALU_DEP_2) | instskip(NEXT) | instid1(VALU_DEP_1)
	v_cndmask_b32_e64 v5, v5, 0xffffff82, vcc_lo
	v_add3_u32 v17, v20, v5, v17
	v_and_b32_e32 v5, 0x1fffff, v16
                                        ; implicit-def: $vgpr16
	s_delay_alu instid0(VALU_DEP_1) | instskip(SKIP_1) | instid1(VALU_DEP_2)
	v_dual_add_nc_u32 v19, 14, v17 :: v_dual_add_nc_u32 v4, v5, v4
	v_mov_b32_e32 v5, v3
	v_cmpx_ne_u32_e32 0, v19
	s_xor_b32 s13, exec_lo, s13
; %bb.11622:                            ;   in Loop: Header=BB4_11564 Depth=3
	s_delay_alu instid0(VALU_DEP_2) | instskip(SKIP_2) | instid1(VALU_DEP_2)
	v_cmp_lt_u64_e32 vcc_lo, 0xffffff, v[4:5]
	v_add_nc_u32_e32 v16, 15, v17
	v_cndmask_b32_e64 v17, 0, 1, vcc_lo
	v_cndmask_b32_e32 v16, v19, v16, vcc_lo
	s_delay_alu instid0(VALU_DEP_2)
	v_lshrrev_b64 v[4:5], v17, v[4:5]
; %bb.11623:                            ;   in Loop: Header=BB4_11564 Depth=3
	s_and_not1_saveexec_b32 s13, s13
; %bb.11624:                            ;   in Loop: Header=BB4_11564 Depth=3
	s_delay_alu instid0(VALU_DEP_1)
	v_bfe_u32 v16, v4, 23, 1
; %bb.11625:                            ;   in Loop: Header=BB4_11564 Depth=3
	s_or_b32 exec_lo, exec_lo, s13
	s_delay_alu instid0(VALU_DEP_2) | instskip(NEXT) | instid1(VALU_DEP_2)
	v_lshrrev_b64 v[4:5], 21, v[4:5]
	v_cmp_gt_i32_e32 vcc_lo, 32, v16
	v_cmp_ne_u32_e64 s13, 0, v16
                                        ; implicit-def: $vgpr110
	s_delay_alu instid0(VALU_DEP_3) | instskip(NEXT) | instid1(VALU_DEP_1)
	v_dual_cndmask_b32 v5, 0, v5 :: v_dual_cndmask_b32 v4, 3, v4
	v_cmp_ne_u64_e32 vcc_lo, 0, v[4:5]
	s_or_b32 s13, s13, vcc_lo
	s_delay_alu instid0(SALU_CYCLE_1) | instskip(NEXT) | instid1(SALU_CYCLE_1)
	s_and_saveexec_b32 s76, s13
	s_xor_b32 s13, exec_lo, s76
; %bb.11626:                            ;   in Loop: Header=BB4_11564 Depth=3
	v_min_i32_e32 v5, 31, v16
	s_delay_alu instid0(VALU_DEP_1) | instskip(NEXT) | instid1(VALU_DEP_1)
	v_lshl_or_b32 v5, v5, 2, v18
                                        ; implicit-def: $vgpr18
	v_and_or_b32 v110, v4, 3, v5
; %bb.11627:                            ;   in Loop: Header=BB4_11564 Depth=3
	s_and_not1_saveexec_b32 s13, s13
; %bb.11628:                            ;   in Loop: Header=BB4_11564 Depth=3
	v_mov_b32_e32 v110, v18
; %bb.11629:                            ;   in Loop: Header=BB4_11564 Depth=3
	s_or_b32 exec_lo, exec_lo, s13
.LBB4_11630:                            ;   in Loop: Header=BB4_11564 Depth=3
	s_delay_alu instid0(SALU_CYCLE_1)
	s_or_b32 exec_lo, exec_lo, s75
                                        ; implicit-def: $vgpr18
.LBB4_11631:                            ;   in Loop: Header=BB4_11564 Depth=3
	s_and_not1_saveexec_b32 s13, s15
; %bb.11632:                            ;   in Loop: Header=BB4_11564 Depth=3
	v_or_b32_e32 v110, 0x7b, v18
; %bb.11633:                            ;   in Loop: Header=BB4_11564 Depth=3
	s_or_b32 exec_lo, exec_lo, s13
                                        ; implicit-def: $vgpr16
                                        ; implicit-def: $vgpr4_vgpr5
.LBB4_11634:                            ;   in Loop: Header=BB4_11564 Depth=3
	s_and_not1_saveexec_b32 s13, s14
	s_cbranch_execz .LBB4_11640
; %bb.11635:                            ;   in Loop: Header=BB4_11564 Depth=3
	s_mov_b32 s14, exec_lo
                                        ; implicit-def: $vgpr110
	v_cmpx_ne_u64_e32 0, v[4:5]
	s_xor_b32 s14, exec_lo, s14
; %bb.11636:                            ;   in Loop: Header=BB4_11564 Depth=3
	v_lshrrev_b32_e32 v4, 24, v16
                                        ; implicit-def: $vgpr16
	s_delay_alu instid0(VALU_DEP_1)
	v_or_b32_e32 v110, 0x7f, v4
; %bb.11637:                            ;   in Loop: Header=BB4_11564 Depth=3
	s_and_not1_saveexec_b32 s14, s14
; %bb.11638:                            ;   in Loop: Header=BB4_11564 Depth=3
	v_cmp_lt_i32_e32 vcc_lo, -1, v16
	v_cndmask_b32_e64 v110, -4, 0x7c, vcc_lo
; %bb.11639:                            ;   in Loop: Header=BB4_11564 Depth=3
	s_or_b32 exec_lo, exec_lo, s14
.LBB4_11640:                            ;   in Loop: Header=BB4_11564 Depth=3
	s_delay_alu instid0(SALU_CYCLE_1)
	s_or_b32 exec_lo, exec_lo, s13
	flat_load_i8 v4, v[8:9] offset:64 th:TH_LOAD_NT
	v_mov_b32_e32 v16, 0
	s_mov_b32 s13, exec_lo
	s_wait_loadcnt_dscnt 0x0
	v_cmpx_ne_u16_e32 0, v4
	s_cbranch_execz .LBB4_11650
; %bb.11641:                            ;   in Loop: Header=BB4_11564 Depth=3
	v_bfrev_b32_e32 v16, 1
	s_mov_b32 s14, exec_lo
	v_cmpx_ne_u16_e32 0xff80, v4
	s_cbranch_execz .LBB4_11649
; %bb.11642:                            ;   in Loop: Header=BB4_11564 Depth=3
	v_and_b32_e32 v16, 0x7c, v4
	v_and_b32_e32 v5, 3, v4
	s_delay_alu instid0(VALU_DEP_2) | instskip(SKIP_1) | instid1(SALU_CYCLE_1)
	v_cmp_ne_u32_e32 vcc_lo, 0x7c, v16
                                        ; implicit-def: $vgpr16
	s_and_saveexec_b32 s15, vcc_lo
	s_xor_b32 s15, exec_lo, s15
	s_cbranch_execz .LBB4_11646
; %bb.11643:                            ;   in Loop: Header=BB4_11564 Depth=3
	v_and_b32_e32 v16, 0xff, v4
	s_mov_b32 s75, exec_lo
	s_delay_alu instid0(VALU_DEP_1) | instskip(NEXT) | instid1(VALU_DEP_1)
	v_bfe_u32 v16, v16, 2, 5
	v_cmpx_eq_u32_e32 0, v16
	s_cbranch_execz .LBB4_11645
; %bb.11644:                            ;   in Loop: Header=BB4_11564 Depth=3
	v_clz_i32_u32_e32 v5, v5
	s_delay_alu instid0(VALU_DEP_1) | instskip(SKIP_1) | instid1(VALU_DEP_2)
	v_min_u32_e32 v16, 32, v5
	v_mov_b32_e32 v5, v3
	v_subrev_nc_u32_e32 v17, 29, v16
	v_sub_nc_u32_e32 v16, 30, v16
	s_delay_alu instid0(VALU_DEP_2) | instskip(NEXT) | instid1(VALU_DEP_1)
	v_lshlrev_b64_e32 v[18:19], v17, v[4:5]
	v_and_b32_e32 v5, 3, v18
.LBB4_11645:                            ;   in Loop: Header=BB4_11564 Depth=3
	s_or_b32 exec_lo, exec_lo, s75
	v_bfe_i32 v4, v4, 0, 16
	s_delay_alu instid0(VALU_DEP_1) | instskip(NEXT) | instid1(VALU_DEP_1)
	v_and_b32_e32 v4, 0x80000000, v4
	v_lshl_add_u32 v4, v16, 23, v4
	s_delay_alu instid0(VALU_DEP_1) | instskip(NEXT) | instid1(VALU_DEP_1)
	v_lshl_or_b32 v4, v5, 21, v4
                                        ; implicit-def: $vgpr5
	v_add_nc_u32_e32 v16, 0x38000000, v4
                                        ; implicit-def: $vgpr4
.LBB4_11646:                            ;   in Loop: Header=BB4_11564 Depth=3
	s_and_not1_saveexec_b32 s15, s15
; %bb.11647:                            ;   in Loop: Header=BB4_11564 Depth=3
	v_cmp_lt_i16_e32 vcc_lo, -1, v4
	v_cndmask_b32_e32 v4, 0xff800000, v48, vcc_lo
	v_cmp_eq_u32_e32 vcc_lo, 0, v5
	s_delay_alu instid0(VALU_DEP_2)
	v_cndmask_b32_e32 v16, 0x7f800001, v4, vcc_lo
; %bb.11648:                            ;   in Loop: Header=BB4_11564 Depth=3
	s_or_b32 exec_lo, exec_lo, s15
.LBB4_11649:                            ;   in Loop: Header=BB4_11564 Depth=3
	s_delay_alu instid0(SALU_CYCLE_1)
	s_or_b32 exec_lo, exec_lo, s14
.LBB4_11650:                            ;   in Loop: Header=BB4_11564 Depth=3
	s_delay_alu instid0(SALU_CYCLE_1) | instskip(NEXT) | instid1(VALU_DEP_1)
	s_or_b32 exec_lo, exec_lo, s13
	v_dual_mul_f32 v16, s74, v16 :: v_dual_mov_b32 v5, v3
                                        ; implicit-def: $vgpr108
	s_delay_alu instid0(VALU_DEP_1) | instskip(NEXT) | instid1(VALU_DEP_1)
	v_and_b32_e32 v4, 0x7f800000, v16
	v_cmp_ne_u64_e32 vcc_lo, 0x7f800000, v[4:5]
	v_and_b32_e32 v4, 0x7fffff, v16
	s_and_saveexec_b32 s13, vcc_lo
	s_delay_alu instid0(SALU_CYCLE_1)
	s_xor_b32 s14, exec_lo, s13
	s_cbranch_execz .LBB4_11668
; %bb.11651:                            ;   in Loop: Header=BB4_11564 Depth=3
	v_and_b32_e32 v18, 0x7fffffff, v16
	v_dual_mov_b32 v19, v3 :: v_dual_lshrrev_b32 v17, 24, v16
                                        ; implicit-def: $vgpr108
	s_delay_alu instid0(VALU_DEP_1) | instskip(NEXT) | instid1(VALU_DEP_2)
	v_cmp_gt_u64_e32 vcc_lo, 0x47600001, v[18:19]
	v_and_b32_e32 v18, 0x80, v17
	s_and_saveexec_b32 s13, vcc_lo
	s_delay_alu instid0(SALU_CYCLE_1)
	s_xor_b32 s15, exec_lo, s13
	s_cbranch_execz .LBB4_11665
; %bb.11652:                            ;   in Loop: Header=BB4_11564 Depth=3
	v_mov_b32_e32 v108, 0
	s_mov_b32 s75, exec_lo
	v_cmpx_ne_u32_e32 0, v16
	s_cbranch_execz .LBB4_11664
; %bb.11653:                            ;   in Loop: Header=BB4_11564 Depth=3
	v_bfe_u32 v19, v16, 23, 8
	v_or_b32_e32 v21, 0x800000, v4
	s_delay_alu instid0(VALU_DEP_2) | instskip(SKIP_1) | instid1(VALU_DEP_2)
	v_sub_nc_u32_e32 v16, 0x71, v19
	v_cmp_gt_u32_e32 vcc_lo, 0x72, v19
	v_cndmask_b32_e32 v16, 0, v16, vcc_lo
	v_cmp_eq_u32_e32 vcc_lo, 0, v19
	s_delay_alu instid0(VALU_DEP_2) | instskip(SKIP_1) | instid1(VALU_DEP_2)
	v_cndmask_b32_e64 v20, v16, 0x70, vcc_lo
	v_cndmask_b32_e32 v4, v21, v4, vcc_lo
	v_dual_add_nc_u32 v16, 21, v20 :: v_dual_add_nc_u32 v30, 20, v20
	s_delay_alu instid0(VALU_DEP_1) | instskip(NEXT) | instid1(VALU_DEP_2)
	v_lshlrev_b64_e64 v[16:17], v16, -1
	v_lshlrev_b64_e64 v[30:31], v30, 1
	s_delay_alu instid0(VALU_DEP_2) | instskip(SKIP_1) | instid1(VALU_DEP_4)
	v_bfi_b32 v16, v16, 0, v4
	v_lshrrev_b64 v[4:5], v20, v[4:5]
	v_bfi_b32 v17, v17, 0, 0
	s_delay_alu instid0(VALU_DEP_1) | instskip(NEXT) | instid1(VALU_DEP_3)
	v_cmp_eq_u64_e64 s13, v[16:17], v[30:31]
	v_mov_b64_e32 v[16:17], v[4:5]
	s_and_saveexec_b32 s76, s13
; %bb.11654:                            ;   in Loop: Header=BB4_11564 Depth=3
	v_bfe_u32 v16, v4, 21, 1
	v_mov_b32_e32 v17, v3
	s_delay_alu instid0(VALU_DEP_1) | instskip(NEXT) | instid1(VALU_DEP_1)
	v_add_nc_u64_e32 v[16:17], v[4:5], v[16:17]
	v_add_nc_u64_e32 v[16:17], -1, v[16:17]
; %bb.11655:                            ;   in Loop: Header=BB4_11564 Depth=3
	s_or_b32 exec_lo, exec_lo, s76
	v_add_nc_u32_e32 v5, 0xffffff81, v19
	v_lshrrev_b32_e32 v17, 23, v4
	s_mov_b32 s13, exec_lo
	s_delay_alu instid0(VALU_DEP_2) | instskip(NEXT) | instid1(VALU_DEP_1)
	v_cndmask_b32_e64 v5, v5, 0xffffff82, vcc_lo
	v_add3_u32 v17, v20, v5, v17
	v_and_b32_e32 v5, 0x1fffff, v16
                                        ; implicit-def: $vgpr16
	s_delay_alu instid0(VALU_DEP_1) | instskip(SKIP_1) | instid1(VALU_DEP_2)
	v_dual_add_nc_u32 v19, 14, v17 :: v_dual_add_nc_u32 v4, v5, v4
	v_mov_b32_e32 v5, v3
	v_cmpx_ne_u32_e32 0, v19
	s_xor_b32 s13, exec_lo, s13
; %bb.11656:                            ;   in Loop: Header=BB4_11564 Depth=3
	s_delay_alu instid0(VALU_DEP_2) | instskip(SKIP_2) | instid1(VALU_DEP_2)
	v_cmp_lt_u64_e32 vcc_lo, 0xffffff, v[4:5]
	v_add_nc_u32_e32 v16, 15, v17
	v_cndmask_b32_e64 v17, 0, 1, vcc_lo
	v_cndmask_b32_e32 v16, v19, v16, vcc_lo
	s_delay_alu instid0(VALU_DEP_2)
	v_lshrrev_b64 v[4:5], v17, v[4:5]
; %bb.11657:                            ;   in Loop: Header=BB4_11564 Depth=3
	s_and_not1_saveexec_b32 s13, s13
; %bb.11658:                            ;   in Loop: Header=BB4_11564 Depth=3
	s_delay_alu instid0(VALU_DEP_1)
	v_bfe_u32 v16, v4, 23, 1
; %bb.11659:                            ;   in Loop: Header=BB4_11564 Depth=3
	s_or_b32 exec_lo, exec_lo, s13
	s_delay_alu instid0(VALU_DEP_2) | instskip(NEXT) | instid1(VALU_DEP_2)
	v_lshrrev_b64 v[4:5], 21, v[4:5]
	v_cmp_gt_i32_e32 vcc_lo, 32, v16
	v_cmp_ne_u32_e64 s13, 0, v16
                                        ; implicit-def: $vgpr108
	s_delay_alu instid0(VALU_DEP_3) | instskip(NEXT) | instid1(VALU_DEP_1)
	v_dual_cndmask_b32 v5, 0, v5 :: v_dual_cndmask_b32 v4, 3, v4
	v_cmp_ne_u64_e32 vcc_lo, 0, v[4:5]
	s_or_b32 s13, s13, vcc_lo
	s_delay_alu instid0(SALU_CYCLE_1) | instskip(NEXT) | instid1(SALU_CYCLE_1)
	s_and_saveexec_b32 s76, s13
	s_xor_b32 s13, exec_lo, s76
; %bb.11660:                            ;   in Loop: Header=BB4_11564 Depth=3
	v_min_i32_e32 v5, 31, v16
	s_delay_alu instid0(VALU_DEP_1) | instskip(NEXT) | instid1(VALU_DEP_1)
	v_lshl_or_b32 v5, v5, 2, v18
                                        ; implicit-def: $vgpr18
	v_and_or_b32 v108, v4, 3, v5
; %bb.11661:                            ;   in Loop: Header=BB4_11564 Depth=3
	s_and_not1_saveexec_b32 s13, s13
; %bb.11662:                            ;   in Loop: Header=BB4_11564 Depth=3
	v_mov_b32_e32 v108, v18
; %bb.11663:                            ;   in Loop: Header=BB4_11564 Depth=3
	s_or_b32 exec_lo, exec_lo, s13
.LBB4_11664:                            ;   in Loop: Header=BB4_11564 Depth=3
	s_delay_alu instid0(SALU_CYCLE_1)
	s_or_b32 exec_lo, exec_lo, s75
                                        ; implicit-def: $vgpr18
.LBB4_11665:                            ;   in Loop: Header=BB4_11564 Depth=3
	s_and_not1_saveexec_b32 s13, s15
; %bb.11666:                            ;   in Loop: Header=BB4_11564 Depth=3
	v_or_b32_e32 v108, 0x7b, v18
; %bb.11667:                            ;   in Loop: Header=BB4_11564 Depth=3
	s_or_b32 exec_lo, exec_lo, s13
                                        ; implicit-def: $vgpr16
                                        ; implicit-def: $vgpr4_vgpr5
.LBB4_11668:                            ;   in Loop: Header=BB4_11564 Depth=3
	s_and_not1_saveexec_b32 s13, s14
	s_cbranch_execz .LBB4_11674
; %bb.11669:                            ;   in Loop: Header=BB4_11564 Depth=3
	s_mov_b32 s14, exec_lo
                                        ; implicit-def: $vgpr108
	v_cmpx_ne_u64_e32 0, v[4:5]
	s_xor_b32 s14, exec_lo, s14
; %bb.11670:                            ;   in Loop: Header=BB4_11564 Depth=3
	v_lshrrev_b32_e32 v4, 24, v16
                                        ; implicit-def: $vgpr16
	s_delay_alu instid0(VALU_DEP_1)
	v_or_b32_e32 v108, 0x7f, v4
; %bb.11671:                            ;   in Loop: Header=BB4_11564 Depth=3
	s_and_not1_saveexec_b32 s14, s14
; %bb.11672:                            ;   in Loop: Header=BB4_11564 Depth=3
	v_cmp_lt_i32_e32 vcc_lo, -1, v16
	v_cndmask_b32_e64 v108, -4, 0x7c, vcc_lo
; %bb.11673:                            ;   in Loop: Header=BB4_11564 Depth=3
	s_or_b32 exec_lo, exec_lo, s14
.LBB4_11674:                            ;   in Loop: Header=BB4_11564 Depth=3
	s_delay_alu instid0(SALU_CYCLE_1)
	s_or_b32 exec_lo, exec_lo, s13
	flat_load_i8 v4, v[8:9] offset:96 th:TH_LOAD_NT
	v_mov_b32_e32 v16, 0
	s_mov_b32 s13, exec_lo
	s_wait_loadcnt_dscnt 0x0
	v_cmpx_ne_u16_e32 0, v4
	s_cbranch_execz .LBB4_11684
; %bb.11675:                            ;   in Loop: Header=BB4_11564 Depth=3
	v_bfrev_b32_e32 v16, 1
	s_mov_b32 s14, exec_lo
	v_cmpx_ne_u16_e32 0xff80, v4
	s_cbranch_execz .LBB4_11683
; %bb.11676:                            ;   in Loop: Header=BB4_11564 Depth=3
	v_and_b32_e32 v16, 0x7c, v4
	v_and_b32_e32 v5, 3, v4
	s_delay_alu instid0(VALU_DEP_2) | instskip(SKIP_1) | instid1(SALU_CYCLE_1)
	v_cmp_ne_u32_e32 vcc_lo, 0x7c, v16
                                        ; implicit-def: $vgpr16
	s_and_saveexec_b32 s15, vcc_lo
	s_xor_b32 s15, exec_lo, s15
	s_cbranch_execz .LBB4_11680
; %bb.11677:                            ;   in Loop: Header=BB4_11564 Depth=3
	v_and_b32_e32 v16, 0xff, v4
	s_mov_b32 s75, exec_lo
	s_delay_alu instid0(VALU_DEP_1) | instskip(NEXT) | instid1(VALU_DEP_1)
	v_bfe_u32 v16, v16, 2, 5
	v_cmpx_eq_u32_e32 0, v16
	s_cbranch_execz .LBB4_11679
; %bb.11678:                            ;   in Loop: Header=BB4_11564 Depth=3
	v_clz_i32_u32_e32 v5, v5
	s_delay_alu instid0(VALU_DEP_1) | instskip(SKIP_1) | instid1(VALU_DEP_2)
	v_min_u32_e32 v16, 32, v5
	v_mov_b32_e32 v5, v3
	v_subrev_nc_u32_e32 v17, 29, v16
	v_sub_nc_u32_e32 v16, 30, v16
	s_delay_alu instid0(VALU_DEP_2) | instskip(NEXT) | instid1(VALU_DEP_1)
	v_lshlrev_b64_e32 v[18:19], v17, v[4:5]
	v_and_b32_e32 v5, 3, v18
.LBB4_11679:                            ;   in Loop: Header=BB4_11564 Depth=3
	s_or_b32 exec_lo, exec_lo, s75
	v_bfe_i32 v4, v4, 0, 16
	s_delay_alu instid0(VALU_DEP_1) | instskip(NEXT) | instid1(VALU_DEP_1)
	v_and_b32_e32 v4, 0x80000000, v4
	v_lshl_add_u32 v4, v16, 23, v4
	s_delay_alu instid0(VALU_DEP_1) | instskip(NEXT) | instid1(VALU_DEP_1)
	v_lshl_or_b32 v4, v5, 21, v4
                                        ; implicit-def: $vgpr5
	v_add_nc_u32_e32 v16, 0x38000000, v4
                                        ; implicit-def: $vgpr4
.LBB4_11680:                            ;   in Loop: Header=BB4_11564 Depth=3
	s_and_not1_saveexec_b32 s15, s15
; %bb.11681:                            ;   in Loop: Header=BB4_11564 Depth=3
	v_cmp_lt_i16_e32 vcc_lo, -1, v4
	v_cndmask_b32_e32 v4, 0xff800000, v48, vcc_lo
	v_cmp_eq_u32_e32 vcc_lo, 0, v5
	s_delay_alu instid0(VALU_DEP_2)
	v_cndmask_b32_e32 v16, 0x7f800001, v4, vcc_lo
; %bb.11682:                            ;   in Loop: Header=BB4_11564 Depth=3
	s_or_b32 exec_lo, exec_lo, s15
.LBB4_11683:                            ;   in Loop: Header=BB4_11564 Depth=3
	s_delay_alu instid0(SALU_CYCLE_1)
	s_or_b32 exec_lo, exec_lo, s14
.LBB4_11684:                            ;   in Loop: Header=BB4_11564 Depth=3
	s_delay_alu instid0(SALU_CYCLE_1) | instskip(NEXT) | instid1(VALU_DEP_1)
	s_or_b32 exec_lo, exec_lo, s13
	v_dual_mul_f32 v16, s74, v16 :: v_dual_mov_b32 v5, v3
                                        ; implicit-def: $vgpr104
	s_delay_alu instid0(VALU_DEP_1) | instskip(NEXT) | instid1(VALU_DEP_1)
	v_and_b32_e32 v4, 0x7f800000, v16
	v_cmp_ne_u64_e32 vcc_lo, 0x7f800000, v[4:5]
	v_and_b32_e32 v4, 0x7fffff, v16
	s_and_saveexec_b32 s13, vcc_lo
	s_delay_alu instid0(SALU_CYCLE_1)
	s_xor_b32 s14, exec_lo, s13
	s_cbranch_execz .LBB4_11702
; %bb.11685:                            ;   in Loop: Header=BB4_11564 Depth=3
	v_and_b32_e32 v18, 0x7fffffff, v16
	v_dual_mov_b32 v19, v3 :: v_dual_lshrrev_b32 v17, 24, v16
                                        ; implicit-def: $vgpr104
	s_delay_alu instid0(VALU_DEP_1) | instskip(NEXT) | instid1(VALU_DEP_2)
	v_cmp_gt_u64_e32 vcc_lo, 0x47600001, v[18:19]
	v_and_b32_e32 v18, 0x80, v17
	s_and_saveexec_b32 s13, vcc_lo
	s_delay_alu instid0(SALU_CYCLE_1)
	s_xor_b32 s15, exec_lo, s13
	s_cbranch_execz .LBB4_11699
; %bb.11686:                            ;   in Loop: Header=BB4_11564 Depth=3
	v_mov_b32_e32 v104, 0
	s_mov_b32 s75, exec_lo
	v_cmpx_ne_u32_e32 0, v16
	s_cbranch_execz .LBB4_11698
; %bb.11687:                            ;   in Loop: Header=BB4_11564 Depth=3
	v_bfe_u32 v19, v16, 23, 8
	v_or_b32_e32 v21, 0x800000, v4
	s_delay_alu instid0(VALU_DEP_2) | instskip(SKIP_1) | instid1(VALU_DEP_2)
	v_sub_nc_u32_e32 v16, 0x71, v19
	v_cmp_gt_u32_e32 vcc_lo, 0x72, v19
	v_cndmask_b32_e32 v16, 0, v16, vcc_lo
	v_cmp_eq_u32_e32 vcc_lo, 0, v19
	s_delay_alu instid0(VALU_DEP_2) | instskip(SKIP_1) | instid1(VALU_DEP_2)
	v_cndmask_b32_e64 v20, v16, 0x70, vcc_lo
	v_cndmask_b32_e32 v4, v21, v4, vcc_lo
	v_dual_add_nc_u32 v16, 21, v20 :: v_dual_add_nc_u32 v30, 20, v20
	s_delay_alu instid0(VALU_DEP_1) | instskip(NEXT) | instid1(VALU_DEP_2)
	v_lshlrev_b64_e64 v[16:17], v16, -1
	v_lshlrev_b64_e64 v[30:31], v30, 1
	s_delay_alu instid0(VALU_DEP_2) | instskip(SKIP_1) | instid1(VALU_DEP_4)
	v_bfi_b32 v16, v16, 0, v4
	v_lshrrev_b64 v[4:5], v20, v[4:5]
	v_bfi_b32 v17, v17, 0, 0
	s_delay_alu instid0(VALU_DEP_1) | instskip(NEXT) | instid1(VALU_DEP_3)
	v_cmp_eq_u64_e64 s13, v[16:17], v[30:31]
	v_mov_b64_e32 v[16:17], v[4:5]
	s_and_saveexec_b32 s76, s13
; %bb.11688:                            ;   in Loop: Header=BB4_11564 Depth=3
	v_bfe_u32 v16, v4, 21, 1
	v_mov_b32_e32 v17, v3
	s_delay_alu instid0(VALU_DEP_1) | instskip(NEXT) | instid1(VALU_DEP_1)
	v_add_nc_u64_e32 v[16:17], v[4:5], v[16:17]
	v_add_nc_u64_e32 v[16:17], -1, v[16:17]
; %bb.11689:                            ;   in Loop: Header=BB4_11564 Depth=3
	s_or_b32 exec_lo, exec_lo, s76
	v_add_nc_u32_e32 v5, 0xffffff81, v19
	v_lshrrev_b32_e32 v17, 23, v4
	s_mov_b32 s13, exec_lo
	s_delay_alu instid0(VALU_DEP_2) | instskip(NEXT) | instid1(VALU_DEP_1)
	v_cndmask_b32_e64 v5, v5, 0xffffff82, vcc_lo
	v_add3_u32 v17, v20, v5, v17
	v_and_b32_e32 v5, 0x1fffff, v16
                                        ; implicit-def: $vgpr16
	s_delay_alu instid0(VALU_DEP_1) | instskip(SKIP_1) | instid1(VALU_DEP_2)
	v_dual_add_nc_u32 v19, 14, v17 :: v_dual_add_nc_u32 v4, v5, v4
	v_mov_b32_e32 v5, v3
	v_cmpx_ne_u32_e32 0, v19
	s_xor_b32 s13, exec_lo, s13
; %bb.11690:                            ;   in Loop: Header=BB4_11564 Depth=3
	s_delay_alu instid0(VALU_DEP_2) | instskip(SKIP_2) | instid1(VALU_DEP_2)
	v_cmp_lt_u64_e32 vcc_lo, 0xffffff, v[4:5]
	v_add_nc_u32_e32 v16, 15, v17
	v_cndmask_b32_e64 v17, 0, 1, vcc_lo
	v_cndmask_b32_e32 v16, v19, v16, vcc_lo
	s_delay_alu instid0(VALU_DEP_2)
	v_lshrrev_b64 v[4:5], v17, v[4:5]
; %bb.11691:                            ;   in Loop: Header=BB4_11564 Depth=3
	s_and_not1_saveexec_b32 s13, s13
; %bb.11692:                            ;   in Loop: Header=BB4_11564 Depth=3
	s_delay_alu instid0(VALU_DEP_1)
	v_bfe_u32 v16, v4, 23, 1
; %bb.11693:                            ;   in Loop: Header=BB4_11564 Depth=3
	s_or_b32 exec_lo, exec_lo, s13
	s_delay_alu instid0(VALU_DEP_2) | instskip(NEXT) | instid1(VALU_DEP_2)
	v_lshrrev_b64 v[4:5], 21, v[4:5]
	v_cmp_gt_i32_e32 vcc_lo, 32, v16
	v_cmp_ne_u32_e64 s13, 0, v16
                                        ; implicit-def: $vgpr104
	s_delay_alu instid0(VALU_DEP_3) | instskip(NEXT) | instid1(VALU_DEP_1)
	v_dual_cndmask_b32 v5, 0, v5 :: v_dual_cndmask_b32 v4, 3, v4
	v_cmp_ne_u64_e32 vcc_lo, 0, v[4:5]
	s_or_b32 s13, s13, vcc_lo
	s_delay_alu instid0(SALU_CYCLE_1) | instskip(NEXT) | instid1(SALU_CYCLE_1)
	s_and_saveexec_b32 s76, s13
	s_xor_b32 s13, exec_lo, s76
; %bb.11694:                            ;   in Loop: Header=BB4_11564 Depth=3
	v_min_i32_e32 v5, 31, v16
	s_delay_alu instid0(VALU_DEP_1) | instskip(NEXT) | instid1(VALU_DEP_1)
	v_lshl_or_b32 v5, v5, 2, v18
                                        ; implicit-def: $vgpr18
	v_and_or_b32 v104, v4, 3, v5
; %bb.11695:                            ;   in Loop: Header=BB4_11564 Depth=3
	s_and_not1_saveexec_b32 s13, s13
; %bb.11696:                            ;   in Loop: Header=BB4_11564 Depth=3
	v_mov_b32_e32 v104, v18
; %bb.11697:                            ;   in Loop: Header=BB4_11564 Depth=3
	s_or_b32 exec_lo, exec_lo, s13
.LBB4_11698:                            ;   in Loop: Header=BB4_11564 Depth=3
	s_delay_alu instid0(SALU_CYCLE_1)
	s_or_b32 exec_lo, exec_lo, s75
                                        ; implicit-def: $vgpr18
.LBB4_11699:                            ;   in Loop: Header=BB4_11564 Depth=3
	s_and_not1_saveexec_b32 s13, s15
; %bb.11700:                            ;   in Loop: Header=BB4_11564 Depth=3
	v_or_b32_e32 v104, 0x7b, v18
; %bb.11701:                            ;   in Loop: Header=BB4_11564 Depth=3
	s_or_b32 exec_lo, exec_lo, s13
                                        ; implicit-def: $vgpr16
                                        ; implicit-def: $vgpr4_vgpr5
.LBB4_11702:                            ;   in Loop: Header=BB4_11564 Depth=3
	s_and_not1_saveexec_b32 s13, s14
	s_cbranch_execz .LBB4_11708
; %bb.11703:                            ;   in Loop: Header=BB4_11564 Depth=3
	s_mov_b32 s14, exec_lo
                                        ; implicit-def: $vgpr104
	v_cmpx_ne_u64_e32 0, v[4:5]
	s_xor_b32 s14, exec_lo, s14
; %bb.11704:                            ;   in Loop: Header=BB4_11564 Depth=3
	v_lshrrev_b32_e32 v4, 24, v16
                                        ; implicit-def: $vgpr16
	s_delay_alu instid0(VALU_DEP_1)
	v_or_b32_e32 v104, 0x7f, v4
; %bb.11705:                            ;   in Loop: Header=BB4_11564 Depth=3
	s_and_not1_saveexec_b32 s14, s14
; %bb.11706:                            ;   in Loop: Header=BB4_11564 Depth=3
	v_cmp_lt_i32_e32 vcc_lo, -1, v16
	v_cndmask_b32_e64 v104, -4, 0x7c, vcc_lo
; %bb.11707:                            ;   in Loop: Header=BB4_11564 Depth=3
	s_or_b32 exec_lo, exec_lo, s14
.LBB4_11708:                            ;   in Loop: Header=BB4_11564 Depth=3
	s_delay_alu instid0(SALU_CYCLE_1)
	s_or_b32 exec_lo, exec_lo, s13
	flat_load_i8 v4, v[8:9] offset:128 th:TH_LOAD_NT
	v_mov_b32_e32 v16, 0
	s_mov_b32 s13, exec_lo
	s_wait_loadcnt_dscnt 0x0
	v_cmpx_ne_u16_e32 0, v4
	s_cbranch_execz .LBB4_11718
; %bb.11709:                            ;   in Loop: Header=BB4_11564 Depth=3
	v_bfrev_b32_e32 v16, 1
	s_mov_b32 s14, exec_lo
	v_cmpx_ne_u16_e32 0xff80, v4
	s_cbranch_execz .LBB4_11717
; %bb.11710:                            ;   in Loop: Header=BB4_11564 Depth=3
	v_and_b32_e32 v16, 0x7c, v4
	v_and_b32_e32 v5, 3, v4
	s_delay_alu instid0(VALU_DEP_2) | instskip(SKIP_1) | instid1(SALU_CYCLE_1)
	v_cmp_ne_u32_e32 vcc_lo, 0x7c, v16
                                        ; implicit-def: $vgpr16
	s_and_saveexec_b32 s15, vcc_lo
	s_xor_b32 s15, exec_lo, s15
	s_cbranch_execz .LBB4_11714
; %bb.11711:                            ;   in Loop: Header=BB4_11564 Depth=3
	v_and_b32_e32 v16, 0xff, v4
	s_mov_b32 s75, exec_lo
	s_delay_alu instid0(VALU_DEP_1) | instskip(NEXT) | instid1(VALU_DEP_1)
	v_bfe_u32 v16, v16, 2, 5
	v_cmpx_eq_u32_e32 0, v16
	s_cbranch_execz .LBB4_11713
; %bb.11712:                            ;   in Loop: Header=BB4_11564 Depth=3
	v_clz_i32_u32_e32 v5, v5
	s_delay_alu instid0(VALU_DEP_1) | instskip(SKIP_1) | instid1(VALU_DEP_2)
	v_min_u32_e32 v16, 32, v5
	v_mov_b32_e32 v5, v3
	v_subrev_nc_u32_e32 v17, 29, v16
	v_sub_nc_u32_e32 v16, 30, v16
	s_delay_alu instid0(VALU_DEP_2) | instskip(NEXT) | instid1(VALU_DEP_1)
	v_lshlrev_b64_e32 v[18:19], v17, v[4:5]
	v_and_b32_e32 v5, 3, v18
.LBB4_11713:                            ;   in Loop: Header=BB4_11564 Depth=3
	s_or_b32 exec_lo, exec_lo, s75
	v_bfe_i32 v4, v4, 0, 16
	s_delay_alu instid0(VALU_DEP_1) | instskip(NEXT) | instid1(VALU_DEP_1)
	v_and_b32_e32 v4, 0x80000000, v4
	v_lshl_add_u32 v4, v16, 23, v4
	s_delay_alu instid0(VALU_DEP_1) | instskip(NEXT) | instid1(VALU_DEP_1)
	v_lshl_or_b32 v4, v5, 21, v4
                                        ; implicit-def: $vgpr5
	v_add_nc_u32_e32 v16, 0x38000000, v4
                                        ; implicit-def: $vgpr4
.LBB4_11714:                            ;   in Loop: Header=BB4_11564 Depth=3
	s_and_not1_saveexec_b32 s15, s15
; %bb.11715:                            ;   in Loop: Header=BB4_11564 Depth=3
	v_cmp_lt_i16_e32 vcc_lo, -1, v4
	v_cndmask_b32_e32 v4, 0xff800000, v48, vcc_lo
	v_cmp_eq_u32_e32 vcc_lo, 0, v5
	s_delay_alu instid0(VALU_DEP_2)
	v_cndmask_b32_e32 v16, 0x7f800001, v4, vcc_lo
; %bb.11716:                            ;   in Loop: Header=BB4_11564 Depth=3
	s_or_b32 exec_lo, exec_lo, s15
.LBB4_11717:                            ;   in Loop: Header=BB4_11564 Depth=3
	s_delay_alu instid0(SALU_CYCLE_1)
	s_or_b32 exec_lo, exec_lo, s14
.LBB4_11718:                            ;   in Loop: Header=BB4_11564 Depth=3
	s_delay_alu instid0(SALU_CYCLE_1) | instskip(NEXT) | instid1(VALU_DEP_1)
	s_or_b32 exec_lo, exec_lo, s13
	v_dual_mul_f32 v16, s74, v16 :: v_dual_mov_b32 v5, v3
                                        ; implicit-def: $vgpr94
	s_delay_alu instid0(VALU_DEP_1) | instskip(NEXT) | instid1(VALU_DEP_1)
	v_and_b32_e32 v4, 0x7f800000, v16
	v_cmp_ne_u64_e32 vcc_lo, 0x7f800000, v[4:5]
	v_and_b32_e32 v4, 0x7fffff, v16
	s_and_saveexec_b32 s13, vcc_lo
	s_delay_alu instid0(SALU_CYCLE_1)
	s_xor_b32 s14, exec_lo, s13
	s_cbranch_execz .LBB4_11736
; %bb.11719:                            ;   in Loop: Header=BB4_11564 Depth=3
	v_and_b32_e32 v18, 0x7fffffff, v16
	v_dual_mov_b32 v19, v3 :: v_dual_lshrrev_b32 v17, 24, v16
                                        ; implicit-def: $vgpr94
	s_delay_alu instid0(VALU_DEP_1) | instskip(NEXT) | instid1(VALU_DEP_2)
	v_cmp_gt_u64_e32 vcc_lo, 0x47600001, v[18:19]
	v_and_b32_e32 v18, 0x80, v17
	s_and_saveexec_b32 s13, vcc_lo
	s_delay_alu instid0(SALU_CYCLE_1)
	s_xor_b32 s15, exec_lo, s13
	s_cbranch_execz .LBB4_11733
; %bb.11720:                            ;   in Loop: Header=BB4_11564 Depth=3
	v_mov_b32_e32 v94, 0
	s_mov_b32 s75, exec_lo
	v_cmpx_ne_u32_e32 0, v16
	s_cbranch_execz .LBB4_11732
; %bb.11721:                            ;   in Loop: Header=BB4_11564 Depth=3
	v_bfe_u32 v19, v16, 23, 8
	v_or_b32_e32 v21, 0x800000, v4
	s_delay_alu instid0(VALU_DEP_2) | instskip(SKIP_1) | instid1(VALU_DEP_2)
	v_sub_nc_u32_e32 v16, 0x71, v19
	v_cmp_gt_u32_e32 vcc_lo, 0x72, v19
	v_cndmask_b32_e32 v16, 0, v16, vcc_lo
	v_cmp_eq_u32_e32 vcc_lo, 0, v19
	s_delay_alu instid0(VALU_DEP_2) | instskip(SKIP_1) | instid1(VALU_DEP_2)
	v_cndmask_b32_e64 v20, v16, 0x70, vcc_lo
	v_cndmask_b32_e32 v4, v21, v4, vcc_lo
	v_dual_add_nc_u32 v16, 21, v20 :: v_dual_add_nc_u32 v30, 20, v20
	s_delay_alu instid0(VALU_DEP_1) | instskip(NEXT) | instid1(VALU_DEP_2)
	v_lshlrev_b64_e64 v[16:17], v16, -1
	v_lshlrev_b64_e64 v[30:31], v30, 1
	s_delay_alu instid0(VALU_DEP_2) | instskip(SKIP_1) | instid1(VALU_DEP_4)
	v_bfi_b32 v16, v16, 0, v4
	v_lshrrev_b64 v[4:5], v20, v[4:5]
	v_bfi_b32 v17, v17, 0, 0
	s_delay_alu instid0(VALU_DEP_1) | instskip(NEXT) | instid1(VALU_DEP_3)
	v_cmp_eq_u64_e64 s13, v[16:17], v[30:31]
	v_mov_b64_e32 v[16:17], v[4:5]
	s_and_saveexec_b32 s76, s13
; %bb.11722:                            ;   in Loop: Header=BB4_11564 Depth=3
	v_bfe_u32 v16, v4, 21, 1
	v_mov_b32_e32 v17, v3
	s_delay_alu instid0(VALU_DEP_1) | instskip(NEXT) | instid1(VALU_DEP_1)
	v_add_nc_u64_e32 v[16:17], v[4:5], v[16:17]
	v_add_nc_u64_e32 v[16:17], -1, v[16:17]
; %bb.11723:                            ;   in Loop: Header=BB4_11564 Depth=3
	s_or_b32 exec_lo, exec_lo, s76
	v_add_nc_u32_e32 v5, 0xffffff81, v19
	v_lshrrev_b32_e32 v17, 23, v4
	s_mov_b32 s13, exec_lo
	s_delay_alu instid0(VALU_DEP_2) | instskip(NEXT) | instid1(VALU_DEP_1)
	v_cndmask_b32_e64 v5, v5, 0xffffff82, vcc_lo
	v_add3_u32 v17, v20, v5, v17
	v_and_b32_e32 v5, 0x1fffff, v16
                                        ; implicit-def: $vgpr16
	s_delay_alu instid0(VALU_DEP_1) | instskip(SKIP_1) | instid1(VALU_DEP_2)
	v_dual_add_nc_u32 v19, 14, v17 :: v_dual_add_nc_u32 v4, v5, v4
	v_mov_b32_e32 v5, v3
	v_cmpx_ne_u32_e32 0, v19
	s_xor_b32 s13, exec_lo, s13
; %bb.11724:                            ;   in Loop: Header=BB4_11564 Depth=3
	s_delay_alu instid0(VALU_DEP_2) | instskip(SKIP_2) | instid1(VALU_DEP_2)
	v_cmp_lt_u64_e32 vcc_lo, 0xffffff, v[4:5]
	v_add_nc_u32_e32 v16, 15, v17
	v_cndmask_b32_e64 v17, 0, 1, vcc_lo
	v_cndmask_b32_e32 v16, v19, v16, vcc_lo
	s_delay_alu instid0(VALU_DEP_2)
	v_lshrrev_b64 v[4:5], v17, v[4:5]
; %bb.11725:                            ;   in Loop: Header=BB4_11564 Depth=3
	s_and_not1_saveexec_b32 s13, s13
; %bb.11726:                            ;   in Loop: Header=BB4_11564 Depth=3
	s_delay_alu instid0(VALU_DEP_1)
	v_bfe_u32 v16, v4, 23, 1
; %bb.11727:                            ;   in Loop: Header=BB4_11564 Depth=3
	s_or_b32 exec_lo, exec_lo, s13
	s_delay_alu instid0(VALU_DEP_2) | instskip(NEXT) | instid1(VALU_DEP_2)
	v_lshrrev_b64 v[4:5], 21, v[4:5]
	v_cmp_gt_i32_e32 vcc_lo, 32, v16
	v_cmp_ne_u32_e64 s13, 0, v16
                                        ; implicit-def: $vgpr94
	s_delay_alu instid0(VALU_DEP_3) | instskip(NEXT) | instid1(VALU_DEP_1)
	v_dual_cndmask_b32 v5, 0, v5 :: v_dual_cndmask_b32 v4, 3, v4
	v_cmp_ne_u64_e32 vcc_lo, 0, v[4:5]
	s_or_b32 s13, s13, vcc_lo
	s_delay_alu instid0(SALU_CYCLE_1) | instskip(NEXT) | instid1(SALU_CYCLE_1)
	s_and_saveexec_b32 s76, s13
	s_xor_b32 s13, exec_lo, s76
; %bb.11728:                            ;   in Loop: Header=BB4_11564 Depth=3
	v_min_i32_e32 v5, 31, v16
	s_delay_alu instid0(VALU_DEP_1) | instskip(NEXT) | instid1(VALU_DEP_1)
	v_lshl_or_b32 v5, v5, 2, v18
                                        ; implicit-def: $vgpr18
	v_and_or_b32 v94, v4, 3, v5
; %bb.11729:                            ;   in Loop: Header=BB4_11564 Depth=3
	s_and_not1_saveexec_b32 s13, s13
; %bb.11730:                            ;   in Loop: Header=BB4_11564 Depth=3
	v_mov_b32_e32 v94, v18
; %bb.11731:                            ;   in Loop: Header=BB4_11564 Depth=3
	s_or_b32 exec_lo, exec_lo, s13
.LBB4_11732:                            ;   in Loop: Header=BB4_11564 Depth=3
	s_delay_alu instid0(SALU_CYCLE_1)
	s_or_b32 exec_lo, exec_lo, s75
                                        ; implicit-def: $vgpr18
.LBB4_11733:                            ;   in Loop: Header=BB4_11564 Depth=3
	s_and_not1_saveexec_b32 s13, s15
; %bb.11734:                            ;   in Loop: Header=BB4_11564 Depth=3
	v_or_b32_e32 v94, 0x7b, v18
; %bb.11735:                            ;   in Loop: Header=BB4_11564 Depth=3
	s_or_b32 exec_lo, exec_lo, s13
                                        ; implicit-def: $vgpr16
                                        ; implicit-def: $vgpr4_vgpr5
.LBB4_11736:                            ;   in Loop: Header=BB4_11564 Depth=3
	s_and_not1_saveexec_b32 s13, s14
	s_cbranch_execz .LBB4_11742
; %bb.11737:                            ;   in Loop: Header=BB4_11564 Depth=3
	s_mov_b32 s14, exec_lo
                                        ; implicit-def: $vgpr94
	v_cmpx_ne_u64_e32 0, v[4:5]
	s_xor_b32 s14, exec_lo, s14
; %bb.11738:                            ;   in Loop: Header=BB4_11564 Depth=3
	v_lshrrev_b32_e32 v4, 24, v16
                                        ; implicit-def: $vgpr16
	s_delay_alu instid0(VALU_DEP_1)
	v_or_b32_e32 v94, 0x7f, v4
; %bb.11739:                            ;   in Loop: Header=BB4_11564 Depth=3
	s_and_not1_saveexec_b32 s14, s14
; %bb.11740:                            ;   in Loop: Header=BB4_11564 Depth=3
	v_cmp_lt_i32_e32 vcc_lo, -1, v16
	v_cndmask_b32_e64 v94, -4, 0x7c, vcc_lo
; %bb.11741:                            ;   in Loop: Header=BB4_11564 Depth=3
	s_or_b32 exec_lo, exec_lo, s14
.LBB4_11742:                            ;   in Loop: Header=BB4_11564 Depth=3
	s_delay_alu instid0(SALU_CYCLE_1)
	s_or_b32 exec_lo, exec_lo, s13
	flat_load_i8 v4, v[8:9] offset:160 th:TH_LOAD_NT
	v_mov_b32_e32 v16, 0
	s_mov_b32 s13, exec_lo
	s_wait_loadcnt_dscnt 0x0
	v_cmpx_ne_u16_e32 0, v4
	s_cbranch_execz .LBB4_11752
; %bb.11743:                            ;   in Loop: Header=BB4_11564 Depth=3
	v_bfrev_b32_e32 v16, 1
	s_mov_b32 s14, exec_lo
	v_cmpx_ne_u16_e32 0xff80, v4
	s_cbranch_execz .LBB4_11751
; %bb.11744:                            ;   in Loop: Header=BB4_11564 Depth=3
	v_and_b32_e32 v16, 0x7c, v4
	v_and_b32_e32 v5, 3, v4
	s_delay_alu instid0(VALU_DEP_2) | instskip(SKIP_1) | instid1(SALU_CYCLE_1)
	v_cmp_ne_u32_e32 vcc_lo, 0x7c, v16
                                        ; implicit-def: $vgpr16
	s_and_saveexec_b32 s15, vcc_lo
	s_xor_b32 s15, exec_lo, s15
	s_cbranch_execz .LBB4_11748
; %bb.11745:                            ;   in Loop: Header=BB4_11564 Depth=3
	v_and_b32_e32 v16, 0xff, v4
	s_mov_b32 s75, exec_lo
	s_delay_alu instid0(VALU_DEP_1) | instskip(NEXT) | instid1(VALU_DEP_1)
	v_bfe_u32 v16, v16, 2, 5
	v_cmpx_eq_u32_e32 0, v16
	s_cbranch_execz .LBB4_11747
; %bb.11746:                            ;   in Loop: Header=BB4_11564 Depth=3
	v_clz_i32_u32_e32 v5, v5
	s_delay_alu instid0(VALU_DEP_1) | instskip(SKIP_1) | instid1(VALU_DEP_2)
	v_min_u32_e32 v16, 32, v5
	v_mov_b32_e32 v5, v3
	v_subrev_nc_u32_e32 v17, 29, v16
	v_sub_nc_u32_e32 v16, 30, v16
	s_delay_alu instid0(VALU_DEP_2) | instskip(NEXT) | instid1(VALU_DEP_1)
	v_lshlrev_b64_e32 v[18:19], v17, v[4:5]
	v_and_b32_e32 v5, 3, v18
.LBB4_11747:                            ;   in Loop: Header=BB4_11564 Depth=3
	s_or_b32 exec_lo, exec_lo, s75
	v_bfe_i32 v4, v4, 0, 16
	s_delay_alu instid0(VALU_DEP_1) | instskip(NEXT) | instid1(VALU_DEP_1)
	v_and_b32_e32 v4, 0x80000000, v4
	v_lshl_add_u32 v4, v16, 23, v4
	s_delay_alu instid0(VALU_DEP_1) | instskip(NEXT) | instid1(VALU_DEP_1)
	v_lshl_or_b32 v4, v5, 21, v4
                                        ; implicit-def: $vgpr5
	v_add_nc_u32_e32 v16, 0x38000000, v4
                                        ; implicit-def: $vgpr4
.LBB4_11748:                            ;   in Loop: Header=BB4_11564 Depth=3
	s_and_not1_saveexec_b32 s15, s15
; %bb.11749:                            ;   in Loop: Header=BB4_11564 Depth=3
	v_cmp_lt_i16_e32 vcc_lo, -1, v4
	v_cndmask_b32_e32 v4, 0xff800000, v48, vcc_lo
	v_cmp_eq_u32_e32 vcc_lo, 0, v5
	s_delay_alu instid0(VALU_DEP_2)
	v_cndmask_b32_e32 v16, 0x7f800001, v4, vcc_lo
; %bb.11750:                            ;   in Loop: Header=BB4_11564 Depth=3
	s_or_b32 exec_lo, exec_lo, s15
.LBB4_11751:                            ;   in Loop: Header=BB4_11564 Depth=3
	s_delay_alu instid0(SALU_CYCLE_1)
	s_or_b32 exec_lo, exec_lo, s14
.LBB4_11752:                            ;   in Loop: Header=BB4_11564 Depth=3
	s_delay_alu instid0(SALU_CYCLE_1) | instskip(NEXT) | instid1(VALU_DEP_1)
	s_or_b32 exec_lo, exec_lo, s13
	v_dual_mul_f32 v16, s74, v16 :: v_dual_mov_b32 v5, v3
                                        ; implicit-def: $vgpr92
	s_delay_alu instid0(VALU_DEP_1) | instskip(NEXT) | instid1(VALU_DEP_1)
	v_and_b32_e32 v4, 0x7f800000, v16
	v_cmp_ne_u64_e32 vcc_lo, 0x7f800000, v[4:5]
	v_and_b32_e32 v4, 0x7fffff, v16
	s_and_saveexec_b32 s13, vcc_lo
	s_delay_alu instid0(SALU_CYCLE_1)
	s_xor_b32 s14, exec_lo, s13
	s_cbranch_execz .LBB4_11770
; %bb.11753:                            ;   in Loop: Header=BB4_11564 Depth=3
	v_and_b32_e32 v18, 0x7fffffff, v16
	v_dual_mov_b32 v19, v3 :: v_dual_lshrrev_b32 v17, 24, v16
                                        ; implicit-def: $vgpr92
	s_delay_alu instid0(VALU_DEP_1) | instskip(NEXT) | instid1(VALU_DEP_2)
	v_cmp_gt_u64_e32 vcc_lo, 0x47600001, v[18:19]
	v_and_b32_e32 v18, 0x80, v17
	s_and_saveexec_b32 s13, vcc_lo
	s_delay_alu instid0(SALU_CYCLE_1)
	s_xor_b32 s15, exec_lo, s13
	s_cbranch_execz .LBB4_11767
; %bb.11754:                            ;   in Loop: Header=BB4_11564 Depth=3
	v_mov_b32_e32 v92, 0
	s_mov_b32 s75, exec_lo
	v_cmpx_ne_u32_e32 0, v16
	s_cbranch_execz .LBB4_11766
; %bb.11755:                            ;   in Loop: Header=BB4_11564 Depth=3
	v_bfe_u32 v19, v16, 23, 8
	v_or_b32_e32 v21, 0x800000, v4
	s_delay_alu instid0(VALU_DEP_2) | instskip(SKIP_1) | instid1(VALU_DEP_2)
	v_sub_nc_u32_e32 v16, 0x71, v19
	v_cmp_gt_u32_e32 vcc_lo, 0x72, v19
	v_cndmask_b32_e32 v16, 0, v16, vcc_lo
	v_cmp_eq_u32_e32 vcc_lo, 0, v19
	s_delay_alu instid0(VALU_DEP_2) | instskip(SKIP_1) | instid1(VALU_DEP_2)
	v_cndmask_b32_e64 v20, v16, 0x70, vcc_lo
	v_cndmask_b32_e32 v4, v21, v4, vcc_lo
	v_dual_add_nc_u32 v16, 21, v20 :: v_dual_add_nc_u32 v30, 20, v20
	s_delay_alu instid0(VALU_DEP_1) | instskip(NEXT) | instid1(VALU_DEP_2)
	v_lshlrev_b64_e64 v[16:17], v16, -1
	v_lshlrev_b64_e64 v[30:31], v30, 1
	s_delay_alu instid0(VALU_DEP_2) | instskip(SKIP_1) | instid1(VALU_DEP_4)
	v_bfi_b32 v16, v16, 0, v4
	v_lshrrev_b64 v[4:5], v20, v[4:5]
	v_bfi_b32 v17, v17, 0, 0
	s_delay_alu instid0(VALU_DEP_1) | instskip(NEXT) | instid1(VALU_DEP_3)
	v_cmp_eq_u64_e64 s13, v[16:17], v[30:31]
	v_mov_b64_e32 v[16:17], v[4:5]
	s_and_saveexec_b32 s76, s13
; %bb.11756:                            ;   in Loop: Header=BB4_11564 Depth=3
	v_bfe_u32 v16, v4, 21, 1
	v_mov_b32_e32 v17, v3
	s_delay_alu instid0(VALU_DEP_1) | instskip(NEXT) | instid1(VALU_DEP_1)
	v_add_nc_u64_e32 v[16:17], v[4:5], v[16:17]
	v_add_nc_u64_e32 v[16:17], -1, v[16:17]
; %bb.11757:                            ;   in Loop: Header=BB4_11564 Depth=3
	s_or_b32 exec_lo, exec_lo, s76
	v_add_nc_u32_e32 v5, 0xffffff81, v19
	v_lshrrev_b32_e32 v17, 23, v4
	s_mov_b32 s13, exec_lo
	s_delay_alu instid0(VALU_DEP_2) | instskip(NEXT) | instid1(VALU_DEP_1)
	v_cndmask_b32_e64 v5, v5, 0xffffff82, vcc_lo
	v_add3_u32 v17, v20, v5, v17
	v_and_b32_e32 v5, 0x1fffff, v16
                                        ; implicit-def: $vgpr16
	s_delay_alu instid0(VALU_DEP_1) | instskip(SKIP_1) | instid1(VALU_DEP_2)
	v_dual_add_nc_u32 v19, 14, v17 :: v_dual_add_nc_u32 v4, v5, v4
	v_mov_b32_e32 v5, v3
	v_cmpx_ne_u32_e32 0, v19
	s_xor_b32 s13, exec_lo, s13
; %bb.11758:                            ;   in Loop: Header=BB4_11564 Depth=3
	s_delay_alu instid0(VALU_DEP_2) | instskip(SKIP_2) | instid1(VALU_DEP_2)
	v_cmp_lt_u64_e32 vcc_lo, 0xffffff, v[4:5]
	v_add_nc_u32_e32 v16, 15, v17
	v_cndmask_b32_e64 v17, 0, 1, vcc_lo
	v_cndmask_b32_e32 v16, v19, v16, vcc_lo
	s_delay_alu instid0(VALU_DEP_2)
	v_lshrrev_b64 v[4:5], v17, v[4:5]
; %bb.11759:                            ;   in Loop: Header=BB4_11564 Depth=3
	s_and_not1_saveexec_b32 s13, s13
; %bb.11760:                            ;   in Loop: Header=BB4_11564 Depth=3
	s_delay_alu instid0(VALU_DEP_1)
	v_bfe_u32 v16, v4, 23, 1
; %bb.11761:                            ;   in Loop: Header=BB4_11564 Depth=3
	s_or_b32 exec_lo, exec_lo, s13
	s_delay_alu instid0(VALU_DEP_2) | instskip(NEXT) | instid1(VALU_DEP_2)
	v_lshrrev_b64 v[4:5], 21, v[4:5]
	v_cmp_gt_i32_e32 vcc_lo, 32, v16
	v_cmp_ne_u32_e64 s13, 0, v16
                                        ; implicit-def: $vgpr92
	s_delay_alu instid0(VALU_DEP_3) | instskip(NEXT) | instid1(VALU_DEP_1)
	v_dual_cndmask_b32 v5, 0, v5 :: v_dual_cndmask_b32 v4, 3, v4
	v_cmp_ne_u64_e32 vcc_lo, 0, v[4:5]
	s_or_b32 s13, s13, vcc_lo
	s_delay_alu instid0(SALU_CYCLE_1) | instskip(NEXT) | instid1(SALU_CYCLE_1)
	s_and_saveexec_b32 s76, s13
	s_xor_b32 s13, exec_lo, s76
; %bb.11762:                            ;   in Loop: Header=BB4_11564 Depth=3
	v_min_i32_e32 v5, 31, v16
	s_delay_alu instid0(VALU_DEP_1) | instskip(NEXT) | instid1(VALU_DEP_1)
	v_lshl_or_b32 v5, v5, 2, v18
                                        ; implicit-def: $vgpr18
	v_and_or_b32 v92, v4, 3, v5
; %bb.11763:                            ;   in Loop: Header=BB4_11564 Depth=3
	s_and_not1_saveexec_b32 s13, s13
; %bb.11764:                            ;   in Loop: Header=BB4_11564 Depth=3
	v_mov_b32_e32 v92, v18
; %bb.11765:                            ;   in Loop: Header=BB4_11564 Depth=3
	s_or_b32 exec_lo, exec_lo, s13
.LBB4_11766:                            ;   in Loop: Header=BB4_11564 Depth=3
	s_delay_alu instid0(SALU_CYCLE_1)
	s_or_b32 exec_lo, exec_lo, s75
                                        ; implicit-def: $vgpr18
.LBB4_11767:                            ;   in Loop: Header=BB4_11564 Depth=3
	s_and_not1_saveexec_b32 s13, s15
; %bb.11768:                            ;   in Loop: Header=BB4_11564 Depth=3
	v_or_b32_e32 v92, 0x7b, v18
; %bb.11769:                            ;   in Loop: Header=BB4_11564 Depth=3
	s_or_b32 exec_lo, exec_lo, s13
                                        ; implicit-def: $vgpr16
                                        ; implicit-def: $vgpr4_vgpr5
.LBB4_11770:                            ;   in Loop: Header=BB4_11564 Depth=3
	s_and_not1_saveexec_b32 s13, s14
	s_cbranch_execz .LBB4_11776
; %bb.11771:                            ;   in Loop: Header=BB4_11564 Depth=3
	s_mov_b32 s14, exec_lo
                                        ; implicit-def: $vgpr92
	v_cmpx_ne_u64_e32 0, v[4:5]
	s_xor_b32 s14, exec_lo, s14
; %bb.11772:                            ;   in Loop: Header=BB4_11564 Depth=3
	v_lshrrev_b32_e32 v4, 24, v16
                                        ; implicit-def: $vgpr16
	s_delay_alu instid0(VALU_DEP_1)
	v_or_b32_e32 v92, 0x7f, v4
; %bb.11773:                            ;   in Loop: Header=BB4_11564 Depth=3
	s_and_not1_saveexec_b32 s14, s14
; %bb.11774:                            ;   in Loop: Header=BB4_11564 Depth=3
	v_cmp_lt_i32_e32 vcc_lo, -1, v16
	v_cndmask_b32_e64 v92, -4, 0x7c, vcc_lo
; %bb.11775:                            ;   in Loop: Header=BB4_11564 Depth=3
	s_or_b32 exec_lo, exec_lo, s14
.LBB4_11776:                            ;   in Loop: Header=BB4_11564 Depth=3
	s_delay_alu instid0(SALU_CYCLE_1)
	s_or_b32 exec_lo, exec_lo, s13
	flat_load_i8 v4, v[8:9] offset:192 th:TH_LOAD_NT
	v_mov_b32_e32 v16, 0
	s_mov_b32 s13, exec_lo
	s_wait_loadcnt_dscnt 0x0
	v_cmpx_ne_u16_e32 0, v4
	s_cbranch_execz .LBB4_11786
; %bb.11777:                            ;   in Loop: Header=BB4_11564 Depth=3
	v_bfrev_b32_e32 v16, 1
	s_mov_b32 s14, exec_lo
	v_cmpx_ne_u16_e32 0xff80, v4
	s_cbranch_execz .LBB4_11785
; %bb.11778:                            ;   in Loop: Header=BB4_11564 Depth=3
	v_and_b32_e32 v16, 0x7c, v4
	v_and_b32_e32 v5, 3, v4
	s_delay_alu instid0(VALU_DEP_2) | instskip(SKIP_1) | instid1(SALU_CYCLE_1)
	v_cmp_ne_u32_e32 vcc_lo, 0x7c, v16
                                        ; implicit-def: $vgpr16
	s_and_saveexec_b32 s15, vcc_lo
	s_xor_b32 s15, exec_lo, s15
	s_cbranch_execz .LBB4_11782
; %bb.11779:                            ;   in Loop: Header=BB4_11564 Depth=3
	v_and_b32_e32 v16, 0xff, v4
	s_mov_b32 s75, exec_lo
	s_delay_alu instid0(VALU_DEP_1) | instskip(NEXT) | instid1(VALU_DEP_1)
	v_bfe_u32 v16, v16, 2, 5
	v_cmpx_eq_u32_e32 0, v16
	s_cbranch_execz .LBB4_11781
; %bb.11780:                            ;   in Loop: Header=BB4_11564 Depth=3
	v_clz_i32_u32_e32 v5, v5
	s_delay_alu instid0(VALU_DEP_1) | instskip(SKIP_1) | instid1(VALU_DEP_2)
	v_min_u32_e32 v16, 32, v5
	v_mov_b32_e32 v5, v3
	v_subrev_nc_u32_e32 v17, 29, v16
	v_sub_nc_u32_e32 v16, 30, v16
	s_delay_alu instid0(VALU_DEP_2) | instskip(NEXT) | instid1(VALU_DEP_1)
	v_lshlrev_b64_e32 v[18:19], v17, v[4:5]
	v_and_b32_e32 v5, 3, v18
.LBB4_11781:                            ;   in Loop: Header=BB4_11564 Depth=3
	s_or_b32 exec_lo, exec_lo, s75
	v_bfe_i32 v4, v4, 0, 16
	s_delay_alu instid0(VALU_DEP_1) | instskip(NEXT) | instid1(VALU_DEP_1)
	v_and_b32_e32 v4, 0x80000000, v4
	v_lshl_add_u32 v4, v16, 23, v4
	s_delay_alu instid0(VALU_DEP_1) | instskip(NEXT) | instid1(VALU_DEP_1)
	v_lshl_or_b32 v4, v5, 21, v4
                                        ; implicit-def: $vgpr5
	v_add_nc_u32_e32 v16, 0x38000000, v4
                                        ; implicit-def: $vgpr4
.LBB4_11782:                            ;   in Loop: Header=BB4_11564 Depth=3
	s_and_not1_saveexec_b32 s15, s15
; %bb.11783:                            ;   in Loop: Header=BB4_11564 Depth=3
	v_cmp_lt_i16_e32 vcc_lo, -1, v4
	v_cndmask_b32_e32 v4, 0xff800000, v48, vcc_lo
	v_cmp_eq_u32_e32 vcc_lo, 0, v5
	s_delay_alu instid0(VALU_DEP_2)
	v_cndmask_b32_e32 v16, 0x7f800001, v4, vcc_lo
; %bb.11784:                            ;   in Loop: Header=BB4_11564 Depth=3
	s_or_b32 exec_lo, exec_lo, s15
.LBB4_11785:                            ;   in Loop: Header=BB4_11564 Depth=3
	s_delay_alu instid0(SALU_CYCLE_1)
	s_or_b32 exec_lo, exec_lo, s14
.LBB4_11786:                            ;   in Loop: Header=BB4_11564 Depth=3
	s_delay_alu instid0(SALU_CYCLE_1) | instskip(NEXT) | instid1(VALU_DEP_1)
	s_or_b32 exec_lo, exec_lo, s13
	v_dual_mul_f32 v16, s74, v16 :: v_dual_mov_b32 v5, v3
                                        ; implicit-def: $vgpr90
	s_delay_alu instid0(VALU_DEP_1) | instskip(NEXT) | instid1(VALU_DEP_1)
	v_and_b32_e32 v4, 0x7f800000, v16
	v_cmp_ne_u64_e32 vcc_lo, 0x7f800000, v[4:5]
	v_and_b32_e32 v4, 0x7fffff, v16
	s_and_saveexec_b32 s13, vcc_lo
	s_delay_alu instid0(SALU_CYCLE_1)
	s_xor_b32 s14, exec_lo, s13
	s_cbranch_execz .LBB4_11804
; %bb.11787:                            ;   in Loop: Header=BB4_11564 Depth=3
	v_and_b32_e32 v18, 0x7fffffff, v16
	v_dual_mov_b32 v19, v3 :: v_dual_lshrrev_b32 v17, 24, v16
                                        ; implicit-def: $vgpr90
	s_delay_alu instid0(VALU_DEP_1) | instskip(NEXT) | instid1(VALU_DEP_2)
	v_cmp_gt_u64_e32 vcc_lo, 0x47600001, v[18:19]
	v_and_b32_e32 v18, 0x80, v17
	s_and_saveexec_b32 s13, vcc_lo
	s_delay_alu instid0(SALU_CYCLE_1)
	s_xor_b32 s15, exec_lo, s13
	s_cbranch_execz .LBB4_11801
; %bb.11788:                            ;   in Loop: Header=BB4_11564 Depth=3
	v_mov_b32_e32 v90, 0
	s_mov_b32 s75, exec_lo
	v_cmpx_ne_u32_e32 0, v16
	s_cbranch_execz .LBB4_11800
; %bb.11789:                            ;   in Loop: Header=BB4_11564 Depth=3
	v_bfe_u32 v19, v16, 23, 8
	v_or_b32_e32 v21, 0x800000, v4
	s_delay_alu instid0(VALU_DEP_2) | instskip(SKIP_1) | instid1(VALU_DEP_2)
	v_sub_nc_u32_e32 v16, 0x71, v19
	v_cmp_gt_u32_e32 vcc_lo, 0x72, v19
	v_cndmask_b32_e32 v16, 0, v16, vcc_lo
	v_cmp_eq_u32_e32 vcc_lo, 0, v19
	s_delay_alu instid0(VALU_DEP_2) | instskip(SKIP_1) | instid1(VALU_DEP_2)
	v_cndmask_b32_e64 v20, v16, 0x70, vcc_lo
	v_cndmask_b32_e32 v4, v21, v4, vcc_lo
	v_dual_add_nc_u32 v16, 21, v20 :: v_dual_add_nc_u32 v30, 20, v20
	s_delay_alu instid0(VALU_DEP_1) | instskip(NEXT) | instid1(VALU_DEP_2)
	v_lshlrev_b64_e64 v[16:17], v16, -1
	v_lshlrev_b64_e64 v[30:31], v30, 1
	s_delay_alu instid0(VALU_DEP_2) | instskip(SKIP_1) | instid1(VALU_DEP_4)
	v_bfi_b32 v16, v16, 0, v4
	v_lshrrev_b64 v[4:5], v20, v[4:5]
	v_bfi_b32 v17, v17, 0, 0
	s_delay_alu instid0(VALU_DEP_1) | instskip(NEXT) | instid1(VALU_DEP_3)
	v_cmp_eq_u64_e64 s13, v[16:17], v[30:31]
	v_mov_b64_e32 v[16:17], v[4:5]
	s_and_saveexec_b32 s76, s13
; %bb.11790:                            ;   in Loop: Header=BB4_11564 Depth=3
	v_bfe_u32 v16, v4, 21, 1
	v_mov_b32_e32 v17, v3
	s_delay_alu instid0(VALU_DEP_1) | instskip(NEXT) | instid1(VALU_DEP_1)
	v_add_nc_u64_e32 v[16:17], v[4:5], v[16:17]
	v_add_nc_u64_e32 v[16:17], -1, v[16:17]
; %bb.11791:                            ;   in Loop: Header=BB4_11564 Depth=3
	s_or_b32 exec_lo, exec_lo, s76
	v_add_nc_u32_e32 v5, 0xffffff81, v19
	v_lshrrev_b32_e32 v17, 23, v4
	s_mov_b32 s13, exec_lo
	s_delay_alu instid0(VALU_DEP_2) | instskip(NEXT) | instid1(VALU_DEP_1)
	v_cndmask_b32_e64 v5, v5, 0xffffff82, vcc_lo
	v_add3_u32 v17, v20, v5, v17
	v_and_b32_e32 v5, 0x1fffff, v16
                                        ; implicit-def: $vgpr16
	s_delay_alu instid0(VALU_DEP_1) | instskip(SKIP_1) | instid1(VALU_DEP_2)
	v_dual_add_nc_u32 v19, 14, v17 :: v_dual_add_nc_u32 v4, v5, v4
	v_mov_b32_e32 v5, v3
	v_cmpx_ne_u32_e32 0, v19
	s_xor_b32 s13, exec_lo, s13
; %bb.11792:                            ;   in Loop: Header=BB4_11564 Depth=3
	s_delay_alu instid0(VALU_DEP_2) | instskip(SKIP_2) | instid1(VALU_DEP_2)
	v_cmp_lt_u64_e32 vcc_lo, 0xffffff, v[4:5]
	v_add_nc_u32_e32 v16, 15, v17
	v_cndmask_b32_e64 v17, 0, 1, vcc_lo
	v_cndmask_b32_e32 v16, v19, v16, vcc_lo
	s_delay_alu instid0(VALU_DEP_2)
	v_lshrrev_b64 v[4:5], v17, v[4:5]
; %bb.11793:                            ;   in Loop: Header=BB4_11564 Depth=3
	s_and_not1_saveexec_b32 s13, s13
; %bb.11794:                            ;   in Loop: Header=BB4_11564 Depth=3
	s_delay_alu instid0(VALU_DEP_1)
	v_bfe_u32 v16, v4, 23, 1
; %bb.11795:                            ;   in Loop: Header=BB4_11564 Depth=3
	s_or_b32 exec_lo, exec_lo, s13
	s_delay_alu instid0(VALU_DEP_2) | instskip(NEXT) | instid1(VALU_DEP_2)
	v_lshrrev_b64 v[4:5], 21, v[4:5]
	v_cmp_gt_i32_e32 vcc_lo, 32, v16
	v_cmp_ne_u32_e64 s13, 0, v16
                                        ; implicit-def: $vgpr90
	s_delay_alu instid0(VALU_DEP_3) | instskip(NEXT) | instid1(VALU_DEP_1)
	v_dual_cndmask_b32 v5, 0, v5 :: v_dual_cndmask_b32 v4, 3, v4
	v_cmp_ne_u64_e32 vcc_lo, 0, v[4:5]
	s_or_b32 s13, s13, vcc_lo
	s_delay_alu instid0(SALU_CYCLE_1) | instskip(NEXT) | instid1(SALU_CYCLE_1)
	s_and_saveexec_b32 s76, s13
	s_xor_b32 s13, exec_lo, s76
; %bb.11796:                            ;   in Loop: Header=BB4_11564 Depth=3
	v_min_i32_e32 v5, 31, v16
	s_delay_alu instid0(VALU_DEP_1) | instskip(NEXT) | instid1(VALU_DEP_1)
	v_lshl_or_b32 v5, v5, 2, v18
                                        ; implicit-def: $vgpr18
	v_and_or_b32 v90, v4, 3, v5
; %bb.11797:                            ;   in Loop: Header=BB4_11564 Depth=3
	s_and_not1_saveexec_b32 s13, s13
; %bb.11798:                            ;   in Loop: Header=BB4_11564 Depth=3
	v_mov_b32_e32 v90, v18
; %bb.11799:                            ;   in Loop: Header=BB4_11564 Depth=3
	s_or_b32 exec_lo, exec_lo, s13
.LBB4_11800:                            ;   in Loop: Header=BB4_11564 Depth=3
	s_delay_alu instid0(SALU_CYCLE_1)
	s_or_b32 exec_lo, exec_lo, s75
                                        ; implicit-def: $vgpr18
.LBB4_11801:                            ;   in Loop: Header=BB4_11564 Depth=3
	s_and_not1_saveexec_b32 s13, s15
; %bb.11802:                            ;   in Loop: Header=BB4_11564 Depth=3
	v_or_b32_e32 v90, 0x7b, v18
; %bb.11803:                            ;   in Loop: Header=BB4_11564 Depth=3
	s_or_b32 exec_lo, exec_lo, s13
                                        ; implicit-def: $vgpr16
                                        ; implicit-def: $vgpr4_vgpr5
.LBB4_11804:                            ;   in Loop: Header=BB4_11564 Depth=3
	s_and_not1_saveexec_b32 s13, s14
	s_cbranch_execz .LBB4_11810
; %bb.11805:                            ;   in Loop: Header=BB4_11564 Depth=3
	s_mov_b32 s14, exec_lo
                                        ; implicit-def: $vgpr90
	v_cmpx_ne_u64_e32 0, v[4:5]
	s_xor_b32 s14, exec_lo, s14
; %bb.11806:                            ;   in Loop: Header=BB4_11564 Depth=3
	v_lshrrev_b32_e32 v4, 24, v16
                                        ; implicit-def: $vgpr16
	s_delay_alu instid0(VALU_DEP_1)
	v_or_b32_e32 v90, 0x7f, v4
; %bb.11807:                            ;   in Loop: Header=BB4_11564 Depth=3
	s_and_not1_saveexec_b32 s14, s14
; %bb.11808:                            ;   in Loop: Header=BB4_11564 Depth=3
	v_cmp_lt_i32_e32 vcc_lo, -1, v16
	v_cndmask_b32_e64 v90, -4, 0x7c, vcc_lo
; %bb.11809:                            ;   in Loop: Header=BB4_11564 Depth=3
	s_or_b32 exec_lo, exec_lo, s14
.LBB4_11810:                            ;   in Loop: Header=BB4_11564 Depth=3
	s_delay_alu instid0(SALU_CYCLE_1)
	s_or_b32 exec_lo, exec_lo, s13
	flat_load_i8 v4, v[8:9] offset:224 th:TH_LOAD_NT
	v_mov_b32_e32 v16, 0
	s_mov_b32 s13, exec_lo
	s_wait_loadcnt_dscnt 0x0
	v_cmpx_ne_u16_e32 0, v4
	s_cbranch_execz .LBB4_11820
; %bb.11811:                            ;   in Loop: Header=BB4_11564 Depth=3
	v_bfrev_b32_e32 v16, 1
	s_mov_b32 s14, exec_lo
	v_cmpx_ne_u16_e32 0xff80, v4
	s_cbranch_execz .LBB4_11819
; %bb.11812:                            ;   in Loop: Header=BB4_11564 Depth=3
	v_and_b32_e32 v16, 0x7c, v4
	v_and_b32_e32 v5, 3, v4
	s_delay_alu instid0(VALU_DEP_2) | instskip(SKIP_1) | instid1(SALU_CYCLE_1)
	v_cmp_ne_u32_e32 vcc_lo, 0x7c, v16
                                        ; implicit-def: $vgpr16
	s_and_saveexec_b32 s15, vcc_lo
	s_xor_b32 s15, exec_lo, s15
	s_cbranch_execz .LBB4_11816
; %bb.11813:                            ;   in Loop: Header=BB4_11564 Depth=3
	v_and_b32_e32 v16, 0xff, v4
	s_mov_b32 s75, exec_lo
	s_delay_alu instid0(VALU_DEP_1) | instskip(NEXT) | instid1(VALU_DEP_1)
	v_bfe_u32 v16, v16, 2, 5
	v_cmpx_eq_u32_e32 0, v16
	s_cbranch_execz .LBB4_11815
; %bb.11814:                            ;   in Loop: Header=BB4_11564 Depth=3
	v_clz_i32_u32_e32 v5, v5
	s_delay_alu instid0(VALU_DEP_1) | instskip(SKIP_1) | instid1(VALU_DEP_2)
	v_min_u32_e32 v16, 32, v5
	v_mov_b32_e32 v5, v3
	v_subrev_nc_u32_e32 v17, 29, v16
	v_sub_nc_u32_e32 v16, 30, v16
	s_delay_alu instid0(VALU_DEP_2) | instskip(NEXT) | instid1(VALU_DEP_1)
	v_lshlrev_b64_e32 v[18:19], v17, v[4:5]
	v_and_b32_e32 v5, 3, v18
.LBB4_11815:                            ;   in Loop: Header=BB4_11564 Depth=3
	s_or_b32 exec_lo, exec_lo, s75
	v_bfe_i32 v4, v4, 0, 16
	s_delay_alu instid0(VALU_DEP_1) | instskip(NEXT) | instid1(VALU_DEP_1)
	v_and_b32_e32 v4, 0x80000000, v4
	v_lshl_add_u32 v4, v16, 23, v4
	s_delay_alu instid0(VALU_DEP_1) | instskip(NEXT) | instid1(VALU_DEP_1)
	v_lshl_or_b32 v4, v5, 21, v4
                                        ; implicit-def: $vgpr5
	v_add_nc_u32_e32 v16, 0x38000000, v4
                                        ; implicit-def: $vgpr4
.LBB4_11816:                            ;   in Loop: Header=BB4_11564 Depth=3
	s_and_not1_saveexec_b32 s15, s15
; %bb.11817:                            ;   in Loop: Header=BB4_11564 Depth=3
	v_cmp_lt_i16_e32 vcc_lo, -1, v4
	v_cndmask_b32_e32 v4, 0xff800000, v48, vcc_lo
	v_cmp_eq_u32_e32 vcc_lo, 0, v5
	s_delay_alu instid0(VALU_DEP_2)
	v_cndmask_b32_e32 v16, 0x7f800001, v4, vcc_lo
; %bb.11818:                            ;   in Loop: Header=BB4_11564 Depth=3
	s_or_b32 exec_lo, exec_lo, s15
.LBB4_11819:                            ;   in Loop: Header=BB4_11564 Depth=3
	s_delay_alu instid0(SALU_CYCLE_1)
	s_or_b32 exec_lo, exec_lo, s14
.LBB4_11820:                            ;   in Loop: Header=BB4_11564 Depth=3
	s_delay_alu instid0(SALU_CYCLE_1) | instskip(NEXT) | instid1(VALU_DEP_1)
	s_or_b32 exec_lo, exec_lo, s13
	v_dual_mul_f32 v16, s74, v16 :: v_dual_mov_b32 v5, v3
                                        ; implicit-def: $vgpr78
	s_delay_alu instid0(VALU_DEP_1) | instskip(NEXT) | instid1(VALU_DEP_1)
	v_and_b32_e32 v4, 0x7f800000, v16
	v_cmp_ne_u64_e32 vcc_lo, 0x7f800000, v[4:5]
	v_and_b32_e32 v4, 0x7fffff, v16
	s_and_saveexec_b32 s13, vcc_lo
	s_delay_alu instid0(SALU_CYCLE_1)
	s_xor_b32 s14, exec_lo, s13
	s_cbranch_execz .LBB4_11838
; %bb.11821:                            ;   in Loop: Header=BB4_11564 Depth=3
	v_and_b32_e32 v18, 0x7fffffff, v16
	v_dual_mov_b32 v19, v3 :: v_dual_lshrrev_b32 v17, 24, v16
                                        ; implicit-def: $vgpr78
	s_delay_alu instid0(VALU_DEP_1) | instskip(NEXT) | instid1(VALU_DEP_2)
	v_cmp_gt_u64_e32 vcc_lo, 0x47600001, v[18:19]
	v_and_b32_e32 v18, 0x80, v17
	s_and_saveexec_b32 s13, vcc_lo
	s_delay_alu instid0(SALU_CYCLE_1)
	s_xor_b32 s15, exec_lo, s13
	s_cbranch_execz .LBB4_11835
; %bb.11822:                            ;   in Loop: Header=BB4_11564 Depth=3
	v_mov_b32_e32 v78, 0
	s_mov_b32 s75, exec_lo
	v_cmpx_ne_u32_e32 0, v16
	s_cbranch_execz .LBB4_11834
; %bb.11823:                            ;   in Loop: Header=BB4_11564 Depth=3
	v_bfe_u32 v19, v16, 23, 8
	v_or_b32_e32 v21, 0x800000, v4
	s_delay_alu instid0(VALU_DEP_2) | instskip(SKIP_1) | instid1(VALU_DEP_2)
	v_sub_nc_u32_e32 v16, 0x71, v19
	v_cmp_gt_u32_e32 vcc_lo, 0x72, v19
	v_cndmask_b32_e32 v16, 0, v16, vcc_lo
	v_cmp_eq_u32_e32 vcc_lo, 0, v19
	s_delay_alu instid0(VALU_DEP_2) | instskip(SKIP_1) | instid1(VALU_DEP_2)
	v_cndmask_b32_e64 v20, v16, 0x70, vcc_lo
	v_cndmask_b32_e32 v4, v21, v4, vcc_lo
	v_dual_add_nc_u32 v16, 21, v20 :: v_dual_add_nc_u32 v30, 20, v20
	s_delay_alu instid0(VALU_DEP_1) | instskip(NEXT) | instid1(VALU_DEP_2)
	v_lshlrev_b64_e64 v[16:17], v16, -1
	v_lshlrev_b64_e64 v[30:31], v30, 1
	s_delay_alu instid0(VALU_DEP_2) | instskip(SKIP_1) | instid1(VALU_DEP_4)
	v_bfi_b32 v16, v16, 0, v4
	v_lshrrev_b64 v[4:5], v20, v[4:5]
	v_bfi_b32 v17, v17, 0, 0
	s_delay_alu instid0(VALU_DEP_1) | instskip(NEXT) | instid1(VALU_DEP_3)
	v_cmp_eq_u64_e64 s13, v[16:17], v[30:31]
	v_mov_b64_e32 v[16:17], v[4:5]
	s_and_saveexec_b32 s76, s13
; %bb.11824:                            ;   in Loop: Header=BB4_11564 Depth=3
	v_bfe_u32 v16, v4, 21, 1
	v_mov_b32_e32 v17, v3
	s_delay_alu instid0(VALU_DEP_1) | instskip(NEXT) | instid1(VALU_DEP_1)
	v_add_nc_u64_e32 v[16:17], v[4:5], v[16:17]
	v_add_nc_u64_e32 v[16:17], -1, v[16:17]
; %bb.11825:                            ;   in Loop: Header=BB4_11564 Depth=3
	s_or_b32 exec_lo, exec_lo, s76
	v_add_nc_u32_e32 v5, 0xffffff81, v19
	v_lshrrev_b32_e32 v17, 23, v4
	s_mov_b32 s13, exec_lo
	s_delay_alu instid0(VALU_DEP_2) | instskip(NEXT) | instid1(VALU_DEP_1)
	v_cndmask_b32_e64 v5, v5, 0xffffff82, vcc_lo
	v_add3_u32 v17, v20, v5, v17
	v_and_b32_e32 v5, 0x1fffff, v16
                                        ; implicit-def: $vgpr16
	s_delay_alu instid0(VALU_DEP_1) | instskip(SKIP_1) | instid1(VALU_DEP_2)
	v_dual_add_nc_u32 v19, 14, v17 :: v_dual_add_nc_u32 v4, v5, v4
	v_mov_b32_e32 v5, v3
	v_cmpx_ne_u32_e32 0, v19
	s_xor_b32 s13, exec_lo, s13
; %bb.11826:                            ;   in Loop: Header=BB4_11564 Depth=3
	s_delay_alu instid0(VALU_DEP_2) | instskip(SKIP_2) | instid1(VALU_DEP_2)
	v_cmp_lt_u64_e32 vcc_lo, 0xffffff, v[4:5]
	v_add_nc_u32_e32 v16, 15, v17
	v_cndmask_b32_e64 v17, 0, 1, vcc_lo
	v_cndmask_b32_e32 v16, v19, v16, vcc_lo
	s_delay_alu instid0(VALU_DEP_2)
	v_lshrrev_b64 v[4:5], v17, v[4:5]
; %bb.11827:                            ;   in Loop: Header=BB4_11564 Depth=3
	s_and_not1_saveexec_b32 s13, s13
; %bb.11828:                            ;   in Loop: Header=BB4_11564 Depth=3
	s_delay_alu instid0(VALU_DEP_1)
	v_bfe_u32 v16, v4, 23, 1
; %bb.11829:                            ;   in Loop: Header=BB4_11564 Depth=3
	s_or_b32 exec_lo, exec_lo, s13
	s_delay_alu instid0(VALU_DEP_2) | instskip(NEXT) | instid1(VALU_DEP_2)
	v_lshrrev_b64 v[4:5], 21, v[4:5]
	v_cmp_gt_i32_e32 vcc_lo, 32, v16
	v_cmp_ne_u32_e64 s13, 0, v16
                                        ; implicit-def: $vgpr78
	s_delay_alu instid0(VALU_DEP_3) | instskip(NEXT) | instid1(VALU_DEP_1)
	v_dual_cndmask_b32 v5, 0, v5 :: v_dual_cndmask_b32 v4, 3, v4
	v_cmp_ne_u64_e32 vcc_lo, 0, v[4:5]
	s_or_b32 s13, s13, vcc_lo
	s_delay_alu instid0(SALU_CYCLE_1) | instskip(NEXT) | instid1(SALU_CYCLE_1)
	s_and_saveexec_b32 s76, s13
	s_xor_b32 s13, exec_lo, s76
; %bb.11830:                            ;   in Loop: Header=BB4_11564 Depth=3
	v_min_i32_e32 v5, 31, v16
	s_delay_alu instid0(VALU_DEP_1) | instskip(NEXT) | instid1(VALU_DEP_1)
	v_lshl_or_b32 v5, v5, 2, v18
                                        ; implicit-def: $vgpr18
	v_and_or_b32 v78, v4, 3, v5
; %bb.11831:                            ;   in Loop: Header=BB4_11564 Depth=3
	s_and_not1_saveexec_b32 s13, s13
; %bb.11832:                            ;   in Loop: Header=BB4_11564 Depth=3
	v_mov_b32_e32 v78, v18
; %bb.11833:                            ;   in Loop: Header=BB4_11564 Depth=3
	s_or_b32 exec_lo, exec_lo, s13
.LBB4_11834:                            ;   in Loop: Header=BB4_11564 Depth=3
	s_delay_alu instid0(SALU_CYCLE_1)
	s_or_b32 exec_lo, exec_lo, s75
                                        ; implicit-def: $vgpr18
.LBB4_11835:                            ;   in Loop: Header=BB4_11564 Depth=3
	s_and_not1_saveexec_b32 s13, s15
; %bb.11836:                            ;   in Loop: Header=BB4_11564 Depth=3
	v_or_b32_e32 v78, 0x7b, v18
; %bb.11837:                            ;   in Loop: Header=BB4_11564 Depth=3
	s_or_b32 exec_lo, exec_lo, s13
                                        ; implicit-def: $vgpr16
                                        ; implicit-def: $vgpr4_vgpr5
.LBB4_11838:                            ;   in Loop: Header=BB4_11564 Depth=3
	s_and_not1_saveexec_b32 s13, s14
	s_cbranch_execz .LBB4_11844
; %bb.11839:                            ;   in Loop: Header=BB4_11564 Depth=3
	s_mov_b32 s14, exec_lo
                                        ; implicit-def: $vgpr78
	v_cmpx_ne_u64_e32 0, v[4:5]
	s_xor_b32 s14, exec_lo, s14
; %bb.11840:                            ;   in Loop: Header=BB4_11564 Depth=3
	v_lshrrev_b32_e32 v4, 24, v16
                                        ; implicit-def: $vgpr16
	s_delay_alu instid0(VALU_DEP_1)
	v_or_b32_e32 v78, 0x7f, v4
; %bb.11841:                            ;   in Loop: Header=BB4_11564 Depth=3
	s_and_not1_saveexec_b32 s14, s14
; %bb.11842:                            ;   in Loop: Header=BB4_11564 Depth=3
	v_cmp_lt_i32_e32 vcc_lo, -1, v16
	v_cndmask_b32_e64 v78, -4, 0x7c, vcc_lo
; %bb.11843:                            ;   in Loop: Header=BB4_11564 Depth=3
	s_or_b32 exec_lo, exec_lo, s14
.LBB4_11844:                            ;   in Loop: Header=BB4_11564 Depth=3
	s_delay_alu instid0(SALU_CYCLE_1)
	s_or_b32 exec_lo, exec_lo, s13
	flat_load_i8 v4, v[8:9] offset:256 th:TH_LOAD_NT
	v_mov_b32_e32 v16, 0
	s_mov_b32 s13, exec_lo
	s_wait_loadcnt_dscnt 0x0
	v_cmpx_ne_u16_e32 0, v4
	s_cbranch_execz .LBB4_11854
; %bb.11845:                            ;   in Loop: Header=BB4_11564 Depth=3
	v_bfrev_b32_e32 v16, 1
	s_mov_b32 s14, exec_lo
	v_cmpx_ne_u16_e32 0xff80, v4
	s_cbranch_execz .LBB4_11853
; %bb.11846:                            ;   in Loop: Header=BB4_11564 Depth=3
	v_and_b32_e32 v16, 0x7c, v4
	v_and_b32_e32 v5, 3, v4
	s_delay_alu instid0(VALU_DEP_2) | instskip(SKIP_1) | instid1(SALU_CYCLE_1)
	v_cmp_ne_u32_e32 vcc_lo, 0x7c, v16
                                        ; implicit-def: $vgpr16
	s_and_saveexec_b32 s15, vcc_lo
	s_xor_b32 s15, exec_lo, s15
	s_cbranch_execz .LBB4_11850
; %bb.11847:                            ;   in Loop: Header=BB4_11564 Depth=3
	v_and_b32_e32 v16, 0xff, v4
	s_mov_b32 s75, exec_lo
	s_delay_alu instid0(VALU_DEP_1) | instskip(NEXT) | instid1(VALU_DEP_1)
	v_bfe_u32 v16, v16, 2, 5
	v_cmpx_eq_u32_e32 0, v16
	s_cbranch_execz .LBB4_11849
; %bb.11848:                            ;   in Loop: Header=BB4_11564 Depth=3
	v_clz_i32_u32_e32 v5, v5
	s_delay_alu instid0(VALU_DEP_1) | instskip(SKIP_1) | instid1(VALU_DEP_2)
	v_min_u32_e32 v16, 32, v5
	v_mov_b32_e32 v5, v3
	v_subrev_nc_u32_e32 v17, 29, v16
	v_sub_nc_u32_e32 v16, 30, v16
	s_delay_alu instid0(VALU_DEP_2) | instskip(NEXT) | instid1(VALU_DEP_1)
	v_lshlrev_b64_e32 v[18:19], v17, v[4:5]
	v_and_b32_e32 v5, 3, v18
.LBB4_11849:                            ;   in Loop: Header=BB4_11564 Depth=3
	s_or_b32 exec_lo, exec_lo, s75
	v_bfe_i32 v4, v4, 0, 16
	s_delay_alu instid0(VALU_DEP_1) | instskip(NEXT) | instid1(VALU_DEP_1)
	v_and_b32_e32 v4, 0x80000000, v4
	v_lshl_add_u32 v4, v16, 23, v4
	s_delay_alu instid0(VALU_DEP_1) | instskip(NEXT) | instid1(VALU_DEP_1)
	v_lshl_or_b32 v4, v5, 21, v4
                                        ; implicit-def: $vgpr5
	v_add_nc_u32_e32 v16, 0x38000000, v4
                                        ; implicit-def: $vgpr4
.LBB4_11850:                            ;   in Loop: Header=BB4_11564 Depth=3
	s_and_not1_saveexec_b32 s15, s15
; %bb.11851:                            ;   in Loop: Header=BB4_11564 Depth=3
	v_cmp_lt_i16_e32 vcc_lo, -1, v4
	v_cndmask_b32_e32 v4, 0xff800000, v48, vcc_lo
	v_cmp_eq_u32_e32 vcc_lo, 0, v5
	s_delay_alu instid0(VALU_DEP_2)
	v_cndmask_b32_e32 v16, 0x7f800001, v4, vcc_lo
; %bb.11852:                            ;   in Loop: Header=BB4_11564 Depth=3
	s_or_b32 exec_lo, exec_lo, s15
.LBB4_11853:                            ;   in Loop: Header=BB4_11564 Depth=3
	s_delay_alu instid0(SALU_CYCLE_1)
	s_or_b32 exec_lo, exec_lo, s14
.LBB4_11854:                            ;   in Loop: Header=BB4_11564 Depth=3
	s_delay_alu instid0(SALU_CYCLE_1) | instskip(NEXT) | instid1(VALU_DEP_1)
	s_or_b32 exec_lo, exec_lo, s13
	v_dual_mul_f32 v16, s74, v16 :: v_dual_mov_b32 v5, v3
                                        ; implicit-def: $vgpr76
	s_delay_alu instid0(VALU_DEP_1) | instskip(NEXT) | instid1(VALU_DEP_1)
	v_and_b32_e32 v4, 0x7f800000, v16
	v_cmp_ne_u64_e32 vcc_lo, 0x7f800000, v[4:5]
	v_and_b32_e32 v4, 0x7fffff, v16
	s_and_saveexec_b32 s13, vcc_lo
	s_delay_alu instid0(SALU_CYCLE_1)
	s_xor_b32 s14, exec_lo, s13
	s_cbranch_execz .LBB4_11872
; %bb.11855:                            ;   in Loop: Header=BB4_11564 Depth=3
	v_and_b32_e32 v18, 0x7fffffff, v16
	v_dual_mov_b32 v19, v3 :: v_dual_lshrrev_b32 v17, 24, v16
                                        ; implicit-def: $vgpr76
	s_delay_alu instid0(VALU_DEP_1) | instskip(NEXT) | instid1(VALU_DEP_2)
	v_cmp_gt_u64_e32 vcc_lo, 0x47600001, v[18:19]
	v_and_b32_e32 v18, 0x80, v17
	s_and_saveexec_b32 s13, vcc_lo
	s_delay_alu instid0(SALU_CYCLE_1)
	s_xor_b32 s15, exec_lo, s13
	s_cbranch_execz .LBB4_11869
; %bb.11856:                            ;   in Loop: Header=BB4_11564 Depth=3
	v_mov_b32_e32 v76, 0
	s_mov_b32 s75, exec_lo
	v_cmpx_ne_u32_e32 0, v16
	s_cbranch_execz .LBB4_11868
; %bb.11857:                            ;   in Loop: Header=BB4_11564 Depth=3
	v_bfe_u32 v19, v16, 23, 8
	v_or_b32_e32 v21, 0x800000, v4
	s_delay_alu instid0(VALU_DEP_2) | instskip(SKIP_1) | instid1(VALU_DEP_2)
	v_sub_nc_u32_e32 v16, 0x71, v19
	v_cmp_gt_u32_e32 vcc_lo, 0x72, v19
	v_cndmask_b32_e32 v16, 0, v16, vcc_lo
	v_cmp_eq_u32_e32 vcc_lo, 0, v19
	s_delay_alu instid0(VALU_DEP_2) | instskip(SKIP_1) | instid1(VALU_DEP_2)
	v_cndmask_b32_e64 v20, v16, 0x70, vcc_lo
	v_cndmask_b32_e32 v4, v21, v4, vcc_lo
	v_dual_add_nc_u32 v16, 21, v20 :: v_dual_add_nc_u32 v30, 20, v20
	s_delay_alu instid0(VALU_DEP_1) | instskip(NEXT) | instid1(VALU_DEP_2)
	v_lshlrev_b64_e64 v[16:17], v16, -1
	v_lshlrev_b64_e64 v[30:31], v30, 1
	s_delay_alu instid0(VALU_DEP_2) | instskip(SKIP_1) | instid1(VALU_DEP_4)
	v_bfi_b32 v16, v16, 0, v4
	v_lshrrev_b64 v[4:5], v20, v[4:5]
	v_bfi_b32 v17, v17, 0, 0
	s_delay_alu instid0(VALU_DEP_1) | instskip(NEXT) | instid1(VALU_DEP_3)
	v_cmp_eq_u64_e64 s13, v[16:17], v[30:31]
	v_mov_b64_e32 v[16:17], v[4:5]
	s_and_saveexec_b32 s76, s13
; %bb.11858:                            ;   in Loop: Header=BB4_11564 Depth=3
	v_bfe_u32 v16, v4, 21, 1
	v_mov_b32_e32 v17, v3
	s_delay_alu instid0(VALU_DEP_1) | instskip(NEXT) | instid1(VALU_DEP_1)
	v_add_nc_u64_e32 v[16:17], v[4:5], v[16:17]
	v_add_nc_u64_e32 v[16:17], -1, v[16:17]
; %bb.11859:                            ;   in Loop: Header=BB4_11564 Depth=3
	s_or_b32 exec_lo, exec_lo, s76
	v_add_nc_u32_e32 v5, 0xffffff81, v19
	v_lshrrev_b32_e32 v17, 23, v4
	s_mov_b32 s13, exec_lo
	s_delay_alu instid0(VALU_DEP_2) | instskip(NEXT) | instid1(VALU_DEP_1)
	v_cndmask_b32_e64 v5, v5, 0xffffff82, vcc_lo
	v_add3_u32 v17, v20, v5, v17
	v_and_b32_e32 v5, 0x1fffff, v16
                                        ; implicit-def: $vgpr16
	s_delay_alu instid0(VALU_DEP_1) | instskip(SKIP_1) | instid1(VALU_DEP_2)
	v_dual_add_nc_u32 v19, 14, v17 :: v_dual_add_nc_u32 v4, v5, v4
	v_mov_b32_e32 v5, v3
	v_cmpx_ne_u32_e32 0, v19
	s_xor_b32 s13, exec_lo, s13
; %bb.11860:                            ;   in Loop: Header=BB4_11564 Depth=3
	s_delay_alu instid0(VALU_DEP_2) | instskip(SKIP_2) | instid1(VALU_DEP_2)
	v_cmp_lt_u64_e32 vcc_lo, 0xffffff, v[4:5]
	v_add_nc_u32_e32 v16, 15, v17
	v_cndmask_b32_e64 v17, 0, 1, vcc_lo
	v_cndmask_b32_e32 v16, v19, v16, vcc_lo
	s_delay_alu instid0(VALU_DEP_2)
	v_lshrrev_b64 v[4:5], v17, v[4:5]
; %bb.11861:                            ;   in Loop: Header=BB4_11564 Depth=3
	s_and_not1_saveexec_b32 s13, s13
; %bb.11862:                            ;   in Loop: Header=BB4_11564 Depth=3
	s_delay_alu instid0(VALU_DEP_1)
	v_bfe_u32 v16, v4, 23, 1
; %bb.11863:                            ;   in Loop: Header=BB4_11564 Depth=3
	s_or_b32 exec_lo, exec_lo, s13
	s_delay_alu instid0(VALU_DEP_2) | instskip(NEXT) | instid1(VALU_DEP_2)
	v_lshrrev_b64 v[4:5], 21, v[4:5]
	v_cmp_gt_i32_e32 vcc_lo, 32, v16
	v_cmp_ne_u32_e64 s13, 0, v16
                                        ; implicit-def: $vgpr76
	s_delay_alu instid0(VALU_DEP_3) | instskip(NEXT) | instid1(VALU_DEP_1)
	v_dual_cndmask_b32 v5, 0, v5 :: v_dual_cndmask_b32 v4, 3, v4
	v_cmp_ne_u64_e32 vcc_lo, 0, v[4:5]
	s_or_b32 s13, s13, vcc_lo
	s_delay_alu instid0(SALU_CYCLE_1) | instskip(NEXT) | instid1(SALU_CYCLE_1)
	s_and_saveexec_b32 s76, s13
	s_xor_b32 s13, exec_lo, s76
; %bb.11864:                            ;   in Loop: Header=BB4_11564 Depth=3
	v_min_i32_e32 v5, 31, v16
	s_delay_alu instid0(VALU_DEP_1) | instskip(NEXT) | instid1(VALU_DEP_1)
	v_lshl_or_b32 v5, v5, 2, v18
                                        ; implicit-def: $vgpr18
	v_and_or_b32 v76, v4, 3, v5
; %bb.11865:                            ;   in Loop: Header=BB4_11564 Depth=3
	s_and_not1_saveexec_b32 s13, s13
; %bb.11866:                            ;   in Loop: Header=BB4_11564 Depth=3
	v_mov_b32_e32 v76, v18
; %bb.11867:                            ;   in Loop: Header=BB4_11564 Depth=3
	s_or_b32 exec_lo, exec_lo, s13
.LBB4_11868:                            ;   in Loop: Header=BB4_11564 Depth=3
	s_delay_alu instid0(SALU_CYCLE_1)
	s_or_b32 exec_lo, exec_lo, s75
                                        ; implicit-def: $vgpr18
.LBB4_11869:                            ;   in Loop: Header=BB4_11564 Depth=3
	s_and_not1_saveexec_b32 s13, s15
; %bb.11870:                            ;   in Loop: Header=BB4_11564 Depth=3
	v_or_b32_e32 v76, 0x7b, v18
; %bb.11871:                            ;   in Loop: Header=BB4_11564 Depth=3
	s_or_b32 exec_lo, exec_lo, s13
                                        ; implicit-def: $vgpr16
                                        ; implicit-def: $vgpr4_vgpr5
.LBB4_11872:                            ;   in Loop: Header=BB4_11564 Depth=3
	s_and_not1_saveexec_b32 s13, s14
	s_cbranch_execz .LBB4_11878
; %bb.11873:                            ;   in Loop: Header=BB4_11564 Depth=3
	s_mov_b32 s14, exec_lo
                                        ; implicit-def: $vgpr76
	v_cmpx_ne_u64_e32 0, v[4:5]
	s_xor_b32 s14, exec_lo, s14
; %bb.11874:                            ;   in Loop: Header=BB4_11564 Depth=3
	v_lshrrev_b32_e32 v4, 24, v16
                                        ; implicit-def: $vgpr16
	s_delay_alu instid0(VALU_DEP_1)
	v_or_b32_e32 v76, 0x7f, v4
; %bb.11875:                            ;   in Loop: Header=BB4_11564 Depth=3
	s_and_not1_saveexec_b32 s14, s14
; %bb.11876:                            ;   in Loop: Header=BB4_11564 Depth=3
	v_cmp_lt_i32_e32 vcc_lo, -1, v16
	v_cndmask_b32_e64 v76, -4, 0x7c, vcc_lo
; %bb.11877:                            ;   in Loop: Header=BB4_11564 Depth=3
	s_or_b32 exec_lo, exec_lo, s14
.LBB4_11878:                            ;   in Loop: Header=BB4_11564 Depth=3
	s_delay_alu instid0(SALU_CYCLE_1)
	s_or_b32 exec_lo, exec_lo, s13
	flat_load_i8 v4, v[8:9] offset:288 th:TH_LOAD_NT
	v_mov_b32_e32 v16, 0
	s_mov_b32 s13, exec_lo
	s_wait_loadcnt_dscnt 0x0
	v_cmpx_ne_u16_e32 0, v4
	s_cbranch_execz .LBB4_11888
; %bb.11879:                            ;   in Loop: Header=BB4_11564 Depth=3
	v_bfrev_b32_e32 v16, 1
	s_mov_b32 s14, exec_lo
	v_cmpx_ne_u16_e32 0xff80, v4
	s_cbranch_execz .LBB4_11887
; %bb.11880:                            ;   in Loop: Header=BB4_11564 Depth=3
	v_and_b32_e32 v16, 0x7c, v4
	v_and_b32_e32 v5, 3, v4
	s_delay_alu instid0(VALU_DEP_2) | instskip(SKIP_1) | instid1(SALU_CYCLE_1)
	v_cmp_ne_u32_e32 vcc_lo, 0x7c, v16
                                        ; implicit-def: $vgpr16
	s_and_saveexec_b32 s15, vcc_lo
	s_xor_b32 s15, exec_lo, s15
	s_cbranch_execz .LBB4_11884
; %bb.11881:                            ;   in Loop: Header=BB4_11564 Depth=3
	v_and_b32_e32 v16, 0xff, v4
	s_mov_b32 s75, exec_lo
	s_delay_alu instid0(VALU_DEP_1) | instskip(NEXT) | instid1(VALU_DEP_1)
	v_bfe_u32 v16, v16, 2, 5
	v_cmpx_eq_u32_e32 0, v16
	s_cbranch_execz .LBB4_11883
; %bb.11882:                            ;   in Loop: Header=BB4_11564 Depth=3
	v_clz_i32_u32_e32 v5, v5
	s_delay_alu instid0(VALU_DEP_1) | instskip(SKIP_1) | instid1(VALU_DEP_2)
	v_min_u32_e32 v16, 32, v5
	v_mov_b32_e32 v5, v3
	v_subrev_nc_u32_e32 v17, 29, v16
	v_sub_nc_u32_e32 v16, 30, v16
	s_delay_alu instid0(VALU_DEP_2) | instskip(NEXT) | instid1(VALU_DEP_1)
	v_lshlrev_b64_e32 v[18:19], v17, v[4:5]
	v_and_b32_e32 v5, 3, v18
.LBB4_11883:                            ;   in Loop: Header=BB4_11564 Depth=3
	s_or_b32 exec_lo, exec_lo, s75
	v_bfe_i32 v4, v4, 0, 16
	s_delay_alu instid0(VALU_DEP_1) | instskip(NEXT) | instid1(VALU_DEP_1)
	v_and_b32_e32 v4, 0x80000000, v4
	v_lshl_add_u32 v4, v16, 23, v4
	s_delay_alu instid0(VALU_DEP_1) | instskip(NEXT) | instid1(VALU_DEP_1)
	v_lshl_or_b32 v4, v5, 21, v4
                                        ; implicit-def: $vgpr5
	v_add_nc_u32_e32 v16, 0x38000000, v4
                                        ; implicit-def: $vgpr4
.LBB4_11884:                            ;   in Loop: Header=BB4_11564 Depth=3
	s_and_not1_saveexec_b32 s15, s15
; %bb.11885:                            ;   in Loop: Header=BB4_11564 Depth=3
	v_cmp_lt_i16_e32 vcc_lo, -1, v4
	v_cndmask_b32_e32 v4, 0xff800000, v48, vcc_lo
	v_cmp_eq_u32_e32 vcc_lo, 0, v5
	s_delay_alu instid0(VALU_DEP_2)
	v_cndmask_b32_e32 v16, 0x7f800001, v4, vcc_lo
; %bb.11886:                            ;   in Loop: Header=BB4_11564 Depth=3
	s_or_b32 exec_lo, exec_lo, s15
.LBB4_11887:                            ;   in Loop: Header=BB4_11564 Depth=3
	s_delay_alu instid0(SALU_CYCLE_1)
	s_or_b32 exec_lo, exec_lo, s14
.LBB4_11888:                            ;   in Loop: Header=BB4_11564 Depth=3
	s_delay_alu instid0(SALU_CYCLE_1) | instskip(NEXT) | instid1(VALU_DEP_1)
	s_or_b32 exec_lo, exec_lo, s13
	v_dual_mul_f32 v16, s74, v16 :: v_dual_mov_b32 v5, v3
                                        ; implicit-def: $vgpr74
	s_delay_alu instid0(VALU_DEP_1) | instskip(NEXT) | instid1(VALU_DEP_1)
	v_and_b32_e32 v4, 0x7f800000, v16
	v_cmp_ne_u64_e32 vcc_lo, 0x7f800000, v[4:5]
	v_and_b32_e32 v4, 0x7fffff, v16
	s_and_saveexec_b32 s13, vcc_lo
	s_delay_alu instid0(SALU_CYCLE_1)
	s_xor_b32 s14, exec_lo, s13
	s_cbranch_execz .LBB4_11906
; %bb.11889:                            ;   in Loop: Header=BB4_11564 Depth=3
	v_and_b32_e32 v18, 0x7fffffff, v16
	v_dual_mov_b32 v19, v3 :: v_dual_lshrrev_b32 v17, 24, v16
                                        ; implicit-def: $vgpr74
	s_delay_alu instid0(VALU_DEP_1) | instskip(NEXT) | instid1(VALU_DEP_2)
	v_cmp_gt_u64_e32 vcc_lo, 0x47600001, v[18:19]
	v_and_b32_e32 v18, 0x80, v17
	s_and_saveexec_b32 s13, vcc_lo
	s_delay_alu instid0(SALU_CYCLE_1)
	s_xor_b32 s15, exec_lo, s13
	s_cbranch_execz .LBB4_11903
; %bb.11890:                            ;   in Loop: Header=BB4_11564 Depth=3
	v_mov_b32_e32 v74, 0
	s_mov_b32 s75, exec_lo
	v_cmpx_ne_u32_e32 0, v16
	s_cbranch_execz .LBB4_11902
; %bb.11891:                            ;   in Loop: Header=BB4_11564 Depth=3
	v_bfe_u32 v19, v16, 23, 8
	v_or_b32_e32 v21, 0x800000, v4
	s_delay_alu instid0(VALU_DEP_2) | instskip(SKIP_1) | instid1(VALU_DEP_2)
	v_sub_nc_u32_e32 v16, 0x71, v19
	v_cmp_gt_u32_e32 vcc_lo, 0x72, v19
	v_cndmask_b32_e32 v16, 0, v16, vcc_lo
	v_cmp_eq_u32_e32 vcc_lo, 0, v19
	s_delay_alu instid0(VALU_DEP_2) | instskip(SKIP_1) | instid1(VALU_DEP_2)
	v_cndmask_b32_e64 v20, v16, 0x70, vcc_lo
	v_cndmask_b32_e32 v4, v21, v4, vcc_lo
	v_dual_add_nc_u32 v16, 21, v20 :: v_dual_add_nc_u32 v30, 20, v20
	s_delay_alu instid0(VALU_DEP_1) | instskip(NEXT) | instid1(VALU_DEP_2)
	v_lshlrev_b64_e64 v[16:17], v16, -1
	v_lshlrev_b64_e64 v[30:31], v30, 1
	s_delay_alu instid0(VALU_DEP_2) | instskip(SKIP_1) | instid1(VALU_DEP_4)
	v_bfi_b32 v16, v16, 0, v4
	v_lshrrev_b64 v[4:5], v20, v[4:5]
	v_bfi_b32 v17, v17, 0, 0
	s_delay_alu instid0(VALU_DEP_1) | instskip(NEXT) | instid1(VALU_DEP_3)
	v_cmp_eq_u64_e64 s13, v[16:17], v[30:31]
	v_mov_b64_e32 v[16:17], v[4:5]
	s_and_saveexec_b32 s76, s13
; %bb.11892:                            ;   in Loop: Header=BB4_11564 Depth=3
	v_bfe_u32 v16, v4, 21, 1
	v_mov_b32_e32 v17, v3
	s_delay_alu instid0(VALU_DEP_1) | instskip(NEXT) | instid1(VALU_DEP_1)
	v_add_nc_u64_e32 v[16:17], v[4:5], v[16:17]
	v_add_nc_u64_e32 v[16:17], -1, v[16:17]
; %bb.11893:                            ;   in Loop: Header=BB4_11564 Depth=3
	s_or_b32 exec_lo, exec_lo, s76
	v_add_nc_u32_e32 v5, 0xffffff81, v19
	v_lshrrev_b32_e32 v17, 23, v4
	s_mov_b32 s13, exec_lo
	s_delay_alu instid0(VALU_DEP_2) | instskip(NEXT) | instid1(VALU_DEP_1)
	v_cndmask_b32_e64 v5, v5, 0xffffff82, vcc_lo
	v_add3_u32 v17, v20, v5, v17
	v_and_b32_e32 v5, 0x1fffff, v16
                                        ; implicit-def: $vgpr16
	s_delay_alu instid0(VALU_DEP_1) | instskip(SKIP_1) | instid1(VALU_DEP_2)
	v_dual_add_nc_u32 v19, 14, v17 :: v_dual_add_nc_u32 v4, v5, v4
	v_mov_b32_e32 v5, v3
	v_cmpx_ne_u32_e32 0, v19
	s_xor_b32 s13, exec_lo, s13
; %bb.11894:                            ;   in Loop: Header=BB4_11564 Depth=3
	s_delay_alu instid0(VALU_DEP_2) | instskip(SKIP_2) | instid1(VALU_DEP_2)
	v_cmp_lt_u64_e32 vcc_lo, 0xffffff, v[4:5]
	v_add_nc_u32_e32 v16, 15, v17
	v_cndmask_b32_e64 v17, 0, 1, vcc_lo
	v_cndmask_b32_e32 v16, v19, v16, vcc_lo
	s_delay_alu instid0(VALU_DEP_2)
	v_lshrrev_b64 v[4:5], v17, v[4:5]
; %bb.11895:                            ;   in Loop: Header=BB4_11564 Depth=3
	s_and_not1_saveexec_b32 s13, s13
; %bb.11896:                            ;   in Loop: Header=BB4_11564 Depth=3
	s_delay_alu instid0(VALU_DEP_1)
	v_bfe_u32 v16, v4, 23, 1
; %bb.11897:                            ;   in Loop: Header=BB4_11564 Depth=3
	s_or_b32 exec_lo, exec_lo, s13
	s_delay_alu instid0(VALU_DEP_2) | instskip(NEXT) | instid1(VALU_DEP_2)
	v_lshrrev_b64 v[4:5], 21, v[4:5]
	v_cmp_gt_i32_e32 vcc_lo, 32, v16
	v_cmp_ne_u32_e64 s13, 0, v16
                                        ; implicit-def: $vgpr74
	s_delay_alu instid0(VALU_DEP_3) | instskip(NEXT) | instid1(VALU_DEP_1)
	v_dual_cndmask_b32 v5, 0, v5 :: v_dual_cndmask_b32 v4, 3, v4
	v_cmp_ne_u64_e32 vcc_lo, 0, v[4:5]
	s_or_b32 s13, s13, vcc_lo
	s_delay_alu instid0(SALU_CYCLE_1) | instskip(NEXT) | instid1(SALU_CYCLE_1)
	s_and_saveexec_b32 s76, s13
	s_xor_b32 s13, exec_lo, s76
; %bb.11898:                            ;   in Loop: Header=BB4_11564 Depth=3
	v_min_i32_e32 v5, 31, v16
	s_delay_alu instid0(VALU_DEP_1) | instskip(NEXT) | instid1(VALU_DEP_1)
	v_lshl_or_b32 v5, v5, 2, v18
                                        ; implicit-def: $vgpr18
	v_and_or_b32 v74, v4, 3, v5
; %bb.11899:                            ;   in Loop: Header=BB4_11564 Depth=3
	s_and_not1_saveexec_b32 s13, s13
; %bb.11900:                            ;   in Loop: Header=BB4_11564 Depth=3
	v_mov_b32_e32 v74, v18
; %bb.11901:                            ;   in Loop: Header=BB4_11564 Depth=3
	s_or_b32 exec_lo, exec_lo, s13
.LBB4_11902:                            ;   in Loop: Header=BB4_11564 Depth=3
	s_delay_alu instid0(SALU_CYCLE_1)
	s_or_b32 exec_lo, exec_lo, s75
                                        ; implicit-def: $vgpr18
.LBB4_11903:                            ;   in Loop: Header=BB4_11564 Depth=3
	s_and_not1_saveexec_b32 s13, s15
; %bb.11904:                            ;   in Loop: Header=BB4_11564 Depth=3
	v_or_b32_e32 v74, 0x7b, v18
; %bb.11905:                            ;   in Loop: Header=BB4_11564 Depth=3
	s_or_b32 exec_lo, exec_lo, s13
                                        ; implicit-def: $vgpr16
                                        ; implicit-def: $vgpr4_vgpr5
.LBB4_11906:                            ;   in Loop: Header=BB4_11564 Depth=3
	s_and_not1_saveexec_b32 s13, s14
	s_cbranch_execz .LBB4_11912
; %bb.11907:                            ;   in Loop: Header=BB4_11564 Depth=3
	s_mov_b32 s14, exec_lo
                                        ; implicit-def: $vgpr74
	v_cmpx_ne_u64_e32 0, v[4:5]
	s_xor_b32 s14, exec_lo, s14
; %bb.11908:                            ;   in Loop: Header=BB4_11564 Depth=3
	v_lshrrev_b32_e32 v4, 24, v16
                                        ; implicit-def: $vgpr16
	s_delay_alu instid0(VALU_DEP_1)
	v_or_b32_e32 v74, 0x7f, v4
; %bb.11909:                            ;   in Loop: Header=BB4_11564 Depth=3
	s_and_not1_saveexec_b32 s14, s14
; %bb.11910:                            ;   in Loop: Header=BB4_11564 Depth=3
	v_cmp_lt_i32_e32 vcc_lo, -1, v16
	v_cndmask_b32_e64 v74, -4, 0x7c, vcc_lo
; %bb.11911:                            ;   in Loop: Header=BB4_11564 Depth=3
	s_or_b32 exec_lo, exec_lo, s14
.LBB4_11912:                            ;   in Loop: Header=BB4_11564 Depth=3
	s_delay_alu instid0(SALU_CYCLE_1)
	s_or_b32 exec_lo, exec_lo, s13
	flat_load_i8 v4, v[8:9] offset:320 th:TH_LOAD_NT
	v_mov_b32_e32 v16, 0
	s_mov_b32 s13, exec_lo
	s_wait_loadcnt_dscnt 0x0
	v_cmpx_ne_u16_e32 0, v4
	s_cbranch_execz .LBB4_11922
; %bb.11913:                            ;   in Loop: Header=BB4_11564 Depth=3
	v_bfrev_b32_e32 v16, 1
	s_mov_b32 s14, exec_lo
	v_cmpx_ne_u16_e32 0xff80, v4
	s_cbranch_execz .LBB4_11921
; %bb.11914:                            ;   in Loop: Header=BB4_11564 Depth=3
	v_and_b32_e32 v16, 0x7c, v4
	v_and_b32_e32 v5, 3, v4
	s_delay_alu instid0(VALU_DEP_2) | instskip(SKIP_1) | instid1(SALU_CYCLE_1)
	v_cmp_ne_u32_e32 vcc_lo, 0x7c, v16
                                        ; implicit-def: $vgpr16
	s_and_saveexec_b32 s15, vcc_lo
	s_xor_b32 s15, exec_lo, s15
	s_cbranch_execz .LBB4_11918
; %bb.11915:                            ;   in Loop: Header=BB4_11564 Depth=3
	v_and_b32_e32 v16, 0xff, v4
	s_mov_b32 s75, exec_lo
	s_delay_alu instid0(VALU_DEP_1) | instskip(NEXT) | instid1(VALU_DEP_1)
	v_bfe_u32 v16, v16, 2, 5
	v_cmpx_eq_u32_e32 0, v16
	s_cbranch_execz .LBB4_11917
; %bb.11916:                            ;   in Loop: Header=BB4_11564 Depth=3
	v_clz_i32_u32_e32 v5, v5
	s_delay_alu instid0(VALU_DEP_1) | instskip(SKIP_1) | instid1(VALU_DEP_2)
	v_min_u32_e32 v16, 32, v5
	v_mov_b32_e32 v5, v3
	v_subrev_nc_u32_e32 v17, 29, v16
	v_sub_nc_u32_e32 v16, 30, v16
	s_delay_alu instid0(VALU_DEP_2) | instskip(NEXT) | instid1(VALU_DEP_1)
	v_lshlrev_b64_e32 v[18:19], v17, v[4:5]
	v_and_b32_e32 v5, 3, v18
.LBB4_11917:                            ;   in Loop: Header=BB4_11564 Depth=3
	s_or_b32 exec_lo, exec_lo, s75
	v_bfe_i32 v4, v4, 0, 16
	s_delay_alu instid0(VALU_DEP_1) | instskip(NEXT) | instid1(VALU_DEP_1)
	v_and_b32_e32 v4, 0x80000000, v4
	v_lshl_add_u32 v4, v16, 23, v4
	s_delay_alu instid0(VALU_DEP_1) | instskip(NEXT) | instid1(VALU_DEP_1)
	v_lshl_or_b32 v4, v5, 21, v4
                                        ; implicit-def: $vgpr5
	v_add_nc_u32_e32 v16, 0x38000000, v4
                                        ; implicit-def: $vgpr4
.LBB4_11918:                            ;   in Loop: Header=BB4_11564 Depth=3
	s_and_not1_saveexec_b32 s15, s15
; %bb.11919:                            ;   in Loop: Header=BB4_11564 Depth=3
	v_cmp_lt_i16_e32 vcc_lo, -1, v4
	v_cndmask_b32_e32 v4, 0xff800000, v48, vcc_lo
	v_cmp_eq_u32_e32 vcc_lo, 0, v5
	s_delay_alu instid0(VALU_DEP_2)
	v_cndmask_b32_e32 v16, 0x7f800001, v4, vcc_lo
; %bb.11920:                            ;   in Loop: Header=BB4_11564 Depth=3
	s_or_b32 exec_lo, exec_lo, s15
.LBB4_11921:                            ;   in Loop: Header=BB4_11564 Depth=3
	s_delay_alu instid0(SALU_CYCLE_1)
	s_or_b32 exec_lo, exec_lo, s14
.LBB4_11922:                            ;   in Loop: Header=BB4_11564 Depth=3
	s_delay_alu instid0(SALU_CYCLE_1) | instskip(NEXT) | instid1(VALU_DEP_1)
	s_or_b32 exec_lo, exec_lo, s13
	v_dual_mul_f32 v16, s74, v16 :: v_dual_mov_b32 v5, v3
                                        ; implicit-def: $vgpr62
	s_delay_alu instid0(VALU_DEP_1) | instskip(NEXT) | instid1(VALU_DEP_1)
	v_and_b32_e32 v4, 0x7f800000, v16
	v_cmp_ne_u64_e32 vcc_lo, 0x7f800000, v[4:5]
	v_and_b32_e32 v4, 0x7fffff, v16
	s_and_saveexec_b32 s13, vcc_lo
	s_delay_alu instid0(SALU_CYCLE_1)
	s_xor_b32 s14, exec_lo, s13
	s_cbranch_execz .LBB4_11940
; %bb.11923:                            ;   in Loop: Header=BB4_11564 Depth=3
	v_and_b32_e32 v18, 0x7fffffff, v16
	v_dual_mov_b32 v19, v3 :: v_dual_lshrrev_b32 v17, 24, v16
                                        ; implicit-def: $vgpr62
	s_delay_alu instid0(VALU_DEP_1) | instskip(NEXT) | instid1(VALU_DEP_2)
	v_cmp_gt_u64_e32 vcc_lo, 0x47600001, v[18:19]
	v_and_b32_e32 v18, 0x80, v17
	s_and_saveexec_b32 s13, vcc_lo
	s_delay_alu instid0(SALU_CYCLE_1)
	s_xor_b32 s15, exec_lo, s13
	s_cbranch_execz .LBB4_11937
; %bb.11924:                            ;   in Loop: Header=BB4_11564 Depth=3
	v_mov_b32_e32 v62, 0
	s_mov_b32 s75, exec_lo
	v_cmpx_ne_u32_e32 0, v16
	s_cbranch_execz .LBB4_11936
; %bb.11925:                            ;   in Loop: Header=BB4_11564 Depth=3
	v_bfe_u32 v19, v16, 23, 8
	v_or_b32_e32 v21, 0x800000, v4
	s_delay_alu instid0(VALU_DEP_2) | instskip(SKIP_1) | instid1(VALU_DEP_2)
	v_sub_nc_u32_e32 v16, 0x71, v19
	v_cmp_gt_u32_e32 vcc_lo, 0x72, v19
	v_cndmask_b32_e32 v16, 0, v16, vcc_lo
	v_cmp_eq_u32_e32 vcc_lo, 0, v19
	s_delay_alu instid0(VALU_DEP_2) | instskip(SKIP_1) | instid1(VALU_DEP_2)
	v_cndmask_b32_e64 v20, v16, 0x70, vcc_lo
	v_cndmask_b32_e32 v4, v21, v4, vcc_lo
	v_dual_add_nc_u32 v16, 21, v20 :: v_dual_add_nc_u32 v30, 20, v20
	s_delay_alu instid0(VALU_DEP_1) | instskip(NEXT) | instid1(VALU_DEP_2)
	v_lshlrev_b64_e64 v[16:17], v16, -1
	v_lshlrev_b64_e64 v[30:31], v30, 1
	s_delay_alu instid0(VALU_DEP_2) | instskip(SKIP_1) | instid1(VALU_DEP_4)
	v_bfi_b32 v16, v16, 0, v4
	v_lshrrev_b64 v[4:5], v20, v[4:5]
	v_bfi_b32 v17, v17, 0, 0
	s_delay_alu instid0(VALU_DEP_1) | instskip(NEXT) | instid1(VALU_DEP_3)
	v_cmp_eq_u64_e64 s13, v[16:17], v[30:31]
	v_mov_b64_e32 v[16:17], v[4:5]
	s_and_saveexec_b32 s76, s13
; %bb.11926:                            ;   in Loop: Header=BB4_11564 Depth=3
	v_bfe_u32 v16, v4, 21, 1
	v_mov_b32_e32 v17, v3
	s_delay_alu instid0(VALU_DEP_1) | instskip(NEXT) | instid1(VALU_DEP_1)
	v_add_nc_u64_e32 v[16:17], v[4:5], v[16:17]
	v_add_nc_u64_e32 v[16:17], -1, v[16:17]
; %bb.11927:                            ;   in Loop: Header=BB4_11564 Depth=3
	s_or_b32 exec_lo, exec_lo, s76
	v_add_nc_u32_e32 v5, 0xffffff81, v19
	v_lshrrev_b32_e32 v17, 23, v4
	s_mov_b32 s13, exec_lo
	s_delay_alu instid0(VALU_DEP_2) | instskip(NEXT) | instid1(VALU_DEP_1)
	v_cndmask_b32_e64 v5, v5, 0xffffff82, vcc_lo
	v_add3_u32 v17, v20, v5, v17
	v_and_b32_e32 v5, 0x1fffff, v16
                                        ; implicit-def: $vgpr16
	s_delay_alu instid0(VALU_DEP_1) | instskip(SKIP_1) | instid1(VALU_DEP_2)
	v_dual_add_nc_u32 v19, 14, v17 :: v_dual_add_nc_u32 v4, v5, v4
	v_mov_b32_e32 v5, v3
	v_cmpx_ne_u32_e32 0, v19
	s_xor_b32 s13, exec_lo, s13
; %bb.11928:                            ;   in Loop: Header=BB4_11564 Depth=3
	s_delay_alu instid0(VALU_DEP_2) | instskip(SKIP_2) | instid1(VALU_DEP_2)
	v_cmp_lt_u64_e32 vcc_lo, 0xffffff, v[4:5]
	v_add_nc_u32_e32 v16, 15, v17
	v_cndmask_b32_e64 v17, 0, 1, vcc_lo
	v_cndmask_b32_e32 v16, v19, v16, vcc_lo
	s_delay_alu instid0(VALU_DEP_2)
	v_lshrrev_b64 v[4:5], v17, v[4:5]
; %bb.11929:                            ;   in Loop: Header=BB4_11564 Depth=3
	s_and_not1_saveexec_b32 s13, s13
; %bb.11930:                            ;   in Loop: Header=BB4_11564 Depth=3
	s_delay_alu instid0(VALU_DEP_1)
	v_bfe_u32 v16, v4, 23, 1
; %bb.11931:                            ;   in Loop: Header=BB4_11564 Depth=3
	s_or_b32 exec_lo, exec_lo, s13
	s_delay_alu instid0(VALU_DEP_2) | instskip(NEXT) | instid1(VALU_DEP_2)
	v_lshrrev_b64 v[4:5], 21, v[4:5]
	v_cmp_gt_i32_e32 vcc_lo, 32, v16
	v_cmp_ne_u32_e64 s13, 0, v16
                                        ; implicit-def: $vgpr62
	s_delay_alu instid0(VALU_DEP_3) | instskip(NEXT) | instid1(VALU_DEP_1)
	v_dual_cndmask_b32 v5, 0, v5 :: v_dual_cndmask_b32 v4, 3, v4
	v_cmp_ne_u64_e32 vcc_lo, 0, v[4:5]
	s_or_b32 s13, s13, vcc_lo
	s_delay_alu instid0(SALU_CYCLE_1) | instskip(NEXT) | instid1(SALU_CYCLE_1)
	s_and_saveexec_b32 s76, s13
	s_xor_b32 s13, exec_lo, s76
; %bb.11932:                            ;   in Loop: Header=BB4_11564 Depth=3
	v_min_i32_e32 v5, 31, v16
	s_delay_alu instid0(VALU_DEP_1) | instskip(NEXT) | instid1(VALU_DEP_1)
	v_lshl_or_b32 v5, v5, 2, v18
                                        ; implicit-def: $vgpr18
	v_and_or_b32 v62, v4, 3, v5
; %bb.11933:                            ;   in Loop: Header=BB4_11564 Depth=3
	s_and_not1_saveexec_b32 s13, s13
; %bb.11934:                            ;   in Loop: Header=BB4_11564 Depth=3
	v_mov_b32_e32 v62, v18
; %bb.11935:                            ;   in Loop: Header=BB4_11564 Depth=3
	s_or_b32 exec_lo, exec_lo, s13
.LBB4_11936:                            ;   in Loop: Header=BB4_11564 Depth=3
	s_delay_alu instid0(SALU_CYCLE_1)
	s_or_b32 exec_lo, exec_lo, s75
                                        ; implicit-def: $vgpr18
.LBB4_11937:                            ;   in Loop: Header=BB4_11564 Depth=3
	s_and_not1_saveexec_b32 s13, s15
; %bb.11938:                            ;   in Loop: Header=BB4_11564 Depth=3
	v_or_b32_e32 v62, 0x7b, v18
; %bb.11939:                            ;   in Loop: Header=BB4_11564 Depth=3
	s_or_b32 exec_lo, exec_lo, s13
                                        ; implicit-def: $vgpr16
                                        ; implicit-def: $vgpr4_vgpr5
.LBB4_11940:                            ;   in Loop: Header=BB4_11564 Depth=3
	s_and_not1_saveexec_b32 s13, s14
	s_cbranch_execz .LBB4_11946
; %bb.11941:                            ;   in Loop: Header=BB4_11564 Depth=3
	s_mov_b32 s14, exec_lo
                                        ; implicit-def: $vgpr62
	v_cmpx_ne_u64_e32 0, v[4:5]
	s_xor_b32 s14, exec_lo, s14
; %bb.11942:                            ;   in Loop: Header=BB4_11564 Depth=3
	v_lshrrev_b32_e32 v4, 24, v16
                                        ; implicit-def: $vgpr16
	s_delay_alu instid0(VALU_DEP_1)
	v_or_b32_e32 v62, 0x7f, v4
; %bb.11943:                            ;   in Loop: Header=BB4_11564 Depth=3
	s_and_not1_saveexec_b32 s14, s14
; %bb.11944:                            ;   in Loop: Header=BB4_11564 Depth=3
	v_cmp_lt_i32_e32 vcc_lo, -1, v16
	v_cndmask_b32_e64 v62, -4, 0x7c, vcc_lo
; %bb.11945:                            ;   in Loop: Header=BB4_11564 Depth=3
	s_or_b32 exec_lo, exec_lo, s14
.LBB4_11946:                            ;   in Loop: Header=BB4_11564 Depth=3
	s_delay_alu instid0(SALU_CYCLE_1)
	s_or_b32 exec_lo, exec_lo, s13
	flat_load_i8 v4, v[8:9] offset:352 th:TH_LOAD_NT
	v_mov_b32_e32 v16, 0
	s_mov_b32 s13, exec_lo
	s_wait_loadcnt_dscnt 0x0
	v_cmpx_ne_u16_e32 0, v4
	s_cbranch_execz .LBB4_11956
; %bb.11947:                            ;   in Loop: Header=BB4_11564 Depth=3
	v_bfrev_b32_e32 v16, 1
	s_mov_b32 s14, exec_lo
	v_cmpx_ne_u16_e32 0xff80, v4
	s_cbranch_execz .LBB4_11955
; %bb.11948:                            ;   in Loop: Header=BB4_11564 Depth=3
	v_and_b32_e32 v16, 0x7c, v4
	v_and_b32_e32 v5, 3, v4
	s_delay_alu instid0(VALU_DEP_2) | instskip(SKIP_1) | instid1(SALU_CYCLE_1)
	v_cmp_ne_u32_e32 vcc_lo, 0x7c, v16
                                        ; implicit-def: $vgpr16
	s_and_saveexec_b32 s15, vcc_lo
	s_xor_b32 s15, exec_lo, s15
	s_cbranch_execz .LBB4_11952
; %bb.11949:                            ;   in Loop: Header=BB4_11564 Depth=3
	v_and_b32_e32 v16, 0xff, v4
	s_mov_b32 s75, exec_lo
	s_delay_alu instid0(VALU_DEP_1) | instskip(NEXT) | instid1(VALU_DEP_1)
	v_bfe_u32 v16, v16, 2, 5
	v_cmpx_eq_u32_e32 0, v16
	s_cbranch_execz .LBB4_11951
; %bb.11950:                            ;   in Loop: Header=BB4_11564 Depth=3
	v_clz_i32_u32_e32 v5, v5
	s_delay_alu instid0(VALU_DEP_1) | instskip(SKIP_1) | instid1(VALU_DEP_2)
	v_min_u32_e32 v16, 32, v5
	v_mov_b32_e32 v5, v3
	v_subrev_nc_u32_e32 v17, 29, v16
	v_sub_nc_u32_e32 v16, 30, v16
	s_delay_alu instid0(VALU_DEP_2) | instskip(NEXT) | instid1(VALU_DEP_1)
	v_lshlrev_b64_e32 v[18:19], v17, v[4:5]
	v_and_b32_e32 v5, 3, v18
.LBB4_11951:                            ;   in Loop: Header=BB4_11564 Depth=3
	s_or_b32 exec_lo, exec_lo, s75
	v_bfe_i32 v4, v4, 0, 16
	s_delay_alu instid0(VALU_DEP_1) | instskip(NEXT) | instid1(VALU_DEP_1)
	v_and_b32_e32 v4, 0x80000000, v4
	v_lshl_add_u32 v4, v16, 23, v4
	s_delay_alu instid0(VALU_DEP_1) | instskip(NEXT) | instid1(VALU_DEP_1)
	v_lshl_or_b32 v4, v5, 21, v4
                                        ; implicit-def: $vgpr5
	v_add_nc_u32_e32 v16, 0x38000000, v4
                                        ; implicit-def: $vgpr4
.LBB4_11952:                            ;   in Loop: Header=BB4_11564 Depth=3
	s_and_not1_saveexec_b32 s15, s15
; %bb.11953:                            ;   in Loop: Header=BB4_11564 Depth=3
	v_cmp_lt_i16_e32 vcc_lo, -1, v4
	v_cndmask_b32_e32 v4, 0xff800000, v48, vcc_lo
	v_cmp_eq_u32_e32 vcc_lo, 0, v5
	s_delay_alu instid0(VALU_DEP_2)
	v_cndmask_b32_e32 v16, 0x7f800001, v4, vcc_lo
; %bb.11954:                            ;   in Loop: Header=BB4_11564 Depth=3
	s_or_b32 exec_lo, exec_lo, s15
.LBB4_11955:                            ;   in Loop: Header=BB4_11564 Depth=3
	s_delay_alu instid0(SALU_CYCLE_1)
	s_or_b32 exec_lo, exec_lo, s14
.LBB4_11956:                            ;   in Loop: Header=BB4_11564 Depth=3
	s_delay_alu instid0(SALU_CYCLE_1) | instskip(NEXT) | instid1(VALU_DEP_1)
	s_or_b32 exec_lo, exec_lo, s13
	v_dual_mul_f32 v16, s74, v16 :: v_dual_mov_b32 v5, v3
                                        ; implicit-def: $vgpr60
	s_delay_alu instid0(VALU_DEP_1) | instskip(NEXT) | instid1(VALU_DEP_1)
	v_and_b32_e32 v4, 0x7f800000, v16
	v_cmp_ne_u64_e32 vcc_lo, 0x7f800000, v[4:5]
	v_and_b32_e32 v4, 0x7fffff, v16
	s_and_saveexec_b32 s13, vcc_lo
	s_delay_alu instid0(SALU_CYCLE_1)
	s_xor_b32 s14, exec_lo, s13
	s_cbranch_execz .LBB4_11974
; %bb.11957:                            ;   in Loop: Header=BB4_11564 Depth=3
	v_and_b32_e32 v18, 0x7fffffff, v16
	v_dual_mov_b32 v19, v3 :: v_dual_lshrrev_b32 v17, 24, v16
                                        ; implicit-def: $vgpr60
	s_delay_alu instid0(VALU_DEP_1) | instskip(NEXT) | instid1(VALU_DEP_2)
	v_cmp_gt_u64_e32 vcc_lo, 0x47600001, v[18:19]
	v_and_b32_e32 v18, 0x80, v17
	s_and_saveexec_b32 s13, vcc_lo
	s_delay_alu instid0(SALU_CYCLE_1)
	s_xor_b32 s15, exec_lo, s13
	s_cbranch_execz .LBB4_11971
; %bb.11958:                            ;   in Loop: Header=BB4_11564 Depth=3
	v_mov_b32_e32 v60, 0
	s_mov_b32 s75, exec_lo
	v_cmpx_ne_u32_e32 0, v16
	s_cbranch_execz .LBB4_11970
; %bb.11959:                            ;   in Loop: Header=BB4_11564 Depth=3
	v_bfe_u32 v19, v16, 23, 8
	v_or_b32_e32 v21, 0x800000, v4
	s_delay_alu instid0(VALU_DEP_2) | instskip(SKIP_1) | instid1(VALU_DEP_2)
	v_sub_nc_u32_e32 v16, 0x71, v19
	v_cmp_gt_u32_e32 vcc_lo, 0x72, v19
	v_cndmask_b32_e32 v16, 0, v16, vcc_lo
	v_cmp_eq_u32_e32 vcc_lo, 0, v19
	s_delay_alu instid0(VALU_DEP_2) | instskip(SKIP_1) | instid1(VALU_DEP_2)
	v_cndmask_b32_e64 v20, v16, 0x70, vcc_lo
	v_cndmask_b32_e32 v4, v21, v4, vcc_lo
	v_dual_add_nc_u32 v16, 21, v20 :: v_dual_add_nc_u32 v30, 20, v20
	s_delay_alu instid0(VALU_DEP_1) | instskip(NEXT) | instid1(VALU_DEP_2)
	v_lshlrev_b64_e64 v[16:17], v16, -1
	v_lshlrev_b64_e64 v[30:31], v30, 1
	s_delay_alu instid0(VALU_DEP_2) | instskip(SKIP_1) | instid1(VALU_DEP_4)
	v_bfi_b32 v16, v16, 0, v4
	v_lshrrev_b64 v[4:5], v20, v[4:5]
	v_bfi_b32 v17, v17, 0, 0
	s_delay_alu instid0(VALU_DEP_1) | instskip(NEXT) | instid1(VALU_DEP_3)
	v_cmp_eq_u64_e64 s13, v[16:17], v[30:31]
	v_mov_b64_e32 v[16:17], v[4:5]
	s_and_saveexec_b32 s76, s13
; %bb.11960:                            ;   in Loop: Header=BB4_11564 Depth=3
	v_bfe_u32 v16, v4, 21, 1
	v_mov_b32_e32 v17, v3
	s_delay_alu instid0(VALU_DEP_1) | instskip(NEXT) | instid1(VALU_DEP_1)
	v_add_nc_u64_e32 v[16:17], v[4:5], v[16:17]
	v_add_nc_u64_e32 v[16:17], -1, v[16:17]
; %bb.11961:                            ;   in Loop: Header=BB4_11564 Depth=3
	s_or_b32 exec_lo, exec_lo, s76
	v_add_nc_u32_e32 v5, 0xffffff81, v19
	v_lshrrev_b32_e32 v17, 23, v4
	s_mov_b32 s13, exec_lo
	s_delay_alu instid0(VALU_DEP_2) | instskip(NEXT) | instid1(VALU_DEP_1)
	v_cndmask_b32_e64 v5, v5, 0xffffff82, vcc_lo
	v_add3_u32 v17, v20, v5, v17
	v_and_b32_e32 v5, 0x1fffff, v16
                                        ; implicit-def: $vgpr16
	s_delay_alu instid0(VALU_DEP_1) | instskip(SKIP_1) | instid1(VALU_DEP_2)
	v_dual_add_nc_u32 v19, 14, v17 :: v_dual_add_nc_u32 v4, v5, v4
	v_mov_b32_e32 v5, v3
	v_cmpx_ne_u32_e32 0, v19
	s_xor_b32 s13, exec_lo, s13
; %bb.11962:                            ;   in Loop: Header=BB4_11564 Depth=3
	s_delay_alu instid0(VALU_DEP_2) | instskip(SKIP_2) | instid1(VALU_DEP_2)
	v_cmp_lt_u64_e32 vcc_lo, 0xffffff, v[4:5]
	v_add_nc_u32_e32 v16, 15, v17
	v_cndmask_b32_e64 v17, 0, 1, vcc_lo
	v_cndmask_b32_e32 v16, v19, v16, vcc_lo
	s_delay_alu instid0(VALU_DEP_2)
	v_lshrrev_b64 v[4:5], v17, v[4:5]
; %bb.11963:                            ;   in Loop: Header=BB4_11564 Depth=3
	s_and_not1_saveexec_b32 s13, s13
; %bb.11964:                            ;   in Loop: Header=BB4_11564 Depth=3
	s_delay_alu instid0(VALU_DEP_1)
	v_bfe_u32 v16, v4, 23, 1
; %bb.11965:                            ;   in Loop: Header=BB4_11564 Depth=3
	s_or_b32 exec_lo, exec_lo, s13
	s_delay_alu instid0(VALU_DEP_2) | instskip(NEXT) | instid1(VALU_DEP_2)
	v_lshrrev_b64 v[4:5], 21, v[4:5]
	v_cmp_gt_i32_e32 vcc_lo, 32, v16
	v_cmp_ne_u32_e64 s13, 0, v16
                                        ; implicit-def: $vgpr60
	s_delay_alu instid0(VALU_DEP_3) | instskip(NEXT) | instid1(VALU_DEP_1)
	v_dual_cndmask_b32 v5, 0, v5 :: v_dual_cndmask_b32 v4, 3, v4
	v_cmp_ne_u64_e32 vcc_lo, 0, v[4:5]
	s_or_b32 s13, s13, vcc_lo
	s_delay_alu instid0(SALU_CYCLE_1) | instskip(NEXT) | instid1(SALU_CYCLE_1)
	s_and_saveexec_b32 s76, s13
	s_xor_b32 s13, exec_lo, s76
; %bb.11966:                            ;   in Loop: Header=BB4_11564 Depth=3
	v_min_i32_e32 v5, 31, v16
	s_delay_alu instid0(VALU_DEP_1) | instskip(NEXT) | instid1(VALU_DEP_1)
	v_lshl_or_b32 v5, v5, 2, v18
                                        ; implicit-def: $vgpr18
	v_and_or_b32 v60, v4, 3, v5
; %bb.11967:                            ;   in Loop: Header=BB4_11564 Depth=3
	s_and_not1_saveexec_b32 s13, s13
; %bb.11968:                            ;   in Loop: Header=BB4_11564 Depth=3
	v_mov_b32_e32 v60, v18
; %bb.11969:                            ;   in Loop: Header=BB4_11564 Depth=3
	s_or_b32 exec_lo, exec_lo, s13
.LBB4_11970:                            ;   in Loop: Header=BB4_11564 Depth=3
	s_delay_alu instid0(SALU_CYCLE_1)
	s_or_b32 exec_lo, exec_lo, s75
                                        ; implicit-def: $vgpr18
.LBB4_11971:                            ;   in Loop: Header=BB4_11564 Depth=3
	s_and_not1_saveexec_b32 s13, s15
; %bb.11972:                            ;   in Loop: Header=BB4_11564 Depth=3
	v_or_b32_e32 v60, 0x7b, v18
; %bb.11973:                            ;   in Loop: Header=BB4_11564 Depth=3
	s_or_b32 exec_lo, exec_lo, s13
                                        ; implicit-def: $vgpr16
                                        ; implicit-def: $vgpr4_vgpr5
.LBB4_11974:                            ;   in Loop: Header=BB4_11564 Depth=3
	s_and_not1_saveexec_b32 s13, s14
	s_cbranch_execz .LBB4_11980
; %bb.11975:                            ;   in Loop: Header=BB4_11564 Depth=3
	s_mov_b32 s14, exec_lo
                                        ; implicit-def: $vgpr60
	v_cmpx_ne_u64_e32 0, v[4:5]
	s_xor_b32 s14, exec_lo, s14
; %bb.11976:                            ;   in Loop: Header=BB4_11564 Depth=3
	v_lshrrev_b32_e32 v4, 24, v16
                                        ; implicit-def: $vgpr16
	s_delay_alu instid0(VALU_DEP_1)
	v_or_b32_e32 v60, 0x7f, v4
; %bb.11977:                            ;   in Loop: Header=BB4_11564 Depth=3
	s_and_not1_saveexec_b32 s14, s14
; %bb.11978:                            ;   in Loop: Header=BB4_11564 Depth=3
	v_cmp_lt_i32_e32 vcc_lo, -1, v16
	v_cndmask_b32_e64 v60, -4, 0x7c, vcc_lo
; %bb.11979:                            ;   in Loop: Header=BB4_11564 Depth=3
	s_or_b32 exec_lo, exec_lo, s14
.LBB4_11980:                            ;   in Loop: Header=BB4_11564 Depth=3
	s_delay_alu instid0(SALU_CYCLE_1)
	s_or_b32 exec_lo, exec_lo, s13
	flat_load_i8 v4, v[8:9] offset:384 th:TH_LOAD_NT
	v_mov_b32_e32 v16, 0
	s_mov_b32 s13, exec_lo
	s_wait_loadcnt_dscnt 0x0
	v_cmpx_ne_u16_e32 0, v4
	s_cbranch_execz .LBB4_11990
; %bb.11981:                            ;   in Loop: Header=BB4_11564 Depth=3
	v_bfrev_b32_e32 v16, 1
	s_mov_b32 s14, exec_lo
	v_cmpx_ne_u16_e32 0xff80, v4
	s_cbranch_execz .LBB4_11989
; %bb.11982:                            ;   in Loop: Header=BB4_11564 Depth=3
	v_and_b32_e32 v16, 0x7c, v4
	v_and_b32_e32 v5, 3, v4
	s_delay_alu instid0(VALU_DEP_2) | instskip(SKIP_1) | instid1(SALU_CYCLE_1)
	v_cmp_ne_u32_e32 vcc_lo, 0x7c, v16
                                        ; implicit-def: $vgpr16
	s_and_saveexec_b32 s15, vcc_lo
	s_xor_b32 s15, exec_lo, s15
	s_cbranch_execz .LBB4_11986
; %bb.11983:                            ;   in Loop: Header=BB4_11564 Depth=3
	v_and_b32_e32 v16, 0xff, v4
	s_mov_b32 s75, exec_lo
	s_delay_alu instid0(VALU_DEP_1) | instskip(NEXT) | instid1(VALU_DEP_1)
	v_bfe_u32 v16, v16, 2, 5
	v_cmpx_eq_u32_e32 0, v16
	s_cbranch_execz .LBB4_11985
; %bb.11984:                            ;   in Loop: Header=BB4_11564 Depth=3
	v_clz_i32_u32_e32 v5, v5
	s_delay_alu instid0(VALU_DEP_1) | instskip(SKIP_1) | instid1(VALU_DEP_2)
	v_min_u32_e32 v16, 32, v5
	v_mov_b32_e32 v5, v3
	v_subrev_nc_u32_e32 v17, 29, v16
	v_sub_nc_u32_e32 v16, 30, v16
	s_delay_alu instid0(VALU_DEP_2) | instskip(NEXT) | instid1(VALU_DEP_1)
	v_lshlrev_b64_e32 v[18:19], v17, v[4:5]
	v_and_b32_e32 v5, 3, v18
.LBB4_11985:                            ;   in Loop: Header=BB4_11564 Depth=3
	s_or_b32 exec_lo, exec_lo, s75
	v_bfe_i32 v4, v4, 0, 16
	s_delay_alu instid0(VALU_DEP_1) | instskip(NEXT) | instid1(VALU_DEP_1)
	v_and_b32_e32 v4, 0x80000000, v4
	v_lshl_add_u32 v4, v16, 23, v4
	s_delay_alu instid0(VALU_DEP_1) | instskip(NEXT) | instid1(VALU_DEP_1)
	v_lshl_or_b32 v4, v5, 21, v4
                                        ; implicit-def: $vgpr5
	v_add_nc_u32_e32 v16, 0x38000000, v4
                                        ; implicit-def: $vgpr4
.LBB4_11986:                            ;   in Loop: Header=BB4_11564 Depth=3
	s_and_not1_saveexec_b32 s15, s15
; %bb.11987:                            ;   in Loop: Header=BB4_11564 Depth=3
	v_cmp_lt_i16_e32 vcc_lo, -1, v4
	v_cndmask_b32_e32 v4, 0xff800000, v48, vcc_lo
	v_cmp_eq_u32_e32 vcc_lo, 0, v5
	s_delay_alu instid0(VALU_DEP_2)
	v_cndmask_b32_e32 v16, 0x7f800001, v4, vcc_lo
; %bb.11988:                            ;   in Loop: Header=BB4_11564 Depth=3
	s_or_b32 exec_lo, exec_lo, s15
.LBB4_11989:                            ;   in Loop: Header=BB4_11564 Depth=3
	s_delay_alu instid0(SALU_CYCLE_1)
	s_or_b32 exec_lo, exec_lo, s14
.LBB4_11990:                            ;   in Loop: Header=BB4_11564 Depth=3
	s_delay_alu instid0(SALU_CYCLE_1) | instskip(NEXT) | instid1(VALU_DEP_1)
	s_or_b32 exec_lo, exec_lo, s13
	v_dual_mul_f32 v16, s74, v16 :: v_dual_mov_b32 v5, v3
                                        ; implicit-def: $vgpr58
	s_delay_alu instid0(VALU_DEP_1) | instskip(NEXT) | instid1(VALU_DEP_1)
	v_and_b32_e32 v4, 0x7f800000, v16
	v_cmp_ne_u64_e32 vcc_lo, 0x7f800000, v[4:5]
	v_and_b32_e32 v4, 0x7fffff, v16
	s_and_saveexec_b32 s13, vcc_lo
	s_delay_alu instid0(SALU_CYCLE_1)
	s_xor_b32 s14, exec_lo, s13
	s_cbranch_execz .LBB4_12008
; %bb.11991:                            ;   in Loop: Header=BB4_11564 Depth=3
	v_and_b32_e32 v18, 0x7fffffff, v16
	v_dual_mov_b32 v19, v3 :: v_dual_lshrrev_b32 v17, 24, v16
                                        ; implicit-def: $vgpr58
	s_delay_alu instid0(VALU_DEP_1) | instskip(NEXT) | instid1(VALU_DEP_2)
	v_cmp_gt_u64_e32 vcc_lo, 0x47600001, v[18:19]
	v_and_b32_e32 v18, 0x80, v17
	s_and_saveexec_b32 s13, vcc_lo
	s_delay_alu instid0(SALU_CYCLE_1)
	s_xor_b32 s15, exec_lo, s13
	s_cbranch_execz .LBB4_12005
; %bb.11992:                            ;   in Loop: Header=BB4_11564 Depth=3
	v_mov_b32_e32 v58, 0
	s_mov_b32 s75, exec_lo
	v_cmpx_ne_u32_e32 0, v16
	s_cbranch_execz .LBB4_12004
; %bb.11993:                            ;   in Loop: Header=BB4_11564 Depth=3
	v_bfe_u32 v19, v16, 23, 8
	v_or_b32_e32 v21, 0x800000, v4
	s_delay_alu instid0(VALU_DEP_2) | instskip(SKIP_1) | instid1(VALU_DEP_2)
	v_sub_nc_u32_e32 v16, 0x71, v19
	v_cmp_gt_u32_e32 vcc_lo, 0x72, v19
	v_cndmask_b32_e32 v16, 0, v16, vcc_lo
	v_cmp_eq_u32_e32 vcc_lo, 0, v19
	s_delay_alu instid0(VALU_DEP_2) | instskip(SKIP_1) | instid1(VALU_DEP_2)
	v_cndmask_b32_e64 v20, v16, 0x70, vcc_lo
	v_cndmask_b32_e32 v4, v21, v4, vcc_lo
	v_dual_add_nc_u32 v16, 21, v20 :: v_dual_add_nc_u32 v30, 20, v20
	s_delay_alu instid0(VALU_DEP_1) | instskip(NEXT) | instid1(VALU_DEP_2)
	v_lshlrev_b64_e64 v[16:17], v16, -1
	v_lshlrev_b64_e64 v[30:31], v30, 1
	s_delay_alu instid0(VALU_DEP_2) | instskip(SKIP_1) | instid1(VALU_DEP_4)
	v_bfi_b32 v16, v16, 0, v4
	v_lshrrev_b64 v[4:5], v20, v[4:5]
	v_bfi_b32 v17, v17, 0, 0
	s_delay_alu instid0(VALU_DEP_1) | instskip(NEXT) | instid1(VALU_DEP_3)
	v_cmp_eq_u64_e64 s13, v[16:17], v[30:31]
	v_mov_b64_e32 v[16:17], v[4:5]
	s_and_saveexec_b32 s76, s13
; %bb.11994:                            ;   in Loop: Header=BB4_11564 Depth=3
	v_bfe_u32 v16, v4, 21, 1
	v_mov_b32_e32 v17, v3
	s_delay_alu instid0(VALU_DEP_1) | instskip(NEXT) | instid1(VALU_DEP_1)
	v_add_nc_u64_e32 v[16:17], v[4:5], v[16:17]
	v_add_nc_u64_e32 v[16:17], -1, v[16:17]
; %bb.11995:                            ;   in Loop: Header=BB4_11564 Depth=3
	s_or_b32 exec_lo, exec_lo, s76
	v_add_nc_u32_e32 v5, 0xffffff81, v19
	v_lshrrev_b32_e32 v17, 23, v4
	s_mov_b32 s13, exec_lo
	s_delay_alu instid0(VALU_DEP_2) | instskip(NEXT) | instid1(VALU_DEP_1)
	v_cndmask_b32_e64 v5, v5, 0xffffff82, vcc_lo
	v_add3_u32 v17, v20, v5, v17
	v_and_b32_e32 v5, 0x1fffff, v16
                                        ; implicit-def: $vgpr16
	s_delay_alu instid0(VALU_DEP_1) | instskip(SKIP_1) | instid1(VALU_DEP_2)
	v_dual_add_nc_u32 v19, 14, v17 :: v_dual_add_nc_u32 v4, v5, v4
	v_mov_b32_e32 v5, v3
	v_cmpx_ne_u32_e32 0, v19
	s_xor_b32 s13, exec_lo, s13
; %bb.11996:                            ;   in Loop: Header=BB4_11564 Depth=3
	s_delay_alu instid0(VALU_DEP_2) | instskip(SKIP_2) | instid1(VALU_DEP_2)
	v_cmp_lt_u64_e32 vcc_lo, 0xffffff, v[4:5]
	v_add_nc_u32_e32 v16, 15, v17
	v_cndmask_b32_e64 v17, 0, 1, vcc_lo
	v_cndmask_b32_e32 v16, v19, v16, vcc_lo
	s_delay_alu instid0(VALU_DEP_2)
	v_lshrrev_b64 v[4:5], v17, v[4:5]
; %bb.11997:                            ;   in Loop: Header=BB4_11564 Depth=3
	s_and_not1_saveexec_b32 s13, s13
; %bb.11998:                            ;   in Loop: Header=BB4_11564 Depth=3
	s_delay_alu instid0(VALU_DEP_1)
	v_bfe_u32 v16, v4, 23, 1
; %bb.11999:                            ;   in Loop: Header=BB4_11564 Depth=3
	s_or_b32 exec_lo, exec_lo, s13
	s_delay_alu instid0(VALU_DEP_2) | instskip(NEXT) | instid1(VALU_DEP_2)
	v_lshrrev_b64 v[4:5], 21, v[4:5]
	v_cmp_gt_i32_e32 vcc_lo, 32, v16
	v_cmp_ne_u32_e64 s13, 0, v16
                                        ; implicit-def: $vgpr58
	s_delay_alu instid0(VALU_DEP_3) | instskip(NEXT) | instid1(VALU_DEP_1)
	v_dual_cndmask_b32 v5, 0, v5 :: v_dual_cndmask_b32 v4, 3, v4
	v_cmp_ne_u64_e32 vcc_lo, 0, v[4:5]
	s_or_b32 s13, s13, vcc_lo
	s_delay_alu instid0(SALU_CYCLE_1) | instskip(NEXT) | instid1(SALU_CYCLE_1)
	s_and_saveexec_b32 s76, s13
	s_xor_b32 s13, exec_lo, s76
; %bb.12000:                            ;   in Loop: Header=BB4_11564 Depth=3
	v_min_i32_e32 v5, 31, v16
	s_delay_alu instid0(VALU_DEP_1) | instskip(NEXT) | instid1(VALU_DEP_1)
	v_lshl_or_b32 v5, v5, 2, v18
                                        ; implicit-def: $vgpr18
	v_and_or_b32 v58, v4, 3, v5
; %bb.12001:                            ;   in Loop: Header=BB4_11564 Depth=3
	s_and_not1_saveexec_b32 s13, s13
; %bb.12002:                            ;   in Loop: Header=BB4_11564 Depth=3
	v_mov_b32_e32 v58, v18
; %bb.12003:                            ;   in Loop: Header=BB4_11564 Depth=3
	s_or_b32 exec_lo, exec_lo, s13
.LBB4_12004:                            ;   in Loop: Header=BB4_11564 Depth=3
	s_delay_alu instid0(SALU_CYCLE_1)
	s_or_b32 exec_lo, exec_lo, s75
                                        ; implicit-def: $vgpr18
.LBB4_12005:                            ;   in Loop: Header=BB4_11564 Depth=3
	s_and_not1_saveexec_b32 s13, s15
; %bb.12006:                            ;   in Loop: Header=BB4_11564 Depth=3
	v_or_b32_e32 v58, 0x7b, v18
; %bb.12007:                            ;   in Loop: Header=BB4_11564 Depth=3
	s_or_b32 exec_lo, exec_lo, s13
                                        ; implicit-def: $vgpr16
                                        ; implicit-def: $vgpr4_vgpr5
.LBB4_12008:                            ;   in Loop: Header=BB4_11564 Depth=3
	s_and_not1_saveexec_b32 s13, s14
	s_cbranch_execz .LBB4_12014
; %bb.12009:                            ;   in Loop: Header=BB4_11564 Depth=3
	s_mov_b32 s14, exec_lo
                                        ; implicit-def: $vgpr58
	v_cmpx_ne_u64_e32 0, v[4:5]
	s_xor_b32 s14, exec_lo, s14
; %bb.12010:                            ;   in Loop: Header=BB4_11564 Depth=3
	v_lshrrev_b32_e32 v4, 24, v16
                                        ; implicit-def: $vgpr16
	s_delay_alu instid0(VALU_DEP_1)
	v_or_b32_e32 v58, 0x7f, v4
; %bb.12011:                            ;   in Loop: Header=BB4_11564 Depth=3
	s_and_not1_saveexec_b32 s14, s14
; %bb.12012:                            ;   in Loop: Header=BB4_11564 Depth=3
	v_cmp_lt_i32_e32 vcc_lo, -1, v16
	v_cndmask_b32_e64 v58, -4, 0x7c, vcc_lo
; %bb.12013:                            ;   in Loop: Header=BB4_11564 Depth=3
	s_or_b32 exec_lo, exec_lo, s14
.LBB4_12014:                            ;   in Loop: Header=BB4_11564 Depth=3
	s_delay_alu instid0(SALU_CYCLE_1)
	s_or_b32 exec_lo, exec_lo, s13
	flat_load_i8 v4, v[8:9] offset:416 th:TH_LOAD_NT
	v_mov_b32_e32 v16, 0
	s_mov_b32 s13, exec_lo
	s_wait_loadcnt_dscnt 0x0
	v_cmpx_ne_u16_e32 0, v4
	s_cbranch_execz .LBB4_12024
; %bb.12015:                            ;   in Loop: Header=BB4_11564 Depth=3
	v_bfrev_b32_e32 v16, 1
	s_mov_b32 s14, exec_lo
	v_cmpx_ne_u16_e32 0xff80, v4
	s_cbranch_execz .LBB4_12023
; %bb.12016:                            ;   in Loop: Header=BB4_11564 Depth=3
	v_and_b32_e32 v16, 0x7c, v4
	v_and_b32_e32 v5, 3, v4
	s_delay_alu instid0(VALU_DEP_2) | instskip(SKIP_1) | instid1(SALU_CYCLE_1)
	v_cmp_ne_u32_e32 vcc_lo, 0x7c, v16
                                        ; implicit-def: $vgpr16
	s_and_saveexec_b32 s15, vcc_lo
	s_xor_b32 s15, exec_lo, s15
	s_cbranch_execz .LBB4_12020
; %bb.12017:                            ;   in Loop: Header=BB4_11564 Depth=3
	v_and_b32_e32 v16, 0xff, v4
	s_mov_b32 s75, exec_lo
	s_delay_alu instid0(VALU_DEP_1) | instskip(NEXT) | instid1(VALU_DEP_1)
	v_bfe_u32 v16, v16, 2, 5
	v_cmpx_eq_u32_e32 0, v16
	s_cbranch_execz .LBB4_12019
; %bb.12018:                            ;   in Loop: Header=BB4_11564 Depth=3
	v_clz_i32_u32_e32 v5, v5
	s_delay_alu instid0(VALU_DEP_1) | instskip(SKIP_1) | instid1(VALU_DEP_2)
	v_min_u32_e32 v16, 32, v5
	v_mov_b32_e32 v5, v3
	v_subrev_nc_u32_e32 v17, 29, v16
	v_sub_nc_u32_e32 v16, 30, v16
	s_delay_alu instid0(VALU_DEP_2) | instskip(NEXT) | instid1(VALU_DEP_1)
	v_lshlrev_b64_e32 v[18:19], v17, v[4:5]
	v_and_b32_e32 v5, 3, v18
.LBB4_12019:                            ;   in Loop: Header=BB4_11564 Depth=3
	s_or_b32 exec_lo, exec_lo, s75
	v_bfe_i32 v4, v4, 0, 16
	s_delay_alu instid0(VALU_DEP_1) | instskip(NEXT) | instid1(VALU_DEP_1)
	v_and_b32_e32 v4, 0x80000000, v4
	v_lshl_add_u32 v4, v16, 23, v4
	s_delay_alu instid0(VALU_DEP_1) | instskip(NEXT) | instid1(VALU_DEP_1)
	v_lshl_or_b32 v4, v5, 21, v4
                                        ; implicit-def: $vgpr5
	v_add_nc_u32_e32 v16, 0x38000000, v4
                                        ; implicit-def: $vgpr4
.LBB4_12020:                            ;   in Loop: Header=BB4_11564 Depth=3
	s_and_not1_saveexec_b32 s15, s15
; %bb.12021:                            ;   in Loop: Header=BB4_11564 Depth=3
	v_cmp_lt_i16_e32 vcc_lo, -1, v4
	v_cndmask_b32_e32 v4, 0xff800000, v48, vcc_lo
	v_cmp_eq_u32_e32 vcc_lo, 0, v5
	s_delay_alu instid0(VALU_DEP_2)
	v_cndmask_b32_e32 v16, 0x7f800001, v4, vcc_lo
; %bb.12022:                            ;   in Loop: Header=BB4_11564 Depth=3
	s_or_b32 exec_lo, exec_lo, s15
.LBB4_12023:                            ;   in Loop: Header=BB4_11564 Depth=3
	s_delay_alu instid0(SALU_CYCLE_1)
	s_or_b32 exec_lo, exec_lo, s14
.LBB4_12024:                            ;   in Loop: Header=BB4_11564 Depth=3
	s_delay_alu instid0(SALU_CYCLE_1) | instskip(NEXT) | instid1(VALU_DEP_1)
	s_or_b32 exec_lo, exec_lo, s13
	v_dual_mul_f32 v16, s74, v16 :: v_dual_mov_b32 v5, v3
                                        ; implicit-def: $vgpr56
	s_delay_alu instid0(VALU_DEP_1) | instskip(NEXT) | instid1(VALU_DEP_1)
	v_and_b32_e32 v4, 0x7f800000, v16
	v_cmp_ne_u64_e32 vcc_lo, 0x7f800000, v[4:5]
	v_and_b32_e32 v4, 0x7fffff, v16
	s_and_saveexec_b32 s13, vcc_lo
	s_delay_alu instid0(SALU_CYCLE_1)
	s_xor_b32 s14, exec_lo, s13
	s_cbranch_execz .LBB4_12042
; %bb.12025:                            ;   in Loop: Header=BB4_11564 Depth=3
	v_and_b32_e32 v18, 0x7fffffff, v16
	v_dual_mov_b32 v19, v3 :: v_dual_lshrrev_b32 v17, 24, v16
                                        ; implicit-def: $vgpr56
	s_delay_alu instid0(VALU_DEP_1) | instskip(NEXT) | instid1(VALU_DEP_2)
	v_cmp_gt_u64_e32 vcc_lo, 0x47600001, v[18:19]
	v_and_b32_e32 v18, 0x80, v17
	s_and_saveexec_b32 s13, vcc_lo
	s_delay_alu instid0(SALU_CYCLE_1)
	s_xor_b32 s15, exec_lo, s13
	s_cbranch_execz .LBB4_12039
; %bb.12026:                            ;   in Loop: Header=BB4_11564 Depth=3
	v_mov_b32_e32 v56, 0
	s_mov_b32 s75, exec_lo
	v_cmpx_ne_u32_e32 0, v16
	s_cbranch_execz .LBB4_12038
; %bb.12027:                            ;   in Loop: Header=BB4_11564 Depth=3
	v_bfe_u32 v19, v16, 23, 8
	v_or_b32_e32 v21, 0x800000, v4
	s_delay_alu instid0(VALU_DEP_2) | instskip(SKIP_1) | instid1(VALU_DEP_2)
	v_sub_nc_u32_e32 v16, 0x71, v19
	v_cmp_gt_u32_e32 vcc_lo, 0x72, v19
	v_cndmask_b32_e32 v16, 0, v16, vcc_lo
	v_cmp_eq_u32_e32 vcc_lo, 0, v19
	s_delay_alu instid0(VALU_DEP_2) | instskip(SKIP_1) | instid1(VALU_DEP_2)
	v_cndmask_b32_e64 v20, v16, 0x70, vcc_lo
	v_cndmask_b32_e32 v4, v21, v4, vcc_lo
	v_dual_add_nc_u32 v16, 21, v20 :: v_dual_add_nc_u32 v30, 20, v20
	s_delay_alu instid0(VALU_DEP_1) | instskip(NEXT) | instid1(VALU_DEP_2)
	v_lshlrev_b64_e64 v[16:17], v16, -1
	v_lshlrev_b64_e64 v[30:31], v30, 1
	s_delay_alu instid0(VALU_DEP_2) | instskip(SKIP_1) | instid1(VALU_DEP_4)
	v_bfi_b32 v16, v16, 0, v4
	v_lshrrev_b64 v[4:5], v20, v[4:5]
	v_bfi_b32 v17, v17, 0, 0
	s_delay_alu instid0(VALU_DEP_1) | instskip(NEXT) | instid1(VALU_DEP_3)
	v_cmp_eq_u64_e64 s13, v[16:17], v[30:31]
	v_mov_b64_e32 v[16:17], v[4:5]
	s_and_saveexec_b32 s76, s13
; %bb.12028:                            ;   in Loop: Header=BB4_11564 Depth=3
	v_bfe_u32 v16, v4, 21, 1
	v_mov_b32_e32 v17, v3
	s_delay_alu instid0(VALU_DEP_1) | instskip(NEXT) | instid1(VALU_DEP_1)
	v_add_nc_u64_e32 v[16:17], v[4:5], v[16:17]
	v_add_nc_u64_e32 v[16:17], -1, v[16:17]
; %bb.12029:                            ;   in Loop: Header=BB4_11564 Depth=3
	s_or_b32 exec_lo, exec_lo, s76
	v_add_nc_u32_e32 v5, 0xffffff81, v19
	v_lshrrev_b32_e32 v17, 23, v4
	s_mov_b32 s13, exec_lo
	s_delay_alu instid0(VALU_DEP_2) | instskip(NEXT) | instid1(VALU_DEP_1)
	v_cndmask_b32_e64 v5, v5, 0xffffff82, vcc_lo
	v_add3_u32 v17, v20, v5, v17
	v_and_b32_e32 v5, 0x1fffff, v16
                                        ; implicit-def: $vgpr16
	s_delay_alu instid0(VALU_DEP_1) | instskip(SKIP_1) | instid1(VALU_DEP_2)
	v_dual_add_nc_u32 v19, 14, v17 :: v_dual_add_nc_u32 v4, v5, v4
	v_mov_b32_e32 v5, v3
	v_cmpx_ne_u32_e32 0, v19
	s_xor_b32 s13, exec_lo, s13
; %bb.12030:                            ;   in Loop: Header=BB4_11564 Depth=3
	s_delay_alu instid0(VALU_DEP_2) | instskip(SKIP_2) | instid1(VALU_DEP_2)
	v_cmp_lt_u64_e32 vcc_lo, 0xffffff, v[4:5]
	v_add_nc_u32_e32 v16, 15, v17
	v_cndmask_b32_e64 v17, 0, 1, vcc_lo
	v_cndmask_b32_e32 v16, v19, v16, vcc_lo
	s_delay_alu instid0(VALU_DEP_2)
	v_lshrrev_b64 v[4:5], v17, v[4:5]
; %bb.12031:                            ;   in Loop: Header=BB4_11564 Depth=3
	s_and_not1_saveexec_b32 s13, s13
; %bb.12032:                            ;   in Loop: Header=BB4_11564 Depth=3
	s_delay_alu instid0(VALU_DEP_1)
	v_bfe_u32 v16, v4, 23, 1
; %bb.12033:                            ;   in Loop: Header=BB4_11564 Depth=3
	s_or_b32 exec_lo, exec_lo, s13
	s_delay_alu instid0(VALU_DEP_2) | instskip(NEXT) | instid1(VALU_DEP_2)
	v_lshrrev_b64 v[4:5], 21, v[4:5]
	v_cmp_gt_i32_e32 vcc_lo, 32, v16
	v_cmp_ne_u32_e64 s13, 0, v16
                                        ; implicit-def: $vgpr56
	s_delay_alu instid0(VALU_DEP_3) | instskip(NEXT) | instid1(VALU_DEP_1)
	v_dual_cndmask_b32 v5, 0, v5 :: v_dual_cndmask_b32 v4, 3, v4
	v_cmp_ne_u64_e32 vcc_lo, 0, v[4:5]
	s_or_b32 s13, s13, vcc_lo
	s_delay_alu instid0(SALU_CYCLE_1) | instskip(NEXT) | instid1(SALU_CYCLE_1)
	s_and_saveexec_b32 s76, s13
	s_xor_b32 s13, exec_lo, s76
; %bb.12034:                            ;   in Loop: Header=BB4_11564 Depth=3
	v_min_i32_e32 v5, 31, v16
	s_delay_alu instid0(VALU_DEP_1) | instskip(NEXT) | instid1(VALU_DEP_1)
	v_lshl_or_b32 v5, v5, 2, v18
                                        ; implicit-def: $vgpr18
	v_and_or_b32 v56, v4, 3, v5
; %bb.12035:                            ;   in Loop: Header=BB4_11564 Depth=3
	s_and_not1_saveexec_b32 s13, s13
; %bb.12036:                            ;   in Loop: Header=BB4_11564 Depth=3
	v_mov_b32_e32 v56, v18
; %bb.12037:                            ;   in Loop: Header=BB4_11564 Depth=3
	s_or_b32 exec_lo, exec_lo, s13
.LBB4_12038:                            ;   in Loop: Header=BB4_11564 Depth=3
	s_delay_alu instid0(SALU_CYCLE_1)
	s_or_b32 exec_lo, exec_lo, s75
                                        ; implicit-def: $vgpr18
.LBB4_12039:                            ;   in Loop: Header=BB4_11564 Depth=3
	s_and_not1_saveexec_b32 s13, s15
; %bb.12040:                            ;   in Loop: Header=BB4_11564 Depth=3
	v_or_b32_e32 v56, 0x7b, v18
; %bb.12041:                            ;   in Loop: Header=BB4_11564 Depth=3
	s_or_b32 exec_lo, exec_lo, s13
                                        ; implicit-def: $vgpr16
                                        ; implicit-def: $vgpr4_vgpr5
.LBB4_12042:                            ;   in Loop: Header=BB4_11564 Depth=3
	s_and_not1_saveexec_b32 s13, s14
	s_cbranch_execz .LBB4_12048
; %bb.12043:                            ;   in Loop: Header=BB4_11564 Depth=3
	s_mov_b32 s14, exec_lo
                                        ; implicit-def: $vgpr56
	v_cmpx_ne_u64_e32 0, v[4:5]
	s_xor_b32 s14, exec_lo, s14
; %bb.12044:                            ;   in Loop: Header=BB4_11564 Depth=3
	v_lshrrev_b32_e32 v4, 24, v16
                                        ; implicit-def: $vgpr16
	s_delay_alu instid0(VALU_DEP_1)
	v_or_b32_e32 v56, 0x7f, v4
; %bb.12045:                            ;   in Loop: Header=BB4_11564 Depth=3
	s_and_not1_saveexec_b32 s14, s14
; %bb.12046:                            ;   in Loop: Header=BB4_11564 Depth=3
	v_cmp_lt_i32_e32 vcc_lo, -1, v16
	v_cndmask_b32_e64 v56, -4, 0x7c, vcc_lo
; %bb.12047:                            ;   in Loop: Header=BB4_11564 Depth=3
	s_or_b32 exec_lo, exec_lo, s14
.LBB4_12048:                            ;   in Loop: Header=BB4_11564 Depth=3
	s_delay_alu instid0(SALU_CYCLE_1)
	s_or_b32 exec_lo, exec_lo, s13
	flat_load_i8 v4, v[8:9] offset:448 th:TH_LOAD_NT
	v_mov_b32_e32 v16, 0
	s_mov_b32 s13, exec_lo
	s_wait_loadcnt_dscnt 0x0
	v_cmpx_ne_u16_e32 0, v4
	s_cbranch_execz .LBB4_12058
; %bb.12049:                            ;   in Loop: Header=BB4_11564 Depth=3
	v_bfrev_b32_e32 v16, 1
	s_mov_b32 s14, exec_lo
	v_cmpx_ne_u16_e32 0xff80, v4
	s_cbranch_execz .LBB4_12057
; %bb.12050:                            ;   in Loop: Header=BB4_11564 Depth=3
	v_and_b32_e32 v16, 0x7c, v4
	v_and_b32_e32 v5, 3, v4
	s_delay_alu instid0(VALU_DEP_2) | instskip(SKIP_1) | instid1(SALU_CYCLE_1)
	v_cmp_ne_u32_e32 vcc_lo, 0x7c, v16
                                        ; implicit-def: $vgpr16
	s_and_saveexec_b32 s15, vcc_lo
	s_xor_b32 s15, exec_lo, s15
	s_cbranch_execz .LBB4_12054
; %bb.12051:                            ;   in Loop: Header=BB4_11564 Depth=3
	v_and_b32_e32 v16, 0xff, v4
	s_mov_b32 s75, exec_lo
	s_delay_alu instid0(VALU_DEP_1) | instskip(NEXT) | instid1(VALU_DEP_1)
	v_bfe_u32 v16, v16, 2, 5
	v_cmpx_eq_u32_e32 0, v16
	s_cbranch_execz .LBB4_12053
; %bb.12052:                            ;   in Loop: Header=BB4_11564 Depth=3
	v_clz_i32_u32_e32 v5, v5
	s_delay_alu instid0(VALU_DEP_1) | instskip(SKIP_1) | instid1(VALU_DEP_2)
	v_min_u32_e32 v16, 32, v5
	v_mov_b32_e32 v5, v3
	v_subrev_nc_u32_e32 v17, 29, v16
	v_sub_nc_u32_e32 v16, 30, v16
	s_delay_alu instid0(VALU_DEP_2) | instskip(NEXT) | instid1(VALU_DEP_1)
	v_lshlrev_b64_e32 v[18:19], v17, v[4:5]
	v_and_b32_e32 v5, 3, v18
.LBB4_12053:                            ;   in Loop: Header=BB4_11564 Depth=3
	s_or_b32 exec_lo, exec_lo, s75
	v_bfe_i32 v4, v4, 0, 16
	s_delay_alu instid0(VALU_DEP_1) | instskip(NEXT) | instid1(VALU_DEP_1)
	v_and_b32_e32 v4, 0x80000000, v4
	v_lshl_add_u32 v4, v16, 23, v4
	s_delay_alu instid0(VALU_DEP_1) | instskip(NEXT) | instid1(VALU_DEP_1)
	v_lshl_or_b32 v4, v5, 21, v4
                                        ; implicit-def: $vgpr5
	v_add_nc_u32_e32 v16, 0x38000000, v4
                                        ; implicit-def: $vgpr4
.LBB4_12054:                            ;   in Loop: Header=BB4_11564 Depth=3
	s_and_not1_saveexec_b32 s15, s15
; %bb.12055:                            ;   in Loop: Header=BB4_11564 Depth=3
	v_cmp_lt_i16_e32 vcc_lo, -1, v4
	v_cndmask_b32_e32 v4, 0xff800000, v48, vcc_lo
	v_cmp_eq_u32_e32 vcc_lo, 0, v5
	s_delay_alu instid0(VALU_DEP_2)
	v_cndmask_b32_e32 v16, 0x7f800001, v4, vcc_lo
; %bb.12056:                            ;   in Loop: Header=BB4_11564 Depth=3
	s_or_b32 exec_lo, exec_lo, s15
.LBB4_12057:                            ;   in Loop: Header=BB4_11564 Depth=3
	s_delay_alu instid0(SALU_CYCLE_1)
	s_or_b32 exec_lo, exec_lo, s14
.LBB4_12058:                            ;   in Loop: Header=BB4_11564 Depth=3
	s_delay_alu instid0(SALU_CYCLE_1) | instskip(NEXT) | instid1(VALU_DEP_1)
	s_or_b32 exec_lo, exec_lo, s13
	v_dual_mul_f32 v16, s74, v16 :: v_dual_mov_b32 v5, v3
                                        ; implicit-def: $vgpr46
	s_delay_alu instid0(VALU_DEP_1) | instskip(NEXT) | instid1(VALU_DEP_1)
	v_and_b32_e32 v4, 0x7f800000, v16
	v_cmp_ne_u64_e32 vcc_lo, 0x7f800000, v[4:5]
	v_and_b32_e32 v4, 0x7fffff, v16
	s_and_saveexec_b32 s13, vcc_lo
	s_delay_alu instid0(SALU_CYCLE_1)
	s_xor_b32 s14, exec_lo, s13
	s_cbranch_execz .LBB4_12076
; %bb.12059:                            ;   in Loop: Header=BB4_11564 Depth=3
	v_and_b32_e32 v18, 0x7fffffff, v16
	v_dual_mov_b32 v19, v3 :: v_dual_lshrrev_b32 v17, 24, v16
                                        ; implicit-def: $vgpr46
	s_delay_alu instid0(VALU_DEP_1) | instskip(NEXT) | instid1(VALU_DEP_2)
	v_cmp_gt_u64_e32 vcc_lo, 0x47600001, v[18:19]
	v_and_b32_e32 v18, 0x80, v17
	s_and_saveexec_b32 s13, vcc_lo
	s_delay_alu instid0(SALU_CYCLE_1)
	s_xor_b32 s15, exec_lo, s13
	s_cbranch_execz .LBB4_12073
; %bb.12060:                            ;   in Loop: Header=BB4_11564 Depth=3
	v_mov_b32_e32 v46, 0
	s_mov_b32 s75, exec_lo
	v_cmpx_ne_u32_e32 0, v16
	s_cbranch_execz .LBB4_12072
; %bb.12061:                            ;   in Loop: Header=BB4_11564 Depth=3
	v_bfe_u32 v19, v16, 23, 8
	v_or_b32_e32 v21, 0x800000, v4
	s_delay_alu instid0(VALU_DEP_2) | instskip(SKIP_1) | instid1(VALU_DEP_2)
	v_sub_nc_u32_e32 v16, 0x71, v19
	v_cmp_gt_u32_e32 vcc_lo, 0x72, v19
	v_cndmask_b32_e32 v16, 0, v16, vcc_lo
	v_cmp_eq_u32_e32 vcc_lo, 0, v19
	s_delay_alu instid0(VALU_DEP_2) | instskip(SKIP_1) | instid1(VALU_DEP_2)
	v_cndmask_b32_e64 v20, v16, 0x70, vcc_lo
	v_cndmask_b32_e32 v4, v21, v4, vcc_lo
	v_dual_add_nc_u32 v16, 21, v20 :: v_dual_add_nc_u32 v30, 20, v20
	s_delay_alu instid0(VALU_DEP_1) | instskip(NEXT) | instid1(VALU_DEP_2)
	v_lshlrev_b64_e64 v[16:17], v16, -1
	v_lshlrev_b64_e64 v[30:31], v30, 1
	s_delay_alu instid0(VALU_DEP_2) | instskip(SKIP_1) | instid1(VALU_DEP_4)
	v_bfi_b32 v16, v16, 0, v4
	v_lshrrev_b64 v[4:5], v20, v[4:5]
	v_bfi_b32 v17, v17, 0, 0
	s_delay_alu instid0(VALU_DEP_1) | instskip(NEXT) | instid1(VALU_DEP_3)
	v_cmp_eq_u64_e64 s13, v[16:17], v[30:31]
	v_mov_b64_e32 v[16:17], v[4:5]
	s_and_saveexec_b32 s76, s13
; %bb.12062:                            ;   in Loop: Header=BB4_11564 Depth=3
	v_bfe_u32 v16, v4, 21, 1
	v_mov_b32_e32 v17, v3
	s_delay_alu instid0(VALU_DEP_1) | instskip(NEXT) | instid1(VALU_DEP_1)
	v_add_nc_u64_e32 v[16:17], v[4:5], v[16:17]
	v_add_nc_u64_e32 v[16:17], -1, v[16:17]
; %bb.12063:                            ;   in Loop: Header=BB4_11564 Depth=3
	s_or_b32 exec_lo, exec_lo, s76
	v_add_nc_u32_e32 v5, 0xffffff81, v19
	v_lshrrev_b32_e32 v17, 23, v4
	s_mov_b32 s13, exec_lo
	s_delay_alu instid0(VALU_DEP_2) | instskip(NEXT) | instid1(VALU_DEP_1)
	v_cndmask_b32_e64 v5, v5, 0xffffff82, vcc_lo
	v_add3_u32 v17, v20, v5, v17
	v_and_b32_e32 v5, 0x1fffff, v16
                                        ; implicit-def: $vgpr16
	s_delay_alu instid0(VALU_DEP_1) | instskip(SKIP_1) | instid1(VALU_DEP_2)
	v_dual_add_nc_u32 v19, 14, v17 :: v_dual_add_nc_u32 v4, v5, v4
	v_mov_b32_e32 v5, v3
	v_cmpx_ne_u32_e32 0, v19
	s_xor_b32 s13, exec_lo, s13
; %bb.12064:                            ;   in Loop: Header=BB4_11564 Depth=3
	s_delay_alu instid0(VALU_DEP_2) | instskip(SKIP_2) | instid1(VALU_DEP_2)
	v_cmp_lt_u64_e32 vcc_lo, 0xffffff, v[4:5]
	v_add_nc_u32_e32 v16, 15, v17
	v_cndmask_b32_e64 v17, 0, 1, vcc_lo
	v_cndmask_b32_e32 v16, v19, v16, vcc_lo
	s_delay_alu instid0(VALU_DEP_2)
	v_lshrrev_b64 v[4:5], v17, v[4:5]
; %bb.12065:                            ;   in Loop: Header=BB4_11564 Depth=3
	s_and_not1_saveexec_b32 s13, s13
; %bb.12066:                            ;   in Loop: Header=BB4_11564 Depth=3
	s_delay_alu instid0(VALU_DEP_1)
	v_bfe_u32 v16, v4, 23, 1
; %bb.12067:                            ;   in Loop: Header=BB4_11564 Depth=3
	s_or_b32 exec_lo, exec_lo, s13
	s_delay_alu instid0(VALU_DEP_2) | instskip(NEXT) | instid1(VALU_DEP_2)
	v_lshrrev_b64 v[4:5], 21, v[4:5]
	v_cmp_gt_i32_e32 vcc_lo, 32, v16
	v_cmp_ne_u32_e64 s13, 0, v16
                                        ; implicit-def: $vgpr46
	s_delay_alu instid0(VALU_DEP_3) | instskip(NEXT) | instid1(VALU_DEP_1)
	v_dual_cndmask_b32 v5, 0, v5 :: v_dual_cndmask_b32 v4, 3, v4
	v_cmp_ne_u64_e32 vcc_lo, 0, v[4:5]
	s_or_b32 s13, s13, vcc_lo
	s_delay_alu instid0(SALU_CYCLE_1) | instskip(NEXT) | instid1(SALU_CYCLE_1)
	s_and_saveexec_b32 s76, s13
	s_xor_b32 s13, exec_lo, s76
; %bb.12068:                            ;   in Loop: Header=BB4_11564 Depth=3
	v_min_i32_e32 v5, 31, v16
	s_delay_alu instid0(VALU_DEP_1) | instskip(NEXT) | instid1(VALU_DEP_1)
	v_lshl_or_b32 v5, v5, 2, v18
                                        ; implicit-def: $vgpr18
	v_and_or_b32 v46, v4, 3, v5
; %bb.12069:                            ;   in Loop: Header=BB4_11564 Depth=3
	s_and_not1_saveexec_b32 s13, s13
; %bb.12070:                            ;   in Loop: Header=BB4_11564 Depth=3
	v_mov_b32_e32 v46, v18
; %bb.12071:                            ;   in Loop: Header=BB4_11564 Depth=3
	s_or_b32 exec_lo, exec_lo, s13
.LBB4_12072:                            ;   in Loop: Header=BB4_11564 Depth=3
	s_delay_alu instid0(SALU_CYCLE_1)
	s_or_b32 exec_lo, exec_lo, s75
                                        ; implicit-def: $vgpr18
.LBB4_12073:                            ;   in Loop: Header=BB4_11564 Depth=3
	s_and_not1_saveexec_b32 s13, s15
; %bb.12074:                            ;   in Loop: Header=BB4_11564 Depth=3
	v_or_b32_e32 v46, 0x7b, v18
; %bb.12075:                            ;   in Loop: Header=BB4_11564 Depth=3
	s_or_b32 exec_lo, exec_lo, s13
                                        ; implicit-def: $vgpr16
                                        ; implicit-def: $vgpr4_vgpr5
.LBB4_12076:                            ;   in Loop: Header=BB4_11564 Depth=3
	s_and_not1_saveexec_b32 s13, s14
	s_cbranch_execz .LBB4_12082
; %bb.12077:                            ;   in Loop: Header=BB4_11564 Depth=3
	s_mov_b32 s14, exec_lo
                                        ; implicit-def: $vgpr46
	v_cmpx_ne_u64_e32 0, v[4:5]
	s_xor_b32 s14, exec_lo, s14
; %bb.12078:                            ;   in Loop: Header=BB4_11564 Depth=3
	v_lshrrev_b32_e32 v4, 24, v16
                                        ; implicit-def: $vgpr16
	s_delay_alu instid0(VALU_DEP_1)
	v_or_b32_e32 v46, 0x7f, v4
; %bb.12079:                            ;   in Loop: Header=BB4_11564 Depth=3
	s_and_not1_saveexec_b32 s14, s14
; %bb.12080:                            ;   in Loop: Header=BB4_11564 Depth=3
	v_cmp_lt_i32_e32 vcc_lo, -1, v16
	v_cndmask_b32_e64 v46, -4, 0x7c, vcc_lo
; %bb.12081:                            ;   in Loop: Header=BB4_11564 Depth=3
	s_or_b32 exec_lo, exec_lo, s14
.LBB4_12082:                            ;   in Loop: Header=BB4_11564 Depth=3
	s_delay_alu instid0(SALU_CYCLE_1)
	s_or_b32 exec_lo, exec_lo, s13
	flat_load_i8 v4, v[8:9] offset:480 th:TH_LOAD_NT
	v_mov_b32_e32 v16, 0
	s_mov_b32 s13, exec_lo
	s_wait_loadcnt_dscnt 0x0
	v_cmpx_ne_u16_e32 0, v4
	s_cbranch_execz .LBB4_12092
; %bb.12083:                            ;   in Loop: Header=BB4_11564 Depth=3
	v_bfrev_b32_e32 v16, 1
	s_mov_b32 s14, exec_lo
	v_cmpx_ne_u16_e32 0xff80, v4
	s_cbranch_execz .LBB4_12091
; %bb.12084:                            ;   in Loop: Header=BB4_11564 Depth=3
	v_and_b32_e32 v16, 0x7c, v4
	v_and_b32_e32 v5, 3, v4
	s_delay_alu instid0(VALU_DEP_2) | instskip(SKIP_1) | instid1(SALU_CYCLE_1)
	v_cmp_ne_u32_e32 vcc_lo, 0x7c, v16
                                        ; implicit-def: $vgpr16
	s_and_saveexec_b32 s15, vcc_lo
	s_xor_b32 s15, exec_lo, s15
	s_cbranch_execz .LBB4_12088
; %bb.12085:                            ;   in Loop: Header=BB4_11564 Depth=3
	v_and_b32_e32 v16, 0xff, v4
	s_mov_b32 s75, exec_lo
	s_delay_alu instid0(VALU_DEP_1) | instskip(NEXT) | instid1(VALU_DEP_1)
	v_bfe_u32 v16, v16, 2, 5
	v_cmpx_eq_u32_e32 0, v16
	s_cbranch_execz .LBB4_12087
; %bb.12086:                            ;   in Loop: Header=BB4_11564 Depth=3
	v_clz_i32_u32_e32 v5, v5
	s_delay_alu instid0(VALU_DEP_1) | instskip(SKIP_1) | instid1(VALU_DEP_2)
	v_min_u32_e32 v16, 32, v5
	v_mov_b32_e32 v5, v3
	v_subrev_nc_u32_e32 v17, 29, v16
	v_sub_nc_u32_e32 v16, 30, v16
	s_delay_alu instid0(VALU_DEP_2) | instskip(NEXT) | instid1(VALU_DEP_1)
	v_lshlrev_b64_e32 v[18:19], v17, v[4:5]
	v_and_b32_e32 v5, 3, v18
.LBB4_12087:                            ;   in Loop: Header=BB4_11564 Depth=3
	s_or_b32 exec_lo, exec_lo, s75
	v_bfe_i32 v4, v4, 0, 16
	s_delay_alu instid0(VALU_DEP_1) | instskip(NEXT) | instid1(VALU_DEP_1)
	v_and_b32_e32 v4, 0x80000000, v4
	v_lshl_add_u32 v4, v16, 23, v4
	s_delay_alu instid0(VALU_DEP_1) | instskip(NEXT) | instid1(VALU_DEP_1)
	v_lshl_or_b32 v4, v5, 21, v4
                                        ; implicit-def: $vgpr5
	v_add_nc_u32_e32 v16, 0x38000000, v4
                                        ; implicit-def: $vgpr4
.LBB4_12088:                            ;   in Loop: Header=BB4_11564 Depth=3
	s_and_not1_saveexec_b32 s15, s15
; %bb.12089:                            ;   in Loop: Header=BB4_11564 Depth=3
	v_cmp_lt_i16_e32 vcc_lo, -1, v4
	v_cndmask_b32_e32 v4, 0xff800000, v48, vcc_lo
	v_cmp_eq_u32_e32 vcc_lo, 0, v5
	s_delay_alu instid0(VALU_DEP_2)
	v_cndmask_b32_e32 v16, 0x7f800001, v4, vcc_lo
; %bb.12090:                            ;   in Loop: Header=BB4_11564 Depth=3
	s_or_b32 exec_lo, exec_lo, s15
.LBB4_12091:                            ;   in Loop: Header=BB4_11564 Depth=3
	s_delay_alu instid0(SALU_CYCLE_1)
	s_or_b32 exec_lo, exec_lo, s14
.LBB4_12092:                            ;   in Loop: Header=BB4_11564 Depth=3
	s_delay_alu instid0(SALU_CYCLE_1) | instskip(NEXT) | instid1(VALU_DEP_1)
	s_or_b32 exec_lo, exec_lo, s13
	v_dual_mul_f32 v16, s74, v16 :: v_dual_mov_b32 v5, v3
                                        ; implicit-def: $vgpr42
	s_delay_alu instid0(VALU_DEP_1) | instskip(NEXT) | instid1(VALU_DEP_1)
	v_and_b32_e32 v4, 0x7f800000, v16
	v_cmp_ne_u64_e32 vcc_lo, 0x7f800000, v[4:5]
	v_and_b32_e32 v4, 0x7fffff, v16
	s_and_saveexec_b32 s13, vcc_lo
	s_delay_alu instid0(SALU_CYCLE_1)
	s_xor_b32 s14, exec_lo, s13
	s_cbranch_execz .LBB4_12110
; %bb.12093:                            ;   in Loop: Header=BB4_11564 Depth=3
	v_and_b32_e32 v18, 0x7fffffff, v16
	v_dual_mov_b32 v19, v3 :: v_dual_lshrrev_b32 v17, 24, v16
                                        ; implicit-def: $vgpr42
	s_delay_alu instid0(VALU_DEP_1) | instskip(NEXT) | instid1(VALU_DEP_2)
	v_cmp_gt_u64_e32 vcc_lo, 0x47600001, v[18:19]
	v_and_b32_e32 v18, 0x80, v17
	s_and_saveexec_b32 s13, vcc_lo
	s_delay_alu instid0(SALU_CYCLE_1)
	s_xor_b32 s15, exec_lo, s13
	s_cbranch_execz .LBB4_12107
; %bb.12094:                            ;   in Loop: Header=BB4_11564 Depth=3
	v_mov_b32_e32 v42, 0
	s_mov_b32 s74, exec_lo
	v_cmpx_ne_u32_e32 0, v16
	s_cbranch_execz .LBB4_12106
; %bb.12095:                            ;   in Loop: Header=BB4_11564 Depth=3
	v_bfe_u32 v19, v16, 23, 8
	v_or_b32_e32 v21, 0x800000, v4
	s_delay_alu instid0(VALU_DEP_2) | instskip(SKIP_1) | instid1(VALU_DEP_2)
	v_sub_nc_u32_e32 v16, 0x71, v19
	v_cmp_gt_u32_e32 vcc_lo, 0x72, v19
	v_cndmask_b32_e32 v16, 0, v16, vcc_lo
	v_cmp_eq_u32_e32 vcc_lo, 0, v19
	s_delay_alu instid0(VALU_DEP_2) | instskip(SKIP_1) | instid1(VALU_DEP_2)
	v_cndmask_b32_e64 v20, v16, 0x70, vcc_lo
	v_cndmask_b32_e32 v4, v21, v4, vcc_lo
	v_dual_add_nc_u32 v16, 21, v20 :: v_dual_add_nc_u32 v30, 20, v20
	s_delay_alu instid0(VALU_DEP_1) | instskip(NEXT) | instid1(VALU_DEP_2)
	v_lshlrev_b64_e64 v[16:17], v16, -1
	v_lshlrev_b64_e64 v[30:31], v30, 1
	s_delay_alu instid0(VALU_DEP_2) | instskip(SKIP_1) | instid1(VALU_DEP_4)
	v_bfi_b32 v16, v16, 0, v4
	v_lshrrev_b64 v[4:5], v20, v[4:5]
	v_bfi_b32 v17, v17, 0, 0
	s_delay_alu instid0(VALU_DEP_1) | instskip(NEXT) | instid1(VALU_DEP_3)
	v_cmp_eq_u64_e64 s13, v[16:17], v[30:31]
	v_mov_b64_e32 v[16:17], v[4:5]
	s_and_saveexec_b32 s75, s13
; %bb.12096:                            ;   in Loop: Header=BB4_11564 Depth=3
	v_bfe_u32 v16, v4, 21, 1
	v_mov_b32_e32 v17, v3
	s_delay_alu instid0(VALU_DEP_1) | instskip(NEXT) | instid1(VALU_DEP_1)
	v_add_nc_u64_e32 v[16:17], v[4:5], v[16:17]
	v_add_nc_u64_e32 v[16:17], -1, v[16:17]
; %bb.12097:                            ;   in Loop: Header=BB4_11564 Depth=3
	s_or_b32 exec_lo, exec_lo, s75
	v_add_nc_u32_e32 v5, 0xffffff81, v19
	v_lshrrev_b32_e32 v17, 23, v4
	s_mov_b32 s13, exec_lo
	s_delay_alu instid0(VALU_DEP_2) | instskip(NEXT) | instid1(VALU_DEP_1)
	v_cndmask_b32_e64 v5, v5, 0xffffff82, vcc_lo
	v_add3_u32 v17, v20, v5, v17
	v_and_b32_e32 v5, 0x1fffff, v16
                                        ; implicit-def: $vgpr16
	s_delay_alu instid0(VALU_DEP_1) | instskip(SKIP_1) | instid1(VALU_DEP_2)
	v_dual_add_nc_u32 v19, 14, v17 :: v_dual_add_nc_u32 v4, v5, v4
	v_mov_b32_e32 v5, v3
	v_cmpx_ne_u32_e32 0, v19
	s_xor_b32 s13, exec_lo, s13
; %bb.12098:                            ;   in Loop: Header=BB4_11564 Depth=3
	s_delay_alu instid0(VALU_DEP_2) | instskip(SKIP_2) | instid1(VALU_DEP_2)
	v_cmp_lt_u64_e32 vcc_lo, 0xffffff, v[4:5]
	v_add_nc_u32_e32 v16, 15, v17
	v_cndmask_b32_e64 v17, 0, 1, vcc_lo
	v_cndmask_b32_e32 v16, v19, v16, vcc_lo
	s_delay_alu instid0(VALU_DEP_2)
	v_lshrrev_b64 v[4:5], v17, v[4:5]
; %bb.12099:                            ;   in Loop: Header=BB4_11564 Depth=3
	s_and_not1_saveexec_b32 s13, s13
; %bb.12100:                            ;   in Loop: Header=BB4_11564 Depth=3
	s_delay_alu instid0(VALU_DEP_1)
	v_bfe_u32 v16, v4, 23, 1
; %bb.12101:                            ;   in Loop: Header=BB4_11564 Depth=3
	s_or_b32 exec_lo, exec_lo, s13
	s_delay_alu instid0(VALU_DEP_2) | instskip(NEXT) | instid1(VALU_DEP_2)
	v_lshrrev_b64 v[4:5], 21, v[4:5]
	v_cmp_gt_i32_e32 vcc_lo, 32, v16
	v_cmp_ne_u32_e64 s13, 0, v16
                                        ; implicit-def: $vgpr42
	s_delay_alu instid0(VALU_DEP_3) | instskip(NEXT) | instid1(VALU_DEP_1)
	v_dual_cndmask_b32 v5, 0, v5 :: v_dual_cndmask_b32 v4, 3, v4
	v_cmp_ne_u64_e32 vcc_lo, 0, v[4:5]
	s_or_b32 s13, s13, vcc_lo
	s_delay_alu instid0(SALU_CYCLE_1) | instskip(NEXT) | instid1(SALU_CYCLE_1)
	s_and_saveexec_b32 s75, s13
	s_xor_b32 s13, exec_lo, s75
; %bb.12102:                            ;   in Loop: Header=BB4_11564 Depth=3
	v_min_i32_e32 v5, 31, v16
	s_delay_alu instid0(VALU_DEP_1) | instskip(NEXT) | instid1(VALU_DEP_1)
	v_lshl_or_b32 v5, v5, 2, v18
                                        ; implicit-def: $vgpr18
	v_and_or_b32 v42, v4, 3, v5
; %bb.12103:                            ;   in Loop: Header=BB4_11564 Depth=3
	s_and_not1_saveexec_b32 s13, s13
; %bb.12104:                            ;   in Loop: Header=BB4_11564 Depth=3
	v_mov_b32_e32 v42, v18
; %bb.12105:                            ;   in Loop: Header=BB4_11564 Depth=3
	s_or_b32 exec_lo, exec_lo, s13
.LBB4_12106:                            ;   in Loop: Header=BB4_11564 Depth=3
	s_delay_alu instid0(SALU_CYCLE_1)
	s_or_b32 exec_lo, exec_lo, s74
                                        ; implicit-def: $vgpr18
.LBB4_12107:                            ;   in Loop: Header=BB4_11564 Depth=3
	s_and_not1_saveexec_b32 s13, s15
; %bb.12108:                            ;   in Loop: Header=BB4_11564 Depth=3
	v_or_b32_e32 v42, 0x7b, v18
; %bb.12109:                            ;   in Loop: Header=BB4_11564 Depth=3
	s_or_b32 exec_lo, exec_lo, s13
                                        ; implicit-def: $vgpr16
                                        ; implicit-def: $vgpr4_vgpr5
.LBB4_12110:                            ;   in Loop: Header=BB4_11564 Depth=3
	s_and_not1_saveexec_b32 s13, s14
	s_cbranch_execz .LBB4_12116
; %bb.12111:                            ;   in Loop: Header=BB4_11564 Depth=3
	s_mov_b32 s14, exec_lo
                                        ; implicit-def: $vgpr42
	v_cmpx_ne_u64_e32 0, v[4:5]
	s_xor_b32 s14, exec_lo, s14
; %bb.12112:                            ;   in Loop: Header=BB4_11564 Depth=3
	v_lshrrev_b32_e32 v4, 24, v16
                                        ; implicit-def: $vgpr16
	s_delay_alu instid0(VALU_DEP_1)
	v_or_b32_e32 v42, 0x7f, v4
; %bb.12113:                            ;   in Loop: Header=BB4_11564 Depth=3
	s_and_not1_saveexec_b32 s14, s14
; %bb.12114:                            ;   in Loop: Header=BB4_11564 Depth=3
	v_cmp_lt_i32_e32 vcc_lo, -1, v16
	v_cndmask_b32_e64 v42, -4, 0x7c, vcc_lo
; %bb.12115:                            ;   in Loop: Header=BB4_11564 Depth=3
	s_or_b32 exec_lo, exec_lo, s14
.LBB4_12116:                            ;   in Loop: Header=BB4_11564 Depth=3
	s_delay_alu instid0(SALU_CYCLE_1)
	s_or_b32 exec_lo, exec_lo, s13
	s_clause 0xf
	flat_load_i8 v40, v[10:11] th:TH_LOAD_NT
	flat_load_i8 v116, v[10:11] offset:32 th:TH_LOAD_NT
	flat_load_i8 v100, v[10:11] offset:64 th:TH_LOAD_NT
	;; [unrolled: 1-line block ×15, first 2 shown]
	v_and_b32_e32 v21, 0xff, v120
	v_dual_mov_b32 v5, 0 :: v_dual_mov_b32 v17, 0
	s_mov_b32 s14, exec_lo
	s_wait_xcnt 0x0
	s_delay_alu instid0(VALU_DEP_2)
	v_cmpx_ne_u16_e32 0, v21
	s_cbranch_execz .LBB4_12126
; %bb.12117:                            ;   in Loop: Header=BB4_11564 Depth=3
	v_bfrev_b32_e32 v17, 1
	s_mov_b32 s15, exec_lo
	v_cmpx_ne_u16_e32 0x80, v21
	s_cbranch_execz .LBB4_12125
; %bb.12118:                            ;   in Loop: Header=BB4_11564 Depth=3
	v_and_b32_e32 v17, 0x7c, v120
	v_and_b32_e32 v19, 3, v120
	s_delay_alu instid0(VALU_DEP_2) | instskip(SKIP_1) | instid1(SALU_CYCLE_1)
	v_cmp_ne_u32_e32 vcc_lo, 0x7c, v17
                                        ; implicit-def: $vgpr17
	s_and_saveexec_b32 s13, vcc_lo
	s_xor_b32 s13, exec_lo, s13
	s_cbranch_execz .LBB4_12122
; %bb.12119:                            ;   in Loop: Header=BB4_11564 Depth=3
	v_bfe_u32 v17, v21, 2, 5
	s_mov_b32 s74, exec_lo
	s_delay_alu instid0(VALU_DEP_1)
	v_cmpx_eq_u32_e32 0, v17
	s_cbranch_execz .LBB4_12121
; %bb.12120:                            ;   in Loop: Header=BB4_11564 Depth=3
	v_clz_i32_u32_e32 v17, v19
	s_delay_alu instid0(VALU_DEP_1) | instskip(SKIP_1) | instid1(VALU_DEP_2)
	v_min_u32_e32 v17, 32, v17
	v_mov_b32_e32 v121, v3
	v_subrev_nc_u32_e32 v19, 29, v17
	v_sub_nc_u32_e32 v17, 30, v17
	s_delay_alu instid0(VALU_DEP_2) | instskip(NEXT) | instid1(VALU_DEP_1)
	v_lshlrev_b64_e32 v[66:67], v19, v[120:121]
	v_and_b32_e32 v19, 3, v66
.LBB4_12121:                            ;   in Loop: Header=BB4_11564 Depth=3
	s_or_b32 exec_lo, exec_lo, s74
	v_lshlrev_b32_e32 v21, 24, v120
                                        ; implicit-def: $vgpr120
	s_delay_alu instid0(VALU_DEP_1) | instskip(NEXT) | instid1(VALU_DEP_1)
	v_and_b32_e32 v21, 0x80000000, v21
	v_lshl_add_u32 v17, v17, 23, v21
	s_delay_alu instid0(VALU_DEP_1) | instskip(NEXT) | instid1(VALU_DEP_1)
	v_lshl_or_b32 v17, v19, 21, v17
                                        ; implicit-def: $vgpr19
	v_add_nc_u32_e32 v17, 0x38000000, v17
.LBB4_12122:                            ;   in Loop: Header=BB4_11564 Depth=3
	s_and_not1_saveexec_b32 s74, s13
; %bb.12123:                            ;   in Loop: Header=BB4_11564 Depth=3
	v_bfe_i32 v17, v120, 0, 8
	v_cmp_eq_u32_e32 vcc_lo, 0, v19
	s_delay_alu instid0(VALU_DEP_2) | instskip(NEXT) | instid1(VALU_DEP_1)
	v_cmp_lt_i16_e64 s13, -1, v17
	v_cndmask_b32_e64 v17, 0xff800000, v48, s13
	s_delay_alu instid0(VALU_DEP_1)
	v_cndmask_b32_e32 v17, 0x7f800001, v17, vcc_lo
; %bb.12124:                            ;   in Loop: Header=BB4_11564 Depth=3
	s_or_b32 exec_lo, exec_lo, s74
.LBB4_12125:                            ;   in Loop: Header=BB4_11564 Depth=3
	s_delay_alu instid0(SALU_CYCLE_1)
	s_or_b32 exec_lo, exec_lo, s15
.LBB4_12126:                            ;   in Loop: Header=BB4_11564 Depth=3
	s_delay_alu instid0(SALU_CYCLE_1) | instskip(NEXT) | instid1(SALU_CYCLE_1)
	s_or_b32 exec_lo, exec_lo, s14
	s_mov_b32 s14, exec_lo
	s_wait_loadcnt_dscnt 0xf0f
	v_cmpx_ne_u16_e32 0, v40
	s_cbranch_execz .LBB4_12136
; %bb.12127:                            ;   in Loop: Header=BB4_11564 Depth=3
	v_bfrev_b32_e32 v5, 1
	s_mov_b32 s15, exec_lo
	v_cmpx_ne_u16_e32 0xff80, v40
	s_cbranch_execz .LBB4_12135
; %bb.12128:                            ;   in Loop: Header=BB4_11564 Depth=3
	v_and_b32_e32 v5, 0x7c, v40
	v_and_b32_e32 v19, 3, v40
	s_delay_alu instid0(VALU_DEP_2) | instskip(SKIP_1) | instid1(SALU_CYCLE_1)
	v_cmp_ne_u32_e32 vcc_lo, 0x7c, v5
                                        ; implicit-def: $vgpr5
	s_and_saveexec_b32 s13, vcc_lo
	s_xor_b32 s13, exec_lo, s13
	s_cbranch_execz .LBB4_12132
; %bb.12129:                            ;   in Loop: Header=BB4_11564 Depth=3
	v_and_b32_e32 v5, 0xff, v40
	s_mov_b32 s74, exec_lo
	s_delay_alu instid0(VALU_DEP_1) | instskip(NEXT) | instid1(VALU_DEP_1)
	v_bfe_u32 v5, v5, 2, 5
	v_cmpx_eq_u32_e32 0, v5
	s_cbranch_execz .LBB4_12131
; %bb.12130:                            ;   in Loop: Header=BB4_11564 Depth=3
	v_clz_i32_u32_e32 v5, v19
	s_delay_alu instid0(VALU_DEP_1) | instskip(SKIP_1) | instid1(VALU_DEP_2)
	v_min_u32_e32 v5, 32, v5
	v_mov_b32_e32 v41, v3
	v_subrev_nc_u32_e32 v19, 29, v5
	v_sub_nc_u32_e32 v5, 30, v5
	s_delay_alu instid0(VALU_DEP_2) | instskip(NEXT) | instid1(VALU_DEP_1)
	v_lshlrev_b64_e32 v[66:67], v19, v[40:41]
	v_and_b32_e32 v19, 3, v66
.LBB4_12131:                            ;   in Loop: Header=BB4_11564 Depth=3
	s_or_b32 exec_lo, exec_lo, s74
	v_bfe_i32 v21, v40, 0, 16
                                        ; implicit-def: $vgpr40
	s_delay_alu instid0(VALU_DEP_1) | instskip(NEXT) | instid1(VALU_DEP_1)
	v_and_b32_e32 v21, 0x80000000, v21
	v_lshl_add_u32 v5, v5, 23, v21
	s_delay_alu instid0(VALU_DEP_1) | instskip(NEXT) | instid1(VALU_DEP_1)
	v_lshl_or_b32 v5, v19, 21, v5
                                        ; implicit-def: $vgpr19
	v_add_nc_u32_e32 v5, 0x38000000, v5
.LBB4_12132:                            ;   in Loop: Header=BB4_11564 Depth=3
	s_and_not1_saveexec_b32 s74, s13
; %bb.12133:                            ;   in Loop: Header=BB4_11564 Depth=3
	v_cmp_lt_i16_e64 s13, -1, v40
	v_cmp_eq_u32_e32 vcc_lo, 0, v19
	s_delay_alu instid0(VALU_DEP_2) | instskip(NEXT) | instid1(VALU_DEP_1)
	v_cndmask_b32_e64 v5, 0xff800000, v48, s13
	v_cndmask_b32_e32 v5, 0x7f800001, v5, vcc_lo
; %bb.12134:                            ;   in Loop: Header=BB4_11564 Depth=3
	s_or_b32 exec_lo, exec_lo, s74
.LBB4_12135:                            ;   in Loop: Header=BB4_11564 Depth=3
	s_delay_alu instid0(SALU_CYCLE_1)
	s_or_b32 exec_lo, exec_lo, s15
.LBB4_12136:                            ;   in Loop: Header=BB4_11564 Depth=3
	s_delay_alu instid0(SALU_CYCLE_1) | instskip(NEXT) | instid1(VALU_DEP_1)
	s_or_b32 exec_lo, exec_lo, s14
	v_dual_add_f32 v17, v17, v5 :: v_dual_mov_b32 v67, v3
	v_mov_b32_e32 v41, v3
	s_delay_alu instid0(VALU_DEP_2) | instskip(SKIP_1) | instid1(VALU_DEP_2)
	v_and_b32_e32 v66, 0x7f800000, v17
	v_and_b32_e32 v40, 0x7fffff, v17
	v_cmp_ne_u64_e32 vcc_lo, 0x7f800000, v[66:67]
                                        ; implicit-def: $vgpr66
	s_and_saveexec_b32 s13, vcc_lo
	s_delay_alu instid0(SALU_CYCLE_1)
	s_xor_b32 s14, exec_lo, s13
	s_cbranch_execz .LBB4_12154
; %bb.12137:                            ;   in Loop: Header=BB4_11564 Depth=3
	v_and_b32_e32 v66, 0x7fffffff, v17
	v_dual_mov_b32 v67, v3 :: v_dual_lshrrev_b32 v5, 24, v17
	s_delay_alu instid0(VALU_DEP_1) | instskip(NEXT) | instid1(VALU_DEP_2)
	v_cmp_gt_u64_e32 vcc_lo, 0x47600001, v[66:67]
	v_and_b32_e32 v5, 0x80, v5
                                        ; implicit-def: $vgpr66
	s_and_saveexec_b32 s13, vcc_lo
	s_delay_alu instid0(SALU_CYCLE_1)
	s_xor_b32 s15, exec_lo, s13
	s_cbranch_execz .LBB4_12151
; %bb.12138:                            ;   in Loop: Header=BB4_11564 Depth=3
	v_mov_b32_e32 v66, 0
	s_mov_b32 s74, exec_lo
	v_cmpx_ne_u32_e32 0, v17
	s_cbranch_execz .LBB4_12150
; %bb.12139:                            ;   in Loop: Header=BB4_11564 Depth=3
	v_bfe_u32 v17, v17, 23, 8
	v_or_b32_e32 v21, 0x800000, v40
	s_mov_b32 s75, exec_lo
	s_delay_alu instid0(VALU_DEP_2) | instskip(SKIP_1) | instid1(VALU_DEP_3)
	v_cmp_eq_u32_e32 vcc_lo, 0, v17
	v_cmp_gt_u32_e64 s13, 0x72, v17
	v_dual_cndmask_b32 v40, v21, v40 :: v_dual_sub_nc_u32 v19, 0x71, v17
	s_delay_alu instid0(VALU_DEP_1) | instskip(NEXT) | instid1(VALU_DEP_1)
	v_cndmask_b32_e64 v19, 0, v19, s13
	v_cndmask_b32_e64 v19, v19, 0x70, vcc_lo
	s_delay_alu instid0(VALU_DEP_1) | instskip(NEXT) | instid1(VALU_DEP_1)
	v_add_nc_u32_e32 v21, 21, v19
	v_lshlrev_b64_e64 v[66:67], v21, -1
	v_add_nc_u32_e32 v21, 20, v19
	s_delay_alu instid0(VALU_DEP_1) | instskip(NEXT) | instid1(VALU_DEP_3)
	v_lshlrev_b64_e64 v[86:87], v21, 1
	v_bfi_b32 v66, v66, 0, v40
	v_lshrrev_b64 v[40:41], v19, v[40:41]
	v_bfi_b32 v67, v67, 0, 0
	s_delay_alu instid0(VALU_DEP_2) | instskip(NEXT) | instid1(VALU_DEP_2)
	v_mov_b64_e32 v[120:121], v[40:41]
	v_cmpx_eq_u64_e64 v[66:67], v[86:87]
; %bb.12140:                            ;   in Loop: Header=BB4_11564 Depth=3
	v_bfe_u32 v66, v40, 21, 1
	v_mov_b32_e32 v67, v3
	s_delay_alu instid0(VALU_DEP_1) | instskip(NEXT) | instid1(VALU_DEP_1)
	v_add_nc_u64_e32 v[66:67], v[40:41], v[66:67]
	v_add_nc_u64_e32 v[120:121], -1, v[66:67]
; %bb.12141:                            ;   in Loop: Header=BB4_11564 Depth=3
	s_or_b32 exec_lo, exec_lo, s75
	v_add_nc_u32_e32 v17, 0xffffff81, v17
	v_lshrrev_b32_e32 v21, 23, v40
	s_mov_b32 s13, exec_lo
	v_mov_b32_e32 v41, v3
	s_delay_alu instid0(VALU_DEP_3) | instskip(NEXT) | instid1(VALU_DEP_1)
	v_cndmask_b32_e64 v17, v17, 0xffffff82, vcc_lo
	v_add3_u32 v21, v19, v17, v21
	v_and_b32_e32 v17, 0x1fffff, v120
	s_delay_alu instid0(VALU_DEP_1) | instskip(NEXT) | instid1(VALU_DEP_1)
	v_dual_add_nc_u32 v19, 14, v21 :: v_dual_add_nc_u32 v40, v17, v40
                                        ; implicit-def: $vgpr17
	v_cmpx_ne_u32_e32 0, v19
	s_xor_b32 s13, exec_lo, s13
; %bb.12142:                            ;   in Loop: Header=BB4_11564 Depth=3
	s_delay_alu instid0(VALU_DEP_2) | instskip(SKIP_1) | instid1(VALU_DEP_1)
	v_cmp_lt_u64_e32 vcc_lo, 0xffffff, v[40:41]
	v_add_nc_u32_e32 v17, 15, v21
	v_cndmask_b32_e32 v17, v19, v17, vcc_lo
	v_cndmask_b32_e64 v19, 0, 1, vcc_lo
	s_delay_alu instid0(VALU_DEP_1)
	v_lshrrev_b64 v[40:41], v19, v[40:41]
; %bb.12143:                            ;   in Loop: Header=BB4_11564 Depth=3
	s_and_not1_saveexec_b32 s13, s13
; %bb.12144:                            ;   in Loop: Header=BB4_11564 Depth=3
	s_delay_alu instid0(VALU_DEP_1)
	v_bfe_u32 v17, v40, 23, 1
; %bb.12145:                            ;   in Loop: Header=BB4_11564 Depth=3
	s_or_b32 exec_lo, exec_lo, s13
	s_delay_alu instid0(VALU_DEP_2) | instskip(NEXT) | instid1(VALU_DEP_2)
	v_lshrrev_b64 v[66:67], 21, v[40:41]
	v_cmp_gt_i32_e32 vcc_lo, 32, v17
	v_cmp_ne_u32_e64 s13, 0, v17
	s_delay_alu instid0(VALU_DEP_3) | instskip(NEXT) | instid1(VALU_DEP_1)
	v_dual_cndmask_b32 v41, 0, v67 :: v_dual_cndmask_b32 v40, 3, v66
                                        ; implicit-def: $vgpr66
	v_cmp_ne_u64_e32 vcc_lo, 0, v[40:41]
	s_or_b32 s13, s13, vcc_lo
	s_delay_alu instid0(SALU_CYCLE_1) | instskip(NEXT) | instid1(SALU_CYCLE_1)
	s_and_saveexec_b32 s75, s13
	s_xor_b32 s13, exec_lo, s75
; %bb.12146:                            ;   in Loop: Header=BB4_11564 Depth=3
	v_min_i32_e32 v17, 31, v17
	s_delay_alu instid0(VALU_DEP_1) | instskip(NEXT) | instid1(VALU_DEP_1)
	v_lshl_or_b32 v5, v17, 2, v5
	v_and_or_b32 v66, v40, 3, v5
                                        ; implicit-def: $vgpr5
; %bb.12147:                            ;   in Loop: Header=BB4_11564 Depth=3
	s_and_not1_saveexec_b32 s13, s13
; %bb.12148:                            ;   in Loop: Header=BB4_11564 Depth=3
	v_mov_b32_e32 v66, v5
; %bb.12149:                            ;   in Loop: Header=BB4_11564 Depth=3
	s_or_b32 exec_lo, exec_lo, s13
.LBB4_12150:                            ;   in Loop: Header=BB4_11564 Depth=3
	s_delay_alu instid0(SALU_CYCLE_1)
	s_or_b32 exec_lo, exec_lo, s74
                                        ; implicit-def: $vgpr5
.LBB4_12151:                            ;   in Loop: Header=BB4_11564 Depth=3
	s_and_not1_saveexec_b32 s13, s15
; %bb.12152:                            ;   in Loop: Header=BB4_11564 Depth=3
	v_or_b32_e32 v66, 0x7b, v5
; %bb.12153:                            ;   in Loop: Header=BB4_11564 Depth=3
	s_or_b32 exec_lo, exec_lo, s13
                                        ; implicit-def: $vgpr17
                                        ; implicit-def: $vgpr40_vgpr41
.LBB4_12154:                            ;   in Loop: Header=BB4_11564 Depth=3
	s_and_not1_saveexec_b32 s13, s14
	s_cbranch_execz .LBB4_12160
; %bb.12155:                            ;   in Loop: Header=BB4_11564 Depth=3
	s_mov_b32 s14, exec_lo
                                        ; implicit-def: $vgpr66
	v_cmpx_ne_u64_e32 0, v[40:41]
	s_xor_b32 s14, exec_lo, s14
; %bb.12156:                            ;   in Loop: Header=BB4_11564 Depth=3
	v_lshrrev_b32_e32 v5, 24, v17
                                        ; implicit-def: $vgpr17
	s_delay_alu instid0(VALU_DEP_1)
	v_or_b32_e32 v66, 0x7f, v5
; %bb.12157:                            ;   in Loop: Header=BB4_11564 Depth=3
	s_and_not1_saveexec_b32 s14, s14
; %bb.12158:                            ;   in Loop: Header=BB4_11564 Depth=3
	v_cmp_lt_i32_e32 vcc_lo, -1, v17
	v_cndmask_b32_e64 v66, -4, 0x7c, vcc_lo
; %bb.12159:                            ;   in Loop: Header=BB4_11564 Depth=3
	s_or_b32 exec_lo, exec_lo, s14
.LBB4_12160:                            ;   in Loop: Header=BB4_11564 Depth=3
	s_delay_alu instid0(SALU_CYCLE_1) | instskip(SKIP_3) | instid1(VALU_DEP_2)
	s_or_b32 exec_lo, exec_lo, s13
	v_and_b32_e32 v21, 0xff, v110
	v_dual_mov_b32 v5, 0 :: v_dual_mov_b32 v17, 0
	s_mov_b32 s14, exec_lo
	v_cmpx_ne_u16_e32 0, v21
	s_cbranch_execz .LBB4_12170
; %bb.12161:                            ;   in Loop: Header=BB4_11564 Depth=3
	v_bfrev_b32_e32 v17, 1
	s_mov_b32 s15, exec_lo
	v_cmpx_ne_u16_e32 0x80, v21
	s_cbranch_execz .LBB4_12169
; %bb.12162:                            ;   in Loop: Header=BB4_11564 Depth=3
	v_and_b32_e32 v17, 0x7c, v110
	v_and_b32_e32 v19, 3, v110
	s_delay_alu instid0(VALU_DEP_2) | instskip(SKIP_1) | instid1(SALU_CYCLE_1)
	v_cmp_ne_u32_e32 vcc_lo, 0x7c, v17
                                        ; implicit-def: $vgpr17
	s_and_saveexec_b32 s13, vcc_lo
	s_xor_b32 s13, exec_lo, s13
	s_cbranch_execz .LBB4_12166
; %bb.12163:                            ;   in Loop: Header=BB4_11564 Depth=3
	v_bfe_u32 v17, v21, 2, 5
	s_mov_b32 s74, exec_lo
	s_delay_alu instid0(VALU_DEP_1)
	v_cmpx_eq_u32_e32 0, v17
	s_cbranch_execz .LBB4_12165
; %bb.12164:                            ;   in Loop: Header=BB4_11564 Depth=3
	v_clz_i32_u32_e32 v17, v19
	s_delay_alu instid0(VALU_DEP_1) | instskip(SKIP_1) | instid1(VALU_DEP_2)
	v_min_u32_e32 v17, 32, v17
	v_mov_b32_e32 v111, v3
	v_subrev_nc_u32_e32 v19, 29, v17
	v_sub_nc_u32_e32 v17, 30, v17
	s_delay_alu instid0(VALU_DEP_2) | instskip(NEXT) | instid1(VALU_DEP_1)
	v_lshlrev_b64_e32 v[86:87], v19, v[110:111]
	v_and_b32_e32 v19, 3, v86
.LBB4_12165:                            ;   in Loop: Header=BB4_11564 Depth=3
	s_or_b32 exec_lo, exec_lo, s74
	v_lshlrev_b32_e32 v21, 24, v110
                                        ; implicit-def: $vgpr110
	s_delay_alu instid0(VALU_DEP_1) | instskip(NEXT) | instid1(VALU_DEP_1)
	v_and_b32_e32 v21, 0x80000000, v21
	v_lshl_add_u32 v17, v17, 23, v21
	s_delay_alu instid0(VALU_DEP_1) | instskip(NEXT) | instid1(VALU_DEP_1)
	v_lshl_or_b32 v17, v19, 21, v17
                                        ; implicit-def: $vgpr19
	v_add_nc_u32_e32 v17, 0x38000000, v17
.LBB4_12166:                            ;   in Loop: Header=BB4_11564 Depth=3
	s_and_not1_saveexec_b32 s74, s13
; %bb.12167:                            ;   in Loop: Header=BB4_11564 Depth=3
	v_bfe_i32 v17, v110, 0, 8
	v_cmp_eq_u32_e32 vcc_lo, 0, v19
	s_delay_alu instid0(VALU_DEP_2) | instskip(NEXT) | instid1(VALU_DEP_1)
	v_cmp_lt_i16_e64 s13, -1, v17
	v_cndmask_b32_e64 v17, 0xff800000, v48, s13
	s_delay_alu instid0(VALU_DEP_1)
	v_cndmask_b32_e32 v17, 0x7f800001, v17, vcc_lo
; %bb.12168:                            ;   in Loop: Header=BB4_11564 Depth=3
	s_or_b32 exec_lo, exec_lo, s74
.LBB4_12169:                            ;   in Loop: Header=BB4_11564 Depth=3
	s_delay_alu instid0(SALU_CYCLE_1)
	s_or_b32 exec_lo, exec_lo, s15
.LBB4_12170:                            ;   in Loop: Header=BB4_11564 Depth=3
	s_delay_alu instid0(SALU_CYCLE_1) | instskip(NEXT) | instid1(SALU_CYCLE_1)
	s_or_b32 exec_lo, exec_lo, s14
	s_mov_b32 s13, exec_lo
	s_wait_loadcnt_dscnt 0xe0e
	v_cmpx_ne_u16_e32 0, v116
	s_cbranch_execz .LBB4_12180
; %bb.12171:                            ;   in Loop: Header=BB4_11564 Depth=3
	v_bfrev_b32_e32 v5, 1
	s_mov_b32 s14, exec_lo
	v_cmpx_ne_u16_e32 0xff80, v116
	s_cbranch_execz .LBB4_12179
; %bb.12172:                            ;   in Loop: Header=BB4_11564 Depth=3
	v_and_b32_e32 v5, 0x7c, v116
	v_and_b32_e32 v19, 3, v116
	s_delay_alu instid0(VALU_DEP_2) | instskip(SKIP_1) | instid1(SALU_CYCLE_1)
	v_cmp_ne_u32_e32 vcc_lo, 0x7c, v5
                                        ; implicit-def: $vgpr5
	s_and_saveexec_b32 s15, vcc_lo
	s_xor_b32 s15, exec_lo, s15
	s_cbranch_execz .LBB4_12176
; %bb.12173:                            ;   in Loop: Header=BB4_11564 Depth=3
	v_and_b32_e32 v5, 0xff, v116
	s_mov_b32 s74, exec_lo
	s_delay_alu instid0(VALU_DEP_1) | instskip(NEXT) | instid1(VALU_DEP_1)
	v_bfe_u32 v5, v5, 2, 5
	v_cmpx_eq_u32_e32 0, v5
	s_cbranch_execz .LBB4_12175
; %bb.12174:                            ;   in Loop: Header=BB4_11564 Depth=3
	v_clz_i32_u32_e32 v5, v19
	s_delay_alu instid0(VALU_DEP_1) | instskip(SKIP_1) | instid1(VALU_DEP_2)
	v_min_u32_e32 v5, 32, v5
	v_mov_b32_e32 v117, v3
	v_subrev_nc_u32_e32 v19, 29, v5
	v_sub_nc_u32_e32 v5, 30, v5
	s_delay_alu instid0(VALU_DEP_2) | instskip(NEXT) | instid1(VALU_DEP_1)
	v_lshlrev_b64_e32 v[86:87], v19, v[116:117]
	v_and_b32_e32 v19, 3, v86
.LBB4_12175:                            ;   in Loop: Header=BB4_11564 Depth=3
	s_or_b32 exec_lo, exec_lo, s74
	v_bfe_i32 v21, v116, 0, 16
                                        ; implicit-def: $vgpr116
	s_delay_alu instid0(VALU_DEP_1) | instskip(NEXT) | instid1(VALU_DEP_1)
	v_and_b32_e32 v21, 0x80000000, v21
	v_lshl_add_u32 v5, v5, 23, v21
	s_delay_alu instid0(VALU_DEP_1) | instskip(NEXT) | instid1(VALU_DEP_1)
	v_lshl_or_b32 v5, v19, 21, v5
                                        ; implicit-def: $vgpr19
	v_add_nc_u32_e32 v5, 0x38000000, v5
.LBB4_12176:                            ;   in Loop: Header=BB4_11564 Depth=3
	s_and_not1_saveexec_b32 s15, s15
; %bb.12177:                            ;   in Loop: Header=BB4_11564 Depth=3
	v_cmp_lt_i16_e32 vcc_lo, -1, v116
	v_cndmask_b32_e32 v5, 0xff800000, v48, vcc_lo
	v_cmp_eq_u32_e32 vcc_lo, 0, v19
	s_delay_alu instid0(VALU_DEP_2)
	v_cndmask_b32_e32 v5, 0x7f800001, v5, vcc_lo
; %bb.12178:                            ;   in Loop: Header=BB4_11564 Depth=3
	s_or_b32 exec_lo, exec_lo, s15
.LBB4_12179:                            ;   in Loop: Header=BB4_11564 Depth=3
	s_delay_alu instid0(SALU_CYCLE_1)
	s_or_b32 exec_lo, exec_lo, s14
.LBB4_12180:                            ;   in Loop: Header=BB4_11564 Depth=3
	s_delay_alu instid0(SALU_CYCLE_1) | instskip(NEXT) | instid1(VALU_DEP_1)
	s_or_b32 exec_lo, exec_lo, s13
	v_dual_add_f32 v17, v17, v5 :: v_dual_mov_b32 v87, v3
	v_mov_b32_e32 v117, v3
                                        ; implicit-def: $vgpr67
	s_mov_b32 s13, exec_lo
	s_delay_alu instid0(VALU_DEP_2) | instskip(SKIP_1) | instid1(VALU_DEP_2)
	v_and_b32_e32 v86, 0x7f800000, v17
	v_and_b32_e32 v116, 0x7fffff, v17
	v_cmpx_ne_u64_e32 0x7f800000, v[86:87]
	s_xor_b32 s14, exec_lo, s13
	s_cbranch_execz .LBB4_12198
; %bb.12181:                            ;   in Loop: Header=BB4_11564 Depth=3
	v_dual_mov_b32 v87, v3 :: v_dual_lshrrev_b32 v5, 24, v17
	v_and_b32_e32 v86, 0x7fffffff, v17
                                        ; implicit-def: $vgpr67
	s_mov_b32 s13, exec_lo
	s_delay_alu instid0(VALU_DEP_2) | instskip(NEXT) | instid1(VALU_DEP_2)
	v_and_b32_e32 v5, 0x80, v5
	v_cmpx_gt_u64_e32 0x47600001, v[86:87]
	s_xor_b32 s15, exec_lo, s13
	s_cbranch_execz .LBB4_12195
; %bb.12182:                            ;   in Loop: Header=BB4_11564 Depth=3
	v_mov_b32_e32 v67, 0
	s_mov_b32 s74, exec_lo
	v_cmpx_ne_u32_e32 0, v17
	s_cbranch_execz .LBB4_12194
; %bb.12183:                            ;   in Loop: Header=BB4_11564 Depth=3
	v_bfe_u32 v17, v17, 23, 8
	v_or_b32_e32 v21, 0x800000, v116
	s_mov_b32 s75, exec_lo
	s_delay_alu instid0(VALU_DEP_2) | instskip(SKIP_1) | instid1(VALU_DEP_3)
	v_cmp_eq_u32_e32 vcc_lo, 0, v17
	v_cmp_gt_u32_e64 s13, 0x72, v17
	v_dual_cndmask_b32 v116, v21, v116 :: v_dual_sub_nc_u32 v19, 0x71, v17
	s_delay_alu instid0(VALU_DEP_1) | instskip(NEXT) | instid1(VALU_DEP_1)
	v_cndmask_b32_e64 v19, 0, v19, s13
	v_cndmask_b32_e64 v19, v19, 0x70, vcc_lo
	s_delay_alu instid0(VALU_DEP_1) | instskip(NEXT) | instid1(VALU_DEP_1)
	v_add_nc_u32_e32 v21, 21, v19
	v_lshlrev_b64_e64 v[86:87], v21, -1
	v_add_nc_u32_e32 v21, 20, v19
	s_delay_alu instid0(VALU_DEP_1) | instskip(NEXT) | instid1(VALU_DEP_3)
	v_lshlrev_b64_e64 v[96:97], v21, 1
	v_bfi_b32 v86, v86, 0, v116
	v_lshrrev_b64 v[116:117], v19, v[116:117]
	v_bfi_b32 v87, v87, 0, 0
	s_delay_alu instid0(VALU_DEP_2) | instskip(NEXT) | instid1(VALU_DEP_2)
	v_mov_b64_e32 v[40:41], v[116:117]
	v_cmpx_eq_u64_e64 v[86:87], v[96:97]
; %bb.12184:                            ;   in Loop: Header=BB4_11564 Depth=3
	v_bfe_u32 v86, v116, 21, 1
	v_mov_b32_e32 v87, v3
	s_delay_alu instid0(VALU_DEP_1) | instskip(NEXT) | instid1(VALU_DEP_1)
	v_add_nc_u64_e32 v[86:87], v[116:117], v[86:87]
	v_add_nc_u64_e32 v[40:41], -1, v[86:87]
; %bb.12185:                            ;   in Loop: Header=BB4_11564 Depth=3
	s_or_b32 exec_lo, exec_lo, s75
	v_add_nc_u32_e32 v17, 0xffffff81, v17
	v_lshrrev_b32_e32 v21, 23, v116
	s_mov_b32 s13, exec_lo
	v_mov_b32_e32 v117, v3
	s_delay_alu instid0(VALU_DEP_3) | instskip(NEXT) | instid1(VALU_DEP_1)
	v_cndmask_b32_e64 v17, v17, 0xffffff82, vcc_lo
	v_add3_u32 v21, v19, v17, v21
	v_and_b32_e32 v17, 0x1fffff, v40
	s_delay_alu instid0(VALU_DEP_1) | instskip(NEXT) | instid1(VALU_DEP_1)
	v_dual_add_nc_u32 v19, 14, v21 :: v_dual_add_nc_u32 v116, v17, v116
                                        ; implicit-def: $vgpr17
	v_cmpx_ne_u32_e32 0, v19
	s_xor_b32 s13, exec_lo, s13
; %bb.12186:                            ;   in Loop: Header=BB4_11564 Depth=3
	s_delay_alu instid0(VALU_DEP_2) | instskip(SKIP_1) | instid1(VALU_DEP_1)
	v_cmp_lt_u64_e32 vcc_lo, 0xffffff, v[116:117]
	v_add_nc_u32_e32 v17, 15, v21
	v_cndmask_b32_e32 v17, v19, v17, vcc_lo
	v_cndmask_b32_e64 v19, 0, 1, vcc_lo
	s_delay_alu instid0(VALU_DEP_1)
	v_lshrrev_b64 v[116:117], v19, v[116:117]
; %bb.12187:                            ;   in Loop: Header=BB4_11564 Depth=3
	s_and_not1_saveexec_b32 s13, s13
; %bb.12188:                            ;   in Loop: Header=BB4_11564 Depth=3
	s_delay_alu instid0(VALU_DEP_1)
	v_bfe_u32 v17, v116, 23, 1
; %bb.12189:                            ;   in Loop: Header=BB4_11564 Depth=3
	s_or_b32 exec_lo, exec_lo, s13
	s_delay_alu instid0(VALU_DEP_2) | instskip(NEXT) | instid1(VALU_DEP_2)
	v_lshrrev_b64 v[86:87], 21, v[116:117]
	v_cmp_gt_i32_e32 vcc_lo, 32, v17
	v_cmp_ne_u32_e64 s13, 0, v17
                                        ; implicit-def: $vgpr67
	s_delay_alu instid0(VALU_DEP_3) | instskip(NEXT) | instid1(VALU_DEP_1)
	v_dual_cndmask_b32 v117, 0, v87 :: v_dual_cndmask_b32 v116, 3, v86
	v_cmp_ne_u64_e32 vcc_lo, 0, v[116:117]
	s_or_b32 s13, s13, vcc_lo
	s_delay_alu instid0(SALU_CYCLE_1) | instskip(NEXT) | instid1(SALU_CYCLE_1)
	s_and_saveexec_b32 s75, s13
	s_xor_b32 s13, exec_lo, s75
; %bb.12190:                            ;   in Loop: Header=BB4_11564 Depth=3
	v_min_i32_e32 v17, 31, v17
	s_delay_alu instid0(VALU_DEP_1) | instskip(NEXT) | instid1(VALU_DEP_1)
	v_lshl_or_b32 v5, v17, 2, v5
	v_and_or_b32 v67, v116, 3, v5
                                        ; implicit-def: $vgpr5
; %bb.12191:                            ;   in Loop: Header=BB4_11564 Depth=3
	s_and_not1_saveexec_b32 s13, s13
; %bb.12192:                            ;   in Loop: Header=BB4_11564 Depth=3
	v_mov_b32_e32 v67, v5
; %bb.12193:                            ;   in Loop: Header=BB4_11564 Depth=3
	s_or_b32 exec_lo, exec_lo, s13
.LBB4_12194:                            ;   in Loop: Header=BB4_11564 Depth=3
	s_delay_alu instid0(SALU_CYCLE_1)
	s_or_b32 exec_lo, exec_lo, s74
                                        ; implicit-def: $vgpr5
.LBB4_12195:                            ;   in Loop: Header=BB4_11564 Depth=3
	s_and_not1_saveexec_b32 s13, s15
; %bb.12196:                            ;   in Loop: Header=BB4_11564 Depth=3
	v_or_b32_e32 v67, 0x7b, v5
; %bb.12197:                            ;   in Loop: Header=BB4_11564 Depth=3
	s_or_b32 exec_lo, exec_lo, s13
                                        ; implicit-def: $vgpr17
                                        ; implicit-def: $vgpr116_vgpr117
.LBB4_12198:                            ;   in Loop: Header=BB4_11564 Depth=3
	s_and_not1_saveexec_b32 s13, s14
	s_cbranch_execz .LBB4_12204
; %bb.12199:                            ;   in Loop: Header=BB4_11564 Depth=3
	s_mov_b32 s14, exec_lo
                                        ; implicit-def: $vgpr67
	v_cmpx_ne_u64_e32 0, v[116:117]
	s_xor_b32 s14, exec_lo, s14
; %bb.12200:                            ;   in Loop: Header=BB4_11564 Depth=3
	v_lshrrev_b32_e32 v5, 24, v17
                                        ; implicit-def: $vgpr17
	s_delay_alu instid0(VALU_DEP_1)
	v_or_b32_e32 v67, 0x7f, v5
; %bb.12201:                            ;   in Loop: Header=BB4_11564 Depth=3
	s_and_not1_saveexec_b32 s14, s14
; %bb.12202:                            ;   in Loop: Header=BB4_11564 Depth=3
	v_cmp_lt_i32_e32 vcc_lo, -1, v17
	v_cndmask_b32_e64 v67, -4, 0x7c, vcc_lo
; %bb.12203:                            ;   in Loop: Header=BB4_11564 Depth=3
	s_or_b32 exec_lo, exec_lo, s14
.LBB4_12204:                            ;   in Loop: Header=BB4_11564 Depth=3
	s_delay_alu instid0(SALU_CYCLE_1) | instskip(SKIP_3) | instid1(VALU_DEP_2)
	s_or_b32 exec_lo, exec_lo, s13
	v_and_b32_e32 v21, 0xff, v108
	v_dual_mov_b32 v5, 0 :: v_dual_mov_b32 v17, 0
	s_mov_b32 s14, exec_lo
	v_cmpx_ne_u16_e32 0, v21
	s_cbranch_execz .LBB4_12214
; %bb.12205:                            ;   in Loop: Header=BB4_11564 Depth=3
	v_bfrev_b32_e32 v17, 1
	s_mov_b32 s15, exec_lo
	v_cmpx_ne_u16_e32 0x80, v21
	s_cbranch_execz .LBB4_12213
; %bb.12206:                            ;   in Loop: Header=BB4_11564 Depth=3
	v_and_b32_e32 v17, 0x7c, v108
	v_and_b32_e32 v19, 3, v108
	s_delay_alu instid0(VALU_DEP_2) | instskip(SKIP_1) | instid1(SALU_CYCLE_1)
	v_cmp_ne_u32_e32 vcc_lo, 0x7c, v17
                                        ; implicit-def: $vgpr17
	s_and_saveexec_b32 s13, vcc_lo
	s_xor_b32 s13, exec_lo, s13
	s_cbranch_execz .LBB4_12210
; %bb.12207:                            ;   in Loop: Header=BB4_11564 Depth=3
	v_bfe_u32 v17, v21, 2, 5
	s_mov_b32 s74, exec_lo
	s_delay_alu instid0(VALU_DEP_1)
	v_cmpx_eq_u32_e32 0, v17
	s_cbranch_execz .LBB4_12209
; %bb.12208:                            ;   in Loop: Header=BB4_11564 Depth=3
	v_clz_i32_u32_e32 v17, v19
	s_delay_alu instid0(VALU_DEP_1) | instskip(SKIP_1) | instid1(VALU_DEP_2)
	v_min_u32_e32 v17, 32, v17
	v_mov_b32_e32 v109, v3
	v_subrev_nc_u32_e32 v19, 29, v17
	v_sub_nc_u32_e32 v17, 30, v17
	s_delay_alu instid0(VALU_DEP_2) | instskip(NEXT) | instid1(VALU_DEP_1)
	v_lshlrev_b64_e32 v[86:87], v19, v[108:109]
	v_and_b32_e32 v19, 3, v86
.LBB4_12209:                            ;   in Loop: Header=BB4_11564 Depth=3
	s_or_b32 exec_lo, exec_lo, s74
	v_lshlrev_b32_e32 v21, 24, v108
                                        ; implicit-def: $vgpr108
	s_delay_alu instid0(VALU_DEP_1) | instskip(NEXT) | instid1(VALU_DEP_1)
	v_and_b32_e32 v21, 0x80000000, v21
	v_lshl_add_u32 v17, v17, 23, v21
	s_delay_alu instid0(VALU_DEP_1) | instskip(NEXT) | instid1(VALU_DEP_1)
	v_lshl_or_b32 v17, v19, 21, v17
                                        ; implicit-def: $vgpr19
	v_add_nc_u32_e32 v17, 0x38000000, v17
.LBB4_12210:                            ;   in Loop: Header=BB4_11564 Depth=3
	s_and_not1_saveexec_b32 s74, s13
; %bb.12211:                            ;   in Loop: Header=BB4_11564 Depth=3
	v_bfe_i32 v17, v108, 0, 8
	v_cmp_eq_u32_e32 vcc_lo, 0, v19
	s_delay_alu instid0(VALU_DEP_2) | instskip(NEXT) | instid1(VALU_DEP_1)
	v_cmp_lt_i16_e64 s13, -1, v17
	v_cndmask_b32_e64 v17, 0xff800000, v48, s13
	s_delay_alu instid0(VALU_DEP_1)
	v_cndmask_b32_e32 v17, 0x7f800001, v17, vcc_lo
; %bb.12212:                            ;   in Loop: Header=BB4_11564 Depth=3
	s_or_b32 exec_lo, exec_lo, s74
.LBB4_12213:                            ;   in Loop: Header=BB4_11564 Depth=3
	s_delay_alu instid0(SALU_CYCLE_1)
	s_or_b32 exec_lo, exec_lo, s15
.LBB4_12214:                            ;   in Loop: Header=BB4_11564 Depth=3
	s_delay_alu instid0(SALU_CYCLE_1) | instskip(NEXT) | instid1(SALU_CYCLE_1)
	s_or_b32 exec_lo, exec_lo, s14
	s_mov_b32 s13, exec_lo
	s_wait_loadcnt_dscnt 0xd0d
	v_cmpx_ne_u16_e32 0, v100
	s_cbranch_execz .LBB4_12224
; %bb.12215:                            ;   in Loop: Header=BB4_11564 Depth=3
	v_bfrev_b32_e32 v5, 1
	s_mov_b32 s14, exec_lo
	v_cmpx_ne_u16_e32 0xff80, v100
	s_cbranch_execz .LBB4_12223
; %bb.12216:                            ;   in Loop: Header=BB4_11564 Depth=3
	v_and_b32_e32 v5, 0x7c, v100
	v_and_b32_e32 v19, 3, v100
	s_delay_alu instid0(VALU_DEP_2) | instskip(SKIP_1) | instid1(SALU_CYCLE_1)
	v_cmp_ne_u32_e32 vcc_lo, 0x7c, v5
                                        ; implicit-def: $vgpr5
	s_and_saveexec_b32 s15, vcc_lo
	s_xor_b32 s15, exec_lo, s15
	s_cbranch_execz .LBB4_12220
; %bb.12217:                            ;   in Loop: Header=BB4_11564 Depth=3
	v_and_b32_e32 v5, 0xff, v100
	s_mov_b32 s74, exec_lo
	s_delay_alu instid0(VALU_DEP_1) | instskip(NEXT) | instid1(VALU_DEP_1)
	v_bfe_u32 v5, v5, 2, 5
	v_cmpx_eq_u32_e32 0, v5
	s_cbranch_execz .LBB4_12219
; %bb.12218:                            ;   in Loop: Header=BB4_11564 Depth=3
	v_clz_i32_u32_e32 v5, v19
	s_delay_alu instid0(VALU_DEP_1) | instskip(SKIP_1) | instid1(VALU_DEP_2)
	v_min_u32_e32 v5, 32, v5
	v_mov_b32_e32 v101, v3
	v_subrev_nc_u32_e32 v19, 29, v5
	v_sub_nc_u32_e32 v5, 30, v5
	s_delay_alu instid0(VALU_DEP_2) | instskip(NEXT) | instid1(VALU_DEP_1)
	v_lshlrev_b64_e32 v[86:87], v19, v[100:101]
	v_and_b32_e32 v19, 3, v86
.LBB4_12219:                            ;   in Loop: Header=BB4_11564 Depth=3
	s_or_b32 exec_lo, exec_lo, s74
	v_bfe_i32 v21, v100, 0, 16
                                        ; implicit-def: $vgpr100
	s_delay_alu instid0(VALU_DEP_1) | instskip(NEXT) | instid1(VALU_DEP_1)
	v_and_b32_e32 v21, 0x80000000, v21
	v_lshl_add_u32 v5, v5, 23, v21
	s_delay_alu instid0(VALU_DEP_1) | instskip(NEXT) | instid1(VALU_DEP_1)
	v_lshl_or_b32 v5, v19, 21, v5
                                        ; implicit-def: $vgpr19
	v_add_nc_u32_e32 v5, 0x38000000, v5
.LBB4_12220:                            ;   in Loop: Header=BB4_11564 Depth=3
	s_and_not1_saveexec_b32 s15, s15
; %bb.12221:                            ;   in Loop: Header=BB4_11564 Depth=3
	v_cmp_lt_i16_e32 vcc_lo, -1, v100
	v_cndmask_b32_e32 v5, 0xff800000, v48, vcc_lo
	v_cmp_eq_u32_e32 vcc_lo, 0, v19
	s_delay_alu instid0(VALU_DEP_2)
	v_cndmask_b32_e32 v5, 0x7f800001, v5, vcc_lo
; %bb.12222:                            ;   in Loop: Header=BB4_11564 Depth=3
	s_or_b32 exec_lo, exec_lo, s15
.LBB4_12223:                            ;   in Loop: Header=BB4_11564 Depth=3
	s_delay_alu instid0(SALU_CYCLE_1)
	s_or_b32 exec_lo, exec_lo, s14
.LBB4_12224:                            ;   in Loop: Header=BB4_11564 Depth=3
	s_delay_alu instid0(SALU_CYCLE_1) | instskip(NEXT) | instid1(VALU_DEP_1)
	s_or_b32 exec_lo, exec_lo, s13
	v_dual_add_f32 v17, v17, v5 :: v_dual_mov_b32 v87, v3
	v_mov_b32_e32 v101, v3
                                        ; implicit-def: $vgpr116
	s_mov_b32 s13, exec_lo
	s_delay_alu instid0(VALU_DEP_2) | instskip(SKIP_1) | instid1(VALU_DEP_2)
	v_and_b32_e32 v86, 0x7f800000, v17
	v_and_b32_e32 v100, 0x7fffff, v17
	v_cmpx_ne_u64_e32 0x7f800000, v[86:87]
	s_xor_b32 s14, exec_lo, s13
	s_cbranch_execz .LBB4_12242
; %bb.12225:                            ;   in Loop: Header=BB4_11564 Depth=3
	v_dual_mov_b32 v87, v3 :: v_dual_lshrrev_b32 v5, 24, v17
	v_and_b32_e32 v86, 0x7fffffff, v17
                                        ; implicit-def: $vgpr116
	s_mov_b32 s13, exec_lo
	s_delay_alu instid0(VALU_DEP_2) | instskip(NEXT) | instid1(VALU_DEP_2)
	v_and_b32_e32 v5, 0x80, v5
	v_cmpx_gt_u64_e32 0x47600001, v[86:87]
	s_xor_b32 s15, exec_lo, s13
	s_cbranch_execz .LBB4_12239
; %bb.12226:                            ;   in Loop: Header=BB4_11564 Depth=3
	v_mov_b32_e32 v116, 0
	s_mov_b32 s74, exec_lo
	v_cmpx_ne_u32_e32 0, v17
	s_cbranch_execz .LBB4_12238
; %bb.12227:                            ;   in Loop: Header=BB4_11564 Depth=3
	v_bfe_u32 v17, v17, 23, 8
	v_or_b32_e32 v21, 0x800000, v100
	s_mov_b32 s75, exec_lo
	s_delay_alu instid0(VALU_DEP_2) | instskip(SKIP_1) | instid1(VALU_DEP_3)
	v_cmp_eq_u32_e32 vcc_lo, 0, v17
	v_cmp_gt_u32_e64 s13, 0x72, v17
	v_dual_cndmask_b32 v100, v21, v100 :: v_dual_sub_nc_u32 v19, 0x71, v17
	s_delay_alu instid0(VALU_DEP_1) | instskip(NEXT) | instid1(VALU_DEP_1)
	v_cndmask_b32_e64 v19, 0, v19, s13
	v_cndmask_b32_e64 v19, v19, 0x70, vcc_lo
	s_delay_alu instid0(VALU_DEP_1) | instskip(NEXT) | instid1(VALU_DEP_1)
	v_add_nc_u32_e32 v21, 21, v19
	v_lshlrev_b64_e64 v[86:87], v21, -1
	v_add_nc_u32_e32 v21, 20, v19
	s_delay_alu instid0(VALU_DEP_1) | instskip(NEXT) | instid1(VALU_DEP_3)
	v_lshlrev_b64_e64 v[96:97], v21, 1
	v_bfi_b32 v86, v86, 0, v100
	v_lshrrev_b64 v[100:101], v19, v[100:101]
	v_bfi_b32 v87, v87, 0, 0
	s_delay_alu instid0(VALU_DEP_2) | instskip(NEXT) | instid1(VALU_DEP_2)
	v_mov_b64_e32 v[116:117], v[100:101]
	v_cmpx_eq_u64_e64 v[86:87], v[96:97]
; %bb.12228:                            ;   in Loop: Header=BB4_11564 Depth=3
	v_bfe_u32 v86, v100, 21, 1
	v_mov_b32_e32 v87, v3
	s_delay_alu instid0(VALU_DEP_1) | instskip(NEXT) | instid1(VALU_DEP_1)
	v_add_nc_u64_e32 v[86:87], v[100:101], v[86:87]
	v_add_nc_u64_e32 v[116:117], -1, v[86:87]
; %bb.12229:                            ;   in Loop: Header=BB4_11564 Depth=3
	s_or_b32 exec_lo, exec_lo, s75
	v_add_nc_u32_e32 v17, 0xffffff81, v17
	v_lshrrev_b32_e32 v21, 23, v100
	s_mov_b32 s13, exec_lo
	v_mov_b32_e32 v101, v3
	s_delay_alu instid0(VALU_DEP_3) | instskip(NEXT) | instid1(VALU_DEP_1)
	v_cndmask_b32_e64 v17, v17, 0xffffff82, vcc_lo
	v_add3_u32 v21, v19, v17, v21
	v_and_b32_e32 v17, 0x1fffff, v116
	s_delay_alu instid0(VALU_DEP_1) | instskip(NEXT) | instid1(VALU_DEP_1)
	v_dual_add_nc_u32 v19, 14, v21 :: v_dual_add_nc_u32 v100, v17, v100
                                        ; implicit-def: $vgpr17
	v_cmpx_ne_u32_e32 0, v19
	s_xor_b32 s13, exec_lo, s13
; %bb.12230:                            ;   in Loop: Header=BB4_11564 Depth=3
	s_delay_alu instid0(VALU_DEP_2) | instskip(SKIP_1) | instid1(VALU_DEP_1)
	v_cmp_lt_u64_e32 vcc_lo, 0xffffff, v[100:101]
	v_add_nc_u32_e32 v17, 15, v21
	v_cndmask_b32_e32 v17, v19, v17, vcc_lo
	v_cndmask_b32_e64 v19, 0, 1, vcc_lo
	s_delay_alu instid0(VALU_DEP_1)
	v_lshrrev_b64 v[100:101], v19, v[100:101]
; %bb.12231:                            ;   in Loop: Header=BB4_11564 Depth=3
	s_and_not1_saveexec_b32 s13, s13
; %bb.12232:                            ;   in Loop: Header=BB4_11564 Depth=3
	s_delay_alu instid0(VALU_DEP_1)
	v_bfe_u32 v17, v100, 23, 1
; %bb.12233:                            ;   in Loop: Header=BB4_11564 Depth=3
	s_or_b32 exec_lo, exec_lo, s13
	s_delay_alu instid0(VALU_DEP_2) | instskip(NEXT) | instid1(VALU_DEP_2)
	v_lshrrev_b64 v[86:87], 21, v[100:101]
	v_cmp_gt_i32_e32 vcc_lo, 32, v17
	v_cmp_ne_u32_e64 s13, 0, v17
                                        ; implicit-def: $vgpr116
	s_delay_alu instid0(VALU_DEP_3) | instskip(NEXT) | instid1(VALU_DEP_1)
	v_dual_cndmask_b32 v101, 0, v87 :: v_dual_cndmask_b32 v100, 3, v86
	v_cmp_ne_u64_e32 vcc_lo, 0, v[100:101]
	s_or_b32 s13, s13, vcc_lo
	s_delay_alu instid0(SALU_CYCLE_1) | instskip(NEXT) | instid1(SALU_CYCLE_1)
	s_and_saveexec_b32 s75, s13
	s_xor_b32 s13, exec_lo, s75
; %bb.12234:                            ;   in Loop: Header=BB4_11564 Depth=3
	v_min_i32_e32 v17, 31, v17
	s_delay_alu instid0(VALU_DEP_1) | instskip(NEXT) | instid1(VALU_DEP_1)
	v_lshl_or_b32 v5, v17, 2, v5
	v_and_or_b32 v116, v100, 3, v5
                                        ; implicit-def: $vgpr5
; %bb.12235:                            ;   in Loop: Header=BB4_11564 Depth=3
	s_and_not1_saveexec_b32 s13, s13
; %bb.12236:                            ;   in Loop: Header=BB4_11564 Depth=3
	v_mov_b32_e32 v116, v5
; %bb.12237:                            ;   in Loop: Header=BB4_11564 Depth=3
	s_or_b32 exec_lo, exec_lo, s13
.LBB4_12238:                            ;   in Loop: Header=BB4_11564 Depth=3
	s_delay_alu instid0(SALU_CYCLE_1)
	s_or_b32 exec_lo, exec_lo, s74
                                        ; implicit-def: $vgpr5
.LBB4_12239:                            ;   in Loop: Header=BB4_11564 Depth=3
	s_and_not1_saveexec_b32 s13, s15
; %bb.12240:                            ;   in Loop: Header=BB4_11564 Depth=3
	v_or_b32_e32 v116, 0x7b, v5
; %bb.12241:                            ;   in Loop: Header=BB4_11564 Depth=3
	s_or_b32 exec_lo, exec_lo, s13
                                        ; implicit-def: $vgpr17
                                        ; implicit-def: $vgpr100_vgpr101
.LBB4_12242:                            ;   in Loop: Header=BB4_11564 Depth=3
	s_and_not1_saveexec_b32 s13, s14
	s_cbranch_execz .LBB4_12248
; %bb.12243:                            ;   in Loop: Header=BB4_11564 Depth=3
	s_mov_b32 s14, exec_lo
                                        ; implicit-def: $vgpr116
	v_cmpx_ne_u64_e32 0, v[100:101]
	s_xor_b32 s14, exec_lo, s14
; %bb.12244:                            ;   in Loop: Header=BB4_11564 Depth=3
	v_lshrrev_b32_e32 v5, 24, v17
                                        ; implicit-def: $vgpr17
	s_delay_alu instid0(VALU_DEP_1)
	v_or_b32_e32 v116, 0x7f, v5
; %bb.12245:                            ;   in Loop: Header=BB4_11564 Depth=3
	s_and_not1_saveexec_b32 s14, s14
; %bb.12246:                            ;   in Loop: Header=BB4_11564 Depth=3
	v_cmp_lt_i32_e32 vcc_lo, -1, v17
	v_cndmask_b32_e64 v116, -4, 0x7c, vcc_lo
; %bb.12247:                            ;   in Loop: Header=BB4_11564 Depth=3
	s_or_b32 exec_lo, exec_lo, s14
.LBB4_12248:                            ;   in Loop: Header=BB4_11564 Depth=3
	s_delay_alu instid0(SALU_CYCLE_1) | instskip(SKIP_3) | instid1(VALU_DEP_2)
	s_or_b32 exec_lo, exec_lo, s13
	v_and_b32_e32 v21, 0xff, v104
	v_dual_mov_b32 v5, 0 :: v_dual_mov_b32 v17, 0
	s_mov_b32 s13, exec_lo
	v_cmpx_ne_u16_e32 0, v21
	s_cbranch_execz .LBB4_12258
; %bb.12249:                            ;   in Loop: Header=BB4_11564 Depth=3
	v_bfrev_b32_e32 v17, 1
	s_mov_b32 s14, exec_lo
	v_cmpx_ne_u16_e32 0x80, v21
	s_cbranch_execz .LBB4_12257
; %bb.12250:                            ;   in Loop: Header=BB4_11564 Depth=3
	v_and_b32_e32 v17, 0x7c, v104
	v_and_b32_e32 v19, 3, v104
	s_delay_alu instid0(VALU_DEP_2) | instskip(SKIP_1) | instid1(SALU_CYCLE_1)
	v_cmp_ne_u32_e32 vcc_lo, 0x7c, v17
                                        ; implicit-def: $vgpr17
	s_and_saveexec_b32 s15, vcc_lo
	s_xor_b32 s15, exec_lo, s15
	s_cbranch_execz .LBB4_12254
; %bb.12251:                            ;   in Loop: Header=BB4_11564 Depth=3
	v_bfe_u32 v17, v21, 2, 5
	s_mov_b32 s74, exec_lo
	s_delay_alu instid0(VALU_DEP_1)
	v_cmpx_eq_u32_e32 0, v17
	s_cbranch_execz .LBB4_12253
; %bb.12252:                            ;   in Loop: Header=BB4_11564 Depth=3
	v_clz_i32_u32_e32 v17, v19
	s_delay_alu instid0(VALU_DEP_1) | instskip(SKIP_1) | instid1(VALU_DEP_2)
	v_min_u32_e32 v17, 32, v17
	v_mov_b32_e32 v105, v3
	v_subrev_nc_u32_e32 v19, 29, v17
	v_sub_nc_u32_e32 v17, 30, v17
	s_delay_alu instid0(VALU_DEP_2) | instskip(NEXT) | instid1(VALU_DEP_1)
	v_lshlrev_b64_e32 v[86:87], v19, v[104:105]
	v_and_b32_e32 v19, 3, v86
.LBB4_12253:                            ;   in Loop: Header=BB4_11564 Depth=3
	s_or_b32 exec_lo, exec_lo, s74
	v_lshlrev_b32_e32 v21, 24, v104
                                        ; implicit-def: $vgpr104
	s_delay_alu instid0(VALU_DEP_1) | instskip(NEXT) | instid1(VALU_DEP_1)
	v_and_b32_e32 v21, 0x80000000, v21
	v_lshl_add_u32 v17, v17, 23, v21
	s_delay_alu instid0(VALU_DEP_1) | instskip(NEXT) | instid1(VALU_DEP_1)
	v_lshl_or_b32 v17, v19, 21, v17
                                        ; implicit-def: $vgpr19
	v_add_nc_u32_e32 v17, 0x38000000, v17
.LBB4_12254:                            ;   in Loop: Header=BB4_11564 Depth=3
	s_and_not1_saveexec_b32 s15, s15
; %bb.12255:                            ;   in Loop: Header=BB4_11564 Depth=3
	v_bfe_i32 v17, v104, 0, 8
	s_delay_alu instid0(VALU_DEP_1) | instskip(SKIP_2) | instid1(VALU_DEP_2)
	v_cmp_lt_i16_e32 vcc_lo, -1, v17
	v_cndmask_b32_e32 v17, 0xff800000, v48, vcc_lo
	v_cmp_eq_u32_e32 vcc_lo, 0, v19
	v_cndmask_b32_e32 v17, 0x7f800001, v17, vcc_lo
; %bb.12256:                            ;   in Loop: Header=BB4_11564 Depth=3
	s_or_b32 exec_lo, exec_lo, s15
.LBB4_12257:                            ;   in Loop: Header=BB4_11564 Depth=3
	s_delay_alu instid0(SALU_CYCLE_1)
	s_or_b32 exec_lo, exec_lo, s14
.LBB4_12258:                            ;   in Loop: Header=BB4_11564 Depth=3
	s_delay_alu instid0(SALU_CYCLE_1) | instskip(NEXT) | instid1(SALU_CYCLE_1)
	s_or_b32 exec_lo, exec_lo, s13
	s_mov_b32 s13, exec_lo
	s_wait_loadcnt_dscnt 0xc0c
	v_cmpx_ne_u16_e32 0, v50
	s_cbranch_execz .LBB4_12268
; %bb.12259:                            ;   in Loop: Header=BB4_11564 Depth=3
	v_bfrev_b32_e32 v5, 1
	s_mov_b32 s14, exec_lo
	v_cmpx_ne_u16_e32 0xff80, v50
	s_cbranch_execz .LBB4_12267
; %bb.12260:                            ;   in Loop: Header=BB4_11564 Depth=3
	v_and_b32_e32 v5, 0x7c, v50
	v_and_b32_e32 v19, 3, v50
	s_delay_alu instid0(VALU_DEP_2) | instskip(SKIP_1) | instid1(SALU_CYCLE_1)
	v_cmp_ne_u32_e32 vcc_lo, 0x7c, v5
                                        ; implicit-def: $vgpr5
	s_and_saveexec_b32 s15, vcc_lo
	s_xor_b32 s15, exec_lo, s15
	s_cbranch_execz .LBB4_12264
; %bb.12261:                            ;   in Loop: Header=BB4_11564 Depth=3
	v_and_b32_e32 v5, 0xff, v50
	s_mov_b32 s74, exec_lo
	s_delay_alu instid0(VALU_DEP_1) | instskip(NEXT) | instid1(VALU_DEP_1)
	v_bfe_u32 v5, v5, 2, 5
	v_cmpx_eq_u32_e32 0, v5
	s_cbranch_execz .LBB4_12263
; %bb.12262:                            ;   in Loop: Header=BB4_11564 Depth=3
	v_clz_i32_u32_e32 v5, v19
	s_delay_alu instid0(VALU_DEP_1) | instskip(SKIP_1) | instid1(VALU_DEP_2)
	v_min_u32_e32 v5, 32, v5
	v_mov_b32_e32 v51, v3
	v_subrev_nc_u32_e32 v19, 29, v5
	v_sub_nc_u32_e32 v5, 30, v5
	s_delay_alu instid0(VALU_DEP_2) | instskip(NEXT) | instid1(VALU_DEP_1)
	v_lshlrev_b64_e32 v[86:87], v19, v[50:51]
	v_and_b32_e32 v19, 3, v86
.LBB4_12263:                            ;   in Loop: Header=BB4_11564 Depth=3
	s_or_b32 exec_lo, exec_lo, s74
	v_bfe_i32 v21, v50, 0, 16
                                        ; implicit-def: $vgpr50
	s_delay_alu instid0(VALU_DEP_1) | instskip(NEXT) | instid1(VALU_DEP_1)
	v_and_b32_e32 v21, 0x80000000, v21
	v_lshl_add_u32 v5, v5, 23, v21
	s_delay_alu instid0(VALU_DEP_1) | instskip(NEXT) | instid1(VALU_DEP_1)
	v_lshl_or_b32 v5, v19, 21, v5
                                        ; implicit-def: $vgpr19
	v_add_nc_u32_e32 v5, 0x38000000, v5
.LBB4_12264:                            ;   in Loop: Header=BB4_11564 Depth=3
	s_and_not1_saveexec_b32 s15, s15
; %bb.12265:                            ;   in Loop: Header=BB4_11564 Depth=3
	v_cmp_lt_i16_e32 vcc_lo, -1, v50
	v_cndmask_b32_e32 v5, 0xff800000, v48, vcc_lo
	v_cmp_eq_u32_e32 vcc_lo, 0, v19
	s_delay_alu instid0(VALU_DEP_2)
	v_cndmask_b32_e32 v5, 0x7f800001, v5, vcc_lo
; %bb.12266:                            ;   in Loop: Header=BB4_11564 Depth=3
	s_or_b32 exec_lo, exec_lo, s15
.LBB4_12267:                            ;   in Loop: Header=BB4_11564 Depth=3
	s_delay_alu instid0(SALU_CYCLE_1)
	s_or_b32 exec_lo, exec_lo, s14
.LBB4_12268:                            ;   in Loop: Header=BB4_11564 Depth=3
	s_delay_alu instid0(SALU_CYCLE_1) | instskip(NEXT) | instid1(VALU_DEP_1)
	s_or_b32 exec_lo, exec_lo, s13
	v_dual_add_f32 v17, v17, v5 :: v_dual_mov_b32 v51, v3
                                        ; implicit-def: $vgpr100
	s_delay_alu instid0(VALU_DEP_1) | instskip(NEXT) | instid1(VALU_DEP_1)
	v_and_b32_e32 v50, 0x7f800000, v17
	v_cmp_ne_u64_e32 vcc_lo, 0x7f800000, v[50:51]
	v_and_b32_e32 v50, 0x7fffff, v17
	s_and_saveexec_b32 s13, vcc_lo
	s_delay_alu instid0(SALU_CYCLE_1)
	s_xor_b32 s14, exec_lo, s13
	s_cbranch_execz .LBB4_12286
; %bb.12269:                            ;   in Loop: Header=BB4_11564 Depth=3
	v_dual_mov_b32 v87, v3 :: v_dual_lshrrev_b32 v5, 24, v17
	v_and_b32_e32 v86, 0x7fffffff, v17
                                        ; implicit-def: $vgpr100
	s_mov_b32 s13, exec_lo
	s_delay_alu instid0(VALU_DEP_2) | instskip(NEXT) | instid1(VALU_DEP_2)
	v_and_b32_e32 v5, 0x80, v5
	v_cmpx_gt_u64_e32 0x47600001, v[86:87]
	s_xor_b32 s15, exec_lo, s13
	s_cbranch_execz .LBB4_12283
; %bb.12270:                            ;   in Loop: Header=BB4_11564 Depth=3
	v_mov_b32_e32 v100, 0
	s_mov_b32 s74, exec_lo
	v_cmpx_ne_u32_e32 0, v17
	s_cbranch_execz .LBB4_12282
; %bb.12271:                            ;   in Loop: Header=BB4_11564 Depth=3
	v_bfe_u32 v17, v17, 23, 8
	v_or_b32_e32 v21, 0x800000, v50
	s_mov_b32 s75, exec_lo
	s_delay_alu instid0(VALU_DEP_2) | instskip(SKIP_1) | instid1(VALU_DEP_3)
	v_cmp_eq_u32_e32 vcc_lo, 0, v17
	v_cmp_gt_u32_e64 s13, 0x72, v17
	v_dual_cndmask_b32 v50, v21, v50 :: v_dual_sub_nc_u32 v19, 0x71, v17
	s_delay_alu instid0(VALU_DEP_1) | instskip(NEXT) | instid1(VALU_DEP_1)
	v_cndmask_b32_e64 v19, 0, v19, s13
	v_cndmask_b32_e64 v19, v19, 0x70, vcc_lo
	s_delay_alu instid0(VALU_DEP_1) | instskip(NEXT) | instid1(VALU_DEP_1)
	v_add_nc_u32_e32 v21, 21, v19
	v_lshlrev_b64_e64 v[86:87], v21, -1
	v_add_nc_u32_e32 v21, 20, v19
	s_delay_alu instid0(VALU_DEP_1) | instskip(NEXT) | instid1(VALU_DEP_3)
	v_lshlrev_b64_e64 v[96:97], v21, 1
	v_bfi_b32 v86, v86, 0, v50
	v_lshrrev_b64 v[50:51], v19, v[50:51]
	v_bfi_b32 v87, v87, 0, 0
	s_delay_alu instid0(VALU_DEP_2) | instskip(NEXT) | instid1(VALU_DEP_2)
	v_mov_b64_e32 v[100:101], v[50:51]
	v_cmpx_eq_u64_e64 v[86:87], v[96:97]
; %bb.12272:                            ;   in Loop: Header=BB4_11564 Depth=3
	v_bfe_u32 v86, v50, 21, 1
	v_mov_b32_e32 v87, v3
	s_delay_alu instid0(VALU_DEP_1) | instskip(NEXT) | instid1(VALU_DEP_1)
	v_add_nc_u64_e32 v[86:87], v[50:51], v[86:87]
	v_add_nc_u64_e32 v[100:101], -1, v[86:87]
; %bb.12273:                            ;   in Loop: Header=BB4_11564 Depth=3
	s_or_b32 exec_lo, exec_lo, s75
	v_add_nc_u32_e32 v17, 0xffffff81, v17
	v_lshrrev_b32_e32 v21, 23, v50
	s_mov_b32 s13, exec_lo
	v_mov_b32_e32 v51, v3
	s_delay_alu instid0(VALU_DEP_3) | instskip(NEXT) | instid1(VALU_DEP_1)
	v_cndmask_b32_e64 v17, v17, 0xffffff82, vcc_lo
	v_add3_u32 v21, v19, v17, v21
	v_and_b32_e32 v17, 0x1fffff, v100
	s_delay_alu instid0(VALU_DEP_1) | instskip(NEXT) | instid1(VALU_DEP_1)
	v_dual_add_nc_u32 v19, 14, v21 :: v_dual_add_nc_u32 v50, v17, v50
                                        ; implicit-def: $vgpr17
	v_cmpx_ne_u32_e32 0, v19
	s_xor_b32 s13, exec_lo, s13
; %bb.12274:                            ;   in Loop: Header=BB4_11564 Depth=3
	s_delay_alu instid0(VALU_DEP_2) | instskip(SKIP_1) | instid1(VALU_DEP_1)
	v_cmp_lt_u64_e32 vcc_lo, 0xffffff, v[50:51]
	v_add_nc_u32_e32 v17, 15, v21
	v_cndmask_b32_e32 v17, v19, v17, vcc_lo
	v_cndmask_b32_e64 v19, 0, 1, vcc_lo
	s_delay_alu instid0(VALU_DEP_1)
	v_lshrrev_b64 v[50:51], v19, v[50:51]
; %bb.12275:                            ;   in Loop: Header=BB4_11564 Depth=3
	s_and_not1_saveexec_b32 s13, s13
; %bb.12276:                            ;   in Loop: Header=BB4_11564 Depth=3
	s_delay_alu instid0(VALU_DEP_1)
	v_bfe_u32 v17, v50, 23, 1
; %bb.12277:                            ;   in Loop: Header=BB4_11564 Depth=3
	s_or_b32 exec_lo, exec_lo, s13
	s_delay_alu instid0(VALU_DEP_2) | instskip(NEXT) | instid1(VALU_DEP_2)
	v_lshrrev_b64 v[50:51], 21, v[50:51]
	v_cmp_gt_i32_e32 vcc_lo, 32, v17
	v_cmp_ne_u32_e64 s13, 0, v17
                                        ; implicit-def: $vgpr100
	s_delay_alu instid0(VALU_DEP_3) | instskip(NEXT) | instid1(VALU_DEP_1)
	v_dual_cndmask_b32 v51, 0, v51 :: v_dual_cndmask_b32 v50, 3, v50
	v_cmp_ne_u64_e32 vcc_lo, 0, v[50:51]
	s_or_b32 s13, s13, vcc_lo
	s_delay_alu instid0(SALU_CYCLE_1) | instskip(NEXT) | instid1(SALU_CYCLE_1)
	s_and_saveexec_b32 s75, s13
	s_xor_b32 s13, exec_lo, s75
; %bb.12278:                            ;   in Loop: Header=BB4_11564 Depth=3
	v_min_i32_e32 v17, 31, v17
	s_delay_alu instid0(VALU_DEP_1) | instskip(NEXT) | instid1(VALU_DEP_1)
	v_lshl_or_b32 v5, v17, 2, v5
	v_and_or_b32 v100, v50, 3, v5
                                        ; implicit-def: $vgpr5
; %bb.12279:                            ;   in Loop: Header=BB4_11564 Depth=3
	s_and_not1_saveexec_b32 s13, s13
; %bb.12280:                            ;   in Loop: Header=BB4_11564 Depth=3
	v_mov_b32_e32 v100, v5
; %bb.12281:                            ;   in Loop: Header=BB4_11564 Depth=3
	s_or_b32 exec_lo, exec_lo, s13
.LBB4_12282:                            ;   in Loop: Header=BB4_11564 Depth=3
	s_delay_alu instid0(SALU_CYCLE_1)
	s_or_b32 exec_lo, exec_lo, s74
                                        ; implicit-def: $vgpr5
.LBB4_12283:                            ;   in Loop: Header=BB4_11564 Depth=3
	s_and_not1_saveexec_b32 s13, s15
; %bb.12284:                            ;   in Loop: Header=BB4_11564 Depth=3
	v_or_b32_e32 v100, 0x7b, v5
; %bb.12285:                            ;   in Loop: Header=BB4_11564 Depth=3
	s_or_b32 exec_lo, exec_lo, s13
                                        ; implicit-def: $vgpr17
                                        ; implicit-def: $vgpr50_vgpr51
.LBB4_12286:                            ;   in Loop: Header=BB4_11564 Depth=3
	s_and_not1_saveexec_b32 s13, s14
	s_cbranch_execz .LBB4_12292
; %bb.12287:                            ;   in Loop: Header=BB4_11564 Depth=3
	s_mov_b32 s14, exec_lo
                                        ; implicit-def: $vgpr100
	v_cmpx_ne_u64_e32 0, v[50:51]
	s_xor_b32 s14, exec_lo, s14
; %bb.12288:                            ;   in Loop: Header=BB4_11564 Depth=3
	v_lshrrev_b32_e32 v5, 24, v17
                                        ; implicit-def: $vgpr17
	s_delay_alu instid0(VALU_DEP_1)
	v_or_b32_e32 v100, 0x7f, v5
; %bb.12289:                            ;   in Loop: Header=BB4_11564 Depth=3
	s_and_not1_saveexec_b32 s14, s14
; %bb.12290:                            ;   in Loop: Header=BB4_11564 Depth=3
	v_cmp_lt_i32_e32 vcc_lo, -1, v17
	v_cndmask_b32_e64 v100, -4, 0x7c, vcc_lo
; %bb.12291:                            ;   in Loop: Header=BB4_11564 Depth=3
	s_or_b32 exec_lo, exec_lo, s14
.LBB4_12292:                            ;   in Loop: Header=BB4_11564 Depth=3
	s_delay_alu instid0(SALU_CYCLE_1) | instskip(SKIP_3) | instid1(VALU_DEP_2)
	s_or_b32 exec_lo, exec_lo, s13
	v_and_b32_e32 v21, 0xff, v94
	v_dual_mov_b32 v5, 0 :: v_dual_mov_b32 v17, 0
	s_mov_b32 s13, exec_lo
	v_cmpx_ne_u16_e32 0, v21
	s_cbranch_execz .LBB4_12302
; %bb.12293:                            ;   in Loop: Header=BB4_11564 Depth=3
	v_bfrev_b32_e32 v17, 1
	s_mov_b32 s14, exec_lo
	v_cmpx_ne_u16_e32 0x80, v21
	s_cbranch_execz .LBB4_12301
; %bb.12294:                            ;   in Loop: Header=BB4_11564 Depth=3
	v_and_b32_e32 v17, 0x7c, v94
	v_and_b32_e32 v19, 3, v94
	s_delay_alu instid0(VALU_DEP_2) | instskip(SKIP_1) | instid1(SALU_CYCLE_1)
	v_cmp_ne_u32_e32 vcc_lo, 0x7c, v17
                                        ; implicit-def: $vgpr17
	s_and_saveexec_b32 s15, vcc_lo
	s_xor_b32 s15, exec_lo, s15
	s_cbranch_execz .LBB4_12298
; %bb.12295:                            ;   in Loop: Header=BB4_11564 Depth=3
	v_bfe_u32 v17, v21, 2, 5
	s_mov_b32 s74, exec_lo
	s_delay_alu instid0(VALU_DEP_1)
	v_cmpx_eq_u32_e32 0, v17
	s_cbranch_execz .LBB4_12297
; %bb.12296:                            ;   in Loop: Header=BB4_11564 Depth=3
	v_clz_i32_u32_e32 v17, v19
	s_delay_alu instid0(VALU_DEP_1) | instskip(SKIP_1) | instid1(VALU_DEP_2)
	v_min_u32_e32 v17, 32, v17
	v_mov_b32_e32 v95, v3
	v_subrev_nc_u32_e32 v19, 29, v17
	v_sub_nc_u32_e32 v17, 30, v17
	s_delay_alu instid0(VALU_DEP_2) | instskip(NEXT) | instid1(VALU_DEP_1)
	v_lshlrev_b64_e32 v[50:51], v19, v[94:95]
	v_and_b32_e32 v19, 3, v50
.LBB4_12297:                            ;   in Loop: Header=BB4_11564 Depth=3
	s_or_b32 exec_lo, exec_lo, s74
	v_lshlrev_b32_e32 v21, 24, v94
                                        ; implicit-def: $vgpr94
	s_delay_alu instid0(VALU_DEP_1) | instskip(NEXT) | instid1(VALU_DEP_1)
	v_and_b32_e32 v21, 0x80000000, v21
	v_lshl_add_u32 v17, v17, 23, v21
	s_delay_alu instid0(VALU_DEP_1) | instskip(NEXT) | instid1(VALU_DEP_1)
	v_lshl_or_b32 v17, v19, 21, v17
                                        ; implicit-def: $vgpr19
	v_add_nc_u32_e32 v17, 0x38000000, v17
.LBB4_12298:                            ;   in Loop: Header=BB4_11564 Depth=3
	s_and_not1_saveexec_b32 s15, s15
; %bb.12299:                            ;   in Loop: Header=BB4_11564 Depth=3
	v_bfe_i32 v17, v94, 0, 8
	s_delay_alu instid0(VALU_DEP_1) | instskip(SKIP_2) | instid1(VALU_DEP_2)
	v_cmp_lt_i16_e32 vcc_lo, -1, v17
	v_cndmask_b32_e32 v17, 0xff800000, v48, vcc_lo
	v_cmp_eq_u32_e32 vcc_lo, 0, v19
	v_cndmask_b32_e32 v17, 0x7f800001, v17, vcc_lo
; %bb.12300:                            ;   in Loop: Header=BB4_11564 Depth=3
	s_or_b32 exec_lo, exec_lo, s15
.LBB4_12301:                            ;   in Loop: Header=BB4_11564 Depth=3
	s_delay_alu instid0(SALU_CYCLE_1)
	s_or_b32 exec_lo, exec_lo, s14
.LBB4_12302:                            ;   in Loop: Header=BB4_11564 Depth=3
	s_delay_alu instid0(SALU_CYCLE_1) | instskip(NEXT) | instid1(SALU_CYCLE_1)
	s_or_b32 exec_lo, exec_lo, s13
	s_mov_b32 s13, exec_lo
	s_wait_loadcnt_dscnt 0xb0b
	v_cmpx_ne_u16_e32 0, v4
	s_cbranch_execz .LBB4_12312
; %bb.12303:                            ;   in Loop: Header=BB4_11564 Depth=3
	v_bfrev_b32_e32 v5, 1
	s_mov_b32 s14, exec_lo
	v_cmpx_ne_u16_e32 0xff80, v4
	s_cbranch_execz .LBB4_12311
; %bb.12304:                            ;   in Loop: Header=BB4_11564 Depth=3
	v_and_b32_e32 v5, 0x7c, v4
	v_and_b32_e32 v19, 3, v4
	s_delay_alu instid0(VALU_DEP_2) | instskip(SKIP_1) | instid1(SALU_CYCLE_1)
	v_cmp_ne_u32_e32 vcc_lo, 0x7c, v5
                                        ; implicit-def: $vgpr5
	s_and_saveexec_b32 s15, vcc_lo
	s_xor_b32 s15, exec_lo, s15
	s_cbranch_execz .LBB4_12308
; %bb.12305:                            ;   in Loop: Header=BB4_11564 Depth=3
	v_and_b32_e32 v5, 0xff, v4
	s_mov_b32 s74, exec_lo
	s_delay_alu instid0(VALU_DEP_1) | instskip(NEXT) | instid1(VALU_DEP_1)
	v_bfe_u32 v5, v5, 2, 5
	v_cmpx_eq_u32_e32 0, v5
; %bb.12306:                            ;   in Loop: Header=BB4_11564 Depth=3
	v_clz_i32_u32_e32 v5, v19
	s_delay_alu instid0(VALU_DEP_1) | instskip(SKIP_1) | instid1(VALU_DEP_2)
	v_min_u32_e32 v19, 32, v5
	v_mov_b32_e32 v5, v3
	v_subrev_nc_u32_e32 v21, 29, v19
	s_delay_alu instid0(VALU_DEP_1) | instskip(NEXT) | instid1(VALU_DEP_1)
	v_lshlrev_b64_e32 v[50:51], v21, v[4:5]
	v_dual_sub_nc_u32 v5, 30, v19 :: v_dual_bitop2_b32 v19, 3, v50 bitop3:0x40
; %bb.12307:                            ;   in Loop: Header=BB4_11564 Depth=3
	s_or_b32 exec_lo, exec_lo, s74
	v_bfe_i32 v4, v4, 0, 16
	s_delay_alu instid0(VALU_DEP_1) | instskip(NEXT) | instid1(VALU_DEP_1)
	v_and_b32_e32 v4, 0x80000000, v4
	v_lshl_add_u32 v4, v5, 23, v4
	s_delay_alu instid0(VALU_DEP_1) | instskip(NEXT) | instid1(VALU_DEP_1)
	v_lshl_or_b32 v4, v19, 21, v4
                                        ; implicit-def: $vgpr19
	v_add_nc_u32_e32 v5, 0x38000000, v4
                                        ; implicit-def: $vgpr4
.LBB4_12308:                            ;   in Loop: Header=BB4_11564 Depth=3
	s_and_not1_saveexec_b32 s15, s15
; %bb.12309:                            ;   in Loop: Header=BB4_11564 Depth=3
	v_cmp_lt_i16_e32 vcc_lo, -1, v4
	v_cndmask_b32_e32 v4, 0xff800000, v48, vcc_lo
	v_cmp_eq_u32_e32 vcc_lo, 0, v19
	s_delay_alu instid0(VALU_DEP_2)
	v_cndmask_b32_e32 v5, 0x7f800001, v4, vcc_lo
; %bb.12310:                            ;   in Loop: Header=BB4_11564 Depth=3
	s_or_b32 exec_lo, exec_lo, s15
.LBB4_12311:                            ;   in Loop: Header=BB4_11564 Depth=3
	s_delay_alu instid0(SALU_CYCLE_1)
	s_or_b32 exec_lo, exec_lo, s14
.LBB4_12312:                            ;   in Loop: Header=BB4_11564 Depth=3
	s_delay_alu instid0(SALU_CYCLE_1) | instskip(NEXT) | instid1(VALU_DEP_1)
	s_or_b32 exec_lo, exec_lo, s13
	v_dual_add_f32 v19, v17, v5 :: v_dual_mov_b32 v5, v3
                                        ; implicit-def: $vgpr101
	s_delay_alu instid0(VALU_DEP_1) | instskip(NEXT) | instid1(VALU_DEP_1)
	v_and_b32_e32 v4, 0x7f800000, v19
	v_cmp_ne_u64_e32 vcc_lo, 0x7f800000, v[4:5]
	v_and_b32_e32 v4, 0x7fffff, v19
	s_and_saveexec_b32 s13, vcc_lo
	s_delay_alu instid0(SALU_CYCLE_1)
	s_xor_b32 s14, exec_lo, s13
	s_cbranch_execz .LBB4_12330
; %bb.12313:                            ;   in Loop: Header=BB4_11564 Depth=3
	v_dual_mov_b32 v51, v3 :: v_dual_lshrrev_b32 v17, 24, v19
	v_and_b32_e32 v50, 0x7fffffff, v19
                                        ; implicit-def: $vgpr101
	s_mov_b32 s13, exec_lo
	s_delay_alu instid0(VALU_DEP_2) | instskip(NEXT) | instid1(VALU_DEP_2)
	v_and_b32_e32 v17, 0x80, v17
	v_cmpx_gt_u64_e32 0x47600001, v[50:51]
	s_xor_b32 s15, exec_lo, s13
	s_cbranch_execz .LBB4_12327
; %bb.12314:                            ;   in Loop: Header=BB4_11564 Depth=3
	v_mov_b32_e32 v101, 0
	s_mov_b32 s74, exec_lo
	v_cmpx_ne_u32_e32 0, v19
	s_cbranch_execz .LBB4_12326
; %bb.12315:                            ;   in Loop: Header=BB4_11564 Depth=3
	v_bfe_u32 v19, v19, 23, 8
	v_or_b32_e32 v31, 0x800000, v4
	s_delay_alu instid0(VALU_DEP_2) | instskip(SKIP_1) | instid1(VALU_DEP_3)
	v_cmp_eq_u32_e32 vcc_lo, 0, v19
	v_cmp_gt_u32_e64 s13, 0x72, v19
	v_dual_cndmask_b32 v4, v31, v4 :: v_dual_sub_nc_u32 v21, 0x71, v19
	s_delay_alu instid0(VALU_DEP_1) | instskip(NEXT) | instid1(VALU_DEP_1)
	v_cndmask_b32_e64 v21, 0, v21, s13
	v_cndmask_b32_e64 v21, v21, 0x70, vcc_lo
	s_delay_alu instid0(VALU_DEP_1) | instskip(NEXT) | instid1(VALU_DEP_1)
	v_add_nc_u32_e32 v31, 21, v21
	v_lshlrev_b64_e64 v[50:51], v31, -1
	v_add_nc_u32_e32 v31, 20, v21
	s_delay_alu instid0(VALU_DEP_1) | instskip(NEXT) | instid1(VALU_DEP_3)
	v_lshlrev_b64_e64 v[86:87], v31, 1
	v_bfi_b32 v50, v50, 0, v4
	v_lshrrev_b64 v[4:5], v21, v[4:5]
	v_bfi_b32 v51, v51, 0, 0
	s_delay_alu instid0(VALU_DEP_1) | instskip(NEXT) | instid1(VALU_DEP_3)
	v_cmp_eq_u64_e64 s13, v[50:51], v[86:87]
	v_mov_b64_e32 v[50:51], v[4:5]
	s_and_saveexec_b32 s75, s13
; %bb.12316:                            ;   in Loop: Header=BB4_11564 Depth=3
	v_bfe_u32 v50, v4, 21, 1
	v_mov_b32_e32 v51, v3
	s_delay_alu instid0(VALU_DEP_1) | instskip(NEXT) | instid1(VALU_DEP_1)
	v_add_nc_u64_e32 v[50:51], v[4:5], v[50:51]
	v_add_nc_u64_e32 v[50:51], -1, v[50:51]
; %bb.12317:                            ;   in Loop: Header=BB4_11564 Depth=3
	s_or_b32 exec_lo, exec_lo, s75
	v_add_nc_u32_e32 v5, 0xffffff81, v19
	v_lshrrev_b32_e32 v19, 23, v4
	s_mov_b32 s13, exec_lo
	s_delay_alu instid0(VALU_DEP_2) | instskip(NEXT) | instid1(VALU_DEP_1)
	v_cndmask_b32_e64 v5, v5, 0xffffff82, vcc_lo
	v_add3_u32 v21, v21, v5, v19
	v_and_b32_e32 v5, 0x1fffff, v50
                                        ; implicit-def: $vgpr19
	s_delay_alu instid0(VALU_DEP_1) | instskip(SKIP_1) | instid1(VALU_DEP_2)
	v_dual_add_nc_u32 v31, 14, v21 :: v_dual_add_nc_u32 v4, v5, v4
	v_mov_b32_e32 v5, v3
	v_cmpx_ne_u32_e32 0, v31
	s_xor_b32 s13, exec_lo, s13
; %bb.12318:                            ;   in Loop: Header=BB4_11564 Depth=3
	s_delay_alu instid0(VALU_DEP_2) | instskip(SKIP_2) | instid1(VALU_DEP_2)
	v_cmp_lt_u64_e32 vcc_lo, 0xffffff, v[4:5]
	v_add_nc_u32_e32 v19, 15, v21
	v_cndmask_b32_e64 v21, 0, 1, vcc_lo
	v_cndmask_b32_e32 v19, v31, v19, vcc_lo
	s_delay_alu instid0(VALU_DEP_2)
	v_lshrrev_b64 v[4:5], v21, v[4:5]
; %bb.12319:                            ;   in Loop: Header=BB4_11564 Depth=3
	s_and_not1_saveexec_b32 s13, s13
; %bb.12320:                            ;   in Loop: Header=BB4_11564 Depth=3
	s_delay_alu instid0(VALU_DEP_1)
	v_bfe_u32 v19, v4, 23, 1
; %bb.12321:                            ;   in Loop: Header=BB4_11564 Depth=3
	s_or_b32 exec_lo, exec_lo, s13
	s_delay_alu instid0(VALU_DEP_2) | instskip(NEXT) | instid1(VALU_DEP_2)
	v_lshrrev_b64 v[4:5], 21, v[4:5]
	v_cmp_gt_i32_e32 vcc_lo, 32, v19
	v_cmp_ne_u32_e64 s13, 0, v19
                                        ; implicit-def: $vgpr101
	s_delay_alu instid0(VALU_DEP_3) | instskip(NEXT) | instid1(VALU_DEP_1)
	v_dual_cndmask_b32 v5, 0, v5 :: v_dual_cndmask_b32 v4, 3, v4
	v_cmp_ne_u64_e32 vcc_lo, 0, v[4:5]
	s_or_b32 s13, s13, vcc_lo
	s_delay_alu instid0(SALU_CYCLE_1) | instskip(NEXT) | instid1(SALU_CYCLE_1)
	s_and_saveexec_b32 s75, s13
	s_xor_b32 s13, exec_lo, s75
; %bb.12322:                            ;   in Loop: Header=BB4_11564 Depth=3
	v_min_i32_e32 v5, 31, v19
	s_delay_alu instid0(VALU_DEP_1) | instskip(NEXT) | instid1(VALU_DEP_1)
	v_lshl_or_b32 v5, v5, 2, v17
                                        ; implicit-def: $vgpr17
	v_and_or_b32 v101, v4, 3, v5
; %bb.12323:                            ;   in Loop: Header=BB4_11564 Depth=3
	s_and_not1_saveexec_b32 s13, s13
; %bb.12324:                            ;   in Loop: Header=BB4_11564 Depth=3
	v_mov_b32_e32 v101, v17
; %bb.12325:                            ;   in Loop: Header=BB4_11564 Depth=3
	s_or_b32 exec_lo, exec_lo, s13
.LBB4_12326:                            ;   in Loop: Header=BB4_11564 Depth=3
	s_delay_alu instid0(SALU_CYCLE_1)
	s_or_b32 exec_lo, exec_lo, s74
                                        ; implicit-def: $vgpr17
.LBB4_12327:                            ;   in Loop: Header=BB4_11564 Depth=3
	s_and_not1_saveexec_b32 s13, s15
; %bb.12328:                            ;   in Loop: Header=BB4_11564 Depth=3
	v_or_b32_e32 v101, 0x7b, v17
; %bb.12329:                            ;   in Loop: Header=BB4_11564 Depth=3
	s_or_b32 exec_lo, exec_lo, s13
                                        ; implicit-def: $vgpr19
                                        ; implicit-def: $vgpr4_vgpr5
.LBB4_12330:                            ;   in Loop: Header=BB4_11564 Depth=3
	s_and_not1_saveexec_b32 s13, s14
	s_cbranch_execz .LBB4_12336
; %bb.12331:                            ;   in Loop: Header=BB4_11564 Depth=3
	s_mov_b32 s14, exec_lo
                                        ; implicit-def: $vgpr101
	v_cmpx_ne_u64_e32 0, v[4:5]
	s_xor_b32 s14, exec_lo, s14
; %bb.12332:                            ;   in Loop: Header=BB4_11564 Depth=3
	v_lshrrev_b32_e32 v4, 24, v19
                                        ; implicit-def: $vgpr19
	s_delay_alu instid0(VALU_DEP_1)
	v_or_b32_e32 v101, 0x7f, v4
; %bb.12333:                            ;   in Loop: Header=BB4_11564 Depth=3
	s_and_not1_saveexec_b32 s14, s14
; %bb.12334:                            ;   in Loop: Header=BB4_11564 Depth=3
	v_cmp_lt_i32_e32 vcc_lo, -1, v19
	v_cndmask_b32_e64 v101, -4, 0x7c, vcc_lo
; %bb.12335:                            ;   in Loop: Header=BB4_11564 Depth=3
	s_or_b32 exec_lo, exec_lo, s14
.LBB4_12336:                            ;   in Loop: Header=BB4_11564 Depth=3
	s_delay_alu instid0(SALU_CYCLE_1) | instskip(SKIP_3) | instid1(VALU_DEP_2)
	s_or_b32 exec_lo, exec_lo, s13
	v_and_b32_e32 v19, 0xff, v92
	v_dual_mov_b32 v4, 0 :: v_dual_mov_b32 v5, 0
	s_mov_b32 s13, exec_lo
	v_cmpx_ne_u16_e32 0, v19
	s_cbranch_execz .LBB4_12346
; %bb.12337:                            ;   in Loop: Header=BB4_11564 Depth=3
	v_bfrev_b32_e32 v5, 1
	s_mov_b32 s14, exec_lo
	v_cmpx_ne_u16_e32 0x80, v19
	s_cbranch_execz .LBB4_12345
; %bb.12338:                            ;   in Loop: Header=BB4_11564 Depth=3
	v_and_b32_e32 v5, 0x7c, v92
	v_and_b32_e32 v17, 3, v92
	s_delay_alu instid0(VALU_DEP_2) | instskip(SKIP_1) | instid1(SALU_CYCLE_1)
	v_cmp_ne_u32_e32 vcc_lo, 0x7c, v5
                                        ; implicit-def: $vgpr5
	s_and_saveexec_b32 s15, vcc_lo
	s_xor_b32 s15, exec_lo, s15
	s_cbranch_execz .LBB4_12342
; %bb.12339:                            ;   in Loop: Header=BB4_11564 Depth=3
	v_bfe_u32 v5, v19, 2, 5
	s_mov_b32 s74, exec_lo
	s_delay_alu instid0(VALU_DEP_1)
	v_cmpx_eq_u32_e32 0, v5
	s_cbranch_execz .LBB4_12341
; %bb.12340:                            ;   in Loop: Header=BB4_11564 Depth=3
	v_clz_i32_u32_e32 v5, v17
	s_delay_alu instid0(VALU_DEP_1) | instskip(SKIP_1) | instid1(VALU_DEP_2)
	v_min_u32_e32 v5, 32, v5
	v_mov_b32_e32 v93, v3
	v_subrev_nc_u32_e32 v17, 29, v5
	v_sub_nc_u32_e32 v5, 30, v5
	s_delay_alu instid0(VALU_DEP_2) | instskip(NEXT) | instid1(VALU_DEP_1)
	v_lshlrev_b64_e32 v[50:51], v17, v[92:93]
	v_and_b32_e32 v17, 3, v50
.LBB4_12341:                            ;   in Loop: Header=BB4_11564 Depth=3
	s_or_b32 exec_lo, exec_lo, s74
	v_lshlrev_b32_e32 v19, 24, v92
                                        ; implicit-def: $vgpr92
	s_delay_alu instid0(VALU_DEP_1) | instskip(NEXT) | instid1(VALU_DEP_1)
	v_and_b32_e32 v19, 0x80000000, v19
	v_lshl_add_u32 v5, v5, 23, v19
	s_delay_alu instid0(VALU_DEP_1) | instskip(NEXT) | instid1(VALU_DEP_1)
	v_lshl_or_b32 v5, v17, 21, v5
                                        ; implicit-def: $vgpr17
	v_add_nc_u32_e32 v5, 0x38000000, v5
.LBB4_12342:                            ;   in Loop: Header=BB4_11564 Depth=3
	s_and_not1_saveexec_b32 s15, s15
; %bb.12343:                            ;   in Loop: Header=BB4_11564 Depth=3
	v_bfe_i32 v5, v92, 0, 8
	s_delay_alu instid0(VALU_DEP_1) | instskip(SKIP_2) | instid1(VALU_DEP_2)
	v_cmp_lt_i16_e32 vcc_lo, -1, v5
	v_cndmask_b32_e32 v5, 0xff800000, v48, vcc_lo
	v_cmp_eq_u32_e32 vcc_lo, 0, v17
	v_cndmask_b32_e32 v5, 0x7f800001, v5, vcc_lo
; %bb.12344:                            ;   in Loop: Header=BB4_11564 Depth=3
	s_or_b32 exec_lo, exec_lo, s15
.LBB4_12345:                            ;   in Loop: Header=BB4_11564 Depth=3
	s_delay_alu instid0(SALU_CYCLE_1)
	s_or_b32 exec_lo, exec_lo, s14
.LBB4_12346:                            ;   in Loop: Header=BB4_11564 Depth=3
	s_delay_alu instid0(SALU_CYCLE_1) | instskip(NEXT) | instid1(SALU_CYCLE_1)
	s_or_b32 exec_lo, exec_lo, s13
	s_mov_b32 s13, exec_lo
	s_wait_loadcnt_dscnt 0xa0a
	v_cmpx_ne_u16_e32 0, v64
	s_cbranch_execz .LBB4_12356
; %bb.12347:                            ;   in Loop: Header=BB4_11564 Depth=3
	v_bfrev_b32_e32 v4, 1
	s_mov_b32 s14, exec_lo
	v_cmpx_ne_u16_e32 0xff80, v64
	s_cbranch_execz .LBB4_12355
; %bb.12348:                            ;   in Loop: Header=BB4_11564 Depth=3
	v_and_b32_e32 v4, 0x7c, v64
	v_and_b32_e32 v17, 3, v64
	s_delay_alu instid0(VALU_DEP_2) | instskip(SKIP_1) | instid1(SALU_CYCLE_1)
	v_cmp_ne_u32_e32 vcc_lo, 0x7c, v4
                                        ; implicit-def: $vgpr4
	s_and_saveexec_b32 s15, vcc_lo
	s_xor_b32 s15, exec_lo, s15
	s_cbranch_execz .LBB4_12352
; %bb.12349:                            ;   in Loop: Header=BB4_11564 Depth=3
	v_and_b32_e32 v4, 0xff, v64
	s_mov_b32 s74, exec_lo
	s_delay_alu instid0(VALU_DEP_1) | instskip(NEXT) | instid1(VALU_DEP_1)
	v_bfe_u32 v4, v4, 2, 5
	v_cmpx_eq_u32_e32 0, v4
	s_cbranch_execz .LBB4_12351
; %bb.12350:                            ;   in Loop: Header=BB4_11564 Depth=3
	v_clz_i32_u32_e32 v4, v17
	s_delay_alu instid0(VALU_DEP_1) | instskip(SKIP_1) | instid1(VALU_DEP_2)
	v_min_u32_e32 v4, 32, v4
	v_mov_b32_e32 v65, v3
	v_subrev_nc_u32_e32 v17, 29, v4
	v_sub_nc_u32_e32 v4, 30, v4
	s_delay_alu instid0(VALU_DEP_2) | instskip(NEXT) | instid1(VALU_DEP_1)
	v_lshlrev_b64_e32 v[50:51], v17, v[64:65]
	v_and_b32_e32 v17, 3, v50
.LBB4_12351:                            ;   in Loop: Header=BB4_11564 Depth=3
	s_or_b32 exec_lo, exec_lo, s74
	v_bfe_i32 v19, v64, 0, 16
                                        ; implicit-def: $vgpr64
	s_delay_alu instid0(VALU_DEP_1) | instskip(NEXT) | instid1(VALU_DEP_1)
	v_and_b32_e32 v19, 0x80000000, v19
	v_lshl_add_u32 v4, v4, 23, v19
	s_delay_alu instid0(VALU_DEP_1) | instskip(NEXT) | instid1(VALU_DEP_1)
	v_lshl_or_b32 v4, v17, 21, v4
                                        ; implicit-def: $vgpr17
	v_add_nc_u32_e32 v4, 0x38000000, v4
.LBB4_12352:                            ;   in Loop: Header=BB4_11564 Depth=3
	s_and_not1_saveexec_b32 s15, s15
; %bb.12353:                            ;   in Loop: Header=BB4_11564 Depth=3
	v_cmp_lt_i16_e32 vcc_lo, -1, v64
	v_cndmask_b32_e32 v4, 0xff800000, v48, vcc_lo
	v_cmp_eq_u32_e32 vcc_lo, 0, v17
	s_delay_alu instid0(VALU_DEP_2)
	v_cndmask_b32_e32 v4, 0x7f800001, v4, vcc_lo
; %bb.12354:                            ;   in Loop: Header=BB4_11564 Depth=3
	s_or_b32 exec_lo, exec_lo, s15
.LBB4_12355:                            ;   in Loop: Header=BB4_11564 Depth=3
	s_delay_alu instid0(SALU_CYCLE_1)
	s_or_b32 exec_lo, exec_lo, s14
.LBB4_12356:                            ;   in Loop: Header=BB4_11564 Depth=3
	s_delay_alu instid0(SALU_CYCLE_1) | instskip(NEXT) | instid1(VALU_DEP_1)
	s_or_b32 exec_lo, exec_lo, s13
	v_dual_add_f32 v19, v5, v4 :: v_dual_mov_b32 v5, v3
                                        ; implicit-def: $vgpr50
	s_delay_alu instid0(VALU_DEP_1) | instskip(NEXT) | instid1(VALU_DEP_1)
	v_and_b32_e32 v4, 0x7f800000, v19
	v_cmp_ne_u64_e32 vcc_lo, 0x7f800000, v[4:5]
	v_and_b32_e32 v4, 0x7fffff, v19
	s_and_saveexec_b32 s13, vcc_lo
	s_delay_alu instid0(SALU_CYCLE_1)
	s_xor_b32 s14, exec_lo, s13
	s_cbranch_execz .LBB4_12374
; %bb.12357:                            ;   in Loop: Header=BB4_11564 Depth=3
	v_and_b32_e32 v50, 0x7fffffff, v19
	v_dual_mov_b32 v51, v3 :: v_dual_lshrrev_b32 v17, 24, v19
	s_delay_alu instid0(VALU_DEP_1) | instskip(NEXT) | instid1(VALU_DEP_2)
	v_cmp_gt_u64_e32 vcc_lo, 0x47600001, v[50:51]
	v_and_b32_e32 v17, 0x80, v17
                                        ; implicit-def: $vgpr50
	s_and_saveexec_b32 s13, vcc_lo
	s_delay_alu instid0(SALU_CYCLE_1)
	s_xor_b32 s15, exec_lo, s13
	s_cbranch_execz .LBB4_12371
; %bb.12358:                            ;   in Loop: Header=BB4_11564 Depth=3
	v_mov_b32_e32 v50, 0
	s_mov_b32 s74, exec_lo
	v_cmpx_ne_u32_e32 0, v19
	s_cbranch_execz .LBB4_12370
; %bb.12359:                            ;   in Loop: Header=BB4_11564 Depth=3
	v_bfe_u32 v19, v19, 23, 8
	v_or_b32_e32 v31, 0x800000, v4
	s_delay_alu instid0(VALU_DEP_2) | instskip(SKIP_1) | instid1(VALU_DEP_3)
	v_cmp_eq_u32_e32 vcc_lo, 0, v19
	v_cmp_gt_u32_e64 s13, 0x72, v19
	v_dual_cndmask_b32 v4, v31, v4 :: v_dual_sub_nc_u32 v21, 0x71, v19
	s_delay_alu instid0(VALU_DEP_1) | instskip(NEXT) | instid1(VALU_DEP_1)
	v_cndmask_b32_e64 v21, 0, v21, s13
	v_cndmask_b32_e64 v21, v21, 0x70, vcc_lo
	s_delay_alu instid0(VALU_DEP_1) | instskip(NEXT) | instid1(VALU_DEP_1)
	v_add_nc_u32_e32 v31, 21, v21
	v_lshlrev_b64_e64 v[50:51], v31, -1
	v_add_nc_u32_e32 v31, 20, v21
	s_delay_alu instid0(VALU_DEP_1) | instskip(NEXT) | instid1(VALU_DEP_3)
	v_lshlrev_b64_e64 v[64:65], v31, 1
	v_bfi_b32 v50, v50, 0, v4
	v_lshrrev_b64 v[4:5], v21, v[4:5]
	v_bfi_b32 v51, v51, 0, 0
	s_delay_alu instid0(VALU_DEP_1) | instskip(NEXT) | instid1(VALU_DEP_3)
	v_cmp_eq_u64_e64 s13, v[50:51], v[64:65]
	v_mov_b64_e32 v[50:51], v[4:5]
	s_and_saveexec_b32 s75, s13
; %bb.12360:                            ;   in Loop: Header=BB4_11564 Depth=3
	v_bfe_u32 v50, v4, 21, 1
	v_mov_b32_e32 v51, v3
	s_delay_alu instid0(VALU_DEP_1) | instskip(NEXT) | instid1(VALU_DEP_1)
	v_add_nc_u64_e32 v[50:51], v[4:5], v[50:51]
	v_add_nc_u64_e32 v[50:51], -1, v[50:51]
; %bb.12361:                            ;   in Loop: Header=BB4_11564 Depth=3
	s_or_b32 exec_lo, exec_lo, s75
	v_add_nc_u32_e32 v5, 0xffffff81, v19
	v_lshrrev_b32_e32 v19, 23, v4
	s_mov_b32 s13, exec_lo
	s_delay_alu instid0(VALU_DEP_2) | instskip(NEXT) | instid1(VALU_DEP_1)
	v_cndmask_b32_e64 v5, v5, 0xffffff82, vcc_lo
	v_add3_u32 v21, v21, v5, v19
	v_and_b32_e32 v5, 0x1fffff, v50
                                        ; implicit-def: $vgpr19
	s_delay_alu instid0(VALU_DEP_1) | instskip(SKIP_1) | instid1(VALU_DEP_2)
	v_dual_add_nc_u32 v31, 14, v21 :: v_dual_add_nc_u32 v4, v5, v4
	v_mov_b32_e32 v5, v3
	v_cmpx_ne_u32_e32 0, v31
	s_xor_b32 s13, exec_lo, s13
; %bb.12362:                            ;   in Loop: Header=BB4_11564 Depth=3
	s_delay_alu instid0(VALU_DEP_2) | instskip(SKIP_2) | instid1(VALU_DEP_2)
	v_cmp_lt_u64_e32 vcc_lo, 0xffffff, v[4:5]
	v_add_nc_u32_e32 v19, 15, v21
	v_cndmask_b32_e64 v21, 0, 1, vcc_lo
	v_cndmask_b32_e32 v19, v31, v19, vcc_lo
	s_delay_alu instid0(VALU_DEP_2)
	v_lshrrev_b64 v[4:5], v21, v[4:5]
; %bb.12363:                            ;   in Loop: Header=BB4_11564 Depth=3
	s_and_not1_saveexec_b32 s13, s13
; %bb.12364:                            ;   in Loop: Header=BB4_11564 Depth=3
	s_delay_alu instid0(VALU_DEP_1)
	v_bfe_u32 v19, v4, 23, 1
; %bb.12365:                            ;   in Loop: Header=BB4_11564 Depth=3
	s_or_b32 exec_lo, exec_lo, s13
	s_delay_alu instid0(VALU_DEP_2) | instskip(NEXT) | instid1(VALU_DEP_2)
	v_lshrrev_b64 v[4:5], 21, v[4:5]
	v_cmp_gt_i32_e32 vcc_lo, 32, v19
	v_cmp_ne_u32_e64 s13, 0, v19
                                        ; implicit-def: $vgpr50
	s_delay_alu instid0(VALU_DEP_3) | instskip(NEXT) | instid1(VALU_DEP_1)
	v_dual_cndmask_b32 v5, 0, v5 :: v_dual_cndmask_b32 v4, 3, v4
	v_cmp_ne_u64_e32 vcc_lo, 0, v[4:5]
	s_or_b32 s13, s13, vcc_lo
	s_delay_alu instid0(SALU_CYCLE_1) | instskip(NEXT) | instid1(SALU_CYCLE_1)
	s_and_saveexec_b32 s75, s13
	s_xor_b32 s13, exec_lo, s75
; %bb.12366:                            ;   in Loop: Header=BB4_11564 Depth=3
	v_min_i32_e32 v5, 31, v19
	s_delay_alu instid0(VALU_DEP_1) | instskip(NEXT) | instid1(VALU_DEP_1)
	v_lshl_or_b32 v5, v5, 2, v17
                                        ; implicit-def: $vgpr17
	v_and_or_b32 v50, v4, 3, v5
; %bb.12367:                            ;   in Loop: Header=BB4_11564 Depth=3
	s_and_not1_saveexec_b32 s13, s13
; %bb.12368:                            ;   in Loop: Header=BB4_11564 Depth=3
	v_mov_b32_e32 v50, v17
; %bb.12369:                            ;   in Loop: Header=BB4_11564 Depth=3
	s_or_b32 exec_lo, exec_lo, s13
.LBB4_12370:                            ;   in Loop: Header=BB4_11564 Depth=3
	s_delay_alu instid0(SALU_CYCLE_1)
	s_or_b32 exec_lo, exec_lo, s74
                                        ; implicit-def: $vgpr17
.LBB4_12371:                            ;   in Loop: Header=BB4_11564 Depth=3
	s_and_not1_saveexec_b32 s13, s15
; %bb.12372:                            ;   in Loop: Header=BB4_11564 Depth=3
	v_or_b32_e32 v50, 0x7b, v17
; %bb.12373:                            ;   in Loop: Header=BB4_11564 Depth=3
	s_or_b32 exec_lo, exec_lo, s13
                                        ; implicit-def: $vgpr19
                                        ; implicit-def: $vgpr4_vgpr5
.LBB4_12374:                            ;   in Loop: Header=BB4_11564 Depth=3
	s_and_not1_saveexec_b32 s13, s14
	s_cbranch_execz .LBB4_12380
; %bb.12375:                            ;   in Loop: Header=BB4_11564 Depth=3
	s_mov_b32 s14, exec_lo
                                        ; implicit-def: $vgpr50
	v_cmpx_ne_u64_e32 0, v[4:5]
	s_xor_b32 s14, exec_lo, s14
; %bb.12376:                            ;   in Loop: Header=BB4_11564 Depth=3
	v_lshrrev_b32_e32 v4, 24, v19
                                        ; implicit-def: $vgpr19
	s_delay_alu instid0(VALU_DEP_1)
	v_or_b32_e32 v50, 0x7f, v4
; %bb.12377:                            ;   in Loop: Header=BB4_11564 Depth=3
	s_and_not1_saveexec_b32 s14, s14
; %bb.12378:                            ;   in Loop: Header=BB4_11564 Depth=3
	v_cmp_lt_i32_e32 vcc_lo, -1, v19
	v_cndmask_b32_e64 v50, -4, 0x7c, vcc_lo
; %bb.12379:                            ;   in Loop: Header=BB4_11564 Depth=3
	s_or_b32 exec_lo, exec_lo, s14
.LBB4_12380:                            ;   in Loop: Header=BB4_11564 Depth=3
	s_delay_alu instid0(SALU_CYCLE_1) | instskip(SKIP_3) | instid1(VALU_DEP_2)
	s_or_b32 exec_lo, exec_lo, s13
	v_and_b32_e32 v19, 0xff, v90
	v_dual_mov_b32 v4, 0 :: v_dual_mov_b32 v5, 0
	s_mov_b32 s13, exec_lo
	v_cmpx_ne_u16_e32 0, v19
	s_cbranch_execz .LBB4_12390
; %bb.12381:                            ;   in Loop: Header=BB4_11564 Depth=3
	v_bfrev_b32_e32 v5, 1
	s_mov_b32 s14, exec_lo
	v_cmpx_ne_u16_e32 0x80, v19
	s_cbranch_execz .LBB4_12389
; %bb.12382:                            ;   in Loop: Header=BB4_11564 Depth=3
	v_and_b32_e32 v5, 0x7c, v90
	v_and_b32_e32 v17, 3, v90
	s_delay_alu instid0(VALU_DEP_2) | instskip(SKIP_1) | instid1(SALU_CYCLE_1)
	v_cmp_ne_u32_e32 vcc_lo, 0x7c, v5
                                        ; implicit-def: $vgpr5
	s_and_saveexec_b32 s15, vcc_lo
	s_xor_b32 s15, exec_lo, s15
	s_cbranch_execz .LBB4_12386
; %bb.12383:                            ;   in Loop: Header=BB4_11564 Depth=3
	v_bfe_u32 v5, v19, 2, 5
	s_mov_b32 s74, exec_lo
	s_delay_alu instid0(VALU_DEP_1)
	v_cmpx_eq_u32_e32 0, v5
	s_cbranch_execz .LBB4_12385
; %bb.12384:                            ;   in Loop: Header=BB4_11564 Depth=3
	v_clz_i32_u32_e32 v5, v17
	s_delay_alu instid0(VALU_DEP_1) | instskip(SKIP_1) | instid1(VALU_DEP_2)
	v_min_u32_e32 v5, 32, v5
	v_mov_b32_e32 v91, v3
	v_subrev_nc_u32_e32 v17, 29, v5
	v_sub_nc_u32_e32 v5, 30, v5
	s_delay_alu instid0(VALU_DEP_2) | instskip(NEXT) | instid1(VALU_DEP_1)
	v_lshlrev_b64_e32 v[64:65], v17, v[90:91]
	v_and_b32_e32 v17, 3, v64
.LBB4_12385:                            ;   in Loop: Header=BB4_11564 Depth=3
	s_or_b32 exec_lo, exec_lo, s74
	v_lshlrev_b32_e32 v19, 24, v90
                                        ; implicit-def: $vgpr90
	s_delay_alu instid0(VALU_DEP_1) | instskip(NEXT) | instid1(VALU_DEP_1)
	v_and_b32_e32 v19, 0x80000000, v19
	v_lshl_add_u32 v5, v5, 23, v19
	s_delay_alu instid0(VALU_DEP_1) | instskip(NEXT) | instid1(VALU_DEP_1)
	v_lshl_or_b32 v5, v17, 21, v5
                                        ; implicit-def: $vgpr17
	v_add_nc_u32_e32 v5, 0x38000000, v5
.LBB4_12386:                            ;   in Loop: Header=BB4_11564 Depth=3
	s_and_not1_saveexec_b32 s15, s15
; %bb.12387:                            ;   in Loop: Header=BB4_11564 Depth=3
	v_bfe_i32 v5, v90, 0, 8
	s_delay_alu instid0(VALU_DEP_1) | instskip(SKIP_2) | instid1(VALU_DEP_2)
	v_cmp_lt_i16_e32 vcc_lo, -1, v5
	v_cndmask_b32_e32 v5, 0xff800000, v48, vcc_lo
	v_cmp_eq_u32_e32 vcc_lo, 0, v17
	v_cndmask_b32_e32 v5, 0x7f800001, v5, vcc_lo
; %bb.12388:                            ;   in Loop: Header=BB4_11564 Depth=3
	s_or_b32 exec_lo, exec_lo, s15
.LBB4_12389:                            ;   in Loop: Header=BB4_11564 Depth=3
	s_delay_alu instid0(SALU_CYCLE_1)
	s_or_b32 exec_lo, exec_lo, s14
.LBB4_12390:                            ;   in Loop: Header=BB4_11564 Depth=3
	s_delay_alu instid0(SALU_CYCLE_1) | instskip(NEXT) | instid1(SALU_CYCLE_1)
	s_or_b32 exec_lo, exec_lo, s13
	s_mov_b32 s13, exec_lo
	s_wait_loadcnt_dscnt 0x909
	v_cmpx_ne_u16_e32 0, v16
	s_cbranch_execz .LBB4_12400
; %bb.12391:                            ;   in Loop: Header=BB4_11564 Depth=3
	v_bfrev_b32_e32 v4, 1
	s_mov_b32 s14, exec_lo
	v_cmpx_ne_u16_e32 0xff80, v16
	s_cbranch_execz .LBB4_12399
; %bb.12392:                            ;   in Loop: Header=BB4_11564 Depth=3
	v_and_b32_e32 v4, 0x7c, v16
	v_and_b32_e32 v17, 3, v16
	s_delay_alu instid0(VALU_DEP_2) | instskip(SKIP_1) | instid1(SALU_CYCLE_1)
	v_cmp_ne_u32_e32 vcc_lo, 0x7c, v4
                                        ; implicit-def: $vgpr4
	s_and_saveexec_b32 s15, vcc_lo
	s_xor_b32 s15, exec_lo, s15
	s_cbranch_execz .LBB4_12396
; %bb.12393:                            ;   in Loop: Header=BB4_11564 Depth=3
	v_and_b32_e32 v4, 0xff, v16
	s_mov_b32 s74, exec_lo
	s_delay_alu instid0(VALU_DEP_1) | instskip(NEXT) | instid1(VALU_DEP_1)
	v_bfe_u32 v4, v4, 2, 5
	v_cmpx_eq_u32_e32 0, v4
	s_cbranch_execz .LBB4_12395
; %bb.12394:                            ;   in Loop: Header=BB4_11564 Depth=3
	v_clz_i32_u32_e32 v4, v17
	s_delay_alu instid0(VALU_DEP_1) | instskip(SKIP_1) | instid1(VALU_DEP_2)
	v_min_u32_e32 v4, 32, v4
	v_mov_b32_e32 v17, v3
	v_subrev_nc_u32_e32 v19, 29, v4
	v_sub_nc_u32_e32 v4, 30, v4
	s_delay_alu instid0(VALU_DEP_2) | instskip(NEXT) | instid1(VALU_DEP_1)
	v_lshlrev_b64_e32 v[64:65], v19, v[16:17]
	v_and_b32_e32 v17, 3, v64
.LBB4_12395:                            ;   in Loop: Header=BB4_11564 Depth=3
	s_or_b32 exec_lo, exec_lo, s74
	v_bfe_i32 v16, v16, 0, 16
	s_delay_alu instid0(VALU_DEP_1) | instskip(NEXT) | instid1(VALU_DEP_1)
	v_and_b32_e32 v16, 0x80000000, v16
	v_lshl_add_u32 v4, v4, 23, v16
                                        ; implicit-def: $vgpr16
	s_delay_alu instid0(VALU_DEP_1) | instskip(NEXT) | instid1(VALU_DEP_1)
	v_lshl_or_b32 v4, v17, 21, v4
                                        ; implicit-def: $vgpr17
	v_add_nc_u32_e32 v4, 0x38000000, v4
.LBB4_12396:                            ;   in Loop: Header=BB4_11564 Depth=3
	s_and_not1_saveexec_b32 s15, s15
; %bb.12397:                            ;   in Loop: Header=BB4_11564 Depth=3
	v_cmp_lt_i16_e32 vcc_lo, -1, v16
	v_cndmask_b32_e32 v4, 0xff800000, v48, vcc_lo
	v_cmp_eq_u32_e32 vcc_lo, 0, v17
	s_delay_alu instid0(VALU_DEP_2)
	v_cndmask_b32_e32 v4, 0x7f800001, v4, vcc_lo
; %bb.12398:                            ;   in Loop: Header=BB4_11564 Depth=3
	s_or_b32 exec_lo, exec_lo, s15
.LBB4_12399:                            ;   in Loop: Header=BB4_11564 Depth=3
	s_delay_alu instid0(SALU_CYCLE_1)
	s_or_b32 exec_lo, exec_lo, s14
.LBB4_12400:                            ;   in Loop: Header=BB4_11564 Depth=3
	s_delay_alu instid0(SALU_CYCLE_1) | instskip(NEXT) | instid1(VALU_DEP_1)
	s_or_b32 exec_lo, exec_lo, s13
	v_dual_add_f32 v16, v5, v4 :: v_dual_mov_b32 v5, v3
                                        ; implicit-def: $vgpr51
	s_delay_alu instid0(VALU_DEP_1) | instskip(NEXT) | instid1(VALU_DEP_1)
	v_and_b32_e32 v4, 0x7f800000, v16
	v_cmp_ne_u64_e32 vcc_lo, 0x7f800000, v[4:5]
	v_and_b32_e32 v4, 0x7fffff, v16
	s_and_saveexec_b32 s13, vcc_lo
	s_delay_alu instid0(SALU_CYCLE_1)
	s_xor_b32 s14, exec_lo, s13
	s_cbranch_execz .LBB4_12418
; %bb.12401:                            ;   in Loop: Header=BB4_11564 Depth=3
	v_dual_mov_b32 v65, v3 :: v_dual_lshrrev_b32 v17, 24, v16
	v_and_b32_e32 v64, 0x7fffffff, v16
                                        ; implicit-def: $vgpr51
	s_mov_b32 s13, exec_lo
	s_delay_alu instid0(VALU_DEP_2) | instskip(NEXT) | instid1(VALU_DEP_2)
	v_and_b32_e32 v19, 0x80, v17
	v_cmpx_gt_u64_e32 0x47600001, v[64:65]
	s_xor_b32 s15, exec_lo, s13
	s_cbranch_execz .LBB4_12415
; %bb.12402:                            ;   in Loop: Header=BB4_11564 Depth=3
	v_mov_b32_e32 v51, 0
	s_mov_b32 s74, exec_lo
	v_cmpx_ne_u32_e32 0, v16
	s_cbranch_execz .LBB4_12414
; %bb.12403:                            ;   in Loop: Header=BB4_11564 Depth=3
	v_bfe_u32 v21, v16, 23, 8
	v_or_b32_e32 v17, 0x800000, v4
	s_delay_alu instid0(VALU_DEP_2) | instskip(SKIP_2) | instid1(VALU_DEP_2)
	v_cmp_gt_u32_e64 s13, 0x72, v21
	v_sub_nc_u32_e32 v16, 0x71, v21
	v_cmp_eq_u32_e32 vcc_lo, 0, v21
	v_cndmask_b32_e64 v16, 0, v16, s13
	s_delay_alu instid0(VALU_DEP_1) | instskip(NEXT) | instid1(VALU_DEP_1)
	v_cndmask_b32_e64 v31, v16, 0x70, vcc_lo
	v_dual_cndmask_b32 v4, v17, v4, vcc_lo :: v_dual_add_nc_u32 v16, 21, v31
	v_add_nc_u32_e32 v51, 20, v31
	s_delay_alu instid0(VALU_DEP_2) | instskip(NEXT) | instid1(VALU_DEP_2)
	v_lshlrev_b64_e64 v[16:17], v16, -1
	v_lshlrev_b64_e64 v[64:65], v51, 1
	s_delay_alu instid0(VALU_DEP_2) | instskip(SKIP_1) | instid1(VALU_DEP_4)
	v_bfi_b32 v16, v16, 0, v4
	v_lshrrev_b64 v[4:5], v31, v[4:5]
	v_bfi_b32 v17, v17, 0, 0
	s_delay_alu instid0(VALU_DEP_1) | instskip(NEXT) | instid1(VALU_DEP_3)
	v_cmp_eq_u64_e64 s13, v[16:17], v[64:65]
	v_mov_b64_e32 v[16:17], v[4:5]
	s_and_saveexec_b32 s75, s13
; %bb.12404:                            ;   in Loop: Header=BB4_11564 Depth=3
	v_bfe_u32 v16, v4, 21, 1
	v_mov_b32_e32 v17, v3
	s_delay_alu instid0(VALU_DEP_1) | instskip(NEXT) | instid1(VALU_DEP_1)
	v_add_nc_u64_e32 v[16:17], v[4:5], v[16:17]
	v_add_nc_u64_e32 v[16:17], -1, v[16:17]
; %bb.12405:                            ;   in Loop: Header=BB4_11564 Depth=3
	s_or_b32 exec_lo, exec_lo, s75
	v_add_nc_u32_e32 v5, 0xffffff81, v21
	v_lshrrev_b32_e32 v17, 23, v4
	s_mov_b32 s13, exec_lo
	s_delay_alu instid0(VALU_DEP_2) | instskip(NEXT) | instid1(VALU_DEP_1)
	v_cndmask_b32_e64 v5, v5, 0xffffff82, vcc_lo
	v_add3_u32 v17, v31, v5, v17
	v_and_b32_e32 v5, 0x1fffff, v16
                                        ; implicit-def: $vgpr16
	s_delay_alu instid0(VALU_DEP_1) | instskip(SKIP_1) | instid1(VALU_DEP_2)
	v_dual_add_nc_u32 v21, 14, v17 :: v_dual_add_nc_u32 v4, v5, v4
	v_mov_b32_e32 v5, v3
	v_cmpx_ne_u32_e32 0, v21
	s_xor_b32 s13, exec_lo, s13
; %bb.12406:                            ;   in Loop: Header=BB4_11564 Depth=3
	s_delay_alu instid0(VALU_DEP_2) | instskip(SKIP_2) | instid1(VALU_DEP_2)
	v_cmp_lt_u64_e32 vcc_lo, 0xffffff, v[4:5]
	v_add_nc_u32_e32 v16, 15, v17
	v_cndmask_b32_e64 v17, 0, 1, vcc_lo
	v_cndmask_b32_e32 v16, v21, v16, vcc_lo
	s_delay_alu instid0(VALU_DEP_2)
	v_lshrrev_b64 v[4:5], v17, v[4:5]
; %bb.12407:                            ;   in Loop: Header=BB4_11564 Depth=3
	s_and_not1_saveexec_b32 s13, s13
; %bb.12408:                            ;   in Loop: Header=BB4_11564 Depth=3
	s_delay_alu instid0(VALU_DEP_1)
	v_bfe_u32 v16, v4, 23, 1
; %bb.12409:                            ;   in Loop: Header=BB4_11564 Depth=3
	s_or_b32 exec_lo, exec_lo, s13
	s_delay_alu instid0(VALU_DEP_2) | instskip(NEXT) | instid1(VALU_DEP_2)
	v_lshrrev_b64 v[4:5], 21, v[4:5]
	v_cmp_gt_i32_e32 vcc_lo, 32, v16
	v_cmp_ne_u32_e64 s13, 0, v16
                                        ; implicit-def: $vgpr51
	s_delay_alu instid0(VALU_DEP_3) | instskip(NEXT) | instid1(VALU_DEP_1)
	v_dual_cndmask_b32 v5, 0, v5 :: v_dual_cndmask_b32 v4, 3, v4
	v_cmp_ne_u64_e32 vcc_lo, 0, v[4:5]
	s_or_b32 s13, s13, vcc_lo
	s_delay_alu instid0(SALU_CYCLE_1) | instskip(NEXT) | instid1(SALU_CYCLE_1)
	s_and_saveexec_b32 s75, s13
	s_xor_b32 s13, exec_lo, s75
; %bb.12410:                            ;   in Loop: Header=BB4_11564 Depth=3
	v_min_i32_e32 v5, 31, v16
	s_delay_alu instid0(VALU_DEP_1) | instskip(NEXT) | instid1(VALU_DEP_1)
	v_lshl_or_b32 v5, v5, 2, v19
                                        ; implicit-def: $vgpr19
	v_and_or_b32 v51, v4, 3, v5
; %bb.12411:                            ;   in Loop: Header=BB4_11564 Depth=3
	s_and_not1_saveexec_b32 s13, s13
; %bb.12412:                            ;   in Loop: Header=BB4_11564 Depth=3
	v_mov_b32_e32 v51, v19
; %bb.12413:                            ;   in Loop: Header=BB4_11564 Depth=3
	s_or_b32 exec_lo, exec_lo, s13
.LBB4_12414:                            ;   in Loop: Header=BB4_11564 Depth=3
	s_delay_alu instid0(SALU_CYCLE_1)
	s_or_b32 exec_lo, exec_lo, s74
                                        ; implicit-def: $vgpr19
.LBB4_12415:                            ;   in Loop: Header=BB4_11564 Depth=3
	s_and_not1_saveexec_b32 s13, s15
; %bb.12416:                            ;   in Loop: Header=BB4_11564 Depth=3
	v_or_b32_e32 v51, 0x7b, v19
; %bb.12417:                            ;   in Loop: Header=BB4_11564 Depth=3
	s_or_b32 exec_lo, exec_lo, s13
                                        ; implicit-def: $vgpr16
                                        ; implicit-def: $vgpr4_vgpr5
.LBB4_12418:                            ;   in Loop: Header=BB4_11564 Depth=3
	s_and_not1_saveexec_b32 s13, s14
	s_cbranch_execz .LBB4_12424
; %bb.12419:                            ;   in Loop: Header=BB4_11564 Depth=3
	s_mov_b32 s14, exec_lo
                                        ; implicit-def: $vgpr51
	v_cmpx_ne_u64_e32 0, v[4:5]
	s_xor_b32 s14, exec_lo, s14
; %bb.12420:                            ;   in Loop: Header=BB4_11564 Depth=3
	v_lshrrev_b32_e32 v4, 24, v16
                                        ; implicit-def: $vgpr16
	s_delay_alu instid0(VALU_DEP_1)
	v_or_b32_e32 v51, 0x7f, v4
; %bb.12421:                            ;   in Loop: Header=BB4_11564 Depth=3
	s_and_not1_saveexec_b32 s14, s14
; %bb.12422:                            ;   in Loop: Header=BB4_11564 Depth=3
	v_cmp_lt_i32_e32 vcc_lo, -1, v16
	v_cndmask_b32_e64 v51, -4, 0x7c, vcc_lo
; %bb.12423:                            ;   in Loop: Header=BB4_11564 Depth=3
	s_or_b32 exec_lo, exec_lo, s14
.LBB4_12424:                            ;   in Loop: Header=BB4_11564 Depth=3
	s_delay_alu instid0(SALU_CYCLE_1) | instskip(SKIP_3) | instid1(VALU_DEP_2)
	s_or_b32 exec_lo, exec_lo, s13
	v_and_b32_e32 v17, 0xff, v78
	v_dual_mov_b32 v4, 0 :: v_dual_mov_b32 v5, 0
	s_mov_b32 s13, exec_lo
	v_cmpx_ne_u16_e32 0, v17
	s_cbranch_execz .LBB4_12434
; %bb.12425:                            ;   in Loop: Header=BB4_11564 Depth=3
	v_bfrev_b32_e32 v5, 1
	s_mov_b32 s14, exec_lo
	v_cmpx_ne_u16_e32 0x80, v17
	s_cbranch_execz .LBB4_12433
; %bb.12426:                            ;   in Loop: Header=BB4_11564 Depth=3
	v_and_b32_e32 v5, 0x7c, v78
	v_and_b32_e32 v16, 3, v78
	s_delay_alu instid0(VALU_DEP_2) | instskip(SKIP_1) | instid1(SALU_CYCLE_1)
	v_cmp_ne_u32_e32 vcc_lo, 0x7c, v5
                                        ; implicit-def: $vgpr5
	s_and_saveexec_b32 s15, vcc_lo
	s_xor_b32 s15, exec_lo, s15
	s_cbranch_execz .LBB4_12430
; %bb.12427:                            ;   in Loop: Header=BB4_11564 Depth=3
	v_bfe_u32 v5, v17, 2, 5
	s_mov_b32 s74, exec_lo
	s_delay_alu instid0(VALU_DEP_1)
	v_cmpx_eq_u32_e32 0, v5
	s_cbranch_execz .LBB4_12429
; %bb.12428:                            ;   in Loop: Header=BB4_11564 Depth=3
	v_clz_i32_u32_e32 v5, v16
	s_delay_alu instid0(VALU_DEP_1) | instskip(SKIP_1) | instid1(VALU_DEP_2)
	v_min_u32_e32 v5, 32, v5
	v_mov_b32_e32 v79, v3
	v_subrev_nc_u32_e32 v16, 29, v5
	v_sub_nc_u32_e32 v5, 30, v5
	s_delay_alu instid0(VALU_DEP_2) | instskip(NEXT) | instid1(VALU_DEP_1)
	v_lshlrev_b64_e32 v[16:17], v16, v[78:79]
	v_and_b32_e32 v16, 3, v16
.LBB4_12429:                            ;   in Loop: Header=BB4_11564 Depth=3
	s_or_b32 exec_lo, exec_lo, s74
	v_lshlrev_b32_e32 v17, 24, v78
                                        ; implicit-def: $vgpr78
	s_delay_alu instid0(VALU_DEP_1) | instskip(NEXT) | instid1(VALU_DEP_1)
	v_and_b32_e32 v17, 0x80000000, v17
	v_lshl_add_u32 v5, v5, 23, v17
	s_delay_alu instid0(VALU_DEP_1) | instskip(NEXT) | instid1(VALU_DEP_1)
	v_lshl_or_b32 v5, v16, 21, v5
                                        ; implicit-def: $vgpr16
	v_add_nc_u32_e32 v5, 0x38000000, v5
.LBB4_12430:                            ;   in Loop: Header=BB4_11564 Depth=3
	s_and_not1_saveexec_b32 s15, s15
; %bb.12431:                            ;   in Loop: Header=BB4_11564 Depth=3
	v_bfe_i32 v5, v78, 0, 8
	s_delay_alu instid0(VALU_DEP_1) | instskip(SKIP_2) | instid1(VALU_DEP_2)
	v_cmp_lt_i16_e32 vcc_lo, -1, v5
	v_cndmask_b32_e32 v5, 0xff800000, v48, vcc_lo
	v_cmp_eq_u32_e32 vcc_lo, 0, v16
	v_cndmask_b32_e32 v5, 0x7f800001, v5, vcc_lo
; %bb.12432:                            ;   in Loop: Header=BB4_11564 Depth=3
	s_or_b32 exec_lo, exec_lo, s15
.LBB4_12433:                            ;   in Loop: Header=BB4_11564 Depth=3
	s_delay_alu instid0(SALU_CYCLE_1)
	s_or_b32 exec_lo, exec_lo, s14
.LBB4_12434:                            ;   in Loop: Header=BB4_11564 Depth=3
	s_delay_alu instid0(SALU_CYCLE_1) | instskip(NEXT) | instid1(SALU_CYCLE_1)
	s_or_b32 exec_lo, exec_lo, s13
	s_mov_b32 s13, exec_lo
	s_wait_loadcnt_dscnt 0x808
	v_cmpx_ne_u16_e32 0, v30
	s_cbranch_execz .LBB4_12444
; %bb.12435:                            ;   in Loop: Header=BB4_11564 Depth=3
	v_bfrev_b32_e32 v4, 1
	s_mov_b32 s14, exec_lo
	v_cmpx_ne_u16_e32 0xff80, v30
	s_cbranch_execz .LBB4_12443
; %bb.12436:                            ;   in Loop: Header=BB4_11564 Depth=3
	v_and_b32_e32 v4, 0x7c, v30
	v_and_b32_e32 v16, 3, v30
	s_delay_alu instid0(VALU_DEP_2) | instskip(SKIP_1) | instid1(SALU_CYCLE_1)
	v_cmp_ne_u32_e32 vcc_lo, 0x7c, v4
                                        ; implicit-def: $vgpr4
	s_and_saveexec_b32 s15, vcc_lo
	s_xor_b32 s15, exec_lo, s15
	s_cbranch_execz .LBB4_12440
; %bb.12437:                            ;   in Loop: Header=BB4_11564 Depth=3
	v_and_b32_e32 v4, 0xff, v30
	s_mov_b32 s74, exec_lo
	s_delay_alu instid0(VALU_DEP_1) | instskip(NEXT) | instid1(VALU_DEP_1)
	v_bfe_u32 v4, v4, 2, 5
	v_cmpx_eq_u32_e32 0, v4
	s_cbranch_execz .LBB4_12439
; %bb.12438:                            ;   in Loop: Header=BB4_11564 Depth=3
	v_clz_i32_u32_e32 v4, v16
	s_delay_alu instid0(VALU_DEP_1) | instskip(SKIP_1) | instid1(VALU_DEP_2)
	v_min_u32_e32 v4, 32, v4
	v_mov_b32_e32 v31, v3
	v_subrev_nc_u32_e32 v16, 29, v4
	v_sub_nc_u32_e32 v4, 30, v4
	s_delay_alu instid0(VALU_DEP_2) | instskip(NEXT) | instid1(VALU_DEP_1)
	v_lshlrev_b64_e32 v[16:17], v16, v[30:31]
	v_and_b32_e32 v16, 3, v16
.LBB4_12439:                            ;   in Loop: Header=BB4_11564 Depth=3
	s_or_b32 exec_lo, exec_lo, s74
	v_bfe_i32 v17, v30, 0, 16
                                        ; implicit-def: $vgpr30
	s_delay_alu instid0(VALU_DEP_1) | instskip(NEXT) | instid1(VALU_DEP_1)
	v_and_b32_e32 v17, 0x80000000, v17
	v_lshl_add_u32 v4, v4, 23, v17
	s_delay_alu instid0(VALU_DEP_1) | instskip(NEXT) | instid1(VALU_DEP_1)
	v_lshl_or_b32 v4, v16, 21, v4
                                        ; implicit-def: $vgpr16
	v_add_nc_u32_e32 v4, 0x38000000, v4
.LBB4_12440:                            ;   in Loop: Header=BB4_11564 Depth=3
	s_and_not1_saveexec_b32 s15, s15
; %bb.12441:                            ;   in Loop: Header=BB4_11564 Depth=3
	v_cmp_lt_i16_e32 vcc_lo, -1, v30
	v_cndmask_b32_e32 v4, 0xff800000, v48, vcc_lo
	v_cmp_eq_u32_e32 vcc_lo, 0, v16
	s_delay_alu instid0(VALU_DEP_2)
	v_cndmask_b32_e32 v4, 0x7f800001, v4, vcc_lo
; %bb.12442:                            ;   in Loop: Header=BB4_11564 Depth=3
	s_or_b32 exec_lo, exec_lo, s15
.LBB4_12443:                            ;   in Loop: Header=BB4_11564 Depth=3
	s_delay_alu instid0(SALU_CYCLE_1)
	s_or_b32 exec_lo, exec_lo, s14
.LBB4_12444:                            ;   in Loop: Header=BB4_11564 Depth=3
	s_delay_alu instid0(SALU_CYCLE_1) | instskip(NEXT) | instid1(VALU_DEP_1)
	s_or_b32 exec_lo, exec_lo, s13
	v_dual_add_f32 v16, v5, v4 :: v_dual_mov_b32 v5, v3
                                        ; implicit-def: $vgpr30
	s_delay_alu instid0(VALU_DEP_1) | instskip(NEXT) | instid1(VALU_DEP_1)
	v_and_b32_e32 v4, 0x7f800000, v16
	v_cmp_ne_u64_e32 vcc_lo, 0x7f800000, v[4:5]
	v_and_b32_e32 v4, 0x7fffff, v16
	s_and_saveexec_b32 s13, vcc_lo
	s_delay_alu instid0(SALU_CYCLE_1)
	s_xor_b32 s14, exec_lo, s13
	s_cbranch_execz .LBB4_12462
; %bb.12445:                            ;   in Loop: Header=BB4_11564 Depth=3
	v_and_b32_e32 v30, 0x7fffffff, v16
	v_dual_mov_b32 v31, v3 :: v_dual_lshrrev_b32 v17, 24, v16
	s_delay_alu instid0(VALU_DEP_1) | instskip(NEXT) | instid1(VALU_DEP_2)
	v_cmp_gt_u64_e32 vcc_lo, 0x47600001, v[30:31]
	v_and_b32_e32 v19, 0x80, v17
                                        ; implicit-def: $vgpr30
	s_and_saveexec_b32 s13, vcc_lo
	s_delay_alu instid0(SALU_CYCLE_1)
	s_xor_b32 s15, exec_lo, s13
	s_cbranch_execz .LBB4_12459
; %bb.12446:                            ;   in Loop: Header=BB4_11564 Depth=3
	v_mov_b32_e32 v30, 0
	s_mov_b32 s74, exec_lo
	v_cmpx_ne_u32_e32 0, v16
	s_cbranch_execz .LBB4_12458
; %bb.12447:                            ;   in Loop: Header=BB4_11564 Depth=3
	v_bfe_u32 v21, v16, 23, 8
	v_or_b32_e32 v17, 0x800000, v4
	s_delay_alu instid0(VALU_DEP_2) | instskip(SKIP_2) | instid1(VALU_DEP_2)
	v_cmp_gt_u32_e64 s13, 0x72, v21
	v_sub_nc_u32_e32 v16, 0x71, v21
	v_cmp_eq_u32_e32 vcc_lo, 0, v21
	v_cndmask_b32_e64 v16, 0, v16, s13
	s_delay_alu instid0(VALU_DEP_1) | instskip(NEXT) | instid1(VALU_DEP_1)
	v_cndmask_b32_e64 v30, v16, 0x70, vcc_lo
	v_dual_cndmask_b32 v4, v17, v4, vcc_lo :: v_dual_add_nc_u32 v16, 21, v30
	v_add_nc_u32_e32 v31, 20, v30
	s_delay_alu instid0(VALU_DEP_2) | instskip(NEXT) | instid1(VALU_DEP_2)
	v_lshlrev_b64_e64 v[16:17], v16, -1
	v_lshlrev_b64_e64 v[64:65], v31, 1
	s_delay_alu instid0(VALU_DEP_2) | instskip(SKIP_1) | instid1(VALU_DEP_4)
	v_bfi_b32 v16, v16, 0, v4
	v_lshrrev_b64 v[4:5], v30, v[4:5]
	v_bfi_b32 v17, v17, 0, 0
	s_delay_alu instid0(VALU_DEP_1) | instskip(NEXT) | instid1(VALU_DEP_3)
	v_cmp_eq_u64_e64 s13, v[16:17], v[64:65]
	v_mov_b64_e32 v[16:17], v[4:5]
	s_and_saveexec_b32 s75, s13
; %bb.12448:                            ;   in Loop: Header=BB4_11564 Depth=3
	v_bfe_u32 v16, v4, 21, 1
	v_mov_b32_e32 v17, v3
	s_delay_alu instid0(VALU_DEP_1) | instskip(NEXT) | instid1(VALU_DEP_1)
	v_add_nc_u64_e32 v[16:17], v[4:5], v[16:17]
	v_add_nc_u64_e32 v[16:17], -1, v[16:17]
; %bb.12449:                            ;   in Loop: Header=BB4_11564 Depth=3
	s_or_b32 exec_lo, exec_lo, s75
	v_add_nc_u32_e32 v5, 0xffffff81, v21
	v_lshrrev_b32_e32 v17, 23, v4
	s_mov_b32 s13, exec_lo
	s_delay_alu instid0(VALU_DEP_2) | instskip(NEXT) | instid1(VALU_DEP_1)
	v_cndmask_b32_e64 v5, v5, 0xffffff82, vcc_lo
	v_add3_u32 v17, v30, v5, v17
	v_and_b32_e32 v5, 0x1fffff, v16
                                        ; implicit-def: $vgpr16
	s_delay_alu instid0(VALU_DEP_1) | instskip(SKIP_1) | instid1(VALU_DEP_2)
	v_dual_add_nc_u32 v21, 14, v17 :: v_dual_add_nc_u32 v4, v5, v4
	v_mov_b32_e32 v5, v3
	v_cmpx_ne_u32_e32 0, v21
	s_xor_b32 s13, exec_lo, s13
; %bb.12450:                            ;   in Loop: Header=BB4_11564 Depth=3
	s_delay_alu instid0(VALU_DEP_2) | instskip(SKIP_2) | instid1(VALU_DEP_2)
	v_cmp_lt_u64_e32 vcc_lo, 0xffffff, v[4:5]
	v_add_nc_u32_e32 v16, 15, v17
	v_cndmask_b32_e64 v17, 0, 1, vcc_lo
	v_cndmask_b32_e32 v16, v21, v16, vcc_lo
	s_delay_alu instid0(VALU_DEP_2)
	v_lshrrev_b64 v[4:5], v17, v[4:5]
; %bb.12451:                            ;   in Loop: Header=BB4_11564 Depth=3
	s_and_not1_saveexec_b32 s13, s13
; %bb.12452:                            ;   in Loop: Header=BB4_11564 Depth=3
	s_delay_alu instid0(VALU_DEP_1)
	v_bfe_u32 v16, v4, 23, 1
; %bb.12453:                            ;   in Loop: Header=BB4_11564 Depth=3
	s_or_b32 exec_lo, exec_lo, s13
	s_delay_alu instid0(VALU_DEP_2) | instskip(NEXT) | instid1(VALU_DEP_2)
	v_lshrrev_b64 v[4:5], 21, v[4:5]
	v_cmp_gt_i32_e32 vcc_lo, 32, v16
	v_cmp_ne_u32_e64 s13, 0, v16
                                        ; implicit-def: $vgpr30
	s_delay_alu instid0(VALU_DEP_3) | instskip(NEXT) | instid1(VALU_DEP_1)
	v_dual_cndmask_b32 v5, 0, v5 :: v_dual_cndmask_b32 v4, 3, v4
	v_cmp_ne_u64_e32 vcc_lo, 0, v[4:5]
	s_or_b32 s13, s13, vcc_lo
	s_delay_alu instid0(SALU_CYCLE_1) | instskip(NEXT) | instid1(SALU_CYCLE_1)
	s_and_saveexec_b32 s75, s13
	s_xor_b32 s13, exec_lo, s75
; %bb.12454:                            ;   in Loop: Header=BB4_11564 Depth=3
	v_min_i32_e32 v5, 31, v16
	s_delay_alu instid0(VALU_DEP_1) | instskip(NEXT) | instid1(VALU_DEP_1)
	v_lshl_or_b32 v5, v5, 2, v19
                                        ; implicit-def: $vgpr19
	v_and_or_b32 v30, v4, 3, v5
; %bb.12455:                            ;   in Loop: Header=BB4_11564 Depth=3
	s_and_not1_saveexec_b32 s13, s13
; %bb.12456:                            ;   in Loop: Header=BB4_11564 Depth=3
	v_mov_b32_e32 v30, v19
; %bb.12457:                            ;   in Loop: Header=BB4_11564 Depth=3
	s_or_b32 exec_lo, exec_lo, s13
.LBB4_12458:                            ;   in Loop: Header=BB4_11564 Depth=3
	s_delay_alu instid0(SALU_CYCLE_1)
	s_or_b32 exec_lo, exec_lo, s74
                                        ; implicit-def: $vgpr19
.LBB4_12459:                            ;   in Loop: Header=BB4_11564 Depth=3
	s_and_not1_saveexec_b32 s13, s15
; %bb.12460:                            ;   in Loop: Header=BB4_11564 Depth=3
	v_or_b32_e32 v30, 0x7b, v19
; %bb.12461:                            ;   in Loop: Header=BB4_11564 Depth=3
	s_or_b32 exec_lo, exec_lo, s13
                                        ; implicit-def: $vgpr16
                                        ; implicit-def: $vgpr4_vgpr5
.LBB4_12462:                            ;   in Loop: Header=BB4_11564 Depth=3
	s_and_not1_saveexec_b32 s13, s14
	s_cbranch_execz .LBB4_12468
; %bb.12463:                            ;   in Loop: Header=BB4_11564 Depth=3
	s_mov_b32 s14, exec_lo
                                        ; implicit-def: $vgpr30
	v_cmpx_ne_u64_e32 0, v[4:5]
	s_xor_b32 s14, exec_lo, s14
; %bb.12464:                            ;   in Loop: Header=BB4_11564 Depth=3
	v_lshrrev_b32_e32 v4, 24, v16
                                        ; implicit-def: $vgpr16
	s_delay_alu instid0(VALU_DEP_1)
	v_or_b32_e32 v30, 0x7f, v4
; %bb.12465:                            ;   in Loop: Header=BB4_11564 Depth=3
	s_and_not1_saveexec_b32 s14, s14
; %bb.12466:                            ;   in Loop: Header=BB4_11564 Depth=3
	v_cmp_lt_i32_e32 vcc_lo, -1, v16
	v_cndmask_b32_e64 v30, -4, 0x7c, vcc_lo
; %bb.12467:                            ;   in Loop: Header=BB4_11564 Depth=3
	s_or_b32 exec_lo, exec_lo, s14
.LBB4_12468:                            ;   in Loop: Header=BB4_11564 Depth=3
	s_delay_alu instid0(SALU_CYCLE_1) | instskip(SKIP_3) | instid1(VALU_DEP_2)
	s_or_b32 exec_lo, exec_lo, s13
	v_and_b32_e32 v17, 0xff, v76
	v_dual_mov_b32 v4, 0 :: v_dual_mov_b32 v5, 0
	s_mov_b32 s13, exec_lo
	v_cmpx_ne_u16_e32 0, v17
	s_cbranch_execz .LBB4_12478
; %bb.12469:                            ;   in Loop: Header=BB4_11564 Depth=3
	v_bfrev_b32_e32 v5, 1
	s_mov_b32 s14, exec_lo
	v_cmpx_ne_u16_e32 0x80, v17
	s_cbranch_execz .LBB4_12477
; %bb.12470:                            ;   in Loop: Header=BB4_11564 Depth=3
	v_and_b32_e32 v5, 0x7c, v76
	v_and_b32_e32 v16, 3, v76
	s_delay_alu instid0(VALU_DEP_2) | instskip(SKIP_1) | instid1(SALU_CYCLE_1)
	v_cmp_ne_u32_e32 vcc_lo, 0x7c, v5
                                        ; implicit-def: $vgpr5
	s_and_saveexec_b32 s15, vcc_lo
	s_xor_b32 s15, exec_lo, s15
	s_cbranch_execz .LBB4_12474
; %bb.12471:                            ;   in Loop: Header=BB4_11564 Depth=3
	v_bfe_u32 v5, v17, 2, 5
	s_mov_b32 s74, exec_lo
	s_delay_alu instid0(VALU_DEP_1)
	v_cmpx_eq_u32_e32 0, v5
	s_cbranch_execz .LBB4_12473
; %bb.12472:                            ;   in Loop: Header=BB4_11564 Depth=3
	v_clz_i32_u32_e32 v5, v16
	s_delay_alu instid0(VALU_DEP_1) | instskip(SKIP_1) | instid1(VALU_DEP_2)
	v_min_u32_e32 v5, 32, v5
	v_mov_b32_e32 v77, v3
	v_subrev_nc_u32_e32 v16, 29, v5
	v_sub_nc_u32_e32 v5, 30, v5
	s_delay_alu instid0(VALU_DEP_2) | instskip(NEXT) | instid1(VALU_DEP_1)
	v_lshlrev_b64_e32 v[16:17], v16, v[76:77]
	v_and_b32_e32 v16, 3, v16
.LBB4_12473:                            ;   in Loop: Header=BB4_11564 Depth=3
	s_or_b32 exec_lo, exec_lo, s74
	v_lshlrev_b32_e32 v17, 24, v76
                                        ; implicit-def: $vgpr76
	s_delay_alu instid0(VALU_DEP_1) | instskip(NEXT) | instid1(VALU_DEP_1)
	v_and_b32_e32 v17, 0x80000000, v17
	v_lshl_add_u32 v5, v5, 23, v17
	s_delay_alu instid0(VALU_DEP_1) | instskip(NEXT) | instid1(VALU_DEP_1)
	v_lshl_or_b32 v5, v16, 21, v5
                                        ; implicit-def: $vgpr16
	v_add_nc_u32_e32 v5, 0x38000000, v5
.LBB4_12474:                            ;   in Loop: Header=BB4_11564 Depth=3
	s_and_not1_saveexec_b32 s15, s15
; %bb.12475:                            ;   in Loop: Header=BB4_11564 Depth=3
	v_bfe_i32 v5, v76, 0, 8
	s_delay_alu instid0(VALU_DEP_1) | instskip(SKIP_2) | instid1(VALU_DEP_2)
	v_cmp_lt_i16_e32 vcc_lo, -1, v5
	v_cndmask_b32_e32 v5, 0xff800000, v48, vcc_lo
	v_cmp_eq_u32_e32 vcc_lo, 0, v16
	v_cndmask_b32_e32 v5, 0x7f800001, v5, vcc_lo
; %bb.12476:                            ;   in Loop: Header=BB4_11564 Depth=3
	s_or_b32 exec_lo, exec_lo, s15
.LBB4_12477:                            ;   in Loop: Header=BB4_11564 Depth=3
	s_delay_alu instid0(SALU_CYCLE_1)
	s_or_b32 exec_lo, exec_lo, s14
.LBB4_12478:                            ;   in Loop: Header=BB4_11564 Depth=3
	s_delay_alu instid0(SALU_CYCLE_1) | instskip(NEXT) | instid1(SALU_CYCLE_1)
	s_or_b32 exec_lo, exec_lo, s13
	s_mov_b32 s13, exec_lo
	s_wait_loadcnt_dscnt 0x707
	v_cmpx_ne_u16_e32 0, v20
	s_cbranch_execz .LBB4_12488
; %bb.12479:                            ;   in Loop: Header=BB4_11564 Depth=3
	v_bfrev_b32_e32 v4, 1
	s_mov_b32 s14, exec_lo
	v_cmpx_ne_u16_e32 0xff80, v20
	s_cbranch_execz .LBB4_12487
; %bb.12480:                            ;   in Loop: Header=BB4_11564 Depth=3
	v_and_b32_e32 v4, 0x7c, v20
	v_and_b32_e32 v16, 3, v20
	s_delay_alu instid0(VALU_DEP_2) | instskip(SKIP_1) | instid1(SALU_CYCLE_1)
	v_cmp_ne_u32_e32 vcc_lo, 0x7c, v4
                                        ; implicit-def: $vgpr4
	s_and_saveexec_b32 s15, vcc_lo
	s_xor_b32 s15, exec_lo, s15
	s_cbranch_execz .LBB4_12484
; %bb.12481:                            ;   in Loop: Header=BB4_11564 Depth=3
	v_and_b32_e32 v4, 0xff, v20
	s_mov_b32 s74, exec_lo
	s_delay_alu instid0(VALU_DEP_1) | instskip(NEXT) | instid1(VALU_DEP_1)
	v_bfe_u32 v4, v4, 2, 5
	v_cmpx_eq_u32_e32 0, v4
	s_cbranch_execz .LBB4_12483
; %bb.12482:                            ;   in Loop: Header=BB4_11564 Depth=3
	v_clz_i32_u32_e32 v4, v16
	s_delay_alu instid0(VALU_DEP_1) | instskip(SKIP_1) | instid1(VALU_DEP_2)
	v_min_u32_e32 v4, 32, v4
	v_mov_b32_e32 v21, v3
	v_subrev_nc_u32_e32 v16, 29, v4
	v_sub_nc_u32_e32 v4, 30, v4
	s_delay_alu instid0(VALU_DEP_2) | instskip(NEXT) | instid1(VALU_DEP_1)
	v_lshlrev_b64_e32 v[16:17], v16, v[20:21]
	v_and_b32_e32 v16, 3, v16
.LBB4_12483:                            ;   in Loop: Header=BB4_11564 Depth=3
	s_or_b32 exec_lo, exec_lo, s74
	v_bfe_i32 v17, v20, 0, 16
                                        ; implicit-def: $vgpr20
	s_delay_alu instid0(VALU_DEP_1) | instskip(NEXT) | instid1(VALU_DEP_1)
	v_and_b32_e32 v17, 0x80000000, v17
	v_lshl_add_u32 v4, v4, 23, v17
	s_delay_alu instid0(VALU_DEP_1) | instskip(NEXT) | instid1(VALU_DEP_1)
	v_lshl_or_b32 v4, v16, 21, v4
                                        ; implicit-def: $vgpr16
	v_add_nc_u32_e32 v4, 0x38000000, v4
.LBB4_12484:                            ;   in Loop: Header=BB4_11564 Depth=3
	s_and_not1_saveexec_b32 s15, s15
; %bb.12485:                            ;   in Loop: Header=BB4_11564 Depth=3
	v_cmp_lt_i16_e32 vcc_lo, -1, v20
	v_cndmask_b32_e32 v4, 0xff800000, v48, vcc_lo
	v_cmp_eq_u32_e32 vcc_lo, 0, v16
	s_delay_alu instid0(VALU_DEP_2)
	v_cndmask_b32_e32 v4, 0x7f800001, v4, vcc_lo
; %bb.12486:                            ;   in Loop: Header=BB4_11564 Depth=3
	s_or_b32 exec_lo, exec_lo, s15
.LBB4_12487:                            ;   in Loop: Header=BB4_11564 Depth=3
	s_delay_alu instid0(SALU_CYCLE_1)
	s_or_b32 exec_lo, exec_lo, s14
.LBB4_12488:                            ;   in Loop: Header=BB4_11564 Depth=3
	s_delay_alu instid0(SALU_CYCLE_1) | instskip(NEXT) | instid1(VALU_DEP_1)
	s_or_b32 exec_lo, exec_lo, s13
	v_dual_add_f32 v16, v5, v4 :: v_dual_mov_b32 v5, v3
                                        ; implicit-def: $vgpr20
	s_delay_alu instid0(VALU_DEP_1) | instskip(NEXT) | instid1(VALU_DEP_1)
	v_and_b32_e32 v4, 0x7f800000, v16
	v_cmp_ne_u64_e32 vcc_lo, 0x7f800000, v[4:5]
	v_and_b32_e32 v4, 0x7fffff, v16
	s_and_saveexec_b32 s13, vcc_lo
	s_delay_alu instid0(SALU_CYCLE_1)
	s_xor_b32 s14, exec_lo, s13
	s_cbranch_execz .LBB4_12506
; %bb.12489:                            ;   in Loop: Header=BB4_11564 Depth=3
	v_and_b32_e32 v20, 0x7fffffff, v16
	v_dual_mov_b32 v21, v3 :: v_dual_lshrrev_b32 v17, 24, v16
	s_delay_alu instid0(VALU_DEP_1) | instskip(NEXT) | instid1(VALU_DEP_2)
	v_cmp_gt_u64_e32 vcc_lo, 0x47600001, v[20:21]
	v_and_b32_e32 v19, 0x80, v17
                                        ; implicit-def: $vgpr20
	s_and_saveexec_b32 s13, vcc_lo
	s_delay_alu instid0(SALU_CYCLE_1)
	s_xor_b32 s15, exec_lo, s13
	s_cbranch_execz .LBB4_12503
; %bb.12490:                            ;   in Loop: Header=BB4_11564 Depth=3
	v_mov_b32_e32 v20, 0
	s_mov_b32 s74, exec_lo
	v_cmpx_ne_u32_e32 0, v16
	s_cbranch_execz .LBB4_12502
; %bb.12491:                            ;   in Loop: Header=BB4_11564 Depth=3
	v_bfe_u32 v20, v16, 23, 8
	v_or_b32_e32 v17, 0x800000, v4
	s_delay_alu instid0(VALU_DEP_2) | instskip(SKIP_2) | instid1(VALU_DEP_2)
	v_cmp_gt_u32_e64 s13, 0x72, v20
	v_sub_nc_u32_e32 v16, 0x71, v20
	v_cmp_eq_u32_e32 vcc_lo, 0, v20
	v_cndmask_b32_e64 v16, 0, v16, s13
	s_delay_alu instid0(VALU_DEP_1) | instskip(NEXT) | instid1(VALU_DEP_1)
	v_cndmask_b32_e64 v21, v16, 0x70, vcc_lo
	v_dual_cndmask_b32 v4, v17, v4, vcc_lo :: v_dual_add_nc_u32 v16, 21, v21
	v_add_nc_u32_e32 v31, 20, v21
	s_delay_alu instid0(VALU_DEP_2) | instskip(NEXT) | instid1(VALU_DEP_2)
	v_lshlrev_b64_e64 v[16:17], v16, -1
	v_lshlrev_b64_e64 v[64:65], v31, 1
	s_delay_alu instid0(VALU_DEP_2) | instskip(SKIP_1) | instid1(VALU_DEP_4)
	v_bfi_b32 v16, v16, 0, v4
	v_lshrrev_b64 v[4:5], v21, v[4:5]
	v_bfi_b32 v17, v17, 0, 0
	s_delay_alu instid0(VALU_DEP_1) | instskip(NEXT) | instid1(VALU_DEP_3)
	v_cmp_eq_u64_e64 s13, v[16:17], v[64:65]
	v_mov_b64_e32 v[16:17], v[4:5]
	s_and_saveexec_b32 s75, s13
; %bb.12492:                            ;   in Loop: Header=BB4_11564 Depth=3
	v_bfe_u32 v16, v4, 21, 1
	v_mov_b32_e32 v17, v3
	s_delay_alu instid0(VALU_DEP_1) | instskip(NEXT) | instid1(VALU_DEP_1)
	v_add_nc_u64_e32 v[16:17], v[4:5], v[16:17]
	v_add_nc_u64_e32 v[16:17], -1, v[16:17]
; %bb.12493:                            ;   in Loop: Header=BB4_11564 Depth=3
	s_or_b32 exec_lo, exec_lo, s75
	v_add_nc_u32_e32 v5, 0xffffff81, v20
	v_lshrrev_b32_e32 v17, 23, v4
	s_mov_b32 s13, exec_lo
	s_delay_alu instid0(VALU_DEP_2) | instskip(NEXT) | instid1(VALU_DEP_1)
	v_cndmask_b32_e64 v5, v5, 0xffffff82, vcc_lo
	v_add3_u32 v17, v21, v5, v17
	v_and_b32_e32 v5, 0x1fffff, v16
                                        ; implicit-def: $vgpr16
	s_delay_alu instid0(VALU_DEP_1) | instskip(SKIP_1) | instid1(VALU_DEP_2)
	v_dual_add_nc_u32 v20, 14, v17 :: v_dual_add_nc_u32 v4, v5, v4
	v_mov_b32_e32 v5, v3
	v_cmpx_ne_u32_e32 0, v20
	s_xor_b32 s13, exec_lo, s13
; %bb.12494:                            ;   in Loop: Header=BB4_11564 Depth=3
	s_delay_alu instid0(VALU_DEP_2) | instskip(SKIP_2) | instid1(VALU_DEP_2)
	v_cmp_lt_u64_e32 vcc_lo, 0xffffff, v[4:5]
	v_add_nc_u32_e32 v16, 15, v17
	v_cndmask_b32_e64 v17, 0, 1, vcc_lo
	v_cndmask_b32_e32 v16, v20, v16, vcc_lo
	s_delay_alu instid0(VALU_DEP_2)
	v_lshrrev_b64 v[4:5], v17, v[4:5]
; %bb.12495:                            ;   in Loop: Header=BB4_11564 Depth=3
	s_and_not1_saveexec_b32 s13, s13
; %bb.12496:                            ;   in Loop: Header=BB4_11564 Depth=3
	s_delay_alu instid0(VALU_DEP_1)
	v_bfe_u32 v16, v4, 23, 1
; %bb.12497:                            ;   in Loop: Header=BB4_11564 Depth=3
	s_or_b32 exec_lo, exec_lo, s13
	s_delay_alu instid0(VALU_DEP_2) | instskip(NEXT) | instid1(VALU_DEP_2)
	v_lshrrev_b64 v[4:5], 21, v[4:5]
	v_cmp_gt_i32_e32 vcc_lo, 32, v16
	v_cmp_ne_u32_e64 s13, 0, v16
                                        ; implicit-def: $vgpr20
	s_delay_alu instid0(VALU_DEP_3) | instskip(NEXT) | instid1(VALU_DEP_1)
	v_dual_cndmask_b32 v5, 0, v5 :: v_dual_cndmask_b32 v4, 3, v4
	v_cmp_ne_u64_e32 vcc_lo, 0, v[4:5]
	s_or_b32 s13, s13, vcc_lo
	s_delay_alu instid0(SALU_CYCLE_1) | instskip(NEXT) | instid1(SALU_CYCLE_1)
	s_and_saveexec_b32 s75, s13
	s_xor_b32 s13, exec_lo, s75
; %bb.12498:                            ;   in Loop: Header=BB4_11564 Depth=3
	v_min_i32_e32 v5, 31, v16
	s_delay_alu instid0(VALU_DEP_1) | instskip(NEXT) | instid1(VALU_DEP_1)
	v_lshl_or_b32 v5, v5, 2, v19
                                        ; implicit-def: $vgpr19
	v_and_or_b32 v20, v4, 3, v5
; %bb.12499:                            ;   in Loop: Header=BB4_11564 Depth=3
	s_and_not1_saveexec_b32 s13, s13
; %bb.12500:                            ;   in Loop: Header=BB4_11564 Depth=3
	v_mov_b32_e32 v20, v19
; %bb.12501:                            ;   in Loop: Header=BB4_11564 Depth=3
	s_or_b32 exec_lo, exec_lo, s13
.LBB4_12502:                            ;   in Loop: Header=BB4_11564 Depth=3
	s_delay_alu instid0(SALU_CYCLE_1)
	s_or_b32 exec_lo, exec_lo, s74
                                        ; implicit-def: $vgpr19
.LBB4_12503:                            ;   in Loop: Header=BB4_11564 Depth=3
	s_and_not1_saveexec_b32 s13, s15
; %bb.12504:                            ;   in Loop: Header=BB4_11564 Depth=3
	v_or_b32_e32 v20, 0x7b, v19
; %bb.12505:                            ;   in Loop: Header=BB4_11564 Depth=3
	s_or_b32 exec_lo, exec_lo, s13
                                        ; implicit-def: $vgpr16
                                        ; implicit-def: $vgpr4_vgpr5
.LBB4_12506:                            ;   in Loop: Header=BB4_11564 Depth=3
	s_and_not1_saveexec_b32 s13, s14
	s_cbranch_execz .LBB4_12512
; %bb.12507:                            ;   in Loop: Header=BB4_11564 Depth=3
	s_mov_b32 s14, exec_lo
                                        ; implicit-def: $vgpr20
	v_cmpx_ne_u64_e32 0, v[4:5]
	s_xor_b32 s14, exec_lo, s14
; %bb.12508:                            ;   in Loop: Header=BB4_11564 Depth=3
	v_lshrrev_b32_e32 v4, 24, v16
                                        ; implicit-def: $vgpr16
	s_delay_alu instid0(VALU_DEP_1)
	v_or_b32_e32 v20, 0x7f, v4
; %bb.12509:                            ;   in Loop: Header=BB4_11564 Depth=3
	s_and_not1_saveexec_b32 s14, s14
; %bb.12510:                            ;   in Loop: Header=BB4_11564 Depth=3
	v_cmp_lt_i32_e32 vcc_lo, -1, v16
	v_cndmask_b32_e64 v20, -4, 0x7c, vcc_lo
; %bb.12511:                            ;   in Loop: Header=BB4_11564 Depth=3
	s_or_b32 exec_lo, exec_lo, s14
.LBB4_12512:                            ;   in Loop: Header=BB4_11564 Depth=3
	s_delay_alu instid0(SALU_CYCLE_1) | instskip(SKIP_3) | instid1(VALU_DEP_2)
	s_or_b32 exec_lo, exec_lo, s13
	v_and_b32_e32 v17, 0xff, v74
	v_dual_mov_b32 v4, 0 :: v_dual_mov_b32 v5, 0
	s_mov_b32 s13, exec_lo
	v_cmpx_ne_u16_e32 0, v17
	s_cbranch_execz .LBB4_12522
; %bb.12513:                            ;   in Loop: Header=BB4_11564 Depth=3
	v_bfrev_b32_e32 v5, 1
	s_mov_b32 s14, exec_lo
	v_cmpx_ne_u16_e32 0x80, v17
	s_cbranch_execz .LBB4_12521
; %bb.12514:                            ;   in Loop: Header=BB4_11564 Depth=3
	v_and_b32_e32 v5, 0x7c, v74
	v_and_b32_e32 v16, 3, v74
	s_delay_alu instid0(VALU_DEP_2) | instskip(SKIP_1) | instid1(SALU_CYCLE_1)
	v_cmp_ne_u32_e32 vcc_lo, 0x7c, v5
                                        ; implicit-def: $vgpr5
	s_and_saveexec_b32 s15, vcc_lo
	s_xor_b32 s15, exec_lo, s15
	s_cbranch_execz .LBB4_12518
; %bb.12515:                            ;   in Loop: Header=BB4_11564 Depth=3
	v_bfe_u32 v5, v17, 2, 5
	s_mov_b32 s74, exec_lo
	s_delay_alu instid0(VALU_DEP_1)
	v_cmpx_eq_u32_e32 0, v5
	s_cbranch_execz .LBB4_12517
; %bb.12516:                            ;   in Loop: Header=BB4_11564 Depth=3
	v_clz_i32_u32_e32 v5, v16
	s_delay_alu instid0(VALU_DEP_1) | instskip(SKIP_1) | instid1(VALU_DEP_2)
	v_min_u32_e32 v5, 32, v5
	v_mov_b32_e32 v75, v3
	v_subrev_nc_u32_e32 v16, 29, v5
	v_sub_nc_u32_e32 v5, 30, v5
	s_delay_alu instid0(VALU_DEP_2) | instskip(NEXT) | instid1(VALU_DEP_1)
	v_lshlrev_b64_e32 v[16:17], v16, v[74:75]
	v_and_b32_e32 v16, 3, v16
.LBB4_12517:                            ;   in Loop: Header=BB4_11564 Depth=3
	s_or_b32 exec_lo, exec_lo, s74
	v_lshlrev_b32_e32 v17, 24, v74
                                        ; implicit-def: $vgpr74
	s_delay_alu instid0(VALU_DEP_1) | instskip(NEXT) | instid1(VALU_DEP_1)
	v_and_b32_e32 v17, 0x80000000, v17
	v_lshl_add_u32 v5, v5, 23, v17
	s_delay_alu instid0(VALU_DEP_1) | instskip(NEXT) | instid1(VALU_DEP_1)
	v_lshl_or_b32 v5, v16, 21, v5
                                        ; implicit-def: $vgpr16
	v_add_nc_u32_e32 v5, 0x38000000, v5
.LBB4_12518:                            ;   in Loop: Header=BB4_11564 Depth=3
	s_and_not1_saveexec_b32 s15, s15
; %bb.12519:                            ;   in Loop: Header=BB4_11564 Depth=3
	v_bfe_i32 v5, v74, 0, 8
	s_delay_alu instid0(VALU_DEP_1) | instskip(SKIP_2) | instid1(VALU_DEP_2)
	v_cmp_lt_i16_e32 vcc_lo, -1, v5
	v_cndmask_b32_e32 v5, 0xff800000, v48, vcc_lo
	v_cmp_eq_u32_e32 vcc_lo, 0, v16
	v_cndmask_b32_e32 v5, 0x7f800001, v5, vcc_lo
; %bb.12520:                            ;   in Loop: Header=BB4_11564 Depth=3
	s_or_b32 exec_lo, exec_lo, s15
.LBB4_12521:                            ;   in Loop: Header=BB4_11564 Depth=3
	s_delay_alu instid0(SALU_CYCLE_1)
	s_or_b32 exec_lo, exec_lo, s14
.LBB4_12522:                            ;   in Loop: Header=BB4_11564 Depth=3
	s_delay_alu instid0(SALU_CYCLE_1) | instskip(NEXT) | instid1(SALU_CYCLE_1)
	s_or_b32 exec_lo, exec_lo, s13
	s_mov_b32 s13, exec_lo
	s_wait_loadcnt_dscnt 0x606
	v_cmpx_ne_u16_e32 0, v18
	s_cbranch_execz .LBB4_12532
; %bb.12523:                            ;   in Loop: Header=BB4_11564 Depth=3
	v_bfrev_b32_e32 v4, 1
	s_mov_b32 s14, exec_lo
	v_cmpx_ne_u16_e32 0xff80, v18
	s_cbranch_execz .LBB4_12531
; %bb.12524:                            ;   in Loop: Header=BB4_11564 Depth=3
	v_and_b32_e32 v4, 0x7c, v18
	v_and_b32_e32 v16, 3, v18
	s_delay_alu instid0(VALU_DEP_2) | instskip(SKIP_1) | instid1(SALU_CYCLE_1)
	v_cmp_ne_u32_e32 vcc_lo, 0x7c, v4
                                        ; implicit-def: $vgpr4
	s_and_saveexec_b32 s15, vcc_lo
	s_xor_b32 s15, exec_lo, s15
	s_cbranch_execz .LBB4_12528
; %bb.12525:                            ;   in Loop: Header=BB4_11564 Depth=3
	v_and_b32_e32 v4, 0xff, v18
	s_mov_b32 s74, exec_lo
	s_delay_alu instid0(VALU_DEP_1) | instskip(NEXT) | instid1(VALU_DEP_1)
	v_bfe_u32 v4, v4, 2, 5
	v_cmpx_eq_u32_e32 0, v4
	s_cbranch_execz .LBB4_12527
; %bb.12526:                            ;   in Loop: Header=BB4_11564 Depth=3
	v_clz_i32_u32_e32 v4, v16
	s_delay_alu instid0(VALU_DEP_1) | instskip(SKIP_1) | instid1(VALU_DEP_2)
	v_min_u32_e32 v4, 32, v4
	v_mov_b32_e32 v19, v3
	v_subrev_nc_u32_e32 v16, 29, v4
	v_sub_nc_u32_e32 v4, 30, v4
	s_delay_alu instid0(VALU_DEP_2) | instskip(NEXT) | instid1(VALU_DEP_1)
	v_lshlrev_b64_e32 v[16:17], v16, v[18:19]
	v_and_b32_e32 v16, 3, v16
.LBB4_12527:                            ;   in Loop: Header=BB4_11564 Depth=3
	s_or_b32 exec_lo, exec_lo, s74
	v_bfe_i32 v17, v18, 0, 16
                                        ; implicit-def: $vgpr18
	s_delay_alu instid0(VALU_DEP_1) | instskip(NEXT) | instid1(VALU_DEP_1)
	v_and_b32_e32 v17, 0x80000000, v17
	v_lshl_add_u32 v4, v4, 23, v17
	s_delay_alu instid0(VALU_DEP_1) | instskip(NEXT) | instid1(VALU_DEP_1)
	v_lshl_or_b32 v4, v16, 21, v4
                                        ; implicit-def: $vgpr16
	v_add_nc_u32_e32 v4, 0x38000000, v4
.LBB4_12528:                            ;   in Loop: Header=BB4_11564 Depth=3
	s_and_not1_saveexec_b32 s15, s15
; %bb.12529:                            ;   in Loop: Header=BB4_11564 Depth=3
	v_cmp_lt_i16_e32 vcc_lo, -1, v18
	v_cndmask_b32_e32 v4, 0xff800000, v48, vcc_lo
	v_cmp_eq_u32_e32 vcc_lo, 0, v16
	s_delay_alu instid0(VALU_DEP_2)
	v_cndmask_b32_e32 v4, 0x7f800001, v4, vcc_lo
; %bb.12530:                            ;   in Loop: Header=BB4_11564 Depth=3
	s_or_b32 exec_lo, exec_lo, s15
.LBB4_12531:                            ;   in Loop: Header=BB4_11564 Depth=3
	s_delay_alu instid0(SALU_CYCLE_1)
	s_or_b32 exec_lo, exec_lo, s14
.LBB4_12532:                            ;   in Loop: Header=BB4_11564 Depth=3
	s_delay_alu instid0(SALU_CYCLE_1) | instskip(NEXT) | instid1(VALU_DEP_1)
	s_or_b32 exec_lo, exec_lo, s13
	v_dual_add_f32 v16, v5, v4 :: v_dual_mov_b32 v5, v3
                                        ; implicit-def: $vgpr18
	s_delay_alu instid0(VALU_DEP_1) | instskip(NEXT) | instid1(VALU_DEP_1)
	v_and_b32_e32 v4, 0x7f800000, v16
	v_cmp_ne_u64_e32 vcc_lo, 0x7f800000, v[4:5]
	v_and_b32_e32 v4, 0x7fffff, v16
	s_and_saveexec_b32 s13, vcc_lo
	s_delay_alu instid0(SALU_CYCLE_1)
	s_xor_b32 s14, exec_lo, s13
	s_cbranch_execz .LBB4_12550
; %bb.12533:                            ;   in Loop: Header=BB4_11564 Depth=3
	v_and_b32_e32 v18, 0x7fffffff, v16
	v_dual_mov_b32 v19, v3 :: v_dual_lshrrev_b32 v17, 24, v16
	s_delay_alu instid0(VALU_DEP_1) | instskip(NEXT) | instid1(VALU_DEP_2)
	v_cmp_gt_u64_e32 vcc_lo, 0x47600001, v[18:19]
	v_and_b32_e32 v19, 0x80, v17
                                        ; implicit-def: $vgpr18
	s_and_saveexec_b32 s13, vcc_lo
	s_delay_alu instid0(SALU_CYCLE_1)
	s_xor_b32 s15, exec_lo, s13
	s_cbranch_execz .LBB4_12547
; %bb.12534:                            ;   in Loop: Header=BB4_11564 Depth=3
	v_mov_b32_e32 v18, 0
	s_mov_b32 s74, exec_lo
	v_cmpx_ne_u32_e32 0, v16
	s_cbranch_execz .LBB4_12546
; %bb.12535:                            ;   in Loop: Header=BB4_11564 Depth=3
	v_bfe_u32 v18, v16, 23, 8
	v_or_b32_e32 v31, 0x800000, v4
	s_delay_alu instid0(VALU_DEP_2) | instskip(SKIP_1) | instid1(VALU_DEP_2)
	v_sub_nc_u32_e32 v16, 0x71, v18
	v_cmp_gt_u32_e32 vcc_lo, 0x72, v18
	v_cndmask_b32_e32 v16, 0, v16, vcc_lo
	v_cmp_eq_u32_e32 vcc_lo, 0, v18
	s_delay_alu instid0(VALU_DEP_2) | instskip(NEXT) | instid1(VALU_DEP_1)
	v_cndmask_b32_e64 v21, v16, 0x70, vcc_lo
	v_dual_cndmask_b32 v4, v31, v4, vcc_lo :: v_dual_add_nc_u32 v16, 21, v21
	v_add_nc_u32_e32 v64, 20, v21
	s_delay_alu instid0(VALU_DEP_2) | instskip(NEXT) | instid1(VALU_DEP_2)
	v_lshlrev_b64_e64 v[16:17], v16, -1
	v_lshlrev_b64_e64 v[64:65], v64, 1
	s_delay_alu instid0(VALU_DEP_2) | instskip(SKIP_1) | instid1(VALU_DEP_4)
	v_bfi_b32 v16, v16, 0, v4
	v_lshrrev_b64 v[4:5], v21, v[4:5]
	v_bfi_b32 v17, v17, 0, 0
	s_delay_alu instid0(VALU_DEP_1) | instskip(NEXT) | instid1(VALU_DEP_3)
	v_cmp_eq_u64_e64 s13, v[16:17], v[64:65]
	v_mov_b64_e32 v[16:17], v[4:5]
	s_and_saveexec_b32 s75, s13
; %bb.12536:                            ;   in Loop: Header=BB4_11564 Depth=3
	v_bfe_u32 v16, v4, 21, 1
	v_mov_b32_e32 v17, v3
	s_delay_alu instid0(VALU_DEP_1) | instskip(NEXT) | instid1(VALU_DEP_1)
	v_add_nc_u64_e32 v[16:17], v[4:5], v[16:17]
	v_add_nc_u64_e32 v[16:17], -1, v[16:17]
; %bb.12537:                            ;   in Loop: Header=BB4_11564 Depth=3
	s_or_b32 exec_lo, exec_lo, s75
	v_add_nc_u32_e32 v5, 0xffffff81, v18
	v_lshrrev_b32_e32 v17, 23, v4
	s_mov_b32 s13, exec_lo
	s_delay_alu instid0(VALU_DEP_2) | instskip(NEXT) | instid1(VALU_DEP_1)
	v_cndmask_b32_e64 v5, v5, 0xffffff82, vcc_lo
	v_add3_u32 v17, v21, v5, v17
	v_and_b32_e32 v5, 0x1fffff, v16
                                        ; implicit-def: $vgpr16
	s_delay_alu instid0(VALU_DEP_1) | instskip(SKIP_1) | instid1(VALU_DEP_2)
	v_dual_add_nc_u32 v18, 14, v17 :: v_dual_add_nc_u32 v4, v5, v4
	v_mov_b32_e32 v5, v3
	v_cmpx_ne_u32_e32 0, v18
	s_xor_b32 s13, exec_lo, s13
; %bb.12538:                            ;   in Loop: Header=BB4_11564 Depth=3
	s_delay_alu instid0(VALU_DEP_2) | instskip(SKIP_2) | instid1(VALU_DEP_2)
	v_cmp_lt_u64_e32 vcc_lo, 0xffffff, v[4:5]
	v_add_nc_u32_e32 v16, 15, v17
	v_cndmask_b32_e64 v17, 0, 1, vcc_lo
	v_cndmask_b32_e32 v16, v18, v16, vcc_lo
	s_delay_alu instid0(VALU_DEP_2)
	v_lshrrev_b64 v[4:5], v17, v[4:5]
; %bb.12539:                            ;   in Loop: Header=BB4_11564 Depth=3
	s_and_not1_saveexec_b32 s13, s13
; %bb.12540:                            ;   in Loop: Header=BB4_11564 Depth=3
	s_delay_alu instid0(VALU_DEP_1)
	v_bfe_u32 v16, v4, 23, 1
; %bb.12541:                            ;   in Loop: Header=BB4_11564 Depth=3
	s_or_b32 exec_lo, exec_lo, s13
	s_delay_alu instid0(VALU_DEP_2) | instskip(NEXT) | instid1(VALU_DEP_2)
	v_lshrrev_b64 v[4:5], 21, v[4:5]
	v_cmp_gt_i32_e32 vcc_lo, 32, v16
	v_cmp_ne_u32_e64 s13, 0, v16
                                        ; implicit-def: $vgpr18
	s_delay_alu instid0(VALU_DEP_3) | instskip(NEXT) | instid1(VALU_DEP_1)
	v_dual_cndmask_b32 v5, 0, v5 :: v_dual_cndmask_b32 v4, 3, v4
	v_cmp_ne_u64_e32 vcc_lo, 0, v[4:5]
	s_or_b32 s13, s13, vcc_lo
	s_delay_alu instid0(SALU_CYCLE_1) | instskip(NEXT) | instid1(SALU_CYCLE_1)
	s_and_saveexec_b32 s75, s13
	s_xor_b32 s13, exec_lo, s75
; %bb.12542:                            ;   in Loop: Header=BB4_11564 Depth=3
	v_min_i32_e32 v5, 31, v16
	s_delay_alu instid0(VALU_DEP_1) | instskip(NEXT) | instid1(VALU_DEP_1)
	v_lshl_or_b32 v5, v5, 2, v19
                                        ; implicit-def: $vgpr19
	v_and_or_b32 v18, v4, 3, v5
; %bb.12543:                            ;   in Loop: Header=BB4_11564 Depth=3
	s_and_not1_saveexec_b32 s13, s13
; %bb.12544:                            ;   in Loop: Header=BB4_11564 Depth=3
	v_mov_b32_e32 v18, v19
; %bb.12545:                            ;   in Loop: Header=BB4_11564 Depth=3
	s_or_b32 exec_lo, exec_lo, s13
.LBB4_12546:                            ;   in Loop: Header=BB4_11564 Depth=3
	s_delay_alu instid0(SALU_CYCLE_1)
	s_or_b32 exec_lo, exec_lo, s74
                                        ; implicit-def: $vgpr19
.LBB4_12547:                            ;   in Loop: Header=BB4_11564 Depth=3
	s_and_not1_saveexec_b32 s13, s15
; %bb.12548:                            ;   in Loop: Header=BB4_11564 Depth=3
	v_or_b32_e32 v18, 0x7b, v19
; %bb.12549:                            ;   in Loop: Header=BB4_11564 Depth=3
	s_or_b32 exec_lo, exec_lo, s13
                                        ; implicit-def: $vgpr16
                                        ; implicit-def: $vgpr4_vgpr5
.LBB4_12550:                            ;   in Loop: Header=BB4_11564 Depth=3
	s_and_not1_saveexec_b32 s13, s14
	s_cbranch_execz .LBB4_12556
; %bb.12551:                            ;   in Loop: Header=BB4_11564 Depth=3
	s_mov_b32 s14, exec_lo
                                        ; implicit-def: $vgpr18
	v_cmpx_ne_u64_e32 0, v[4:5]
	s_xor_b32 s14, exec_lo, s14
; %bb.12552:                            ;   in Loop: Header=BB4_11564 Depth=3
	v_lshrrev_b32_e32 v4, 24, v16
                                        ; implicit-def: $vgpr16
	s_delay_alu instid0(VALU_DEP_1)
	v_or_b32_e32 v18, 0x7f, v4
; %bb.12553:                            ;   in Loop: Header=BB4_11564 Depth=3
	s_and_not1_saveexec_b32 s14, s14
; %bb.12554:                            ;   in Loop: Header=BB4_11564 Depth=3
	v_cmp_lt_i32_e32 vcc_lo, -1, v16
	v_cndmask_b32_e64 v18, -4, 0x7c, vcc_lo
; %bb.12555:                            ;   in Loop: Header=BB4_11564 Depth=3
	s_or_b32 exec_lo, exec_lo, s14
.LBB4_12556:                            ;   in Loop: Header=BB4_11564 Depth=3
	s_delay_alu instid0(SALU_CYCLE_1) | instskip(SKIP_3) | instid1(VALU_DEP_2)
	s_or_b32 exec_lo, exec_lo, s13
	v_and_b32_e32 v17, 0xff, v62
	v_dual_mov_b32 v4, 0 :: v_dual_mov_b32 v5, 0
	s_mov_b32 s13, exec_lo
	v_cmpx_ne_u16_e32 0, v17
	s_cbranch_execz .LBB4_12566
; %bb.12557:                            ;   in Loop: Header=BB4_11564 Depth=3
	v_bfrev_b32_e32 v5, 1
	s_mov_b32 s14, exec_lo
	v_cmpx_ne_u16_e32 0x80, v17
	s_cbranch_execz .LBB4_12565
; %bb.12558:                            ;   in Loop: Header=BB4_11564 Depth=3
	v_and_b32_e32 v5, 0x7c, v62
	v_and_b32_e32 v16, 3, v62
	s_delay_alu instid0(VALU_DEP_2) | instskip(SKIP_1) | instid1(SALU_CYCLE_1)
	v_cmp_ne_u32_e32 vcc_lo, 0x7c, v5
                                        ; implicit-def: $vgpr5
	s_and_saveexec_b32 s15, vcc_lo
	s_xor_b32 s15, exec_lo, s15
	s_cbranch_execz .LBB4_12562
; %bb.12559:                            ;   in Loop: Header=BB4_11564 Depth=3
	v_bfe_u32 v5, v17, 2, 5
	s_mov_b32 s74, exec_lo
	s_delay_alu instid0(VALU_DEP_1)
	v_cmpx_eq_u32_e32 0, v5
	s_cbranch_execz .LBB4_12561
; %bb.12560:                            ;   in Loop: Header=BB4_11564 Depth=3
	v_clz_i32_u32_e32 v5, v16
	s_delay_alu instid0(VALU_DEP_1) | instskip(SKIP_1) | instid1(VALU_DEP_2)
	v_min_u32_e32 v5, 32, v5
	v_mov_b32_e32 v63, v3
	v_subrev_nc_u32_e32 v16, 29, v5
	v_sub_nc_u32_e32 v5, 30, v5
	s_delay_alu instid0(VALU_DEP_2) | instskip(NEXT) | instid1(VALU_DEP_1)
	v_lshlrev_b64_e32 v[16:17], v16, v[62:63]
	v_and_b32_e32 v16, 3, v16
.LBB4_12561:                            ;   in Loop: Header=BB4_11564 Depth=3
	s_or_b32 exec_lo, exec_lo, s74
	v_lshlrev_b32_e32 v17, 24, v62
                                        ; implicit-def: $vgpr62
	s_delay_alu instid0(VALU_DEP_1) | instskip(NEXT) | instid1(VALU_DEP_1)
	v_and_b32_e32 v17, 0x80000000, v17
	v_lshl_add_u32 v5, v5, 23, v17
	s_delay_alu instid0(VALU_DEP_1) | instskip(NEXT) | instid1(VALU_DEP_1)
	v_lshl_or_b32 v5, v16, 21, v5
                                        ; implicit-def: $vgpr16
	v_add_nc_u32_e32 v5, 0x38000000, v5
.LBB4_12562:                            ;   in Loop: Header=BB4_11564 Depth=3
	s_and_not1_saveexec_b32 s15, s15
; %bb.12563:                            ;   in Loop: Header=BB4_11564 Depth=3
	v_bfe_i32 v5, v62, 0, 8
	s_delay_alu instid0(VALU_DEP_1) | instskip(SKIP_2) | instid1(VALU_DEP_2)
	v_cmp_lt_i16_e32 vcc_lo, -1, v5
	v_cndmask_b32_e32 v5, 0xff800000, v48, vcc_lo
	v_cmp_eq_u32_e32 vcc_lo, 0, v16
	v_cndmask_b32_e32 v5, 0x7f800001, v5, vcc_lo
; %bb.12564:                            ;   in Loop: Header=BB4_11564 Depth=3
	s_or_b32 exec_lo, exec_lo, s15
.LBB4_12565:                            ;   in Loop: Header=BB4_11564 Depth=3
	s_delay_alu instid0(SALU_CYCLE_1)
	s_or_b32 exec_lo, exec_lo, s14
.LBB4_12566:                            ;   in Loop: Header=BB4_11564 Depth=3
	s_delay_alu instid0(SALU_CYCLE_1) | instskip(NEXT) | instid1(SALU_CYCLE_1)
	s_or_b32 exec_lo, exec_lo, s13
	s_mov_b32 s13, exec_lo
	s_wait_loadcnt_dscnt 0x505
	v_cmpx_ne_u16_e32 0, v124
	s_cbranch_execz .LBB4_12576
; %bb.12567:                            ;   in Loop: Header=BB4_11564 Depth=3
	v_bfrev_b32_e32 v4, 1
	s_mov_b32 s14, exec_lo
	v_cmpx_ne_u16_e32 0xff80, v124
	s_cbranch_execz .LBB4_12575
; %bb.12568:                            ;   in Loop: Header=BB4_11564 Depth=3
	v_and_b32_e32 v4, 0x7c, v124
	v_and_b32_e32 v16, 3, v124
	s_delay_alu instid0(VALU_DEP_2) | instskip(SKIP_1) | instid1(SALU_CYCLE_1)
	v_cmp_ne_u32_e32 vcc_lo, 0x7c, v4
                                        ; implicit-def: $vgpr4
	s_and_saveexec_b32 s15, vcc_lo
	s_xor_b32 s15, exec_lo, s15
	s_cbranch_execz .LBB4_12572
; %bb.12569:                            ;   in Loop: Header=BB4_11564 Depth=3
	v_and_b32_e32 v4, 0xff, v124
	s_mov_b32 s74, exec_lo
	s_delay_alu instid0(VALU_DEP_1) | instskip(NEXT) | instid1(VALU_DEP_1)
	v_bfe_u32 v4, v4, 2, 5
	v_cmpx_eq_u32_e32 0, v4
	s_cbranch_execz .LBB4_12571
; %bb.12570:                            ;   in Loop: Header=BB4_11564 Depth=3
	v_clz_i32_u32_e32 v4, v16
	s_delay_alu instid0(VALU_DEP_1) | instskip(SKIP_1) | instid1(VALU_DEP_2)
	v_min_u32_e32 v4, 32, v4
	v_mov_b32_e32 v125, v3
	v_subrev_nc_u32_e32 v16, 29, v4
	v_sub_nc_u32_e32 v4, 30, v4
	s_delay_alu instid0(VALU_DEP_2) | instskip(NEXT) | instid1(VALU_DEP_1)
	v_lshlrev_b64_e32 v[16:17], v16, v[124:125]
	v_and_b32_e32 v16, 3, v16
.LBB4_12571:                            ;   in Loop: Header=BB4_11564 Depth=3
	s_or_b32 exec_lo, exec_lo, s74
	v_bfe_i32 v17, v124, 0, 16
                                        ; implicit-def: $vgpr124
	s_delay_alu instid0(VALU_DEP_1) | instskip(NEXT) | instid1(VALU_DEP_1)
	v_and_b32_e32 v17, 0x80000000, v17
	v_lshl_add_u32 v4, v4, 23, v17
	s_delay_alu instid0(VALU_DEP_1) | instskip(NEXT) | instid1(VALU_DEP_1)
	v_lshl_or_b32 v4, v16, 21, v4
                                        ; implicit-def: $vgpr16
	v_add_nc_u32_e32 v4, 0x38000000, v4
.LBB4_12572:                            ;   in Loop: Header=BB4_11564 Depth=3
	s_and_not1_saveexec_b32 s15, s15
; %bb.12573:                            ;   in Loop: Header=BB4_11564 Depth=3
	v_cmp_lt_i16_e32 vcc_lo, -1, v124
	v_cndmask_b32_e32 v4, 0xff800000, v48, vcc_lo
	v_cmp_eq_u32_e32 vcc_lo, 0, v16
	s_delay_alu instid0(VALU_DEP_2)
	v_cndmask_b32_e32 v4, 0x7f800001, v4, vcc_lo
; %bb.12574:                            ;   in Loop: Header=BB4_11564 Depth=3
	s_or_b32 exec_lo, exec_lo, s15
.LBB4_12575:                            ;   in Loop: Header=BB4_11564 Depth=3
	s_delay_alu instid0(SALU_CYCLE_1)
	s_or_b32 exec_lo, exec_lo, s14
.LBB4_12576:                            ;   in Loop: Header=BB4_11564 Depth=3
	s_delay_alu instid0(SALU_CYCLE_1) | instskip(NEXT) | instid1(VALU_DEP_1)
	s_or_b32 exec_lo, exec_lo, s13
	v_dual_add_f32 v16, v5, v4 :: v_dual_mov_b32 v5, v3
                                        ; implicit-def: $vgpr19
	s_delay_alu instid0(VALU_DEP_1) | instskip(NEXT) | instid1(VALU_DEP_1)
	v_and_b32_e32 v4, 0x7f800000, v16
	v_cmp_ne_u64_e32 vcc_lo, 0x7f800000, v[4:5]
	v_and_b32_e32 v4, 0x7fffff, v16
	s_and_saveexec_b32 s13, vcc_lo
	s_delay_alu instid0(SALU_CYCLE_1)
	s_xor_b32 s14, exec_lo, s13
	s_cbranch_execz .LBB4_12594
; %bb.12577:                            ;   in Loop: Header=BB4_11564 Depth=3
	v_dual_mov_b32 v65, v3 :: v_dual_lshrrev_b32 v17, 24, v16
	v_and_b32_e32 v64, 0x7fffffff, v16
                                        ; implicit-def: $vgpr19
	s_mov_b32 s13, exec_lo
	s_delay_alu instid0(VALU_DEP_2) | instskip(NEXT) | instid1(VALU_DEP_2)
	v_and_b32_e32 v21, 0x80, v17
	v_cmpx_gt_u64_e32 0x47600001, v[64:65]
	s_xor_b32 s15, exec_lo, s13
	s_cbranch_execz .LBB4_12591
; %bb.12578:                            ;   in Loop: Header=BB4_11564 Depth=3
	v_mov_b32_e32 v19, 0
	s_mov_b32 s74, exec_lo
	v_cmpx_ne_u32_e32 0, v16
	s_cbranch_execz .LBB4_12590
; %bb.12579:                            ;   in Loop: Header=BB4_11564 Depth=3
	v_bfe_u32 v19, v16, 23, 8
	v_or_b32_e32 v64, 0x800000, v4
	s_delay_alu instid0(VALU_DEP_2) | instskip(SKIP_1) | instid1(VALU_DEP_2)
	v_sub_nc_u32_e32 v16, 0x71, v19
	v_cmp_gt_u32_e32 vcc_lo, 0x72, v19
	v_cndmask_b32_e32 v16, 0, v16, vcc_lo
	v_cmp_eq_u32_e32 vcc_lo, 0, v19
	s_delay_alu instid0(VALU_DEP_2) | instskip(NEXT) | instid1(VALU_DEP_1)
	v_cndmask_b32_e64 v31, v16, 0x70, vcc_lo
	v_dual_cndmask_b32 v4, v64, v4, vcc_lo :: v_dual_add_nc_u32 v16, 21, v31
	v_add_nc_u32_e32 v65, 20, v31
	s_delay_alu instid0(VALU_DEP_2) | instskip(NEXT) | instid1(VALU_DEP_2)
	v_lshlrev_b64_e64 v[16:17], v16, -1
	v_lshlrev_b64_e64 v[64:65], v65, 1
	s_delay_alu instid0(VALU_DEP_2) | instskip(SKIP_1) | instid1(VALU_DEP_4)
	v_bfi_b32 v16, v16, 0, v4
	v_lshrrev_b64 v[4:5], v31, v[4:5]
	v_bfi_b32 v17, v17, 0, 0
	s_delay_alu instid0(VALU_DEP_1) | instskip(NEXT) | instid1(VALU_DEP_3)
	v_cmp_eq_u64_e64 s13, v[16:17], v[64:65]
	v_mov_b64_e32 v[16:17], v[4:5]
	s_and_saveexec_b32 s75, s13
; %bb.12580:                            ;   in Loop: Header=BB4_11564 Depth=3
	v_bfe_u32 v16, v4, 21, 1
	v_mov_b32_e32 v17, v3
	s_delay_alu instid0(VALU_DEP_1) | instskip(NEXT) | instid1(VALU_DEP_1)
	v_add_nc_u64_e32 v[16:17], v[4:5], v[16:17]
	v_add_nc_u64_e32 v[16:17], -1, v[16:17]
; %bb.12581:                            ;   in Loop: Header=BB4_11564 Depth=3
	s_or_b32 exec_lo, exec_lo, s75
	v_add_nc_u32_e32 v5, 0xffffff81, v19
	v_lshrrev_b32_e32 v17, 23, v4
	s_mov_b32 s13, exec_lo
	s_delay_alu instid0(VALU_DEP_2) | instskip(NEXT) | instid1(VALU_DEP_1)
	v_cndmask_b32_e64 v5, v5, 0xffffff82, vcc_lo
	v_add3_u32 v17, v31, v5, v17
	v_and_b32_e32 v5, 0x1fffff, v16
                                        ; implicit-def: $vgpr16
	s_delay_alu instid0(VALU_DEP_1) | instskip(SKIP_1) | instid1(VALU_DEP_2)
	v_dual_add_nc_u32 v19, 14, v17 :: v_dual_add_nc_u32 v4, v5, v4
	v_mov_b32_e32 v5, v3
	v_cmpx_ne_u32_e32 0, v19
	s_xor_b32 s13, exec_lo, s13
; %bb.12582:                            ;   in Loop: Header=BB4_11564 Depth=3
	s_delay_alu instid0(VALU_DEP_2) | instskip(SKIP_2) | instid1(VALU_DEP_2)
	v_cmp_lt_u64_e32 vcc_lo, 0xffffff, v[4:5]
	v_add_nc_u32_e32 v16, 15, v17
	v_cndmask_b32_e64 v17, 0, 1, vcc_lo
	v_cndmask_b32_e32 v16, v19, v16, vcc_lo
	s_delay_alu instid0(VALU_DEP_2)
	v_lshrrev_b64 v[4:5], v17, v[4:5]
; %bb.12583:                            ;   in Loop: Header=BB4_11564 Depth=3
	s_and_not1_saveexec_b32 s13, s13
; %bb.12584:                            ;   in Loop: Header=BB4_11564 Depth=3
	s_delay_alu instid0(VALU_DEP_1)
	v_bfe_u32 v16, v4, 23, 1
; %bb.12585:                            ;   in Loop: Header=BB4_11564 Depth=3
	s_or_b32 exec_lo, exec_lo, s13
	s_delay_alu instid0(VALU_DEP_2) | instskip(NEXT) | instid1(VALU_DEP_2)
	v_lshrrev_b64 v[4:5], 21, v[4:5]
	v_cmp_gt_i32_e32 vcc_lo, 32, v16
	v_cmp_ne_u32_e64 s13, 0, v16
                                        ; implicit-def: $vgpr19
	s_delay_alu instid0(VALU_DEP_3) | instskip(NEXT) | instid1(VALU_DEP_1)
	v_dual_cndmask_b32 v5, 0, v5 :: v_dual_cndmask_b32 v4, 3, v4
	v_cmp_ne_u64_e32 vcc_lo, 0, v[4:5]
	s_or_b32 s13, s13, vcc_lo
	s_delay_alu instid0(SALU_CYCLE_1) | instskip(NEXT) | instid1(SALU_CYCLE_1)
	s_and_saveexec_b32 s75, s13
	s_xor_b32 s13, exec_lo, s75
; %bb.12586:                            ;   in Loop: Header=BB4_11564 Depth=3
	v_min_i32_e32 v5, 31, v16
	s_delay_alu instid0(VALU_DEP_1) | instskip(NEXT) | instid1(VALU_DEP_1)
	v_lshl_or_b32 v5, v5, 2, v21
                                        ; implicit-def: $vgpr21
	v_and_or_b32 v19, v4, 3, v5
; %bb.12587:                            ;   in Loop: Header=BB4_11564 Depth=3
	s_and_not1_saveexec_b32 s13, s13
; %bb.12588:                            ;   in Loop: Header=BB4_11564 Depth=3
	v_mov_b32_e32 v19, v21
; %bb.12589:                            ;   in Loop: Header=BB4_11564 Depth=3
	s_or_b32 exec_lo, exec_lo, s13
.LBB4_12590:                            ;   in Loop: Header=BB4_11564 Depth=3
	s_delay_alu instid0(SALU_CYCLE_1)
	s_or_b32 exec_lo, exec_lo, s74
                                        ; implicit-def: $vgpr21
.LBB4_12591:                            ;   in Loop: Header=BB4_11564 Depth=3
	s_and_not1_saveexec_b32 s13, s15
; %bb.12592:                            ;   in Loop: Header=BB4_11564 Depth=3
	v_or_b32_e32 v19, 0x7b, v21
; %bb.12593:                            ;   in Loop: Header=BB4_11564 Depth=3
	s_or_b32 exec_lo, exec_lo, s13
                                        ; implicit-def: $vgpr16
                                        ; implicit-def: $vgpr4_vgpr5
.LBB4_12594:                            ;   in Loop: Header=BB4_11564 Depth=3
	s_and_not1_saveexec_b32 s13, s14
	s_cbranch_execz .LBB4_12600
; %bb.12595:                            ;   in Loop: Header=BB4_11564 Depth=3
	s_mov_b32 s14, exec_lo
                                        ; implicit-def: $vgpr19
	v_cmpx_ne_u64_e32 0, v[4:5]
	s_xor_b32 s14, exec_lo, s14
; %bb.12596:                            ;   in Loop: Header=BB4_11564 Depth=3
	v_lshrrev_b32_e32 v4, 24, v16
                                        ; implicit-def: $vgpr16
	s_delay_alu instid0(VALU_DEP_1)
	v_or_b32_e32 v19, 0x7f, v4
; %bb.12597:                            ;   in Loop: Header=BB4_11564 Depth=3
	s_and_not1_saveexec_b32 s14, s14
; %bb.12598:                            ;   in Loop: Header=BB4_11564 Depth=3
	v_cmp_lt_i32_e32 vcc_lo, -1, v16
	v_cndmask_b32_e64 v19, -4, 0x7c, vcc_lo
; %bb.12599:                            ;   in Loop: Header=BB4_11564 Depth=3
	s_or_b32 exec_lo, exec_lo, s14
.LBB4_12600:                            ;   in Loop: Header=BB4_11564 Depth=3
	s_delay_alu instid0(SALU_CYCLE_1) | instskip(SKIP_3) | instid1(VALU_DEP_2)
	s_or_b32 exec_lo, exec_lo, s13
	v_and_b32_e32 v17, 0xff, v60
	v_dual_mov_b32 v4, 0 :: v_dual_mov_b32 v5, 0
	s_mov_b32 s13, exec_lo
	v_cmpx_ne_u16_e32 0, v17
	s_cbranch_execz .LBB4_12610
; %bb.12601:                            ;   in Loop: Header=BB4_11564 Depth=3
	v_bfrev_b32_e32 v5, 1
	s_mov_b32 s14, exec_lo
	v_cmpx_ne_u16_e32 0x80, v17
	s_cbranch_execz .LBB4_12609
; %bb.12602:                            ;   in Loop: Header=BB4_11564 Depth=3
	v_and_b32_e32 v5, 0x7c, v60
	v_and_b32_e32 v16, 3, v60
	s_delay_alu instid0(VALU_DEP_2) | instskip(SKIP_1) | instid1(SALU_CYCLE_1)
	v_cmp_ne_u32_e32 vcc_lo, 0x7c, v5
                                        ; implicit-def: $vgpr5
	s_and_saveexec_b32 s15, vcc_lo
	s_xor_b32 s15, exec_lo, s15
	s_cbranch_execz .LBB4_12606
; %bb.12603:                            ;   in Loop: Header=BB4_11564 Depth=3
	v_bfe_u32 v5, v17, 2, 5
	s_mov_b32 s74, exec_lo
	s_delay_alu instid0(VALU_DEP_1)
	v_cmpx_eq_u32_e32 0, v5
	s_cbranch_execz .LBB4_12605
; %bb.12604:                            ;   in Loop: Header=BB4_11564 Depth=3
	v_clz_i32_u32_e32 v5, v16
	s_delay_alu instid0(VALU_DEP_1) | instskip(SKIP_1) | instid1(VALU_DEP_2)
	v_min_u32_e32 v5, 32, v5
	v_mov_b32_e32 v61, v3
	v_subrev_nc_u32_e32 v16, 29, v5
	v_sub_nc_u32_e32 v5, 30, v5
	s_delay_alu instid0(VALU_DEP_2) | instskip(NEXT) | instid1(VALU_DEP_1)
	v_lshlrev_b64_e32 v[16:17], v16, v[60:61]
	v_and_b32_e32 v16, 3, v16
.LBB4_12605:                            ;   in Loop: Header=BB4_11564 Depth=3
	s_or_b32 exec_lo, exec_lo, s74
	v_lshlrev_b32_e32 v17, 24, v60
                                        ; implicit-def: $vgpr60
	s_delay_alu instid0(VALU_DEP_1) | instskip(NEXT) | instid1(VALU_DEP_1)
	v_and_b32_e32 v17, 0x80000000, v17
	v_lshl_add_u32 v5, v5, 23, v17
	s_delay_alu instid0(VALU_DEP_1) | instskip(NEXT) | instid1(VALU_DEP_1)
	v_lshl_or_b32 v5, v16, 21, v5
                                        ; implicit-def: $vgpr16
	v_add_nc_u32_e32 v5, 0x38000000, v5
.LBB4_12606:                            ;   in Loop: Header=BB4_11564 Depth=3
	s_and_not1_saveexec_b32 s15, s15
; %bb.12607:                            ;   in Loop: Header=BB4_11564 Depth=3
	v_bfe_i32 v5, v60, 0, 8
	s_delay_alu instid0(VALU_DEP_1) | instskip(SKIP_2) | instid1(VALU_DEP_2)
	v_cmp_lt_i16_e32 vcc_lo, -1, v5
	v_cndmask_b32_e32 v5, 0xff800000, v48, vcc_lo
	v_cmp_eq_u32_e32 vcc_lo, 0, v16
	v_cndmask_b32_e32 v5, 0x7f800001, v5, vcc_lo
; %bb.12608:                            ;   in Loop: Header=BB4_11564 Depth=3
	s_or_b32 exec_lo, exec_lo, s15
.LBB4_12609:                            ;   in Loop: Header=BB4_11564 Depth=3
	s_delay_alu instid0(SALU_CYCLE_1)
	s_or_b32 exec_lo, exec_lo, s14
.LBB4_12610:                            ;   in Loop: Header=BB4_11564 Depth=3
	s_delay_alu instid0(SALU_CYCLE_1) | instskip(NEXT) | instid1(SALU_CYCLE_1)
	s_or_b32 exec_lo, exec_lo, s13
	s_mov_b32 s13, exec_lo
	s_wait_loadcnt_dscnt 0x404
	v_cmpx_ne_u16_e32 0, v122
	s_cbranch_execz .LBB4_12620
; %bb.12611:                            ;   in Loop: Header=BB4_11564 Depth=3
	v_bfrev_b32_e32 v4, 1
	s_mov_b32 s14, exec_lo
	v_cmpx_ne_u16_e32 0xff80, v122
	s_cbranch_execz .LBB4_12619
; %bb.12612:                            ;   in Loop: Header=BB4_11564 Depth=3
	v_and_b32_e32 v4, 0x7c, v122
	v_and_b32_e32 v16, 3, v122
	s_delay_alu instid0(VALU_DEP_2) | instskip(SKIP_1) | instid1(SALU_CYCLE_1)
	v_cmp_ne_u32_e32 vcc_lo, 0x7c, v4
                                        ; implicit-def: $vgpr4
	s_and_saveexec_b32 s15, vcc_lo
	s_xor_b32 s15, exec_lo, s15
	s_cbranch_execz .LBB4_12616
; %bb.12613:                            ;   in Loop: Header=BB4_11564 Depth=3
	v_and_b32_e32 v4, 0xff, v122
	s_mov_b32 s74, exec_lo
	s_delay_alu instid0(VALU_DEP_1) | instskip(NEXT) | instid1(VALU_DEP_1)
	v_bfe_u32 v4, v4, 2, 5
	v_cmpx_eq_u32_e32 0, v4
	s_cbranch_execz .LBB4_12615
; %bb.12614:                            ;   in Loop: Header=BB4_11564 Depth=3
	v_clz_i32_u32_e32 v4, v16
	s_delay_alu instid0(VALU_DEP_1) | instskip(SKIP_1) | instid1(VALU_DEP_2)
	v_min_u32_e32 v4, 32, v4
	v_mov_b32_e32 v123, v3
	v_subrev_nc_u32_e32 v16, 29, v4
	v_sub_nc_u32_e32 v4, 30, v4
	s_delay_alu instid0(VALU_DEP_2) | instskip(NEXT) | instid1(VALU_DEP_1)
	v_lshlrev_b64_e32 v[16:17], v16, v[122:123]
	v_and_b32_e32 v16, 3, v16
.LBB4_12615:                            ;   in Loop: Header=BB4_11564 Depth=3
	s_or_b32 exec_lo, exec_lo, s74
	v_bfe_i32 v17, v122, 0, 16
                                        ; implicit-def: $vgpr122
	s_delay_alu instid0(VALU_DEP_1) | instskip(NEXT) | instid1(VALU_DEP_1)
	v_and_b32_e32 v17, 0x80000000, v17
	v_lshl_add_u32 v4, v4, 23, v17
	s_delay_alu instid0(VALU_DEP_1) | instskip(NEXT) | instid1(VALU_DEP_1)
	v_lshl_or_b32 v4, v16, 21, v4
                                        ; implicit-def: $vgpr16
	v_add_nc_u32_e32 v4, 0x38000000, v4
.LBB4_12616:                            ;   in Loop: Header=BB4_11564 Depth=3
	s_and_not1_saveexec_b32 s15, s15
; %bb.12617:                            ;   in Loop: Header=BB4_11564 Depth=3
	v_cmp_lt_i16_e32 vcc_lo, -1, v122
	v_cndmask_b32_e32 v4, 0xff800000, v48, vcc_lo
	v_cmp_eq_u32_e32 vcc_lo, 0, v16
	s_delay_alu instid0(VALU_DEP_2)
	v_cndmask_b32_e32 v4, 0x7f800001, v4, vcc_lo
; %bb.12618:                            ;   in Loop: Header=BB4_11564 Depth=3
	s_or_b32 exec_lo, exec_lo, s15
.LBB4_12619:                            ;   in Loop: Header=BB4_11564 Depth=3
	s_delay_alu instid0(SALU_CYCLE_1)
	s_or_b32 exec_lo, exec_lo, s14
.LBB4_12620:                            ;   in Loop: Header=BB4_11564 Depth=3
	s_delay_alu instid0(SALU_CYCLE_1) | instskip(NEXT) | instid1(VALU_DEP_1)
	s_or_b32 exec_lo, exec_lo, s13
	v_dual_add_f32 v16, v5, v4 :: v_dual_mov_b32 v5, v3
                                        ; implicit-def: $vgpr21
	s_delay_alu instid0(VALU_DEP_1) | instskip(NEXT) | instid1(VALU_DEP_1)
	v_and_b32_e32 v4, 0x7f800000, v16
	v_cmp_ne_u64_e32 vcc_lo, 0x7f800000, v[4:5]
	v_and_b32_e32 v4, 0x7fffff, v16
	s_and_saveexec_b32 s13, vcc_lo
	s_delay_alu instid0(SALU_CYCLE_1)
	s_xor_b32 s14, exec_lo, s13
	s_cbranch_execz .LBB4_12638
; %bb.12621:                            ;   in Loop: Header=BB4_11564 Depth=3
	v_dual_mov_b32 v65, v3 :: v_dual_lshrrev_b32 v17, 24, v16
	v_and_b32_e32 v64, 0x7fffffff, v16
                                        ; implicit-def: $vgpr21
	s_mov_b32 s13, exec_lo
	s_delay_alu instid0(VALU_DEP_2) | instskip(NEXT) | instid1(VALU_DEP_2)
	v_and_b32_e32 v31, 0x80, v17
	v_cmpx_gt_u64_e32 0x47600001, v[64:65]
	s_xor_b32 s15, exec_lo, s13
	s_cbranch_execz .LBB4_12635
; %bb.12622:                            ;   in Loop: Header=BB4_11564 Depth=3
	v_mov_b32_e32 v21, 0
	s_mov_b32 s74, exec_lo
	v_cmpx_ne_u32_e32 0, v16
	s_cbranch_execz .LBB4_12634
; %bb.12623:                            ;   in Loop: Header=BB4_11564 Depth=3
	v_bfe_u32 v21, v16, 23, 8
	v_or_b32_e32 v65, 0x800000, v4
	s_delay_alu instid0(VALU_DEP_2) | instskip(SKIP_1) | instid1(VALU_DEP_2)
	v_sub_nc_u32_e32 v16, 0x71, v21
	v_cmp_gt_u32_e32 vcc_lo, 0x72, v21
	v_cndmask_b32_e32 v16, 0, v16, vcc_lo
	v_cmp_eq_u32_e32 vcc_lo, 0, v21
	s_delay_alu instid0(VALU_DEP_2) | instskip(SKIP_1) | instid1(VALU_DEP_2)
	v_cndmask_b32_e64 v64, v16, 0x70, vcc_lo
	v_cndmask_b32_e32 v4, v65, v4, vcc_lo
	v_dual_add_nc_u32 v16, 21, v64 :: v_dual_add_nc_u32 v86, 20, v64
	s_delay_alu instid0(VALU_DEP_1) | instskip(NEXT) | instid1(VALU_DEP_2)
	v_lshlrev_b64_e64 v[16:17], v16, -1
	v_lshlrev_b64_e64 v[86:87], v86, 1
	s_delay_alu instid0(VALU_DEP_2) | instskip(SKIP_1) | instid1(VALU_DEP_4)
	v_bfi_b32 v16, v16, 0, v4
	v_lshrrev_b64 v[4:5], v64, v[4:5]
	v_bfi_b32 v17, v17, 0, 0
	s_delay_alu instid0(VALU_DEP_1) | instskip(NEXT) | instid1(VALU_DEP_3)
	v_cmp_eq_u64_e64 s13, v[16:17], v[86:87]
	v_mov_b64_e32 v[16:17], v[4:5]
	s_and_saveexec_b32 s75, s13
; %bb.12624:                            ;   in Loop: Header=BB4_11564 Depth=3
	v_bfe_u32 v16, v4, 21, 1
	v_mov_b32_e32 v17, v3
	s_delay_alu instid0(VALU_DEP_1) | instskip(NEXT) | instid1(VALU_DEP_1)
	v_add_nc_u64_e32 v[16:17], v[4:5], v[16:17]
	v_add_nc_u64_e32 v[16:17], -1, v[16:17]
; %bb.12625:                            ;   in Loop: Header=BB4_11564 Depth=3
	s_or_b32 exec_lo, exec_lo, s75
	v_add_nc_u32_e32 v5, 0xffffff81, v21
	v_lshrrev_b32_e32 v17, 23, v4
	s_mov_b32 s13, exec_lo
	s_delay_alu instid0(VALU_DEP_2) | instskip(NEXT) | instid1(VALU_DEP_1)
	v_cndmask_b32_e64 v5, v5, 0xffffff82, vcc_lo
	v_add3_u32 v17, v64, v5, v17
	v_and_b32_e32 v5, 0x1fffff, v16
                                        ; implicit-def: $vgpr16
	s_delay_alu instid0(VALU_DEP_1) | instskip(SKIP_1) | instid1(VALU_DEP_2)
	v_dual_add_nc_u32 v21, 14, v17 :: v_dual_add_nc_u32 v4, v5, v4
	v_mov_b32_e32 v5, v3
	v_cmpx_ne_u32_e32 0, v21
	s_xor_b32 s13, exec_lo, s13
; %bb.12626:                            ;   in Loop: Header=BB4_11564 Depth=3
	s_delay_alu instid0(VALU_DEP_2) | instskip(SKIP_2) | instid1(VALU_DEP_2)
	v_cmp_lt_u64_e32 vcc_lo, 0xffffff, v[4:5]
	v_add_nc_u32_e32 v16, 15, v17
	v_cndmask_b32_e64 v17, 0, 1, vcc_lo
	v_cndmask_b32_e32 v16, v21, v16, vcc_lo
	s_delay_alu instid0(VALU_DEP_2)
	v_lshrrev_b64 v[4:5], v17, v[4:5]
; %bb.12627:                            ;   in Loop: Header=BB4_11564 Depth=3
	s_and_not1_saveexec_b32 s13, s13
; %bb.12628:                            ;   in Loop: Header=BB4_11564 Depth=3
	s_delay_alu instid0(VALU_DEP_1)
	v_bfe_u32 v16, v4, 23, 1
; %bb.12629:                            ;   in Loop: Header=BB4_11564 Depth=3
	s_or_b32 exec_lo, exec_lo, s13
	s_delay_alu instid0(VALU_DEP_2) | instskip(NEXT) | instid1(VALU_DEP_2)
	v_lshrrev_b64 v[4:5], 21, v[4:5]
	v_cmp_gt_i32_e32 vcc_lo, 32, v16
	v_cmp_ne_u32_e64 s13, 0, v16
                                        ; implicit-def: $vgpr21
	s_delay_alu instid0(VALU_DEP_3) | instskip(NEXT) | instid1(VALU_DEP_1)
	v_dual_cndmask_b32 v5, 0, v5 :: v_dual_cndmask_b32 v4, 3, v4
	v_cmp_ne_u64_e32 vcc_lo, 0, v[4:5]
	s_or_b32 s13, s13, vcc_lo
	s_delay_alu instid0(SALU_CYCLE_1) | instskip(NEXT) | instid1(SALU_CYCLE_1)
	s_and_saveexec_b32 s75, s13
	s_xor_b32 s13, exec_lo, s75
; %bb.12630:                            ;   in Loop: Header=BB4_11564 Depth=3
	v_min_i32_e32 v5, 31, v16
	s_delay_alu instid0(VALU_DEP_1) | instskip(NEXT) | instid1(VALU_DEP_1)
	v_lshl_or_b32 v5, v5, 2, v31
                                        ; implicit-def: $vgpr31
	v_and_or_b32 v21, v4, 3, v5
; %bb.12631:                            ;   in Loop: Header=BB4_11564 Depth=3
	s_and_not1_saveexec_b32 s13, s13
; %bb.12632:                            ;   in Loop: Header=BB4_11564 Depth=3
	v_mov_b32_e32 v21, v31
; %bb.12633:                            ;   in Loop: Header=BB4_11564 Depth=3
	s_or_b32 exec_lo, exec_lo, s13
.LBB4_12634:                            ;   in Loop: Header=BB4_11564 Depth=3
	s_delay_alu instid0(SALU_CYCLE_1)
	s_or_b32 exec_lo, exec_lo, s74
                                        ; implicit-def: $vgpr31
.LBB4_12635:                            ;   in Loop: Header=BB4_11564 Depth=3
	s_and_not1_saveexec_b32 s13, s15
; %bb.12636:                            ;   in Loop: Header=BB4_11564 Depth=3
	v_or_b32_e32 v21, 0x7b, v31
; %bb.12637:                            ;   in Loop: Header=BB4_11564 Depth=3
	s_or_b32 exec_lo, exec_lo, s13
                                        ; implicit-def: $vgpr16
                                        ; implicit-def: $vgpr4_vgpr5
.LBB4_12638:                            ;   in Loop: Header=BB4_11564 Depth=3
	s_and_not1_saveexec_b32 s13, s14
	s_cbranch_execz .LBB4_12644
; %bb.12639:                            ;   in Loop: Header=BB4_11564 Depth=3
	s_mov_b32 s14, exec_lo
                                        ; implicit-def: $vgpr21
	v_cmpx_ne_u64_e32 0, v[4:5]
	s_xor_b32 s14, exec_lo, s14
; %bb.12640:                            ;   in Loop: Header=BB4_11564 Depth=3
	v_lshrrev_b32_e32 v4, 24, v16
                                        ; implicit-def: $vgpr16
	s_delay_alu instid0(VALU_DEP_1)
	v_or_b32_e32 v21, 0x7f, v4
; %bb.12641:                            ;   in Loop: Header=BB4_11564 Depth=3
	s_and_not1_saveexec_b32 s14, s14
; %bb.12642:                            ;   in Loop: Header=BB4_11564 Depth=3
	v_cmp_lt_i32_e32 vcc_lo, -1, v16
	v_cndmask_b32_e64 v21, -4, 0x7c, vcc_lo
; %bb.12643:                            ;   in Loop: Header=BB4_11564 Depth=3
	s_or_b32 exec_lo, exec_lo, s14
.LBB4_12644:                            ;   in Loop: Header=BB4_11564 Depth=3
	s_delay_alu instid0(SALU_CYCLE_1) | instskip(SKIP_3) | instid1(VALU_DEP_2)
	s_or_b32 exec_lo, exec_lo, s13
	v_and_b32_e32 v17, 0xff, v58
	v_dual_mov_b32 v4, 0 :: v_dual_mov_b32 v5, 0
	s_mov_b32 s13, exec_lo
	v_cmpx_ne_u16_e32 0, v17
	s_cbranch_execz .LBB4_12654
; %bb.12645:                            ;   in Loop: Header=BB4_11564 Depth=3
	v_bfrev_b32_e32 v5, 1
	s_mov_b32 s14, exec_lo
	v_cmpx_ne_u16_e32 0x80, v17
	s_cbranch_execz .LBB4_12653
; %bb.12646:                            ;   in Loop: Header=BB4_11564 Depth=3
	v_and_b32_e32 v5, 0x7c, v58
	v_and_b32_e32 v16, 3, v58
	s_delay_alu instid0(VALU_DEP_2) | instskip(SKIP_1) | instid1(SALU_CYCLE_1)
	v_cmp_ne_u32_e32 vcc_lo, 0x7c, v5
                                        ; implicit-def: $vgpr5
	s_and_saveexec_b32 s15, vcc_lo
	s_xor_b32 s15, exec_lo, s15
	s_cbranch_execz .LBB4_12650
; %bb.12647:                            ;   in Loop: Header=BB4_11564 Depth=3
	v_bfe_u32 v5, v17, 2, 5
	s_mov_b32 s74, exec_lo
	s_delay_alu instid0(VALU_DEP_1)
	v_cmpx_eq_u32_e32 0, v5
	s_cbranch_execz .LBB4_12649
; %bb.12648:                            ;   in Loop: Header=BB4_11564 Depth=3
	v_clz_i32_u32_e32 v5, v16
	s_delay_alu instid0(VALU_DEP_1) | instskip(SKIP_1) | instid1(VALU_DEP_2)
	v_min_u32_e32 v5, 32, v5
	v_mov_b32_e32 v59, v3
	v_subrev_nc_u32_e32 v16, 29, v5
	v_sub_nc_u32_e32 v5, 30, v5
	s_delay_alu instid0(VALU_DEP_2) | instskip(NEXT) | instid1(VALU_DEP_1)
	v_lshlrev_b64_e32 v[16:17], v16, v[58:59]
	v_and_b32_e32 v16, 3, v16
.LBB4_12649:                            ;   in Loop: Header=BB4_11564 Depth=3
	s_or_b32 exec_lo, exec_lo, s74
	v_lshlrev_b32_e32 v17, 24, v58
                                        ; implicit-def: $vgpr58
	s_delay_alu instid0(VALU_DEP_1) | instskip(NEXT) | instid1(VALU_DEP_1)
	v_and_b32_e32 v17, 0x80000000, v17
	v_lshl_add_u32 v5, v5, 23, v17
	s_delay_alu instid0(VALU_DEP_1) | instskip(NEXT) | instid1(VALU_DEP_1)
	v_lshl_or_b32 v5, v16, 21, v5
                                        ; implicit-def: $vgpr16
	v_add_nc_u32_e32 v5, 0x38000000, v5
.LBB4_12650:                            ;   in Loop: Header=BB4_11564 Depth=3
	s_and_not1_saveexec_b32 s15, s15
; %bb.12651:                            ;   in Loop: Header=BB4_11564 Depth=3
	v_bfe_i32 v5, v58, 0, 8
	s_delay_alu instid0(VALU_DEP_1) | instskip(SKIP_2) | instid1(VALU_DEP_2)
	v_cmp_lt_i16_e32 vcc_lo, -1, v5
	v_cndmask_b32_e32 v5, 0xff800000, v48, vcc_lo
	v_cmp_eq_u32_e32 vcc_lo, 0, v16
	v_cndmask_b32_e32 v5, 0x7f800001, v5, vcc_lo
; %bb.12652:                            ;   in Loop: Header=BB4_11564 Depth=3
	s_or_b32 exec_lo, exec_lo, s15
.LBB4_12653:                            ;   in Loop: Header=BB4_11564 Depth=3
	s_delay_alu instid0(SALU_CYCLE_1)
	s_or_b32 exec_lo, exec_lo, s14
.LBB4_12654:                            ;   in Loop: Header=BB4_11564 Depth=3
	s_delay_alu instid0(SALU_CYCLE_1) | instskip(NEXT) | instid1(SALU_CYCLE_1)
	s_or_b32 exec_lo, exec_lo, s13
	s_mov_b32 s13, exec_lo
	s_wait_loadcnt_dscnt 0x303
	v_cmpx_ne_u16_e32 0, v106
	s_cbranch_execz .LBB4_12664
; %bb.12655:                            ;   in Loop: Header=BB4_11564 Depth=3
	v_bfrev_b32_e32 v4, 1
	s_mov_b32 s14, exec_lo
	v_cmpx_ne_u16_e32 0xff80, v106
	s_cbranch_execz .LBB4_12663
; %bb.12656:                            ;   in Loop: Header=BB4_11564 Depth=3
	v_and_b32_e32 v4, 0x7c, v106
	v_and_b32_e32 v16, 3, v106
	s_delay_alu instid0(VALU_DEP_2) | instskip(SKIP_1) | instid1(SALU_CYCLE_1)
	v_cmp_ne_u32_e32 vcc_lo, 0x7c, v4
                                        ; implicit-def: $vgpr4
	s_and_saveexec_b32 s15, vcc_lo
	s_xor_b32 s15, exec_lo, s15
	s_cbranch_execz .LBB4_12660
; %bb.12657:                            ;   in Loop: Header=BB4_11564 Depth=3
	v_and_b32_e32 v4, 0xff, v106
	s_mov_b32 s74, exec_lo
	s_delay_alu instid0(VALU_DEP_1) | instskip(NEXT) | instid1(VALU_DEP_1)
	v_bfe_u32 v4, v4, 2, 5
	v_cmpx_eq_u32_e32 0, v4
	s_cbranch_execz .LBB4_12659
; %bb.12658:                            ;   in Loop: Header=BB4_11564 Depth=3
	v_clz_i32_u32_e32 v4, v16
	s_delay_alu instid0(VALU_DEP_1) | instskip(SKIP_1) | instid1(VALU_DEP_2)
	v_min_u32_e32 v4, 32, v4
	v_mov_b32_e32 v107, v3
	v_subrev_nc_u32_e32 v16, 29, v4
	v_sub_nc_u32_e32 v4, 30, v4
	s_delay_alu instid0(VALU_DEP_2) | instskip(NEXT) | instid1(VALU_DEP_1)
	v_lshlrev_b64_e32 v[16:17], v16, v[106:107]
	v_and_b32_e32 v16, 3, v16
.LBB4_12659:                            ;   in Loop: Header=BB4_11564 Depth=3
	s_or_b32 exec_lo, exec_lo, s74
	v_bfe_i32 v17, v106, 0, 16
                                        ; implicit-def: $vgpr106
	s_delay_alu instid0(VALU_DEP_1) | instskip(NEXT) | instid1(VALU_DEP_1)
	v_and_b32_e32 v17, 0x80000000, v17
	v_lshl_add_u32 v4, v4, 23, v17
	s_delay_alu instid0(VALU_DEP_1) | instskip(NEXT) | instid1(VALU_DEP_1)
	v_lshl_or_b32 v4, v16, 21, v4
                                        ; implicit-def: $vgpr16
	v_add_nc_u32_e32 v4, 0x38000000, v4
.LBB4_12660:                            ;   in Loop: Header=BB4_11564 Depth=3
	s_and_not1_saveexec_b32 s15, s15
; %bb.12661:                            ;   in Loop: Header=BB4_11564 Depth=3
	v_cmp_lt_i16_e32 vcc_lo, -1, v106
	v_cndmask_b32_e32 v4, 0xff800000, v48, vcc_lo
	v_cmp_eq_u32_e32 vcc_lo, 0, v16
	s_delay_alu instid0(VALU_DEP_2)
	v_cndmask_b32_e32 v4, 0x7f800001, v4, vcc_lo
; %bb.12662:                            ;   in Loop: Header=BB4_11564 Depth=3
	s_or_b32 exec_lo, exec_lo, s15
.LBB4_12663:                            ;   in Loop: Header=BB4_11564 Depth=3
	s_delay_alu instid0(SALU_CYCLE_1)
	s_or_b32 exec_lo, exec_lo, s14
.LBB4_12664:                            ;   in Loop: Header=BB4_11564 Depth=3
	s_delay_alu instid0(SALU_CYCLE_1) | instskip(NEXT) | instid1(VALU_DEP_1)
	s_or_b32 exec_lo, exec_lo, s13
	v_dual_add_f32 v16, v5, v4 :: v_dual_mov_b32 v5, v3
                                        ; implicit-def: $vgpr31
	s_delay_alu instid0(VALU_DEP_1) | instskip(NEXT) | instid1(VALU_DEP_1)
	v_and_b32_e32 v4, 0x7f800000, v16
	v_cmp_ne_u64_e32 vcc_lo, 0x7f800000, v[4:5]
	v_and_b32_e32 v4, 0x7fffff, v16
	s_and_saveexec_b32 s13, vcc_lo
	s_delay_alu instid0(SALU_CYCLE_1)
	s_xor_b32 s14, exec_lo, s13
	s_cbranch_execz .LBB4_12682
; %bb.12665:                            ;   in Loop: Header=BB4_11564 Depth=3
	v_and_b32_e32 v64, 0x7fffffff, v16
	v_dual_mov_b32 v65, v3 :: v_dual_lshrrev_b32 v17, 24, v16
                                        ; implicit-def: $vgpr31
	s_delay_alu instid0(VALU_DEP_1) | instskip(NEXT) | instid1(VALU_DEP_2)
	v_cmp_gt_u64_e32 vcc_lo, 0x47600001, v[64:65]
	v_and_b32_e32 v64, 0x80, v17
	s_and_saveexec_b32 s13, vcc_lo
	s_delay_alu instid0(SALU_CYCLE_1)
	s_xor_b32 s15, exec_lo, s13
	s_cbranch_execz .LBB4_12679
; %bb.12666:                            ;   in Loop: Header=BB4_11564 Depth=3
	v_mov_b32_e32 v31, 0
	s_mov_b32 s74, exec_lo
	v_cmpx_ne_u32_e32 0, v16
	s_cbranch_execz .LBB4_12678
; %bb.12667:                            ;   in Loop: Header=BB4_11564 Depth=3
	v_bfe_u32 v31, v16, 23, 8
	v_or_b32_e32 v86, 0x800000, v4
	s_delay_alu instid0(VALU_DEP_2) | instskip(SKIP_1) | instid1(VALU_DEP_2)
	v_sub_nc_u32_e32 v16, 0x71, v31
	v_cmp_gt_u32_e32 vcc_lo, 0x72, v31
	v_cndmask_b32_e32 v16, 0, v16, vcc_lo
	v_cmp_eq_u32_e32 vcc_lo, 0, v31
	s_delay_alu instid0(VALU_DEP_2) | instskip(NEXT) | instid1(VALU_DEP_1)
	v_cndmask_b32_e64 v65, v16, 0x70, vcc_lo
	v_dual_cndmask_b32 v4, v86, v4, vcc_lo :: v_dual_add_nc_u32 v16, 21, v65
	v_add_nc_u32_e32 v87, 20, v65
	s_delay_alu instid0(VALU_DEP_2) | instskip(NEXT) | instid1(VALU_DEP_2)
	v_lshlrev_b64_e64 v[16:17], v16, -1
	v_lshlrev_b64_e64 v[86:87], v87, 1
	s_delay_alu instid0(VALU_DEP_2) | instskip(SKIP_1) | instid1(VALU_DEP_4)
	v_bfi_b32 v16, v16, 0, v4
	v_lshrrev_b64 v[4:5], v65, v[4:5]
	v_bfi_b32 v17, v17, 0, 0
	s_delay_alu instid0(VALU_DEP_1) | instskip(NEXT) | instid1(VALU_DEP_3)
	v_cmp_eq_u64_e64 s13, v[16:17], v[86:87]
	v_mov_b64_e32 v[16:17], v[4:5]
	s_and_saveexec_b32 s75, s13
; %bb.12668:                            ;   in Loop: Header=BB4_11564 Depth=3
	v_bfe_u32 v16, v4, 21, 1
	v_mov_b32_e32 v17, v3
	s_delay_alu instid0(VALU_DEP_1) | instskip(NEXT) | instid1(VALU_DEP_1)
	v_add_nc_u64_e32 v[16:17], v[4:5], v[16:17]
	v_add_nc_u64_e32 v[16:17], -1, v[16:17]
; %bb.12669:                            ;   in Loop: Header=BB4_11564 Depth=3
	s_or_b32 exec_lo, exec_lo, s75
	v_add_nc_u32_e32 v5, 0xffffff81, v31
	v_lshrrev_b32_e32 v17, 23, v4
	s_mov_b32 s13, exec_lo
	s_delay_alu instid0(VALU_DEP_2) | instskip(NEXT) | instid1(VALU_DEP_1)
	v_cndmask_b32_e64 v5, v5, 0xffffff82, vcc_lo
	v_add3_u32 v17, v65, v5, v17
	v_and_b32_e32 v5, 0x1fffff, v16
                                        ; implicit-def: $vgpr16
	s_delay_alu instid0(VALU_DEP_1) | instskip(SKIP_1) | instid1(VALU_DEP_2)
	v_dual_add_nc_u32 v31, 14, v17 :: v_dual_add_nc_u32 v4, v5, v4
	v_mov_b32_e32 v5, v3
	v_cmpx_ne_u32_e32 0, v31
	s_xor_b32 s13, exec_lo, s13
; %bb.12670:                            ;   in Loop: Header=BB4_11564 Depth=3
	s_delay_alu instid0(VALU_DEP_2) | instskip(SKIP_2) | instid1(VALU_DEP_2)
	v_cmp_lt_u64_e32 vcc_lo, 0xffffff, v[4:5]
	v_add_nc_u32_e32 v16, 15, v17
	v_cndmask_b32_e64 v17, 0, 1, vcc_lo
	v_cndmask_b32_e32 v16, v31, v16, vcc_lo
	s_delay_alu instid0(VALU_DEP_2)
	v_lshrrev_b64 v[4:5], v17, v[4:5]
; %bb.12671:                            ;   in Loop: Header=BB4_11564 Depth=3
	s_and_not1_saveexec_b32 s13, s13
; %bb.12672:                            ;   in Loop: Header=BB4_11564 Depth=3
	s_delay_alu instid0(VALU_DEP_1)
	v_bfe_u32 v16, v4, 23, 1
; %bb.12673:                            ;   in Loop: Header=BB4_11564 Depth=3
	s_or_b32 exec_lo, exec_lo, s13
	s_delay_alu instid0(VALU_DEP_2) | instskip(NEXT) | instid1(VALU_DEP_2)
	v_lshrrev_b64 v[4:5], 21, v[4:5]
	v_cmp_gt_i32_e32 vcc_lo, 32, v16
	v_cmp_ne_u32_e64 s13, 0, v16
                                        ; implicit-def: $vgpr31
	s_delay_alu instid0(VALU_DEP_3) | instskip(NEXT) | instid1(VALU_DEP_1)
	v_dual_cndmask_b32 v5, 0, v5 :: v_dual_cndmask_b32 v4, 3, v4
	v_cmp_ne_u64_e32 vcc_lo, 0, v[4:5]
	s_or_b32 s13, s13, vcc_lo
	s_delay_alu instid0(SALU_CYCLE_1) | instskip(NEXT) | instid1(SALU_CYCLE_1)
	s_and_saveexec_b32 s75, s13
	s_xor_b32 s13, exec_lo, s75
; %bb.12674:                            ;   in Loop: Header=BB4_11564 Depth=3
	v_min_i32_e32 v5, 31, v16
	s_delay_alu instid0(VALU_DEP_1) | instskip(NEXT) | instid1(VALU_DEP_1)
	v_lshl_or_b32 v5, v5, 2, v64
                                        ; implicit-def: $vgpr64
	v_and_or_b32 v31, v4, 3, v5
; %bb.12675:                            ;   in Loop: Header=BB4_11564 Depth=3
	s_and_not1_saveexec_b32 s13, s13
; %bb.12676:                            ;   in Loop: Header=BB4_11564 Depth=3
	v_mov_b32_e32 v31, v64
; %bb.12677:                            ;   in Loop: Header=BB4_11564 Depth=3
	s_or_b32 exec_lo, exec_lo, s13
.LBB4_12678:                            ;   in Loop: Header=BB4_11564 Depth=3
	s_delay_alu instid0(SALU_CYCLE_1)
	s_or_b32 exec_lo, exec_lo, s74
                                        ; implicit-def: $vgpr64
.LBB4_12679:                            ;   in Loop: Header=BB4_11564 Depth=3
	s_and_not1_saveexec_b32 s13, s15
; %bb.12680:                            ;   in Loop: Header=BB4_11564 Depth=3
	v_or_b32_e32 v31, 0x7b, v64
; %bb.12681:                            ;   in Loop: Header=BB4_11564 Depth=3
	s_or_b32 exec_lo, exec_lo, s13
                                        ; implicit-def: $vgpr16
                                        ; implicit-def: $vgpr4_vgpr5
.LBB4_12682:                            ;   in Loop: Header=BB4_11564 Depth=3
	s_and_not1_saveexec_b32 s13, s14
	s_cbranch_execz .LBB4_12688
; %bb.12683:                            ;   in Loop: Header=BB4_11564 Depth=3
	s_mov_b32 s14, exec_lo
                                        ; implicit-def: $vgpr31
	v_cmpx_ne_u64_e32 0, v[4:5]
	s_xor_b32 s14, exec_lo, s14
; %bb.12684:                            ;   in Loop: Header=BB4_11564 Depth=3
	v_lshrrev_b32_e32 v4, 24, v16
                                        ; implicit-def: $vgpr16
	s_delay_alu instid0(VALU_DEP_1)
	v_or_b32_e32 v31, 0x7f, v4
; %bb.12685:                            ;   in Loop: Header=BB4_11564 Depth=3
	s_and_not1_saveexec_b32 s14, s14
; %bb.12686:                            ;   in Loop: Header=BB4_11564 Depth=3
	v_cmp_lt_i32_e32 vcc_lo, -1, v16
	v_cndmask_b32_e64 v31, -4, 0x7c, vcc_lo
; %bb.12687:                            ;   in Loop: Header=BB4_11564 Depth=3
	s_or_b32 exec_lo, exec_lo, s14
.LBB4_12688:                            ;   in Loop: Header=BB4_11564 Depth=3
	s_delay_alu instid0(SALU_CYCLE_1) | instskip(SKIP_3) | instid1(VALU_DEP_2)
	s_or_b32 exec_lo, exec_lo, s13
	v_and_b32_e32 v17, 0xff, v56
	v_dual_mov_b32 v4, 0 :: v_dual_mov_b32 v5, 0
	s_mov_b32 s13, exec_lo
	v_cmpx_ne_u16_e32 0, v17
	s_cbranch_execz .LBB4_12698
; %bb.12689:                            ;   in Loop: Header=BB4_11564 Depth=3
	v_bfrev_b32_e32 v5, 1
	s_mov_b32 s14, exec_lo
	v_cmpx_ne_u16_e32 0x80, v17
	s_cbranch_execz .LBB4_12697
; %bb.12690:                            ;   in Loop: Header=BB4_11564 Depth=3
	v_and_b32_e32 v5, 0x7c, v56
	v_and_b32_e32 v16, 3, v56
	s_delay_alu instid0(VALU_DEP_2) | instskip(SKIP_1) | instid1(SALU_CYCLE_1)
	v_cmp_ne_u32_e32 vcc_lo, 0x7c, v5
                                        ; implicit-def: $vgpr5
	s_and_saveexec_b32 s15, vcc_lo
	s_xor_b32 s15, exec_lo, s15
	s_cbranch_execz .LBB4_12694
; %bb.12691:                            ;   in Loop: Header=BB4_11564 Depth=3
	v_bfe_u32 v5, v17, 2, 5
	s_mov_b32 s74, exec_lo
	s_delay_alu instid0(VALU_DEP_1)
	v_cmpx_eq_u32_e32 0, v5
	s_cbranch_execz .LBB4_12693
; %bb.12692:                            ;   in Loop: Header=BB4_11564 Depth=3
	v_clz_i32_u32_e32 v5, v16
	s_delay_alu instid0(VALU_DEP_1) | instskip(SKIP_1) | instid1(VALU_DEP_2)
	v_min_u32_e32 v5, 32, v5
	v_mov_b32_e32 v57, v3
	v_subrev_nc_u32_e32 v16, 29, v5
	v_sub_nc_u32_e32 v5, 30, v5
	s_delay_alu instid0(VALU_DEP_2) | instskip(NEXT) | instid1(VALU_DEP_1)
	v_lshlrev_b64_e32 v[16:17], v16, v[56:57]
	v_and_b32_e32 v16, 3, v16
.LBB4_12693:                            ;   in Loop: Header=BB4_11564 Depth=3
	s_or_b32 exec_lo, exec_lo, s74
	v_lshlrev_b32_e32 v17, 24, v56
                                        ; implicit-def: $vgpr56
	s_delay_alu instid0(VALU_DEP_1) | instskip(NEXT) | instid1(VALU_DEP_1)
	v_and_b32_e32 v17, 0x80000000, v17
	v_lshl_add_u32 v5, v5, 23, v17
	s_delay_alu instid0(VALU_DEP_1) | instskip(NEXT) | instid1(VALU_DEP_1)
	v_lshl_or_b32 v5, v16, 21, v5
                                        ; implicit-def: $vgpr16
	v_add_nc_u32_e32 v5, 0x38000000, v5
.LBB4_12694:                            ;   in Loop: Header=BB4_11564 Depth=3
	s_and_not1_saveexec_b32 s15, s15
; %bb.12695:                            ;   in Loop: Header=BB4_11564 Depth=3
	v_bfe_i32 v5, v56, 0, 8
	s_delay_alu instid0(VALU_DEP_1) | instskip(SKIP_2) | instid1(VALU_DEP_2)
	v_cmp_lt_i16_e32 vcc_lo, -1, v5
	v_cndmask_b32_e32 v5, 0xff800000, v48, vcc_lo
	v_cmp_eq_u32_e32 vcc_lo, 0, v16
	v_cndmask_b32_e32 v5, 0x7f800001, v5, vcc_lo
; %bb.12696:                            ;   in Loop: Header=BB4_11564 Depth=3
	s_or_b32 exec_lo, exec_lo, s15
.LBB4_12697:                            ;   in Loop: Header=BB4_11564 Depth=3
	s_delay_alu instid0(SALU_CYCLE_1)
	s_or_b32 exec_lo, exec_lo, s14
.LBB4_12698:                            ;   in Loop: Header=BB4_11564 Depth=3
	s_delay_alu instid0(SALU_CYCLE_1) | instskip(NEXT) | instid1(SALU_CYCLE_1)
	s_or_b32 exec_lo, exec_lo, s13
	s_mov_b32 s13, exec_lo
	s_wait_loadcnt_dscnt 0x202
	v_cmpx_ne_u16_e32 0, v88
	s_cbranch_execz .LBB4_12708
; %bb.12699:                            ;   in Loop: Header=BB4_11564 Depth=3
	v_bfrev_b32_e32 v4, 1
	s_mov_b32 s14, exec_lo
	v_cmpx_ne_u16_e32 0xff80, v88
	s_cbranch_execz .LBB4_12707
; %bb.12700:                            ;   in Loop: Header=BB4_11564 Depth=3
	v_and_b32_e32 v4, 0x7c, v88
	v_and_b32_e32 v16, 3, v88
	s_delay_alu instid0(VALU_DEP_2) | instskip(SKIP_1) | instid1(SALU_CYCLE_1)
	v_cmp_ne_u32_e32 vcc_lo, 0x7c, v4
                                        ; implicit-def: $vgpr4
	s_and_saveexec_b32 s15, vcc_lo
	s_xor_b32 s15, exec_lo, s15
	s_cbranch_execz .LBB4_12704
; %bb.12701:                            ;   in Loop: Header=BB4_11564 Depth=3
	v_and_b32_e32 v4, 0xff, v88
	s_mov_b32 s74, exec_lo
	s_delay_alu instid0(VALU_DEP_1) | instskip(NEXT) | instid1(VALU_DEP_1)
	v_bfe_u32 v4, v4, 2, 5
	v_cmpx_eq_u32_e32 0, v4
	s_cbranch_execz .LBB4_12703
; %bb.12702:                            ;   in Loop: Header=BB4_11564 Depth=3
	v_clz_i32_u32_e32 v4, v16
	s_delay_alu instid0(VALU_DEP_1) | instskip(SKIP_1) | instid1(VALU_DEP_2)
	v_min_u32_e32 v4, 32, v4
	v_mov_b32_e32 v89, v3
	v_subrev_nc_u32_e32 v16, 29, v4
	v_sub_nc_u32_e32 v4, 30, v4
	s_delay_alu instid0(VALU_DEP_2) | instskip(NEXT) | instid1(VALU_DEP_1)
	v_lshlrev_b64_e32 v[16:17], v16, v[88:89]
	v_and_b32_e32 v16, 3, v16
.LBB4_12703:                            ;   in Loop: Header=BB4_11564 Depth=3
	s_or_b32 exec_lo, exec_lo, s74
	v_bfe_i32 v17, v88, 0, 16
                                        ; implicit-def: $vgpr88
	s_delay_alu instid0(VALU_DEP_1) | instskip(NEXT) | instid1(VALU_DEP_1)
	v_and_b32_e32 v17, 0x80000000, v17
	v_lshl_add_u32 v4, v4, 23, v17
	s_delay_alu instid0(VALU_DEP_1) | instskip(NEXT) | instid1(VALU_DEP_1)
	v_lshl_or_b32 v4, v16, 21, v4
                                        ; implicit-def: $vgpr16
	v_add_nc_u32_e32 v4, 0x38000000, v4
.LBB4_12704:                            ;   in Loop: Header=BB4_11564 Depth=3
	s_and_not1_saveexec_b32 s15, s15
; %bb.12705:                            ;   in Loop: Header=BB4_11564 Depth=3
	v_cmp_lt_i16_e32 vcc_lo, -1, v88
	v_cndmask_b32_e32 v4, 0xff800000, v48, vcc_lo
	v_cmp_eq_u32_e32 vcc_lo, 0, v16
	s_delay_alu instid0(VALU_DEP_2)
	v_cndmask_b32_e32 v4, 0x7f800001, v4, vcc_lo
; %bb.12706:                            ;   in Loop: Header=BB4_11564 Depth=3
	s_or_b32 exec_lo, exec_lo, s15
.LBB4_12707:                            ;   in Loop: Header=BB4_11564 Depth=3
	s_delay_alu instid0(SALU_CYCLE_1)
	s_or_b32 exec_lo, exec_lo, s14
.LBB4_12708:                            ;   in Loop: Header=BB4_11564 Depth=3
	s_delay_alu instid0(SALU_CYCLE_1) | instskip(NEXT) | instid1(VALU_DEP_1)
	s_or_b32 exec_lo, exec_lo, s13
	v_dual_add_f32 v16, v5, v4 :: v_dual_mov_b32 v5, v3
                                        ; implicit-def: $vgpr64
	s_delay_alu instid0(VALU_DEP_1) | instskip(NEXT) | instid1(VALU_DEP_1)
	v_and_b32_e32 v4, 0x7f800000, v16
	v_cmp_ne_u64_e32 vcc_lo, 0x7f800000, v[4:5]
	v_and_b32_e32 v4, 0x7fffff, v16
	s_and_saveexec_b32 s13, vcc_lo
	s_delay_alu instid0(SALU_CYCLE_1)
	s_xor_b32 s14, exec_lo, s13
	s_cbranch_execz .LBB4_12726
; %bb.12709:                            ;   in Loop: Header=BB4_11564 Depth=3
	v_and_b32_e32 v64, 0x7fffffff, v16
	v_dual_mov_b32 v65, v3 :: v_dual_lshrrev_b32 v17, 24, v16
	s_delay_alu instid0(VALU_DEP_1) | instskip(NEXT) | instid1(VALU_DEP_2)
	v_cmp_gt_u64_e32 vcc_lo, 0x47600001, v[64:65]
	v_and_b32_e32 v65, 0x80, v17
                                        ; implicit-def: $vgpr64
	s_and_saveexec_b32 s13, vcc_lo
	s_delay_alu instid0(SALU_CYCLE_1)
	s_xor_b32 s15, exec_lo, s13
	s_cbranch_execz .LBB4_12723
; %bb.12710:                            ;   in Loop: Header=BB4_11564 Depth=3
	v_mov_b32_e32 v64, 0
	s_mov_b32 s74, exec_lo
	v_cmpx_ne_u32_e32 0, v16
	s_cbranch_execz .LBB4_12722
; %bb.12711:                            ;   in Loop: Header=BB4_11564 Depth=3
	v_bfe_u32 v64, v16, 23, 8
	v_or_b32_e32 v87, 0x800000, v4
	s_delay_alu instid0(VALU_DEP_2) | instskip(SKIP_1) | instid1(VALU_DEP_2)
	v_sub_nc_u32_e32 v16, 0x71, v64
	v_cmp_gt_u32_e32 vcc_lo, 0x72, v64
	v_cndmask_b32_e32 v16, 0, v16, vcc_lo
	v_cmp_eq_u32_e32 vcc_lo, 0, v64
	s_delay_alu instid0(VALU_DEP_2) | instskip(NEXT) | instid1(VALU_DEP_1)
	v_cndmask_b32_e64 v86, v16, 0x70, vcc_lo
	v_dual_cndmask_b32 v4, v87, v4, vcc_lo :: v_dual_add_nc_u32 v16, 21, v86
	v_add_nc_u32_e32 v96, 20, v86
	s_delay_alu instid0(VALU_DEP_2) | instskip(NEXT) | instid1(VALU_DEP_2)
	v_lshlrev_b64_e64 v[16:17], v16, -1
	v_lshlrev_b64_e64 v[96:97], v96, 1
	s_delay_alu instid0(VALU_DEP_2) | instskip(SKIP_1) | instid1(VALU_DEP_4)
	v_bfi_b32 v16, v16, 0, v4
	v_lshrrev_b64 v[4:5], v86, v[4:5]
	v_bfi_b32 v17, v17, 0, 0
	s_delay_alu instid0(VALU_DEP_1) | instskip(NEXT) | instid1(VALU_DEP_3)
	v_cmp_eq_u64_e64 s13, v[16:17], v[96:97]
	v_mov_b64_e32 v[16:17], v[4:5]
	s_and_saveexec_b32 s75, s13
; %bb.12712:                            ;   in Loop: Header=BB4_11564 Depth=3
	v_bfe_u32 v16, v4, 21, 1
	v_mov_b32_e32 v17, v3
	s_delay_alu instid0(VALU_DEP_1) | instskip(NEXT) | instid1(VALU_DEP_1)
	v_add_nc_u64_e32 v[16:17], v[4:5], v[16:17]
	v_add_nc_u64_e32 v[16:17], -1, v[16:17]
; %bb.12713:                            ;   in Loop: Header=BB4_11564 Depth=3
	s_or_b32 exec_lo, exec_lo, s75
	v_add_nc_u32_e32 v5, 0xffffff81, v64
	v_lshrrev_b32_e32 v17, 23, v4
	s_mov_b32 s13, exec_lo
	s_delay_alu instid0(VALU_DEP_2) | instskip(NEXT) | instid1(VALU_DEP_1)
	v_cndmask_b32_e64 v5, v5, 0xffffff82, vcc_lo
	v_add3_u32 v17, v86, v5, v17
	v_and_b32_e32 v5, 0x1fffff, v16
                                        ; implicit-def: $vgpr16
	s_delay_alu instid0(VALU_DEP_1) | instskip(SKIP_1) | instid1(VALU_DEP_2)
	v_dual_add_nc_u32 v64, 14, v17 :: v_dual_add_nc_u32 v4, v5, v4
	v_mov_b32_e32 v5, v3
	v_cmpx_ne_u32_e32 0, v64
	s_xor_b32 s13, exec_lo, s13
; %bb.12714:                            ;   in Loop: Header=BB4_11564 Depth=3
	s_delay_alu instid0(VALU_DEP_2) | instskip(SKIP_2) | instid1(VALU_DEP_2)
	v_cmp_lt_u64_e32 vcc_lo, 0xffffff, v[4:5]
	v_add_nc_u32_e32 v16, 15, v17
	v_cndmask_b32_e64 v17, 0, 1, vcc_lo
	v_cndmask_b32_e32 v16, v64, v16, vcc_lo
	s_delay_alu instid0(VALU_DEP_2)
	v_lshrrev_b64 v[4:5], v17, v[4:5]
; %bb.12715:                            ;   in Loop: Header=BB4_11564 Depth=3
	s_and_not1_saveexec_b32 s13, s13
; %bb.12716:                            ;   in Loop: Header=BB4_11564 Depth=3
	s_delay_alu instid0(VALU_DEP_1)
	v_bfe_u32 v16, v4, 23, 1
; %bb.12717:                            ;   in Loop: Header=BB4_11564 Depth=3
	s_or_b32 exec_lo, exec_lo, s13
	s_delay_alu instid0(VALU_DEP_2) | instskip(NEXT) | instid1(VALU_DEP_2)
	v_lshrrev_b64 v[4:5], 21, v[4:5]
	v_cmp_gt_i32_e32 vcc_lo, 32, v16
	v_cmp_ne_u32_e64 s13, 0, v16
                                        ; implicit-def: $vgpr64
	s_delay_alu instid0(VALU_DEP_3) | instskip(NEXT) | instid1(VALU_DEP_1)
	v_dual_cndmask_b32 v5, 0, v5 :: v_dual_cndmask_b32 v4, 3, v4
	v_cmp_ne_u64_e32 vcc_lo, 0, v[4:5]
	s_or_b32 s13, s13, vcc_lo
	s_delay_alu instid0(SALU_CYCLE_1) | instskip(NEXT) | instid1(SALU_CYCLE_1)
	s_and_saveexec_b32 s75, s13
	s_xor_b32 s13, exec_lo, s75
; %bb.12718:                            ;   in Loop: Header=BB4_11564 Depth=3
	v_min_i32_e32 v5, 31, v16
	s_delay_alu instid0(VALU_DEP_1) | instskip(NEXT) | instid1(VALU_DEP_1)
	v_lshl_or_b32 v5, v5, 2, v65
                                        ; implicit-def: $vgpr65
	v_and_or_b32 v64, v4, 3, v5
; %bb.12719:                            ;   in Loop: Header=BB4_11564 Depth=3
	s_and_not1_saveexec_b32 s13, s13
; %bb.12720:                            ;   in Loop: Header=BB4_11564 Depth=3
	v_mov_b32_e32 v64, v65
; %bb.12721:                            ;   in Loop: Header=BB4_11564 Depth=3
	s_or_b32 exec_lo, exec_lo, s13
.LBB4_12722:                            ;   in Loop: Header=BB4_11564 Depth=3
	s_delay_alu instid0(SALU_CYCLE_1)
	s_or_b32 exec_lo, exec_lo, s74
                                        ; implicit-def: $vgpr65
.LBB4_12723:                            ;   in Loop: Header=BB4_11564 Depth=3
	s_and_not1_saveexec_b32 s13, s15
; %bb.12724:                            ;   in Loop: Header=BB4_11564 Depth=3
	v_or_b32_e32 v64, 0x7b, v65
; %bb.12725:                            ;   in Loop: Header=BB4_11564 Depth=3
	s_or_b32 exec_lo, exec_lo, s13
                                        ; implicit-def: $vgpr16
                                        ; implicit-def: $vgpr4_vgpr5
.LBB4_12726:                            ;   in Loop: Header=BB4_11564 Depth=3
	s_and_not1_saveexec_b32 s13, s14
	s_cbranch_execz .LBB4_12732
; %bb.12727:                            ;   in Loop: Header=BB4_11564 Depth=3
	s_mov_b32 s14, exec_lo
                                        ; implicit-def: $vgpr64
	v_cmpx_ne_u64_e32 0, v[4:5]
	s_xor_b32 s14, exec_lo, s14
; %bb.12728:                            ;   in Loop: Header=BB4_11564 Depth=3
	v_lshrrev_b32_e32 v4, 24, v16
                                        ; implicit-def: $vgpr16
	s_delay_alu instid0(VALU_DEP_1)
	v_or_b32_e32 v64, 0x7f, v4
; %bb.12729:                            ;   in Loop: Header=BB4_11564 Depth=3
	s_and_not1_saveexec_b32 s14, s14
; %bb.12730:                            ;   in Loop: Header=BB4_11564 Depth=3
	v_cmp_lt_i32_e32 vcc_lo, -1, v16
	v_cndmask_b32_e64 v64, -4, 0x7c, vcc_lo
; %bb.12731:                            ;   in Loop: Header=BB4_11564 Depth=3
	s_or_b32 exec_lo, exec_lo, s14
.LBB4_12732:                            ;   in Loop: Header=BB4_11564 Depth=3
	s_delay_alu instid0(SALU_CYCLE_1) | instskip(SKIP_3) | instid1(VALU_DEP_2)
	s_or_b32 exec_lo, exec_lo, s13
	v_and_b32_e32 v17, 0xff, v46
	v_dual_mov_b32 v4, 0 :: v_dual_mov_b32 v5, 0
	s_mov_b32 s13, exec_lo
	v_cmpx_ne_u16_e32 0, v17
	s_cbranch_execz .LBB4_12742
; %bb.12733:                            ;   in Loop: Header=BB4_11564 Depth=3
	v_bfrev_b32_e32 v5, 1
	s_mov_b32 s14, exec_lo
	v_cmpx_ne_u16_e32 0x80, v17
	s_cbranch_execz .LBB4_12741
; %bb.12734:                            ;   in Loop: Header=BB4_11564 Depth=3
	v_and_b32_e32 v5, 0x7c, v46
	v_and_b32_e32 v16, 3, v46
	s_delay_alu instid0(VALU_DEP_2) | instskip(SKIP_1) | instid1(SALU_CYCLE_1)
	v_cmp_ne_u32_e32 vcc_lo, 0x7c, v5
                                        ; implicit-def: $vgpr5
	s_and_saveexec_b32 s15, vcc_lo
	s_xor_b32 s15, exec_lo, s15
	s_cbranch_execz .LBB4_12738
; %bb.12735:                            ;   in Loop: Header=BB4_11564 Depth=3
	v_bfe_u32 v5, v17, 2, 5
	s_mov_b32 s74, exec_lo
	s_delay_alu instid0(VALU_DEP_1)
	v_cmpx_eq_u32_e32 0, v5
	s_cbranch_execz .LBB4_12737
; %bb.12736:                            ;   in Loop: Header=BB4_11564 Depth=3
	v_clz_i32_u32_e32 v5, v16
	v_dual_mov_b32 v65, v47 :: v_dual_mov_b32 v47, v3
	s_delay_alu instid0(VALU_DEP_2) | instskip(NEXT) | instid1(VALU_DEP_1)
	v_min_u32_e32 v5, 32, v5
	v_subrev_nc_u32_e32 v16, 29, v5
	v_sub_nc_u32_e32 v5, 30, v5
	s_delay_alu instid0(VALU_DEP_2) | instskip(NEXT) | instid1(VALU_DEP_1)
	v_lshlrev_b64_e32 v[16:17], v16, v[46:47]
	v_dual_mov_b32 v47, v65 :: v_dual_bitop2_b32 v16, 3, v16 bitop3:0x40
.LBB4_12737:                            ;   in Loop: Header=BB4_11564 Depth=3
	s_or_b32 exec_lo, exec_lo, s74
	v_lshlrev_b32_e32 v17, 24, v46
                                        ; implicit-def: $vgpr46
	s_delay_alu instid0(VALU_DEP_1) | instskip(NEXT) | instid1(VALU_DEP_1)
	v_and_b32_e32 v17, 0x80000000, v17
	v_lshl_add_u32 v5, v5, 23, v17
	s_delay_alu instid0(VALU_DEP_1) | instskip(NEXT) | instid1(VALU_DEP_1)
	v_lshl_or_b32 v5, v16, 21, v5
                                        ; implicit-def: $vgpr16
	v_add_nc_u32_e32 v5, 0x38000000, v5
.LBB4_12738:                            ;   in Loop: Header=BB4_11564 Depth=3
	s_and_not1_saveexec_b32 s15, s15
; %bb.12739:                            ;   in Loop: Header=BB4_11564 Depth=3
	v_bfe_i32 v5, v46, 0, 8
	s_delay_alu instid0(VALU_DEP_1) | instskip(SKIP_2) | instid1(VALU_DEP_2)
	v_cmp_lt_i16_e32 vcc_lo, -1, v5
	v_cndmask_b32_e32 v5, 0xff800000, v48, vcc_lo
	v_cmp_eq_u32_e32 vcc_lo, 0, v16
	v_cndmask_b32_e32 v5, 0x7f800001, v5, vcc_lo
; %bb.12740:                            ;   in Loop: Header=BB4_11564 Depth=3
	s_or_b32 exec_lo, exec_lo, s15
.LBB4_12741:                            ;   in Loop: Header=BB4_11564 Depth=3
	s_delay_alu instid0(SALU_CYCLE_1)
	s_or_b32 exec_lo, exec_lo, s14
.LBB4_12742:                            ;   in Loop: Header=BB4_11564 Depth=3
	s_delay_alu instid0(SALU_CYCLE_1) | instskip(NEXT) | instid1(SALU_CYCLE_1)
	s_or_b32 exec_lo, exec_lo, s13
	s_mov_b32 s13, exec_lo
	s_wait_loadcnt_dscnt 0x101
	v_cmpx_ne_u16_e32 0, v72
	s_cbranch_execz .LBB4_12752
; %bb.12743:                            ;   in Loop: Header=BB4_11564 Depth=3
	v_bfrev_b32_e32 v4, 1
	s_mov_b32 s14, exec_lo
	v_cmpx_ne_u16_e32 0xff80, v72
	s_cbranch_execz .LBB4_12751
; %bb.12744:                            ;   in Loop: Header=BB4_11564 Depth=3
	v_and_b32_e32 v4, 0x7c, v72
	v_and_b32_e32 v16, 3, v72
	s_delay_alu instid0(VALU_DEP_2) | instskip(SKIP_1) | instid1(SALU_CYCLE_1)
	v_cmp_ne_u32_e32 vcc_lo, 0x7c, v4
                                        ; implicit-def: $vgpr4
	s_and_saveexec_b32 s15, vcc_lo
	s_xor_b32 s15, exec_lo, s15
	s_cbranch_execz .LBB4_12748
; %bb.12745:                            ;   in Loop: Header=BB4_11564 Depth=3
	v_and_b32_e32 v4, 0xff, v72
	s_mov_b32 s74, exec_lo
	s_delay_alu instid0(VALU_DEP_1) | instskip(NEXT) | instid1(VALU_DEP_1)
	v_bfe_u32 v4, v4, 2, 5
	v_cmpx_eq_u32_e32 0, v4
	s_cbranch_execz .LBB4_12747
; %bb.12746:                            ;   in Loop: Header=BB4_11564 Depth=3
	v_clz_i32_u32_e32 v4, v16
	s_delay_alu instid0(VALU_DEP_1) | instskip(SKIP_1) | instid1(VALU_DEP_2)
	v_min_u32_e32 v4, 32, v4
	v_mov_b32_e32 v73, v3
	v_subrev_nc_u32_e32 v16, 29, v4
	v_sub_nc_u32_e32 v4, 30, v4
	s_delay_alu instid0(VALU_DEP_2) | instskip(NEXT) | instid1(VALU_DEP_1)
	v_lshlrev_b64_e32 v[16:17], v16, v[72:73]
	v_and_b32_e32 v16, 3, v16
.LBB4_12747:                            ;   in Loop: Header=BB4_11564 Depth=3
	s_or_b32 exec_lo, exec_lo, s74
	v_bfe_i32 v17, v72, 0, 16
                                        ; implicit-def: $vgpr72
	s_delay_alu instid0(VALU_DEP_1) | instskip(NEXT) | instid1(VALU_DEP_1)
	v_and_b32_e32 v17, 0x80000000, v17
	v_lshl_add_u32 v4, v4, 23, v17
	s_delay_alu instid0(VALU_DEP_1) | instskip(NEXT) | instid1(VALU_DEP_1)
	v_lshl_or_b32 v4, v16, 21, v4
                                        ; implicit-def: $vgpr16
	v_add_nc_u32_e32 v4, 0x38000000, v4
.LBB4_12748:                            ;   in Loop: Header=BB4_11564 Depth=3
	s_and_not1_saveexec_b32 s15, s15
; %bb.12749:                            ;   in Loop: Header=BB4_11564 Depth=3
	v_cmp_lt_i16_e32 vcc_lo, -1, v72
	v_cndmask_b32_e32 v4, 0xff800000, v48, vcc_lo
	v_cmp_eq_u32_e32 vcc_lo, 0, v16
	s_delay_alu instid0(VALU_DEP_2)
	v_cndmask_b32_e32 v4, 0x7f800001, v4, vcc_lo
; %bb.12750:                            ;   in Loop: Header=BB4_11564 Depth=3
	s_or_b32 exec_lo, exec_lo, s15
.LBB4_12751:                            ;   in Loop: Header=BB4_11564 Depth=3
	s_delay_alu instid0(SALU_CYCLE_1)
	s_or_b32 exec_lo, exec_lo, s14
.LBB4_12752:                            ;   in Loop: Header=BB4_11564 Depth=3
	s_delay_alu instid0(SALU_CYCLE_1) | instskip(NEXT) | instid1(VALU_DEP_1)
	s_or_b32 exec_lo, exec_lo, s13
	v_dual_add_f32 v16, v5, v4 :: v_dual_mov_b32 v5, v3
                                        ; implicit-def: $vgpr65
	s_delay_alu instid0(VALU_DEP_1) | instskip(NEXT) | instid1(VALU_DEP_1)
	v_and_b32_e32 v4, 0x7f800000, v16
	v_cmp_ne_u64_e32 vcc_lo, 0x7f800000, v[4:5]
	v_and_b32_e32 v4, 0x7fffff, v16
	s_and_saveexec_b32 s13, vcc_lo
	s_delay_alu instid0(SALU_CYCLE_1)
	s_xor_b32 s14, exec_lo, s13
	s_cbranch_execz .LBB4_12770
; %bb.12753:                            ;   in Loop: Header=BB4_11564 Depth=3
	v_dual_mov_b32 v87, v3 :: v_dual_lshrrev_b32 v17, 24, v16
	v_and_b32_e32 v86, 0x7fffffff, v16
                                        ; implicit-def: $vgpr65
	s_mov_b32 s13, exec_lo
	s_delay_alu instid0(VALU_DEP_2) | instskip(NEXT) | instid1(VALU_DEP_2)
	v_and_b32_e32 v117, 0x80, v17
	v_cmpx_gt_u64_e32 0x47600001, v[86:87]
	s_xor_b32 s15, exec_lo, s13
	s_cbranch_execz .LBB4_12767
; %bb.12754:                            ;   in Loop: Header=BB4_11564 Depth=3
	v_mov_b32_e32 v65, 0
	s_mov_b32 s74, exec_lo
	v_cmpx_ne_u32_e32 0, v16
	s_cbranch_execz .LBB4_12766
; %bb.12755:                            ;   in Loop: Header=BB4_11564 Depth=3
	v_bfe_u32 v65, v16, 23, 8
	v_or_b32_e32 v87, 0x800000, v4
	s_delay_alu instid0(VALU_DEP_2) | instskip(SKIP_1) | instid1(VALU_DEP_2)
	v_sub_nc_u32_e32 v16, 0x71, v65
	v_cmp_gt_u32_e32 vcc_lo, 0x72, v65
	v_cndmask_b32_e32 v16, 0, v16, vcc_lo
	v_cmp_eq_u32_e32 vcc_lo, 0, v65
	s_delay_alu instid0(VALU_DEP_2) | instskip(NEXT) | instid1(VALU_DEP_1)
	v_cndmask_b32_e64 v86, v16, 0x70, vcc_lo
	v_dual_cndmask_b32 v4, v87, v4, vcc_lo :: v_dual_add_nc_u32 v16, 21, v86
	v_add_nc_u32_e32 v96, 20, v86
	s_delay_alu instid0(VALU_DEP_2) | instskip(NEXT) | instid1(VALU_DEP_2)
	v_lshlrev_b64_e64 v[16:17], v16, -1
	v_lshlrev_b64_e64 v[96:97], v96, 1
	s_delay_alu instid0(VALU_DEP_2) | instskip(SKIP_1) | instid1(VALU_DEP_4)
	v_bfi_b32 v16, v16, 0, v4
	v_lshrrev_b64 v[4:5], v86, v[4:5]
	v_bfi_b32 v17, v17, 0, 0
	s_delay_alu instid0(VALU_DEP_1) | instskip(NEXT) | instid1(VALU_DEP_3)
	v_cmp_eq_u64_e64 s13, v[16:17], v[96:97]
	v_mov_b64_e32 v[16:17], v[4:5]
	s_and_saveexec_b32 s75, s13
; %bb.12756:                            ;   in Loop: Header=BB4_11564 Depth=3
	v_bfe_u32 v16, v4, 21, 1
	v_mov_b32_e32 v17, v3
	s_delay_alu instid0(VALU_DEP_1) | instskip(NEXT) | instid1(VALU_DEP_1)
	v_add_nc_u64_e32 v[16:17], v[4:5], v[16:17]
	v_add_nc_u64_e32 v[16:17], -1, v[16:17]
; %bb.12757:                            ;   in Loop: Header=BB4_11564 Depth=3
	s_or_b32 exec_lo, exec_lo, s75
	v_add_nc_u32_e32 v5, 0xffffff81, v65
	v_lshrrev_b32_e32 v17, 23, v4
	s_mov_b32 s13, exec_lo
	s_delay_alu instid0(VALU_DEP_2) | instskip(NEXT) | instid1(VALU_DEP_1)
	v_cndmask_b32_e64 v5, v5, 0xffffff82, vcc_lo
	v_add3_u32 v17, v86, v5, v17
	v_and_b32_e32 v5, 0x1fffff, v16
                                        ; implicit-def: $vgpr16
	s_delay_alu instid0(VALU_DEP_1) | instskip(SKIP_1) | instid1(VALU_DEP_2)
	v_dual_add_nc_u32 v65, 14, v17 :: v_dual_add_nc_u32 v4, v5, v4
	v_mov_b32_e32 v5, v3
	v_cmpx_ne_u32_e32 0, v65
	s_xor_b32 s13, exec_lo, s13
; %bb.12758:                            ;   in Loop: Header=BB4_11564 Depth=3
	s_delay_alu instid0(VALU_DEP_2) | instskip(SKIP_2) | instid1(VALU_DEP_2)
	v_cmp_lt_u64_e32 vcc_lo, 0xffffff, v[4:5]
	v_add_nc_u32_e32 v16, 15, v17
	v_cndmask_b32_e64 v17, 0, 1, vcc_lo
	v_cndmask_b32_e32 v16, v65, v16, vcc_lo
	s_delay_alu instid0(VALU_DEP_2)
	v_lshrrev_b64 v[4:5], v17, v[4:5]
; %bb.12759:                            ;   in Loop: Header=BB4_11564 Depth=3
	s_and_not1_saveexec_b32 s13, s13
; %bb.12760:                            ;   in Loop: Header=BB4_11564 Depth=3
	s_delay_alu instid0(VALU_DEP_1)
	v_bfe_u32 v16, v4, 23, 1
; %bb.12761:                            ;   in Loop: Header=BB4_11564 Depth=3
	s_or_b32 exec_lo, exec_lo, s13
	s_delay_alu instid0(VALU_DEP_2) | instskip(NEXT) | instid1(VALU_DEP_2)
	v_lshrrev_b64 v[4:5], 21, v[4:5]
	v_cmp_gt_i32_e32 vcc_lo, 32, v16
	v_cmp_ne_u32_e64 s13, 0, v16
                                        ; implicit-def: $vgpr65
	s_delay_alu instid0(VALU_DEP_3) | instskip(NEXT) | instid1(VALU_DEP_1)
	v_dual_cndmask_b32 v5, 0, v5 :: v_dual_cndmask_b32 v4, 3, v4
	v_cmp_ne_u64_e32 vcc_lo, 0, v[4:5]
	s_or_b32 s13, s13, vcc_lo
	s_delay_alu instid0(SALU_CYCLE_1) | instskip(NEXT) | instid1(SALU_CYCLE_1)
	s_and_saveexec_b32 s75, s13
	s_xor_b32 s13, exec_lo, s75
; %bb.12762:                            ;   in Loop: Header=BB4_11564 Depth=3
	v_min_i32_e32 v5, 31, v16
	s_delay_alu instid0(VALU_DEP_1) | instskip(NEXT) | instid1(VALU_DEP_1)
	v_lshl_or_b32 v5, v5, 2, v117
                                        ; implicit-def: $vgpr117
	v_and_or_b32 v65, v4, 3, v5
; %bb.12763:                            ;   in Loop: Header=BB4_11564 Depth=3
	s_and_not1_saveexec_b32 s13, s13
; %bb.12764:                            ;   in Loop: Header=BB4_11564 Depth=3
	v_mov_b32_e32 v65, v117
; %bb.12765:                            ;   in Loop: Header=BB4_11564 Depth=3
	s_or_b32 exec_lo, exec_lo, s13
.LBB4_12766:                            ;   in Loop: Header=BB4_11564 Depth=3
	s_delay_alu instid0(SALU_CYCLE_1)
	s_or_b32 exec_lo, exec_lo, s74
                                        ; implicit-def: $vgpr117
.LBB4_12767:                            ;   in Loop: Header=BB4_11564 Depth=3
	s_and_not1_saveexec_b32 s13, s15
; %bb.12768:                            ;   in Loop: Header=BB4_11564 Depth=3
	v_or_b32_e32 v65, 0x7b, v117
; %bb.12769:                            ;   in Loop: Header=BB4_11564 Depth=3
	s_or_b32 exec_lo, exec_lo, s13
                                        ; implicit-def: $vgpr16
                                        ; implicit-def: $vgpr4_vgpr5
.LBB4_12770:                            ;   in Loop: Header=BB4_11564 Depth=3
	s_and_not1_saveexec_b32 s13, s14
	s_cbranch_execz .LBB4_12776
; %bb.12771:                            ;   in Loop: Header=BB4_11564 Depth=3
	s_mov_b32 s14, exec_lo
                                        ; implicit-def: $vgpr65
	v_cmpx_ne_u64_e32 0, v[4:5]
	s_xor_b32 s14, exec_lo, s14
; %bb.12772:                            ;   in Loop: Header=BB4_11564 Depth=3
	v_lshrrev_b32_e32 v4, 24, v16
                                        ; implicit-def: $vgpr16
	s_delay_alu instid0(VALU_DEP_1)
	v_or_b32_e32 v65, 0x7f, v4
; %bb.12773:                            ;   in Loop: Header=BB4_11564 Depth=3
	s_and_not1_saveexec_b32 s14, s14
; %bb.12774:                            ;   in Loop: Header=BB4_11564 Depth=3
	v_cmp_lt_i32_e32 vcc_lo, -1, v16
	v_cndmask_b32_e64 v65, -4, 0x7c, vcc_lo
; %bb.12775:                            ;   in Loop: Header=BB4_11564 Depth=3
	s_or_b32 exec_lo, exec_lo, s14
.LBB4_12776:                            ;   in Loop: Header=BB4_11564 Depth=3
	s_delay_alu instid0(SALU_CYCLE_1) | instskip(SKIP_3) | instid1(VALU_DEP_2)
	s_or_b32 exec_lo, exec_lo, s13
	v_and_b32_e32 v17, 0xff, v42
	v_dual_mov_b32 v4, 0 :: v_dual_mov_b32 v5, 0
	s_mov_b32 s13, exec_lo
	v_cmpx_ne_u16_e32 0, v17
	s_cbranch_execz .LBB4_12786
; %bb.12777:                            ;   in Loop: Header=BB4_11564 Depth=3
	v_bfrev_b32_e32 v5, 1
	s_mov_b32 s14, exec_lo
	v_cmpx_ne_u16_e32 0x80, v17
	s_cbranch_execz .LBB4_12785
; %bb.12778:                            ;   in Loop: Header=BB4_11564 Depth=3
	v_and_b32_e32 v5, 0x7c, v42
	v_and_b32_e32 v16, 3, v42
	s_delay_alu instid0(VALU_DEP_2) | instskip(SKIP_1) | instid1(SALU_CYCLE_1)
	v_cmp_ne_u32_e32 vcc_lo, 0x7c, v5
                                        ; implicit-def: $vgpr5
	s_and_saveexec_b32 s15, vcc_lo
	s_xor_b32 s15, exec_lo, s15
	s_cbranch_execz .LBB4_12782
; %bb.12779:                            ;   in Loop: Header=BB4_11564 Depth=3
	v_bfe_u32 v5, v17, 2, 5
	s_mov_b32 s74, exec_lo
	s_delay_alu instid0(VALU_DEP_1)
	v_cmpx_eq_u32_e32 0, v5
	s_cbranch_execz .LBB4_12781
; %bb.12780:                            ;   in Loop: Header=BB4_11564 Depth=3
	v_clz_i32_u32_e32 v5, v16
	s_delay_alu instid0(VALU_DEP_1) | instskip(SKIP_1) | instid1(VALU_DEP_2)
	v_min_u32_e32 v5, 32, v5
	v_mov_b32_e32 v43, v3
	v_subrev_nc_u32_e32 v16, 29, v5
	v_sub_nc_u32_e32 v5, 30, v5
	s_delay_alu instid0(VALU_DEP_2) | instskip(NEXT) | instid1(VALU_DEP_1)
	v_lshlrev_b64_e32 v[16:17], v16, v[42:43]
	v_and_b32_e32 v16, 3, v16
.LBB4_12781:                            ;   in Loop: Header=BB4_11564 Depth=3
	s_or_b32 exec_lo, exec_lo, s74
	v_lshlrev_b32_e32 v17, 24, v42
                                        ; implicit-def: $vgpr42
	s_delay_alu instid0(VALU_DEP_1) | instskip(NEXT) | instid1(VALU_DEP_1)
	v_and_b32_e32 v17, 0x80000000, v17
	v_lshl_add_u32 v5, v5, 23, v17
	s_delay_alu instid0(VALU_DEP_1) | instskip(NEXT) | instid1(VALU_DEP_1)
	v_lshl_or_b32 v5, v16, 21, v5
                                        ; implicit-def: $vgpr16
	v_add_nc_u32_e32 v5, 0x38000000, v5
.LBB4_12782:                            ;   in Loop: Header=BB4_11564 Depth=3
	s_and_not1_saveexec_b32 s15, s15
; %bb.12783:                            ;   in Loop: Header=BB4_11564 Depth=3
	v_bfe_i32 v5, v42, 0, 8
	s_delay_alu instid0(VALU_DEP_1) | instskip(SKIP_2) | instid1(VALU_DEP_2)
	v_cmp_lt_i16_e32 vcc_lo, -1, v5
	v_cndmask_b32_e32 v5, 0xff800000, v48, vcc_lo
	v_cmp_eq_u32_e32 vcc_lo, 0, v16
	v_cndmask_b32_e32 v5, 0x7f800001, v5, vcc_lo
; %bb.12784:                            ;   in Loop: Header=BB4_11564 Depth=3
	s_or_b32 exec_lo, exec_lo, s15
.LBB4_12785:                            ;   in Loop: Header=BB4_11564 Depth=3
	s_delay_alu instid0(SALU_CYCLE_1)
	s_or_b32 exec_lo, exec_lo, s14
.LBB4_12786:                            ;   in Loop: Header=BB4_11564 Depth=3
	s_delay_alu instid0(SALU_CYCLE_1) | instskip(NEXT) | instid1(SALU_CYCLE_1)
	s_or_b32 exec_lo, exec_lo, s13
	s_mov_b32 s13, exec_lo
	s_wait_loadcnt_dscnt 0x0
	v_cmpx_ne_u16_e32 0, v44
	s_cbranch_execz .LBB4_12796
; %bb.12787:                            ;   in Loop: Header=BB4_11564 Depth=3
	v_bfrev_b32_e32 v4, 1
	s_mov_b32 s14, exec_lo
	v_cmpx_ne_u16_e32 0xff80, v44
	s_cbranch_execz .LBB4_12795
; %bb.12788:                            ;   in Loop: Header=BB4_11564 Depth=3
	v_and_b32_e32 v4, 0x7c, v44
	v_and_b32_e32 v16, 3, v44
	s_delay_alu instid0(VALU_DEP_2) | instskip(SKIP_1) | instid1(SALU_CYCLE_1)
	v_cmp_ne_u32_e32 vcc_lo, 0x7c, v4
                                        ; implicit-def: $vgpr4
	s_and_saveexec_b32 s15, vcc_lo
	s_xor_b32 s15, exec_lo, s15
	s_cbranch_execz .LBB4_12792
; %bb.12789:                            ;   in Loop: Header=BB4_11564 Depth=3
	v_and_b32_e32 v4, 0xff, v44
	s_mov_b32 s74, exec_lo
	s_delay_alu instid0(VALU_DEP_1) | instskip(NEXT) | instid1(VALU_DEP_1)
	v_bfe_u32 v4, v4, 2, 5
	v_cmpx_eq_u32_e32 0, v4
	s_cbranch_execz .LBB4_12791
; %bb.12790:                            ;   in Loop: Header=BB4_11564 Depth=3
	v_clz_i32_u32_e32 v4, v16
	s_delay_alu instid0(VALU_DEP_1) | instskip(SKIP_1) | instid1(VALU_DEP_2)
	v_min_u32_e32 v4, 32, v4
	v_mov_b32_e32 v45, v3
	v_subrev_nc_u32_e32 v16, 29, v4
	v_sub_nc_u32_e32 v4, 30, v4
	s_delay_alu instid0(VALU_DEP_2) | instskip(NEXT) | instid1(VALU_DEP_1)
	v_lshlrev_b64_e32 v[16:17], v16, v[44:45]
	v_and_b32_e32 v16, 3, v16
.LBB4_12791:                            ;   in Loop: Header=BB4_11564 Depth=3
	s_or_b32 exec_lo, exec_lo, s74
	v_bfe_i32 v17, v44, 0, 16
                                        ; implicit-def: $vgpr44
	s_delay_alu instid0(VALU_DEP_1) | instskip(NEXT) | instid1(VALU_DEP_1)
	v_and_b32_e32 v17, 0x80000000, v17
	v_lshl_add_u32 v4, v4, 23, v17
	s_delay_alu instid0(VALU_DEP_1) | instskip(NEXT) | instid1(VALU_DEP_1)
	v_lshl_or_b32 v4, v16, 21, v4
                                        ; implicit-def: $vgpr16
	v_add_nc_u32_e32 v4, 0x38000000, v4
.LBB4_12792:                            ;   in Loop: Header=BB4_11564 Depth=3
	s_and_not1_saveexec_b32 s15, s15
; %bb.12793:                            ;   in Loop: Header=BB4_11564 Depth=3
	v_cmp_lt_i16_e32 vcc_lo, -1, v44
	v_cndmask_b32_e32 v4, 0xff800000, v48, vcc_lo
	v_cmp_eq_u32_e32 vcc_lo, 0, v16
	s_delay_alu instid0(VALU_DEP_2)
	v_cndmask_b32_e32 v4, 0x7f800001, v4, vcc_lo
; %bb.12794:                            ;   in Loop: Header=BB4_11564 Depth=3
	s_or_b32 exec_lo, exec_lo, s15
.LBB4_12795:                            ;   in Loop: Header=BB4_11564 Depth=3
	s_delay_alu instid0(SALU_CYCLE_1)
	s_or_b32 exec_lo, exec_lo, s14
.LBB4_12796:                            ;   in Loop: Header=BB4_11564 Depth=3
	s_delay_alu instid0(SALU_CYCLE_1) | instskip(NEXT) | instid1(VALU_DEP_1)
	s_or_b32 exec_lo, exec_lo, s13
	v_dual_add_f32 v17, v5, v4 :: v_dual_mov_b32 v5, v3
                                        ; implicit-def: $vgpr16
	s_delay_alu instid0(VALU_DEP_1) | instskip(NEXT) | instid1(VALU_DEP_1)
	v_and_b32_e32 v4, 0x7f800000, v17
	v_cmp_ne_u64_e32 vcc_lo, 0x7f800000, v[4:5]
	v_and_b32_e32 v4, 0x7fffff, v17
	s_and_saveexec_b32 s13, vcc_lo
	s_delay_alu instid0(SALU_CYCLE_1)
	s_xor_b32 s14, exec_lo, s13
	s_cbranch_execz .LBB4_12814
; %bb.12797:                            ;   in Loop: Header=BB4_11564 Depth=3
	v_dual_mov_b32 v87, v3 :: v_dual_lshrrev_b32 v16, 24, v17
	v_and_b32_e32 v86, 0x7fffffff, v17
	s_mov_b32 s13, exec_lo
	s_delay_alu instid0(VALU_DEP_2) | instskip(NEXT) | instid1(VALU_DEP_2)
	v_and_b32_e32 v117, 0x80, v16
                                        ; implicit-def: $vgpr16
	v_cmpx_gt_u64_e32 0x47600001, v[86:87]
	s_xor_b32 s15, exec_lo, s13
	s_cbranch_execz .LBB4_12811
; %bb.12798:                            ;   in Loop: Header=BB4_11564 Depth=3
	v_mov_b32_e32 v16, 0
	s_mov_b32 s74, exec_lo
	v_cmpx_ne_u32_e32 0, v17
	s_cbranch_execz .LBB4_12810
; %bb.12799:                            ;   in Loop: Header=BB4_11564 Depth=3
	v_bfe_u32 v86, v17, 23, 8
	v_or_b32_e32 v96, 0x800000, v4
	s_delay_alu instid0(VALU_DEP_2) | instskip(SKIP_1) | instid1(VALU_DEP_2)
	v_sub_nc_u32_e32 v16, 0x71, v86
	v_cmp_gt_u32_e32 vcc_lo, 0x72, v86
	v_cndmask_b32_e32 v16, 0, v16, vcc_lo
	v_cmp_eq_u32_e32 vcc_lo, 0, v86
	s_delay_alu instid0(VALU_DEP_2) | instskip(NEXT) | instid1(VALU_DEP_1)
	v_cndmask_b32_e64 v87, v16, 0x70, vcc_lo
	v_dual_cndmask_b32 v4, v96, v4, vcc_lo :: v_dual_add_nc_u32 v16, 21, v87
	v_add_nc_u32_e32 v97, 20, v87
	s_delay_alu instid0(VALU_DEP_2) | instskip(NEXT) | instid1(VALU_DEP_2)
	v_lshlrev_b64_e64 v[16:17], v16, -1
	v_lshlrev_b64_e64 v[96:97], v97, 1
	s_delay_alu instid0(VALU_DEP_2) | instskip(SKIP_1) | instid1(VALU_DEP_4)
	v_bfi_b32 v16, v16, 0, v4
	v_lshrrev_b64 v[4:5], v87, v[4:5]
	v_bfi_b32 v17, v17, 0, 0
	s_delay_alu instid0(VALU_DEP_1) | instskip(NEXT) | instid1(VALU_DEP_3)
	v_cmp_eq_u64_e64 s13, v[16:17], v[96:97]
	v_mov_b64_e32 v[16:17], v[4:5]
	s_and_saveexec_b32 s75, s13
; %bb.12800:                            ;   in Loop: Header=BB4_11564 Depth=3
	v_bfe_u32 v16, v4, 21, 1
	v_mov_b32_e32 v17, v3
	s_delay_alu instid0(VALU_DEP_1) | instskip(NEXT) | instid1(VALU_DEP_1)
	v_add_nc_u64_e32 v[16:17], v[4:5], v[16:17]
	v_add_nc_u64_e32 v[16:17], -1, v[16:17]
; %bb.12801:                            ;   in Loop: Header=BB4_11564 Depth=3
	s_or_b32 exec_lo, exec_lo, s75
	v_add_nc_u32_e32 v5, 0xffffff81, v86
	v_lshrrev_b32_e32 v17, 23, v4
	s_mov_b32 s13, exec_lo
	s_delay_alu instid0(VALU_DEP_2) | instskip(NEXT) | instid1(VALU_DEP_1)
	v_cndmask_b32_e64 v5, v5, 0xffffff82, vcc_lo
	v_add3_u32 v86, v87, v5, v17
	v_and_b32_e32 v5, 0x1fffff, v16
                                        ; implicit-def: $vgpr17
	s_delay_alu instid0(VALU_DEP_1) | instskip(SKIP_1) | instid1(VALU_DEP_2)
	v_dual_add_nc_u32 v16, 14, v86 :: v_dual_add_nc_u32 v4, v5, v4
	v_mov_b32_e32 v5, v3
	v_cmpx_ne_u32_e32 0, v16
	s_xor_b32 s13, exec_lo, s13
; %bb.12802:                            ;   in Loop: Header=BB4_11564 Depth=3
	s_delay_alu instid0(VALU_DEP_2) | instskip(SKIP_1) | instid1(VALU_DEP_1)
	v_cmp_lt_u64_e32 vcc_lo, 0xffffff, v[4:5]
	v_add_nc_u32_e32 v17, 15, v86
	v_cndmask_b32_e32 v17, v16, v17, vcc_lo
	v_cndmask_b32_e64 v16, 0, 1, vcc_lo
	s_delay_alu instid0(VALU_DEP_1)
	v_lshrrev_b64 v[4:5], v16, v[4:5]
; %bb.12803:                            ;   in Loop: Header=BB4_11564 Depth=3
	s_and_not1_saveexec_b32 s13, s13
; %bb.12804:                            ;   in Loop: Header=BB4_11564 Depth=3
	s_delay_alu instid0(VALU_DEP_1)
	v_bfe_u32 v17, v4, 23, 1
; %bb.12805:                            ;   in Loop: Header=BB4_11564 Depth=3
	s_or_b32 exec_lo, exec_lo, s13
	s_delay_alu instid0(VALU_DEP_2) | instskip(NEXT) | instid1(VALU_DEP_2)
	v_lshrrev_b64 v[4:5], 21, v[4:5]
	v_cmp_gt_i32_e32 vcc_lo, 32, v17
	v_cmp_ne_u32_e64 s13, 0, v17
                                        ; implicit-def: $vgpr16
	s_delay_alu instid0(VALU_DEP_3) | instskip(NEXT) | instid1(VALU_DEP_1)
	v_dual_cndmask_b32 v5, 0, v5 :: v_dual_cndmask_b32 v4, 3, v4
	v_cmp_ne_u64_e32 vcc_lo, 0, v[4:5]
	s_or_b32 s13, s13, vcc_lo
	s_delay_alu instid0(SALU_CYCLE_1) | instskip(NEXT) | instid1(SALU_CYCLE_1)
	s_and_saveexec_b32 s75, s13
	s_xor_b32 s13, exec_lo, s75
; %bb.12806:                            ;   in Loop: Header=BB4_11564 Depth=3
	v_min_i32_e32 v5, 31, v17
	s_delay_alu instid0(VALU_DEP_1) | instskip(NEXT) | instid1(VALU_DEP_1)
	v_lshl_or_b32 v5, v5, 2, v117
                                        ; implicit-def: $vgpr117
	v_and_or_b32 v16, v4, 3, v5
; %bb.12807:                            ;   in Loop: Header=BB4_11564 Depth=3
	s_and_not1_saveexec_b32 s13, s13
; %bb.12808:                            ;   in Loop: Header=BB4_11564 Depth=3
	v_mov_b32_e32 v16, v117
; %bb.12809:                            ;   in Loop: Header=BB4_11564 Depth=3
	s_or_b32 exec_lo, exec_lo, s13
.LBB4_12810:                            ;   in Loop: Header=BB4_11564 Depth=3
	s_delay_alu instid0(SALU_CYCLE_1)
	s_or_b32 exec_lo, exec_lo, s74
                                        ; implicit-def: $vgpr117
.LBB4_12811:                            ;   in Loop: Header=BB4_11564 Depth=3
	s_and_not1_saveexec_b32 s13, s15
; %bb.12812:                            ;   in Loop: Header=BB4_11564 Depth=3
	v_or_b32_e32 v16, 0x7b, v117
; %bb.12813:                            ;   in Loop: Header=BB4_11564 Depth=3
	s_or_b32 exec_lo, exec_lo, s13
                                        ; implicit-def: $vgpr17
                                        ; implicit-def: $vgpr4_vgpr5
.LBB4_12814:                            ;   in Loop: Header=BB4_11564 Depth=3
	s_and_not1_saveexec_b32 s13, s14
	s_cbranch_execz .LBB4_11563
; %bb.12815:                            ;   in Loop: Header=BB4_11564 Depth=3
	s_mov_b32 s14, exec_lo
                                        ; implicit-def: $vgpr16
	v_cmpx_ne_u64_e32 0, v[4:5]
	s_xor_b32 s14, exec_lo, s14
; %bb.12816:                            ;   in Loop: Header=BB4_11564 Depth=3
	v_lshrrev_b32_e32 v4, 24, v17
                                        ; implicit-def: $vgpr17
	s_delay_alu instid0(VALU_DEP_1)
	v_or_b32_e32 v16, 0x7f, v4
; %bb.12817:                            ;   in Loop: Header=BB4_11564 Depth=3
	s_and_not1_saveexec_b32 s14, s14
	s_cbranch_execz .LBB4_11562
; %bb.12818:                            ;   in Loop: Header=BB4_11564 Depth=3
	v_cmp_lt_i32_e32 vcc_lo, -1, v17
	v_cndmask_b32_e64 v16, -4, 0x7c, vcc_lo
	s_branch .LBB4_11562
.LBB4_12819:                            ;   in Loop: Header=BB4_8155 Depth=2
	s_or_b32 exec_lo, exec_lo, s43
.LBB4_12820:                            ;   in Loop: Header=BB4_8155 Depth=2
	s_delay_alu instid0(SALU_CYCLE_1) | instskip(SKIP_1) | instid1(VALU_DEP_1)
	s_or_b32 exec_lo, exec_lo, s42
	v_lshlrev_b32_e32 v4, 9, v119
	v_cmp_ne_u32_e32 vcc_lo, v113, v4
	s_and_b32 exec_lo, exec_lo, vcc_lo
	s_cbranch_execz .LBB4_12912
; %bb.12821:                            ;   in Loop: Header=BB4_8155 Depth=2
	v_dual_lshlrev_b32 v5, 5, v103 :: v_dual_lshlrev_b32 v8, 5, v118
	s_delay_alu instid0(VALU_DEP_1) | instskip(NEXT) | instid1(VALU_DEP_1)
	v_sub_nc_u32_e32 v5, v115, v5
	v_sub_nc_u32_e32 v5, v5, v8
	s_delay_alu instid0(VALU_DEP_1) | instskip(NEXT) | instid1(VALU_DEP_1)
	v_add_nc_u32_e32 v4, v4, v5
	v_sub_nc_u32_e32 v18, v113, v4
	s_delay_alu instid0(VALU_DEP_1)
	v_cmp_lt_i32_e32 vcc_lo, 0, v18
	s_and_b32 exec_lo, exec_lo, vcc_lo
	s_cbranch_execz .LBB4_12912
; %bb.12822:                            ;   in Loop: Header=BB4_8155 Depth=2
	s_trap 2
	ds_load_b128 v[8:11], v0
	v_add_nc_u32_e32 v12, v4, v2
	s_mov_b32 s74, 0
	s_delay_alu instid0(VALU_DEP_1) | instskip(SKIP_1) | instid1(VALU_DEP_1)
	v_ashrrev_i32_e32 v13, 31, v12
	s_wait_dscnt 0x0
	v_add_nc_u64_e32 v[4:5], v[8:9], v[12:13]
	v_add_nc_u64_e32 v[8:9], v[10:11], v[12:13]
	s_delay_alu instid0(VALU_DEP_2) | instskip(NEXT) | instid1(VALU_DEP_2)
	v_mov_b64_e32 v[10:11], v[4:5]
	v_mov_b64_e32 v[12:13], v[8:9]
.LBB4_12823:                            ;   Parent Loop BB4_47 Depth=1
                                        ;     Parent Loop BB4_8155 Depth=2
                                        ; =>    This Loop Header: Depth=3
                                        ;         Child Loop BB4_12910 Depth 4
	s_trap 2
	ds_load_b64 v[14:15], v0
	s_mov_b32 s13, 0
	s_wait_dscnt 0x0
	v_and_b32_e32 v2, 0xff, v14
	v_readfirstlane_b32 s14, v14
	v_readfirstlane_b32 s15, v15
	s_delay_alu instid0(VALU_DEP_3)
	v_cmp_eq_u32_e32 vcc_lo, 0, v2
	s_cbranch_vccnz .LBB4_12831
; %bb.12824:                            ;   in Loop: Header=BB4_12823 Depth=3
	s_bfe_i32 s43, s14, 0x80000
	s_delay_alu instid0(SALU_CYCLE_1) | instskip(NEXT) | instid1(SALU_CYCLE_1)
	s_and_b32 s13, 0xffff, s43
	s_cmp_eq_u32 s13, 0xff80
	s_brev_b32 s13, 1
	s_cbranch_scc1 .LBB4_12831
; %bb.12825:                            ;   in Loop: Header=BB4_12823 Depth=3
	s_and_b32 s13, s14, 0x7c
	s_and_b32 s42, s14, 3
	s_mov_b32 s75, -1
	s_cmp_lg_u32 s13, 0x7c
	s_sext_i32_i16 s43, s43
                                        ; implicit-def: $sgpr13
	s_cbranch_scc0 .LBB4_12829
; %bb.12826:                            ;   in Loop: Header=BB4_12823 Depth=3
	s_bfe_u32 s13, s14, 0x50002
	s_mov_b32 s75, s42
	s_cmp_lg_u32 s13, 0
	s_cbranch_scc1 .LBB4_12828
; %bb.12827:                            ;   in Loop: Header=BB4_12823 Depth=3
	s_clz_i32_u32 s13, s42
	s_delay_alu instid0(SALU_CYCLE_1) | instskip(NEXT) | instid1(SALU_CYCLE_1)
	s_min_u32 s13, s13, 32
	s_sub_co_i32 s75, s13, 29
	s_sub_co_i32 s13, 30, s13
	s_lshl_b64 s[14:15], s[14:15], s75
	s_delay_alu instid0(SALU_CYCLE_1)
	s_and_b32 s75, s14, 3
.LBB4_12828:                            ;   in Loop: Header=BB4_12823 Depth=3
	s_and_b32 s14, s43, 0x80000000
	s_lshl_b32 s13, s13, 23
	s_lshl_b32 s15, s75, 21
	s_add_co_i32 s13, s13, s14
	s_mov_b32 s75, 0
	s_or_b32 s13, s13, s15
	s_delay_alu instid0(SALU_CYCLE_1)
	s_add_co_i32 s13, s13, 0x38000000
.LBB4_12829:                            ;   in Loop: Header=BB4_12823 Depth=3
	s_and_b32 vcc_lo, exec_lo, s75
	s_cbranch_vccz .LBB4_12831
; %bb.12830:                            ;   in Loop: Header=BB4_12823 Depth=3
	s_cmp_gt_i32 s43, -1
	s_cselect_b32 s13, s47, 0xff800000
	s_cmp_eq_u32 s42, 0
	s_cselect_b32 s13, s13, 0x7f800001
.LBB4_12831:                            ;   in Loop: Header=BB4_12823 Depth=3
	flat_load_i8 v14, v[10:11] th:TH_LOAD_NT
	v_mov_b32_e32 v15, 0
	s_mov_b32 s14, exec_lo
	s_wait_loadcnt_dscnt 0x0
	v_cmpx_ne_u16_e32 0, v14
	s_cbranch_execz .LBB4_12841
; %bb.12832:                            ;   in Loop: Header=BB4_12823 Depth=3
	v_bfrev_b32_e32 v15, 1
	s_mov_b32 s15, exec_lo
	v_cmpx_ne_u16_e32 0xff80, v14
	s_cbranch_execz .LBB4_12840
; %bb.12833:                            ;   in Loop: Header=BB4_12823 Depth=3
	v_and_b32_e32 v15, 0x7c, v14
	v_and_b32_e32 v2, 3, v14
	s_delay_alu instid0(VALU_DEP_2) | instskip(SKIP_1) | instid1(SALU_CYCLE_1)
	v_cmp_ne_u32_e32 vcc_lo, 0x7c, v15
                                        ; implicit-def: $vgpr15
	s_and_saveexec_b32 s42, vcc_lo
	s_xor_b32 s42, exec_lo, s42
	s_cbranch_execz .LBB4_12837
; %bb.12834:                            ;   in Loop: Header=BB4_12823 Depth=3
	v_and_b32_e32 v15, 0xff, v14
	s_mov_b32 s43, exec_lo
	s_delay_alu instid0(VALU_DEP_1) | instskip(NEXT) | instid1(VALU_DEP_1)
	v_bfe_u32 v15, v15, 2, 5
	v_cmpx_eq_u32_e32 0, v15
; %bb.12835:                            ;   in Loop: Header=BB4_12823 Depth=3
	v_clz_i32_u32_e32 v2, v2
	v_mov_b32_e32 v15, v3
	s_delay_alu instid0(VALU_DEP_2) | instskip(NEXT) | instid1(VALU_DEP_1)
	v_min_u32_e32 v2, 32, v2
	v_subrev_nc_u32_e32 v16, 29, v2
	s_delay_alu instid0(VALU_DEP_1) | instskip(NEXT) | instid1(VALU_DEP_1)
	v_lshlrev_b64_e32 v[16:17], v16, v[14:15]
	v_dual_sub_nc_u32 v15, 30, v2 :: v_dual_bitop2_b32 v2, 3, v16 bitop3:0x40
; %bb.12836:                            ;   in Loop: Header=BB4_12823 Depth=3
	s_or_b32 exec_lo, exec_lo, s43
	v_bfe_i32 v14, v14, 0, 16
	s_delay_alu instid0(VALU_DEP_1) | instskip(NEXT) | instid1(VALU_DEP_1)
	v_and_b32_e32 v14, 0x80000000, v14
	v_lshl_add_u32 v14, v15, 23, v14
	s_delay_alu instid0(VALU_DEP_1) | instskip(NEXT) | instid1(VALU_DEP_1)
	v_lshl_or_b32 v2, v2, 21, v14
                                        ; implicit-def: $vgpr14
	v_add_nc_u32_e32 v15, 0x38000000, v2
                                        ; implicit-def: $vgpr2
.LBB4_12837:                            ;   in Loop: Header=BB4_12823 Depth=3
	s_and_not1_saveexec_b32 s42, s42
; %bb.12838:                            ;   in Loop: Header=BB4_12823 Depth=3
	v_cmp_lt_i16_e32 vcc_lo, -1, v14
	v_cndmask_b32_e32 v14, 0xff800000, v48, vcc_lo
	v_cmp_eq_u32_e32 vcc_lo, 0, v2
	s_delay_alu instid0(VALU_DEP_2)
	v_cndmask_b32_e32 v15, 0x7f800001, v14, vcc_lo
; %bb.12839:                            ;   in Loop: Header=BB4_12823 Depth=3
	s_or_b32 exec_lo, exec_lo, s42
.LBB4_12840:                            ;   in Loop: Header=BB4_12823 Depth=3
	s_delay_alu instid0(SALU_CYCLE_1)
	s_or_b32 exec_lo, exec_lo, s15
.LBB4_12841:                            ;   in Loop: Header=BB4_12823 Depth=3
	s_delay_alu instid0(SALU_CYCLE_1) | instskip(NEXT) | instid1(VALU_DEP_1)
	s_or_b32 exec_lo, exec_lo, s14
	v_dual_mul_f32 v15, s13, v15 :: v_dual_mov_b32 v17, v3
                                        ; implicit-def: $vgpr14
	s_delay_alu instid0(VALU_DEP_1) | instskip(NEXT) | instid1(VALU_DEP_1)
	v_and_b32_e32 v16, 0x7f800000, v15
	v_cmp_ne_u64_e32 vcc_lo, 0x7f800000, v[16:17]
	v_and_b32_e32 v16, 0x7fffff, v15
	s_and_saveexec_b32 s13, vcc_lo
	s_delay_alu instid0(SALU_CYCLE_1)
	s_xor_b32 s14, exec_lo, s13
	s_cbranch_execz .LBB4_12859
; %bb.12842:                            ;   in Loop: Header=BB4_12823 Depth=3
	v_dual_mov_b32 v21, v3 :: v_dual_lshrrev_b32 v2, 24, v15
	v_and_b32_e32 v20, 0x7fffffff, v15
                                        ; implicit-def: $vgpr14
	s_mov_b32 s13, exec_lo
	s_delay_alu instid0(VALU_DEP_2) | instskip(NEXT) | instid1(VALU_DEP_2)
	v_and_b32_e32 v2, 0x80, v2
	v_cmpx_gt_u64_e32 0x47600001, v[20:21]
	s_xor_b32 s15, exec_lo, s13
	s_cbranch_execz .LBB4_12856
; %bb.12843:                            ;   in Loop: Header=BB4_12823 Depth=3
	v_mov_b32_e32 v14, 0
	s_mov_b32 s42, exec_lo
	v_cmpx_ne_u32_e32 0, v15
	s_cbranch_execz .LBB4_12855
; %bb.12844:                            ;   in Loop: Header=BB4_12823 Depth=3
	v_bfe_u32 v19, v15, 23, 8
	v_or_b32_e32 v21, 0x800000, v16
	s_mov_b32 s43, exec_lo
	s_delay_alu instid0(VALU_DEP_2) | instskip(SKIP_1) | instid1(VALU_DEP_2)
	v_sub_nc_u32_e32 v14, 0x71, v19
	v_cmp_gt_u32_e32 vcc_lo, 0x72, v19
	v_cndmask_b32_e32 v14, 0, v14, vcc_lo
	v_cmp_eq_u32_e32 vcc_lo, 0, v19
	s_delay_alu instid0(VALU_DEP_2) | instskip(SKIP_1) | instid1(VALU_DEP_2)
	v_cndmask_b32_e64 v20, v14, 0x70, vcc_lo
	v_cndmask_b32_e32 v16, v21, v16, vcc_lo
	v_dual_add_nc_u32 v14, 21, v20 :: v_dual_add_nc_u32 v30, 20, v20
	s_delay_alu instid0(VALU_DEP_1) | instskip(NEXT) | instid1(VALU_DEP_2)
	v_lshlrev_b64_e64 v[14:15], v14, -1
	v_lshlrev_b64_e64 v[30:31], v30, 1
	s_delay_alu instid0(VALU_DEP_2) | instskip(NEXT) | instid1(VALU_DEP_3)
	v_bfi_b32 v51, v15, 0, 0
	v_bfi_b32 v50, v14, 0, v16
	v_lshrrev_b64 v[14:15], v20, v[16:17]
	s_delay_alu instid0(VALU_DEP_1) | instskip(NEXT) | instid1(VALU_DEP_3)
	v_mov_b64_e32 v[16:17], v[14:15]
	v_cmpx_eq_u64_e64 v[50:51], v[30:31]
; %bb.12845:                            ;   in Loop: Header=BB4_12823 Depth=3
	v_bfe_u32 v16, v14, 21, 1
	v_mov_b32_e32 v17, v3
	s_delay_alu instid0(VALU_DEP_1) | instskip(NEXT) | instid1(VALU_DEP_1)
	v_add_nc_u64_e32 v[16:17], v[14:15], v[16:17]
	v_add_nc_u64_e32 v[16:17], -1, v[16:17]
; %bb.12846:                            ;   in Loop: Header=BB4_12823 Depth=3
	s_or_b32 exec_lo, exec_lo, s43
	v_add_nc_u32_e32 v15, 0xffffff81, v19
	v_lshrrev_b32_e32 v17, 23, v14
	s_mov_b32 s13, exec_lo
                                        ; implicit-def: $vgpr19
	s_delay_alu instid0(VALU_DEP_2) | instskip(NEXT) | instid1(VALU_DEP_1)
	v_cndmask_b32_e64 v15, v15, 0xffffff82, vcc_lo
	v_add3_u32 v17, v20, v15, v17
	v_and_b32_e32 v15, 0x1fffff, v16
	s_delay_alu instid0(VALU_DEP_1) | instskip(SKIP_1) | instid1(VALU_DEP_2)
	v_dual_add_nc_u32 v16, 14, v17 :: v_dual_add_nc_u32 v14, v15, v14
	v_mov_b32_e32 v15, v3
	v_cmpx_ne_u32_e32 0, v16
	s_xor_b32 s13, exec_lo, s13
; %bb.12847:                            ;   in Loop: Header=BB4_12823 Depth=3
	s_delay_alu instid0(VALU_DEP_2) | instskip(SKIP_1) | instid1(VALU_DEP_1)
	v_cmp_lt_u64_e32 vcc_lo, 0xffffff, v[14:15]
	v_add_nc_u32_e32 v17, 15, v17
	v_cndmask_b32_e32 v19, v16, v17, vcc_lo
	v_cndmask_b32_e64 v16, 0, 1, vcc_lo
	s_delay_alu instid0(VALU_DEP_1)
	v_lshrrev_b64 v[14:15], v16, v[14:15]
; %bb.12848:                            ;   in Loop: Header=BB4_12823 Depth=3
	s_and_not1_saveexec_b32 s13, s13
; %bb.12849:                            ;   in Loop: Header=BB4_12823 Depth=3
	s_delay_alu instid0(VALU_DEP_1)
	v_bfe_u32 v19, v14, 23, 1
; %bb.12850:                            ;   in Loop: Header=BB4_12823 Depth=3
	s_or_b32 exec_lo, exec_lo, s13
	s_delay_alu instid0(VALU_DEP_2) | instskip(NEXT) | instid1(VALU_DEP_2)
	v_lshrrev_b64 v[14:15], 21, v[14:15]
	v_cmp_gt_i32_e32 vcc_lo, 32, v19
	v_cmp_ne_u32_e64 s13, 0, v19
	s_delay_alu instid0(VALU_DEP_3) | instskip(NEXT) | instid1(VALU_DEP_1)
	v_dual_cndmask_b32 v17, 0, v15 :: v_dual_cndmask_b32 v16, 3, v14
                                        ; implicit-def: $vgpr14
	v_cmp_ne_u64_e32 vcc_lo, 0, v[16:17]
	s_or_b32 s13, s13, vcc_lo
	s_delay_alu instid0(SALU_CYCLE_1) | instskip(NEXT) | instid1(SALU_CYCLE_1)
	s_and_saveexec_b32 s43, s13
	s_xor_b32 s13, exec_lo, s43
; %bb.12851:                            ;   in Loop: Header=BB4_12823 Depth=3
	v_min_i32_e32 v14, 31, v19
	s_delay_alu instid0(VALU_DEP_1) | instskip(NEXT) | instid1(VALU_DEP_1)
	v_lshl_or_b32 v2, v14, 2, v2
	v_and_or_b32 v14, v16, 3, v2
                                        ; implicit-def: $vgpr2
; %bb.12852:                            ;   in Loop: Header=BB4_12823 Depth=3
	s_and_not1_saveexec_b32 s13, s13
; %bb.12853:                            ;   in Loop: Header=BB4_12823 Depth=3
	v_mov_b32_e32 v14, v2
; %bb.12854:                            ;   in Loop: Header=BB4_12823 Depth=3
	s_or_b32 exec_lo, exec_lo, s13
.LBB4_12855:                            ;   in Loop: Header=BB4_12823 Depth=3
	s_delay_alu instid0(SALU_CYCLE_1)
	s_or_b32 exec_lo, exec_lo, s42
                                        ; implicit-def: $vgpr2
.LBB4_12856:                            ;   in Loop: Header=BB4_12823 Depth=3
	s_and_not1_saveexec_b32 s13, s15
; %bb.12857:                            ;   in Loop: Header=BB4_12823 Depth=3
	v_or_b32_e32 v14, 0x7b, v2
; %bb.12858:                            ;   in Loop: Header=BB4_12823 Depth=3
	s_or_b32 exec_lo, exec_lo, s13
                                        ; implicit-def: $vgpr15
                                        ; implicit-def: $vgpr16_vgpr17
.LBB4_12859:                            ;   in Loop: Header=BB4_12823 Depth=3
	s_and_not1_saveexec_b32 s13, s14
	s_cbranch_execz .LBB4_12865
; %bb.12860:                            ;   in Loop: Header=BB4_12823 Depth=3
	s_mov_b32 s14, exec_lo
                                        ; implicit-def: $vgpr14
	v_cmpx_ne_u64_e32 0, v[16:17]
	s_xor_b32 s14, exec_lo, s14
; %bb.12861:                            ;   in Loop: Header=BB4_12823 Depth=3
	v_lshrrev_b32_e32 v2, 24, v15
                                        ; implicit-def: $vgpr15
	s_delay_alu instid0(VALU_DEP_1)
	v_or_b32_e32 v14, 0x7f, v2
; %bb.12862:                            ;   in Loop: Header=BB4_12823 Depth=3
	s_and_not1_saveexec_b32 s14, s14
; %bb.12863:                            ;   in Loop: Header=BB4_12823 Depth=3
	v_cmp_lt_i32_e32 vcc_lo, -1, v15
	v_cndmask_b32_e64 v14, -4, 0x7c, vcc_lo
; %bb.12864:                            ;   in Loop: Header=BB4_12823 Depth=3
	s_or_b32 exec_lo, exec_lo, s14
.LBB4_12865:                            ;   in Loop: Header=BB4_12823 Depth=3
	s_delay_alu instid0(SALU_CYCLE_1)
	s_or_b32 exec_lo, exec_lo, s13
	flat_load_i8 v16, v[12:13] th:TH_LOAD_NT
	v_and_b32_e32 v19, 0xff, v14
	v_dual_mov_b32 v2, 0 :: v_dual_mov_b32 v15, 0
	s_mov_b32 s13, exec_lo
	s_wait_xcnt 0x0
	s_delay_alu instid0(VALU_DEP_2)
	v_cmpx_ne_u16_e32 0, v19
	s_cbranch_execz .LBB4_12875
; %bb.12866:                            ;   in Loop: Header=BB4_12823 Depth=3
	v_bfrev_b32_e32 v15, 1
	s_mov_b32 s14, exec_lo
	v_cmpx_ne_u16_e32 0x80, v19
	s_cbranch_execz .LBB4_12874
; %bb.12867:                            ;   in Loop: Header=BB4_12823 Depth=3
	v_and_b32_e32 v15, 0x7c, v14
	v_and_b32_e32 v17, 3, v14
	s_delay_alu instid0(VALU_DEP_2) | instskip(SKIP_1) | instid1(SALU_CYCLE_1)
	v_cmp_ne_u32_e32 vcc_lo, 0x7c, v15
                                        ; implicit-def: $vgpr15
	s_and_saveexec_b32 s15, vcc_lo
	s_xor_b32 s15, exec_lo, s15
	s_cbranch_execz .LBB4_12871
; %bb.12868:                            ;   in Loop: Header=BB4_12823 Depth=3
	v_bfe_u32 v15, v19, 2, 5
	s_mov_b32 s42, exec_lo
	s_delay_alu instid0(VALU_DEP_1)
	v_cmpx_eq_u32_e32 0, v15
; %bb.12869:                            ;   in Loop: Header=BB4_12823 Depth=3
	v_clz_i32_u32_e32 v15, v17
	s_delay_alu instid0(VALU_DEP_1) | instskip(SKIP_1) | instid1(VALU_DEP_2)
	v_min_u32_e32 v17, 32, v15
	v_mov_b32_e32 v15, v3
	v_subrev_nc_u32_e32 v19, 29, v17
	s_delay_alu instid0(VALU_DEP_1) | instskip(NEXT) | instid1(VALU_DEP_1)
	v_lshlrev_b64_e32 v[20:21], v19, v[14:15]
	v_dual_sub_nc_u32 v15, 30, v17 :: v_dual_bitop2_b32 v17, 3, v20 bitop3:0x40
; %bb.12870:                            ;   in Loop: Header=BB4_12823 Depth=3
	s_or_b32 exec_lo, exec_lo, s42
	v_lshlrev_b32_e32 v14, 24, v14
	s_delay_alu instid0(VALU_DEP_1) | instskip(NEXT) | instid1(VALU_DEP_1)
	v_and_b32_e32 v14, 0x80000000, v14
	v_lshl_add_u32 v14, v15, 23, v14
	s_delay_alu instid0(VALU_DEP_1) | instskip(NEXT) | instid1(VALU_DEP_1)
	v_lshl_or_b32 v14, v17, 21, v14
                                        ; implicit-def: $vgpr17
	v_add_nc_u32_e32 v15, 0x38000000, v14
                                        ; implicit-def: $vgpr14
.LBB4_12871:                            ;   in Loop: Header=BB4_12823 Depth=3
	s_and_not1_saveexec_b32 s15, s15
; %bb.12872:                            ;   in Loop: Header=BB4_12823 Depth=3
	v_bfe_i32 v14, v14, 0, 8
	s_delay_alu instid0(VALU_DEP_1) | instskip(SKIP_2) | instid1(VALU_DEP_2)
	v_cmp_lt_i16_e32 vcc_lo, -1, v14
	v_cndmask_b32_e32 v14, 0xff800000, v48, vcc_lo
	v_cmp_eq_u32_e32 vcc_lo, 0, v17
	v_cndmask_b32_e32 v15, 0x7f800001, v14, vcc_lo
; %bb.12873:                            ;   in Loop: Header=BB4_12823 Depth=3
	s_or_b32 exec_lo, exec_lo, s15
.LBB4_12874:                            ;   in Loop: Header=BB4_12823 Depth=3
	s_delay_alu instid0(SALU_CYCLE_1)
	s_or_b32 exec_lo, exec_lo, s14
.LBB4_12875:                            ;   in Loop: Header=BB4_12823 Depth=3
	s_delay_alu instid0(SALU_CYCLE_1) | instskip(NEXT) | instid1(SALU_CYCLE_1)
	s_or_b32 exec_lo, exec_lo, s13
	s_mov_b32 s13, exec_lo
	s_wait_loadcnt_dscnt 0x0
	v_cmpx_ne_u16_e32 0, v16
	s_cbranch_execz .LBB4_12885
; %bb.12876:                            ;   in Loop: Header=BB4_12823 Depth=3
	v_bfrev_b32_e32 v2, 1
	s_mov_b32 s14, exec_lo
	v_cmpx_ne_u16_e32 0xff80, v16
	s_cbranch_execz .LBB4_12884
; %bb.12877:                            ;   in Loop: Header=BB4_12823 Depth=3
	v_and_b32_e32 v2, 0x7c, v16
	v_and_b32_e32 v14, 3, v16
	s_delay_alu instid0(VALU_DEP_2) | instskip(SKIP_1) | instid1(SALU_CYCLE_1)
	v_cmp_ne_u32_e32 vcc_lo, 0x7c, v2
                                        ; implicit-def: $vgpr2
	s_and_saveexec_b32 s15, vcc_lo
	s_xor_b32 s15, exec_lo, s15
	s_cbranch_execz .LBB4_12881
; %bb.12878:                            ;   in Loop: Header=BB4_12823 Depth=3
	v_and_b32_e32 v2, 0xff, v16
	s_mov_b32 s42, exec_lo
	s_delay_alu instid0(VALU_DEP_1) | instskip(NEXT) | instid1(VALU_DEP_1)
	v_bfe_u32 v2, v2, 2, 5
	v_cmpx_eq_u32_e32 0, v2
	s_cbranch_execz .LBB4_12880
; %bb.12879:                            ;   in Loop: Header=BB4_12823 Depth=3
	v_clz_i32_u32_e32 v2, v14
	s_delay_alu instid0(VALU_DEP_1) | instskip(SKIP_1) | instid1(VALU_DEP_2)
	v_min_u32_e32 v2, 32, v2
	v_mov_b32_e32 v17, v3
	v_subrev_nc_u32_e32 v14, 29, v2
	v_sub_nc_u32_e32 v2, 30, v2
	s_delay_alu instid0(VALU_DEP_2) | instskip(NEXT) | instid1(VALU_DEP_1)
	v_lshlrev_b64_e32 v[20:21], v14, v[16:17]
	v_and_b32_e32 v14, 3, v20
.LBB4_12880:                            ;   in Loop: Header=BB4_12823 Depth=3
	s_or_b32 exec_lo, exec_lo, s42
	v_bfe_i32 v16, v16, 0, 16
	s_delay_alu instid0(VALU_DEP_1) | instskip(NEXT) | instid1(VALU_DEP_1)
	v_and_b32_e32 v16, 0x80000000, v16
	v_lshl_add_u32 v2, v2, 23, v16
                                        ; implicit-def: $vgpr16
	s_delay_alu instid0(VALU_DEP_1) | instskip(NEXT) | instid1(VALU_DEP_1)
	v_lshl_or_b32 v2, v14, 21, v2
                                        ; implicit-def: $vgpr14
	v_add_nc_u32_e32 v2, 0x38000000, v2
.LBB4_12881:                            ;   in Loop: Header=BB4_12823 Depth=3
	s_and_not1_saveexec_b32 s15, s15
; %bb.12882:                            ;   in Loop: Header=BB4_12823 Depth=3
	v_cmp_lt_i16_e32 vcc_lo, -1, v16
	v_cndmask_b32_e32 v2, 0xff800000, v48, vcc_lo
	v_cmp_eq_u32_e32 vcc_lo, 0, v14
	s_delay_alu instid0(VALU_DEP_2)
	v_cndmask_b32_e32 v2, 0x7f800001, v2, vcc_lo
; %bb.12883:                            ;   in Loop: Header=BB4_12823 Depth=3
	s_or_b32 exec_lo, exec_lo, s15
.LBB4_12884:                            ;   in Loop: Header=BB4_12823 Depth=3
	s_delay_alu instid0(SALU_CYCLE_1)
	s_or_b32 exec_lo, exec_lo, s14
.LBB4_12885:                            ;   in Loop: Header=BB4_12823 Depth=3
	s_delay_alu instid0(SALU_CYCLE_1) | instskip(NEXT) | instid1(VALU_DEP_1)
	s_or_b32 exec_lo, exec_lo, s13
	v_add_f32_e32 v16, v15, v2
	v_mov_b32_e32 v15, v3
                                        ; implicit-def: $vgpr2
	s_delay_alu instid0(VALU_DEP_2) | instskip(NEXT) | instid1(VALU_DEP_1)
	v_and_b32_e32 v14, 0x7f800000, v16
	v_cmp_ne_u64_e32 vcc_lo, 0x7f800000, v[14:15]
	v_and_b32_e32 v14, 0x7fffff, v16
	s_and_saveexec_b32 s13, vcc_lo
	s_delay_alu instid0(SALU_CYCLE_1)
	s_xor_b32 s14, exec_lo, s13
	s_cbranch_execz .LBB4_12903
; %bb.12886:                            ;   in Loop: Header=BB4_12823 Depth=3
	v_dual_mov_b32 v21, v3 :: v_dual_lshrrev_b32 v2, 24, v16
	v_and_b32_e32 v20, 0x7fffffff, v16
	s_mov_b32 s13, exec_lo
	s_delay_alu instid0(VALU_DEP_2) | instskip(NEXT) | instid1(VALU_DEP_2)
	v_and_b32_e32 v19, 0x80, v2
                                        ; implicit-def: $vgpr2
	v_cmpx_gt_u64_e32 0x47600001, v[20:21]
	s_xor_b32 s15, exec_lo, s13
	s_cbranch_execz .LBB4_12900
; %bb.12887:                            ;   in Loop: Header=BB4_12823 Depth=3
	v_mov_b32_e32 v2, 0
	s_mov_b32 s42, exec_lo
	v_cmpx_ne_u32_e32 0, v16
	s_cbranch_execz .LBB4_12899
; %bb.12888:                            ;   in Loop: Header=BB4_12823 Depth=3
	v_bfe_u32 v2, v16, 23, 8
	v_or_b32_e32 v21, 0x800000, v14
	s_delay_alu instid0(VALU_DEP_2) | instskip(SKIP_1) | instid1(VALU_DEP_2)
	v_sub_nc_u32_e32 v16, 0x71, v2
	v_cmp_gt_u32_e32 vcc_lo, 0x72, v2
	v_cndmask_b32_e32 v16, 0, v16, vcc_lo
	v_cmp_eq_u32_e32 vcc_lo, 0, v2
	v_cndmask_b32_e32 v14, v21, v14, vcc_lo
	s_delay_alu instid0(VALU_DEP_3) | instskip(NEXT) | instid1(VALU_DEP_1)
	v_cndmask_b32_e64 v20, v16, 0x70, vcc_lo
	v_dual_add_nc_u32 v16, 21, v20 :: v_dual_add_nc_u32 v30, 20, v20
	s_delay_alu instid0(VALU_DEP_1) | instskip(NEXT) | instid1(VALU_DEP_2)
	v_lshlrev_b64_e64 v[16:17], v16, -1
	v_lshlrev_b64_e64 v[30:31], v30, 1
	s_delay_alu instid0(VALU_DEP_2) | instskip(SKIP_1) | instid1(VALU_DEP_4)
	v_bfi_b32 v16, v16, 0, v14
	v_lshrrev_b64 v[14:15], v20, v[14:15]
	v_bfi_b32 v17, v17, 0, 0
	s_delay_alu instid0(VALU_DEP_1) | instskip(NEXT) | instid1(VALU_DEP_3)
	v_cmp_eq_u64_e64 s13, v[16:17], v[30:31]
	v_mov_b64_e32 v[16:17], v[14:15]
	s_and_saveexec_b32 s43, s13
; %bb.12889:                            ;   in Loop: Header=BB4_12823 Depth=3
	v_bfe_u32 v16, v14, 21, 1
	v_mov_b32_e32 v17, v3
	s_delay_alu instid0(VALU_DEP_1) | instskip(NEXT) | instid1(VALU_DEP_1)
	v_add_nc_u64_e32 v[16:17], v[14:15], v[16:17]
	v_add_nc_u64_e32 v[16:17], -1, v[16:17]
; %bb.12890:                            ;   in Loop: Header=BB4_12823 Depth=3
	s_or_b32 exec_lo, exec_lo, s43
	v_add_nc_u32_e32 v2, 0xffffff81, v2
	v_lshrrev_b32_e32 v15, 23, v14
	s_mov_b32 s13, exec_lo
	s_delay_alu instid0(VALU_DEP_2) | instskip(NEXT) | instid1(VALU_DEP_1)
	v_cndmask_b32_e64 v2, v2, 0xffffff82, vcc_lo
	v_add3_u32 v2, v20, v2, v15
	v_and_b32_e32 v15, 0x1fffff, v16
                                        ; implicit-def: $vgpr16
	s_delay_alu instid0(VALU_DEP_2) | instskip(NEXT) | instid1(VALU_DEP_2)
	v_add_nc_u32_e32 v17, 14, v2
	v_add_nc_u32_e32 v14, v15, v14
	v_mov_b32_e32 v15, v3
	s_delay_alu instid0(VALU_DEP_3)
	v_cmpx_ne_u32_e32 0, v17
	s_xor_b32 s13, exec_lo, s13
; %bb.12891:                            ;   in Loop: Header=BB4_12823 Depth=3
	s_delay_alu instid0(VALU_DEP_2) | instskip(SKIP_1) | instid1(VALU_DEP_1)
	v_cmp_lt_u64_e32 vcc_lo, 0xffffff, v[14:15]
	v_add_nc_u32_e32 v2, 15, v2
	v_cndmask_b32_e32 v16, v17, v2, vcc_lo
	v_cndmask_b32_e64 v2, 0, 1, vcc_lo
	s_delay_alu instid0(VALU_DEP_1)
	v_lshrrev_b64 v[14:15], v2, v[14:15]
; %bb.12892:                            ;   in Loop: Header=BB4_12823 Depth=3
	s_and_not1_saveexec_b32 s13, s13
; %bb.12893:                            ;   in Loop: Header=BB4_12823 Depth=3
	s_delay_alu instid0(VALU_DEP_1)
	v_bfe_u32 v16, v14, 23, 1
; %bb.12894:                            ;   in Loop: Header=BB4_12823 Depth=3
	s_or_b32 exec_lo, exec_lo, s13
	s_delay_alu instid0(VALU_DEP_2) | instskip(NEXT) | instid1(VALU_DEP_2)
	v_lshrrev_b64 v[14:15], 21, v[14:15]
	v_cmp_gt_i32_e32 vcc_lo, 32, v16
	v_cmp_ne_u32_e64 s13, 0, v16
                                        ; implicit-def: $vgpr2
	s_delay_alu instid0(VALU_DEP_3) | instskip(NEXT) | instid1(VALU_DEP_1)
	v_dual_cndmask_b32 v15, 0, v15 :: v_dual_cndmask_b32 v14, 3, v14
	v_cmp_ne_u64_e32 vcc_lo, 0, v[14:15]
	s_or_b32 s13, s13, vcc_lo
	s_delay_alu instid0(SALU_CYCLE_1) | instskip(NEXT) | instid1(SALU_CYCLE_1)
	s_and_saveexec_b32 s43, s13
	s_xor_b32 s13, exec_lo, s43
; %bb.12895:                            ;   in Loop: Header=BB4_12823 Depth=3
	v_min_i32_e32 v2, 31, v16
	s_delay_alu instid0(VALU_DEP_1) | instskip(NEXT) | instid1(VALU_DEP_1)
	v_lshl_or_b32 v2, v2, 2, v19
                                        ; implicit-def: $vgpr19
	v_and_or_b32 v2, v14, 3, v2
; %bb.12896:                            ;   in Loop: Header=BB4_12823 Depth=3
	s_and_not1_saveexec_b32 s13, s13
; %bb.12897:                            ;   in Loop: Header=BB4_12823 Depth=3
	v_mov_b32_e32 v2, v19
; %bb.12898:                            ;   in Loop: Header=BB4_12823 Depth=3
	s_or_b32 exec_lo, exec_lo, s13
.LBB4_12899:                            ;   in Loop: Header=BB4_12823 Depth=3
	s_delay_alu instid0(SALU_CYCLE_1)
	s_or_b32 exec_lo, exec_lo, s42
                                        ; implicit-def: $vgpr19
.LBB4_12900:                            ;   in Loop: Header=BB4_12823 Depth=3
	s_and_not1_saveexec_b32 s13, s15
; %bb.12901:                            ;   in Loop: Header=BB4_12823 Depth=3
	v_or_b32_e32 v2, 0x7b, v19
; %bb.12902:                            ;   in Loop: Header=BB4_12823 Depth=3
	s_or_b32 exec_lo, exec_lo, s13
                                        ; implicit-def: $vgpr16
                                        ; implicit-def: $vgpr14_vgpr15
.LBB4_12903:                            ;   in Loop: Header=BB4_12823 Depth=3
	s_and_not1_saveexec_b32 s13, s14
	s_cbranch_execz .LBB4_12909
; %bb.12904:                            ;   in Loop: Header=BB4_12823 Depth=3
	s_mov_b32 s14, exec_lo
                                        ; implicit-def: $vgpr2
	v_cmpx_ne_u64_e32 0, v[14:15]
	s_xor_b32 s14, exec_lo, s14
; %bb.12905:                            ;   in Loop: Header=BB4_12823 Depth=3
	v_lshrrev_b32_e32 v2, 24, v16
                                        ; implicit-def: $vgpr16
	s_delay_alu instid0(VALU_DEP_1)
	v_or_b32_e32 v2, 0x7f, v2
; %bb.12906:                            ;   in Loop: Header=BB4_12823 Depth=3
	s_and_not1_saveexec_b32 s14, s14
; %bb.12907:                            ;   in Loop: Header=BB4_12823 Depth=3
	v_cmp_lt_i32_e32 vcc_lo, -1, v16
	v_cndmask_b32_e64 v2, -4, 0x7c, vcc_lo
; %bb.12908:                            ;   in Loop: Header=BB4_12823 Depth=3
	s_or_b32 exec_lo, exec_lo, s14
.LBB4_12909:                            ;   in Loop: Header=BB4_12823 Depth=3
	s_delay_alu instid0(SALU_CYCLE_1)
	s_or_b32 exec_lo, exec_lo, s13
	s_mov_b64 s[42:43], 0
	s_mov_b32 s15, -1
.LBB4_12910:                            ;   Parent Loop BB4_47 Depth=1
                                        ;     Parent Loop BB4_8155 Depth=2
                                        ;       Parent Loop BB4_12823 Depth=3
                                        ; =>      This Inner Loop Header: Depth=4
	s_cmp_eq_u32 s42, 1
	s_cselect_b32 vcc_lo, -1, 0
	s_cmp_eq_u32 s42, 0
	s_wait_xcnt 0x0
	v_dual_cndmask_b32 v15, v5, v9 :: v_dual_cndmask_b32 v14, v4, v8
	s_cselect_b32 s13, -1, 0
	s_and_b32 s14, exec_lo, s15
	s_mov_b64 s[42:43], 1
	s_mov_b32 s15, 0
	v_add_nc_u64_e32 v[16:17], 32, v[14:15]
	flat_store_b8 v[14:15], v2 th:TH_STORE_NT
	v_dual_cndmask_b32 v9, v9, v17 :: v_dual_cndmask_b32 v8, v8, v16
	v_dual_cndmask_b32 v5, v5, v17, s13 :: v_dual_cndmask_b32 v4, v4, v16, s13
	s_mov_b32 vcc_lo, s14
	s_cbranch_vccnz .LBB4_12910
; %bb.12911:                            ;   in Loop: Header=BB4_12823 Depth=3
	v_sub_nc_u32_e32 v18, v18, v38
	v_add_nc_u64_e32 v[10:11], v[10:11], v[84:85]
	v_add_nc_u64_e32 v[12:13], v[12:13], v[84:85]
	;; [unrolled: 1-line block ×4, first 2 shown]
	v_cmp_gt_i32_e32 vcc_lo, 1, v18
	s_or_b32 s74, vcc_lo, s74
	s_wait_xcnt 0x0
	s_and_not1_b32 exec_lo, exec_lo, s74
	s_cbranch_execnz .LBB4_12823
.LBB4_12912:                            ;   in Loop: Header=BB4_8155 Depth=2
	s_or_b32 exec_lo, exec_lo, s73
	s_mov_b32 s13, 0
.LBB4_12913:                            ;   in Loop: Header=BB4_8155 Depth=2
	s_delay_alu instid0(SALU_CYCLE_1)
	s_and_b32 vcc_lo, exec_lo, s13
	s_cbranch_vccnz .LBB4_12914
; %bb.18265:                            ;   in Loop: Header=BB4_8155 Depth=2
	s_add_pc_i64 .LBB4_17594-.Lpost_addpc36
.Lpost_addpc36:
.LBB4_12914:                            ;   in Loop: Header=BB4_8155 Depth=2
	s_mov_b32 s13, -1
	s_wait_xcnt 0x0
	s_and_saveexec_b32 s14, s11
	s_cbranch_execz .LBB4_12916
; %bb.12915:                            ;   in Loop: Header=BB4_8155 Depth=2
	ds_load_b32 v2, v0 offset:720
	s_wait_dscnt 0x0
	v_and_b32_e32 v2, 15, v2
	s_delay_alu instid0(VALU_DEP_1)
	v_cmp_eq_u32_e32 vcc_lo, 0, v2
	s_or_not1_b32 s13, vcc_lo, exec_lo
.LBB4_12916:                            ;   in Loop: Header=BB4_8155 Depth=2
	s_or_b32 exec_lo, exec_lo, s14
	s_and_saveexec_b32 s14, s7
	s_cbranch_execz .LBB4_12918
; %bb.12917:                            ;   in Loop: Header=BB4_8155 Depth=2
	ds_load_b32 v2, v0 offset:784
	s_wait_dscnt 0x0
	v_and_b32_e32 v2, 15, v2
	s_delay_alu instid0(VALU_DEP_1) | instskip(SKIP_3) | instid1(SALU_CYCLE_1)
	v_cmp_eq_u32_e32 vcc_lo, 0, v2
	s_and_b32 s15, s13, vcc_lo
	s_and_not1_b32 s13, s13, exec_lo
	s_and_b32 s15, s15, exec_lo
	s_or_b32 s13, s13, s15
.LBB4_12918:                            ;   in Loop: Header=BB4_8155 Depth=2
	s_or_b32 exec_lo, exec_lo, s14
	s_xor_b32 s13, s13, -1
	v_mov_b32_e32 v67, v0
	v_cndmask_b32_e64 v2, 0, 1, s13
	s_mov_b32 s13, -1
	v_mov_b32_e32 v66, v47
	s_delay_alu instid0(VALU_DEP_2)
	v_cmp_ne_u32_e32 vcc_lo, 0, v2
	v_mov_b32_e32 v2, 0
	s_cbranch_vccz .LBB4_12920
; %bb.12919:                            ;   in Loop: Header=BB4_8155 Depth=2
	s_and_saveexec_b32 s42, s13
	s_cbranch_execnz .LBB4_16243
; %bb.18221:                            ;   in Loop: Header=BB4_8155 Depth=2
	s_add_pc_i64 .LBB4_17593-.Lpost_addpc14
.Lpost_addpc14:
.LBB4_12920:                            ;   in Loop: Header=BB4_8155 Depth=2
	v_ashrrev_i32_e32 v2, 31, v47
	s_mov_b32 s14, exec_lo
	s_delay_alu instid0(VALU_DEP_1) | instskip(NEXT) | instid1(VALU_DEP_1)
	v_lshrrev_b32_e32 v2, 22, v2
	v_add_nc_u32_e32 v2, v47, v2
	s_delay_alu instid0(VALU_DEP_1) | instskip(NEXT) | instid1(VALU_DEP_1)
	v_dual_ashrrev_i32 v21, 10, v2 :: v_dual_lshrrev_b32 v2, 5, v0
	v_sub_nc_u32_e32 v20, v21, v2
	s_delay_alu instid0(VALU_DEP_1)
	v_cmpx_lt_i32_e32 0, v20
	s_cbranch_execz .LBB4_15172
; %bb.12921:                            ;   in Loop: Header=BB4_8155 Depth=2
	s_trap 2
	ds_load_b64 v[4:5], v0
	s_clause 0x1
	scratch_load_b64 v[8:9], off, s33 offset:212
	scratch_load_b64 v[10:11], off, s33 offset:220
	v_mov_b32_e32 v77, v47
	s_wait_dscnt 0x0
	v_readfirstlane_b32 s42, v4
	v_readfirstlane_b32 s43, v5
	s_and_b32 s15, s42, 3
	s_bfe_i32 s13, s42, 0x80000
	s_clz_i32_u32 s75, s15
	s_bfe_u32 s73, s42, 0x50002
	s_min_u32 s75, s75, 32
	s_and_b32 s74, s42, 0x7c
	s_sub_co_i32 s78, s75, 29
	s_lshl_b32 s76, s42, 24
	s_sext_i32_i8 s77, s42
	s_lshl_b64 s[42:43], s[42:43], s78
	s_and_b32 s76, s76, 0x80000000
	s_sub_co_i32 s43, 30, s75
	s_and_b32 s42, s42, 3
	s_cmp_gt_i32 s77, -1
	s_cselect_b32 s75, s47, 0xff800000
	s_cmp_eq_u32 s15, 0
	s_cselect_b32 s75, s75, 0x7f800001
	s_cmp_eq_u32 s73, 0
	s_cselect_b32 s43, s43, s73
	s_cselect_b32 s15, s42, s15
	s_lshl_b32 s42, s43, 23
	s_lshl_b32 s15, s15, 21
	s_add_co_i32 s42, s42, s76
	s_delay_alu instid0(SALU_CYCLE_1) | instskip(NEXT) | instid1(SALU_CYCLE_1)
	s_or_b32 s15, s42, s15
	s_add_co_i32 s42, s15, 0x38000000
	s_cmp_eq_u32 s74, 0x7c
	s_mov_b32 s15, 0
	s_cselect_b32 s42, s75, s42
	s_and_b32 s43, s13, 0xff
	s_wait_loadcnt 0x1
	v_add_nc_u64_e32 v[46:47], v[4:5], v[8:9]
	s_wait_loadcnt 0x0
	v_add_nc_u64_e32 v[42:43], v[10:11], v[8:9]
	scratch_load_b64 v[10:11], off, s33 offset:228 ; 8-byte Folded Reload
	s_wait_loadcnt 0x0
	v_add_nc_u64_e32 v[44:45], v[10:11], v[8:9]
	s_branch .LBB4_12924
.LBB4_12922:                            ;   in Loop: Header=BB4_12924 Depth=3
	s_or_b32 exec_lo, exec_lo, s73
.LBB4_12923:                            ;   in Loop: Header=BB4_12924 Depth=3
	s_delay_alu instid0(SALU_CYCLE_1)
	s_or_b32 exec_lo, exec_lo, s13
	v_lshl_or_b32 v2, v57, 8, v119
	v_dual_lshlrev_b32 v4, 16, v18 :: v_dual_lshlrev_b32 v5, 24, v19
	v_lshl_or_b32 v9, v50, 8, v30
	v_dual_lshlrev_b32 v10, 16, v65 :: v_dual_lshlrev_b32 v11, 24, v116
	;; [unrolled: 2-line block ×3, first 2 shown]
	v_or3_b32 v73, v2, v4, v5
	v_dual_lshlrev_b32 v2, 24, v17 :: v_dual_lshlrev_b32 v4, 16, v16
	v_lshl_or_b32 v5, v59, 8, v56
	v_or3_b32 v72, v9, v10, v11
	v_or3_b32 v74, v13, v18, v19
	v_lshl_or_b32 v9, v113, 8, v66
	v_dual_lshlrev_b32 v10, 16, v14 :: v_dual_lshlrev_b32 v11, 24, v15
	v_lshl_or_b32 v13, v40, 8, v67
	v_dual_lshlrev_b32 v14, 16, v58 :: v_dual_lshlrev_b32 v15, 24, v60
	;; [unrolled: 2-line block ×3, first 2 shown]
	v_lshlrev_b32_e32 v19, 24, v8
	v_lshlrev_b32_e32 v12, 16, v12
	v_lshl_or_b32 v30, v64, 8, v31
	v_or3_b32 v75, v5, v4, v2
	v_sub_nc_u32_e32 v20, v20, v36
	v_or3_b32 v9, v9, v10, v11
	v_or3_b32 v8, v13, v14, v15
	;; [unrolled: 1-line block ×4, first 2 shown]
	s_clause 0x1
	global_store_b128 v[44:45], v[72:75], off th:TH_STORE_NT
	global_store_b128 v[44:45], v[8:11], off offset:512 th:TH_STORE_NT
	v_add_nc_u64_e32 v[42:43], v[42:43], v[68:69]
	v_add_nc_u64_e32 v[46:47], v[46:47], v[68:69]
	v_cmp_gt_i32_e32 vcc_lo, 1, v20
	s_wait_xcnt 0x0
	v_add_nc_u64_e32 v[44:45], v[44:45], v[68:69]
	s_or_b32 s15, vcc_lo, s15
	s_delay_alu instid0(SALU_CYCLE_1)
	s_and_not1_b32 exec_lo, exec_lo, s15
	s_cbranch_execz .LBB4_15171
.LBB4_12924:                            ;   Parent Loop BB4_47 Depth=1
                                        ;     Parent Loop BB4_8155 Depth=2
                                        ; =>    This Inner Loop Header: Depth=3
	s_cmp_lt_i32 s43, 0x80
	s_cbranch_scc1 .LBB4_12928
; %bb.12925:                            ;   in Loop: Header=BB4_12924 Depth=3
	s_and_b32 s13, 0xffff, s43
	s_delay_alu instid0(SALU_CYCLE_1)
	s_cmp_eq_u32 s13, 0x80
	s_mov_b32 s13, -1
	s_cbranch_scc0 .LBB4_12927
; %bb.12926:                            ;   in Loop: Header=BB4_12924 Depth=3
	s_mov_b32 s13, 0
.LBB4_12927:                            ;   in Loop: Header=BB4_12924 Depth=3
	s_brev_b32 s73, 1
	s_branch .LBB4_12930
.LBB4_12928:                            ;   in Loop: Header=BB4_12924 Depth=3
	s_mov_b32 s13, 0
	s_brev_b32 s73, 1
	s_cbranch_execz .LBB4_12930
; %bb.12929:                            ;   in Loop: Header=BB4_12924 Depth=3
	s_and_b32 s13, 0xffff, s43
	s_mov_b32 s73, 0
	s_cmp_lg_u32 s13, 0
	s_cselect_b32 s13, -1, 0
.LBB4_12930:                            ;   in Loop: Header=BB4_12924 Depth=3
	s_delay_alu instid0(SALU_CYCLE_1)
	s_and_not1_b32 vcc_lo, exec_lo, s13
	s_cbranch_vccnz .LBB4_12932
; %bb.12931:                            ;   in Loop: Header=BB4_12924 Depth=3
	s_mov_b32 s73, s42
.LBB4_12932:                            ;   in Loop: Header=BB4_12924 Depth=3
	global_load_b128 v[8:11], v[42:43], off th:TH_LOAD_NT
	s_wait_loadcnt 0x0
	v_and_b32_e32 v2, 0xff, v8
	s_delay_alu instid0(VALU_DEP_1)
	v_cmp_ne_u16_e32 vcc_lo, 0, v2
	v_mov_b32_e32 v2, 0
	s_wait_xcnt 0x0
	s_and_saveexec_b32 s13, vcc_lo
	s_cbranch_execz .LBB4_12942
; %bb.12933:                            ;   in Loop: Header=BB4_12924 Depth=3
	v_bfe_i32 v5, v8, 0, 8
	v_bfrev_b32_e32 v2, 1
	s_mov_b32 s74, exec_lo
	s_delay_alu instid0(VALU_DEP_2)
	v_cmpx_ne_u16_e32 0xff80, v5
	s_cbranch_execz .LBB4_12941
; %bb.12934:                            ;   in Loop: Header=BB4_12924 Depth=3
	v_and_b32_e32 v2, 0x7c, v8
	v_and_b32_e32 v4, 3, v8
	s_delay_alu instid0(VALU_DEP_2) | instskip(SKIP_1) | instid1(SALU_CYCLE_1)
	v_cmp_ne_u32_e32 vcc_lo, 0x7c, v2
                                        ; implicit-def: $vgpr2
	s_and_saveexec_b32 s75, vcc_lo
	s_xor_b32 s75, exec_lo, s75
	s_cbranch_execz .LBB4_12938
; %bb.12935:                            ;   in Loop: Header=BB4_12924 Depth=3
	v_bfe_u32 v2, v8, 2, 5
	s_mov_b32 s76, exec_lo
	s_delay_alu instid0(VALU_DEP_1)
	v_cmpx_eq_u32_e32 0, v2
; %bb.12936:                            ;   in Loop: Header=BB4_12924 Depth=3
	v_clz_i32_u32_e32 v2, v4
	s_delay_alu instid0(VALU_DEP_1) | instskip(NEXT) | instid1(VALU_DEP_1)
	v_min_u32_e32 v2, 32, v2
	v_subrev_nc_u32_e32 v4, 29, v2
	s_delay_alu instid0(VALU_DEP_1) | instskip(NEXT) | instid1(VALU_DEP_1)
	v_lshlrev_b64_e32 v[4:5], v4, v[8:9]
	v_dual_sub_nc_u32 v2, 30, v2 :: v_dual_bitop2_b32 v4, 3, v4 bitop3:0x40
; %bb.12937:                            ;   in Loop: Header=BB4_12924 Depth=3
	s_or_b32 exec_lo, exec_lo, s76
	v_lshlrev_b32_e32 v5, 24, v8
	s_delay_alu instid0(VALU_DEP_1) | instskip(NEXT) | instid1(VALU_DEP_1)
	v_and_b32_e32 v5, 0x80000000, v5
	v_lshl_add_u32 v2, v2, 23, v5
                                        ; implicit-def: $vgpr5
	s_delay_alu instid0(VALU_DEP_1) | instskip(NEXT) | instid1(VALU_DEP_1)
	v_lshl_or_b32 v2, v4, 21, v2
                                        ; implicit-def: $vgpr4
	v_add_nc_u32_e32 v2, 0x38000000, v2
.LBB4_12938:                            ;   in Loop: Header=BB4_12924 Depth=3
	s_and_not1_saveexec_b32 s75, s75
; %bb.12939:                            ;   in Loop: Header=BB4_12924 Depth=3
	v_cmp_lt_i16_e32 vcc_lo, -1, v5
	v_cndmask_b32_e32 v2, 0xff800000, v48, vcc_lo
	v_cmp_eq_u32_e32 vcc_lo, 0, v4
	s_delay_alu instid0(VALU_DEP_2)
	v_cndmask_b32_e32 v2, 0x7f800001, v2, vcc_lo
; %bb.12940:                            ;   in Loop: Header=BB4_12924 Depth=3
	s_or_b32 exec_lo, exec_lo, s75
.LBB4_12941:                            ;   in Loop: Header=BB4_12924 Depth=3
	s_delay_alu instid0(SALU_CYCLE_1)
	s_or_b32 exec_lo, exec_lo, s74
.LBB4_12942:                            ;   in Loop: Header=BB4_12924 Depth=3
	s_delay_alu instid0(SALU_CYCLE_1) | instskip(NEXT) | instid1(VALU_DEP_1)
	s_or_b32 exec_lo, exec_lo, s13
	v_dual_mul_f32 v12, s73, v2 :: v_dual_mov_b32 v15, v3
	v_mov_b32_e32 v5, v3
                                        ; implicit-def: $vgpr16
	s_mov_b32 s13, exec_lo
	s_delay_alu instid0(VALU_DEP_2) | instskip(SKIP_2) | instid1(VALU_DEP_3)
	v_and_b32_e32 v14, 0x7f800000, v12
	v_and_b32_e32 v4, 0x7fffff, v12
	v_lshrrev_b32_e32 v2, 24, v12
	v_cmpx_ne_u64_e32 0x7f800000, v[14:15]
	s_xor_b32 s74, exec_lo, s13
	s_cbranch_execz .LBB4_12956
; %bb.12943:                            ;   in Loop: Header=BB4_12924 Depth=3
	v_and_b32_e32 v14, 0x7fffffff, v12
	v_mov_b32_e32 v15, v3
	v_and_b32_e32 v2, 0x80, v2
                                        ; implicit-def: $vgpr16
	s_mov_b32 s13, exec_lo
	s_delay_alu instid0(VALU_DEP_2)
	v_cmpx_gt_u64_e32 0x47600001, v[14:15]
	s_xor_b32 s75, exec_lo, s13
	s_cbranch_execz .LBB4_12953
; %bb.12944:                            ;   in Loop: Header=BB4_12924 Depth=3
	v_mov_b32_e32 v16, 0
	s_mov_b32 s76, exec_lo
	v_cmpx_ne_u32_e32 0, v12
	s_cbranch_execz .LBB4_12952
; %bb.12945:                            ;   in Loop: Header=BB4_12924 Depth=3
	v_bfe_u32 v14, v12, 23, 8
	v_or_b32_e32 v16, 0x800000, v4
	s_delay_alu instid0(VALU_DEP_2) | instskip(SKIP_1) | instid1(VALU_DEP_2)
	v_sub_nc_u32_e32 v12, 0x71, v14
	v_cmp_gt_u32_e32 vcc_lo, 0x72, v14
	v_cndmask_b32_e32 v12, 0, v12, vcc_lo
	v_cmp_eq_u32_e32 vcc_lo, 0, v14
	s_delay_alu instid0(VALU_DEP_2) | instskip(NEXT) | instid1(VALU_DEP_1)
	v_cndmask_b32_e64 v15, v12, 0x70, vcc_lo
	v_dual_cndmask_b32 v4, v16, v4, vcc_lo :: v_dual_add_nc_u32 v12, 21, v15
	v_add_nc_u32_e32 v17, 20, v15
	s_delay_alu instid0(VALU_DEP_2) | instskip(NEXT) | instid1(VALU_DEP_2)
	v_lshlrev_b64_e64 v[12:13], v12, -1
	v_lshlrev_b64_e64 v[16:17], v17, 1
	s_delay_alu instid0(VALU_DEP_2) | instskip(SKIP_1) | instid1(VALU_DEP_4)
	v_bfi_b32 v12, v12, 0, v4
	v_lshrrev_b64 v[4:5], v15, v[4:5]
	v_bfi_b32 v13, v13, 0, 0
	s_delay_alu instid0(VALU_DEP_1) | instskip(NEXT) | instid1(VALU_DEP_3)
	v_cmp_eq_u64_e64 s13, v[12:13], v[16:17]
	v_mov_b64_e32 v[12:13], v[4:5]
	s_and_saveexec_b32 s77, s13
; %bb.12946:                            ;   in Loop: Header=BB4_12924 Depth=3
	v_bfe_u32 v12, v4, 21, 1
	v_mov_b32_e32 v13, v3
	s_delay_alu instid0(VALU_DEP_1) | instskip(NEXT) | instid1(VALU_DEP_1)
	v_add_nc_u64_e32 v[12:13], v[4:5], v[12:13]
	v_add_nc_u64_e32 v[12:13], -1, v[12:13]
; %bb.12947:                            ;   in Loop: Header=BB4_12924 Depth=3
	s_or_b32 exec_lo, exec_lo, s77
	v_add_nc_u32_e32 v5, 0xffffff81, v14
	v_lshrrev_b32_e32 v13, 23, v4
	s_mov_b32 s13, exec_lo
	s_delay_alu instid0(VALU_DEP_2) | instskip(NEXT) | instid1(VALU_DEP_1)
	v_cndmask_b32_e64 v5, v5, 0xffffff82, vcc_lo
	v_add3_u32 v13, v15, v5, v13
	v_and_b32_e32 v5, 0x1fffff, v12
                                        ; implicit-def: $vgpr12
	s_delay_alu instid0(VALU_DEP_1) | instskip(SKIP_1) | instid1(VALU_DEP_2)
	v_dual_add_nc_u32 v14, 14, v13 :: v_dual_add_nc_u32 v4, v5, v4
	v_mov_b32_e32 v5, v3
	v_cmpx_ne_u32_e32 0, v14
	s_xor_b32 s13, exec_lo, s13
; %bb.12948:                            ;   in Loop: Header=BB4_12924 Depth=3
	s_delay_alu instid0(VALU_DEP_2) | instskip(SKIP_2) | instid1(VALU_DEP_2)
	v_cmp_lt_u64_e32 vcc_lo, 0xffffff, v[4:5]
	v_add_nc_u32_e32 v12, 15, v13
	v_cndmask_b32_e64 v13, 0, 1, vcc_lo
	v_cndmask_b32_e32 v12, v14, v12, vcc_lo
	s_delay_alu instid0(VALU_DEP_2)
	v_lshrrev_b64 v[4:5], v13, v[4:5]
; %bb.12949:                            ;   in Loop: Header=BB4_12924 Depth=3
	s_and_not1_saveexec_b32 s13, s13
; %bb.12950:                            ;   in Loop: Header=BB4_12924 Depth=3
	s_delay_alu instid0(VALU_DEP_1)
	v_bfe_u32 v12, v4, 23, 1
; %bb.12951:                            ;   in Loop: Header=BB4_12924 Depth=3
	s_or_b32 exec_lo, exec_lo, s13
	s_delay_alu instid0(VALU_DEP_2) | instskip(NEXT) | instid1(VALU_DEP_2)
	v_lshrrev_b64 v[4:5], 21, v[4:5]
	v_cmp_gt_i32_e32 vcc_lo, 32, v12
	v_min_i32_e32 v13, 31, v12
	v_cmp_eq_u32_e64 s13, 0, v12
	s_delay_alu instid0(VALU_DEP_4) | instskip(NEXT) | instid1(VALU_DEP_3)
	v_cndmask_b32_e32 v5, 0, v5, vcc_lo
	v_dual_cndmask_b32 v4, 3, v4 :: v_dual_lshlrev_b32 v13, 2, v13
	s_delay_alu instid0(VALU_DEP_1) | instskip(NEXT) | instid1(VALU_DEP_2)
	v_and_b32_e32 v13, 0xfc, v13
	v_cmp_eq_u64_e32 vcc_lo, 0, v[4:5]
	s_delay_alu instid0(VALU_DEP_2)
	v_and_or_b32 v4, v4, 3, v13
	s_and_b32 s13, s13, vcc_lo
	s_delay_alu instid0(VALU_DEP_1) | instid1(SALU_CYCLE_1)
	v_cndmask_b32_e64 v4, v4, 0, s13
	s_delay_alu instid0(VALU_DEP_1)
	v_or_b32_e32 v16, v4, v2
.LBB4_12952:                            ;   in Loop: Header=BB4_12924 Depth=3
	s_or_b32 exec_lo, exec_lo, s76
                                        ; implicit-def: $vgpr2
.LBB4_12953:                            ;   in Loop: Header=BB4_12924 Depth=3
	s_and_not1_saveexec_b32 s13, s75
; %bb.12954:                            ;   in Loop: Header=BB4_12924 Depth=3
	v_or_b32_e32 v16, 0x7b, v2
; %bb.12955:                            ;   in Loop: Header=BB4_12924 Depth=3
	s_or_b32 exec_lo, exec_lo, s13
                                        ; implicit-def: $vgpr12
                                        ; implicit-def: $vgpr4_vgpr5
                                        ; implicit-def: $vgpr2
.LBB4_12956:                            ;   in Loop: Header=BB4_12924 Depth=3
	s_and_not1_saveexec_b32 s13, s74
	s_cbranch_execz .LBB4_12962
; %bb.12957:                            ;   in Loop: Header=BB4_12924 Depth=3
	s_mov_b32 s74, exec_lo
                                        ; implicit-def: $vgpr16
	v_cmpx_ne_u64_e32 0, v[4:5]
	s_xor_b32 s74, exec_lo, s74
; %bb.12958:                            ;   in Loop: Header=BB4_12924 Depth=3
	v_or_b32_e32 v16, 0x7f, v2
                                        ; implicit-def: $vgpr12
; %bb.12959:                            ;   in Loop: Header=BB4_12924 Depth=3
	s_and_not1_saveexec_b32 s74, s74
; %bb.12960:                            ;   in Loop: Header=BB4_12924 Depth=3
	v_cmp_lt_i32_e32 vcc_lo, -1, v12
	v_cndmask_b32_e32 v16, 0xfc, v49, vcc_lo
; %bb.12961:                            ;   in Loop: Header=BB4_12924 Depth=3
	s_or_b32 exec_lo, exec_lo, s74
.LBB4_12962:                            ;   in Loop: Header=BB4_12924 Depth=3
	s_delay_alu instid0(SALU_CYCLE_1) | instskip(SKIP_3) | instid1(VALU_DEP_2)
	s_or_b32 exec_lo, exec_lo, s13
	v_lshrrev_b16 v4, 8, v8
	v_mov_b32_e32 v5, 0
	s_mov_b32 s13, exec_lo
	v_cmpx_ne_u16_e32 0, v4
	s_cbranch_execz .LBB4_12972
; %bb.12963:                            ;   in Loop: Header=BB4_12924 Depth=3
	v_bfrev_b32_e32 v5, 1
	s_mov_b32 s74, exec_lo
	v_cmpx_ne_u16_e32 0x80, v4
	s_cbranch_execz .LBB4_12971
; %bb.12964:                            ;   in Loop: Header=BB4_12924 Depth=3
	v_and_b32_e32 v12, 0xffff, v4
	s_delay_alu instid0(VALU_DEP_1) | instskip(SKIP_1) | instid1(VALU_DEP_2)
	v_and_b32_e32 v5, 0x7c, v12
	v_and_b32_e32 v2, 3, v12
	v_cmp_ne_u32_e32 vcc_lo, 0x7c, v5
                                        ; implicit-def: $vgpr5
	s_and_saveexec_b32 s75, vcc_lo
	s_delay_alu instid0(SALU_CYCLE_1)
	s_xor_b32 s75, exec_lo, s75
	s_cbranch_execz .LBB4_12968
; %bb.12965:                            ;   in Loop: Header=BB4_12924 Depth=3
	v_bfe_u32 v5, v12, 2, 5
	s_mov_b32 s76, exec_lo
	s_delay_alu instid0(VALU_DEP_1)
	v_cmpx_eq_u32_e32 0, v5
; %bb.12966:                            ;   in Loop: Header=BB4_12924 Depth=3
	v_clz_i32_u32_e32 v2, v2
	v_mov_b32_e32 v5, v3
	s_delay_alu instid0(VALU_DEP_2) | instskip(NEXT) | instid1(VALU_DEP_1)
	v_min_u32_e32 v2, 32, v2
	v_subrev_nc_u32_e32 v12, 29, v2
	s_delay_alu instid0(VALU_DEP_1) | instskip(NEXT) | instid1(VALU_DEP_1)
	v_lshlrev_b64_e32 v[4:5], v12, v[4:5]
	v_dual_sub_nc_u32 v5, 30, v2 :: v_dual_bitop2_b32 v2, 3, v4 bitop3:0x40
; %bb.12967:                            ;   in Loop: Header=BB4_12924 Depth=3
	s_or_b32 exec_lo, exec_lo, s76
	v_lshlrev_b32_e32 v4, 16, v8
	s_delay_alu instid0(VALU_DEP_1) | instskip(NEXT) | instid1(VALU_DEP_1)
	v_and_b32_e32 v4, 0x80000000, v4
	v_lshl_add_u32 v4, v5, 23, v4
	s_delay_alu instid0(VALU_DEP_1) | instskip(NEXT) | instid1(VALU_DEP_1)
	v_lshl_or_b32 v2, v2, 21, v4
	v_add_nc_u32_e32 v5, 0x38000000, v2
                                        ; implicit-def: $vgpr2
.LBB4_12968:                            ;   in Loop: Header=BB4_12924 Depth=3
	s_and_not1_saveexec_b32 s75, s75
; %bb.12969:                            ;   in Loop: Header=BB4_12924 Depth=3
	v_cmp_lt_i16_e32 vcc_lo, -1, v8
	v_cndmask_b32_e32 v4, 0xff800000, v48, vcc_lo
	v_cmp_eq_u32_e32 vcc_lo, 0, v2
	s_delay_alu instid0(VALU_DEP_2)
	v_cndmask_b32_e32 v5, 0x7f800001, v4, vcc_lo
; %bb.12970:                            ;   in Loop: Header=BB4_12924 Depth=3
	s_or_b32 exec_lo, exec_lo, s75
.LBB4_12971:                            ;   in Loop: Header=BB4_12924 Depth=3
	s_delay_alu instid0(SALU_CYCLE_1)
	s_or_b32 exec_lo, exec_lo, s74
.LBB4_12972:                            ;   in Loop: Header=BB4_12924 Depth=3
	s_delay_alu instid0(SALU_CYCLE_1) | instskip(NEXT) | instid1(VALU_DEP_1)
	s_or_b32 exec_lo, exec_lo, s13
	v_dual_mul_f32 v12, s73, v5 :: v_dual_mov_b32 v15, v3
	v_mov_b32_e32 v5, v3
                                        ; implicit-def: $vgpr17
	s_mov_b32 s13, exec_lo
	s_delay_alu instid0(VALU_DEP_2) | instskip(SKIP_2) | instid1(VALU_DEP_3)
	v_and_b32_e32 v14, 0x7f800000, v12
	v_and_b32_e32 v4, 0x7fffff, v12
	v_lshrrev_b32_e32 v2, 24, v12
	v_cmpx_ne_u64_e32 0x7f800000, v[14:15]
	s_xor_b32 s74, exec_lo, s13
	s_cbranch_execz .LBB4_12986
; %bb.12973:                            ;   in Loop: Header=BB4_12924 Depth=3
	v_and_b32_e32 v14, 0x7fffffff, v12
	v_mov_b32_e32 v15, v3
	v_and_b32_e32 v2, 0x80, v2
                                        ; implicit-def: $vgpr17
	s_mov_b32 s13, exec_lo
	s_delay_alu instid0(VALU_DEP_2)
	v_cmpx_gt_u64_e32 0x47600001, v[14:15]
	s_xor_b32 s75, exec_lo, s13
	s_cbranch_execz .LBB4_12983
; %bb.12974:                            ;   in Loop: Header=BB4_12924 Depth=3
	v_mov_b32_e32 v17, 0
	s_mov_b32 s76, exec_lo
	v_cmpx_ne_u32_e32 0, v12
	s_cbranch_execz .LBB4_12982
; %bb.12975:                            ;   in Loop: Header=BB4_12924 Depth=3
	v_bfe_u32 v14, v12, 23, 8
	v_or_b32_e32 v17, 0x800000, v4
	s_delay_alu instid0(VALU_DEP_2) | instskip(SKIP_1) | instid1(VALU_DEP_2)
	v_sub_nc_u32_e32 v12, 0x71, v14
	v_cmp_gt_u32_e32 vcc_lo, 0x72, v14
	v_cndmask_b32_e32 v12, 0, v12, vcc_lo
	v_cmp_eq_u32_e32 vcc_lo, 0, v14
	s_delay_alu instid0(VALU_DEP_2) | instskip(NEXT) | instid1(VALU_DEP_1)
	v_cndmask_b32_e64 v15, v12, 0x70, vcc_lo
	v_dual_cndmask_b32 v4, v17, v4, vcc_lo :: v_dual_add_nc_u32 v12, 21, v15
	v_add_nc_u32_e32 v18, 20, v15
	s_delay_alu instid0(VALU_DEP_2) | instskip(NEXT) | instid1(VALU_DEP_2)
	v_lshlrev_b64_e64 v[12:13], v12, -1
	v_lshlrev_b64_e64 v[18:19], v18, 1
	s_delay_alu instid0(VALU_DEP_2) | instskip(SKIP_1) | instid1(VALU_DEP_4)
	v_bfi_b32 v12, v12, 0, v4
	v_lshrrev_b64 v[4:5], v15, v[4:5]
	v_bfi_b32 v13, v13, 0, 0
	s_delay_alu instid0(VALU_DEP_1) | instskip(NEXT) | instid1(VALU_DEP_3)
	v_cmp_eq_u64_e64 s13, v[12:13], v[18:19]
	v_mov_b64_e32 v[12:13], v[4:5]
	s_and_saveexec_b32 s77, s13
; %bb.12976:                            ;   in Loop: Header=BB4_12924 Depth=3
	v_bfe_u32 v12, v4, 21, 1
	v_mov_b32_e32 v13, v3
	s_delay_alu instid0(VALU_DEP_1) | instskip(NEXT) | instid1(VALU_DEP_1)
	v_add_nc_u64_e32 v[12:13], v[4:5], v[12:13]
	v_add_nc_u64_e32 v[12:13], -1, v[12:13]
; %bb.12977:                            ;   in Loop: Header=BB4_12924 Depth=3
	s_or_b32 exec_lo, exec_lo, s77
	v_add_nc_u32_e32 v5, 0xffffff81, v14
	v_lshrrev_b32_e32 v13, 23, v4
	s_mov_b32 s13, exec_lo
	s_delay_alu instid0(VALU_DEP_2) | instskip(NEXT) | instid1(VALU_DEP_1)
	v_cndmask_b32_e64 v5, v5, 0xffffff82, vcc_lo
	v_add3_u32 v13, v15, v5, v13
	v_and_b32_e32 v5, 0x1fffff, v12
                                        ; implicit-def: $vgpr12
	s_delay_alu instid0(VALU_DEP_1) | instskip(SKIP_1) | instid1(VALU_DEP_2)
	v_dual_add_nc_u32 v14, 14, v13 :: v_dual_add_nc_u32 v4, v5, v4
	v_mov_b32_e32 v5, v3
	v_cmpx_ne_u32_e32 0, v14
	s_xor_b32 s13, exec_lo, s13
; %bb.12978:                            ;   in Loop: Header=BB4_12924 Depth=3
	s_delay_alu instid0(VALU_DEP_2) | instskip(SKIP_2) | instid1(VALU_DEP_2)
	v_cmp_lt_u64_e32 vcc_lo, 0xffffff, v[4:5]
	v_add_nc_u32_e32 v12, 15, v13
	v_cndmask_b32_e64 v13, 0, 1, vcc_lo
	v_cndmask_b32_e32 v12, v14, v12, vcc_lo
	s_delay_alu instid0(VALU_DEP_2)
	v_lshrrev_b64 v[4:5], v13, v[4:5]
; %bb.12979:                            ;   in Loop: Header=BB4_12924 Depth=3
	s_and_not1_saveexec_b32 s13, s13
; %bb.12980:                            ;   in Loop: Header=BB4_12924 Depth=3
	s_delay_alu instid0(VALU_DEP_1)
	v_bfe_u32 v12, v4, 23, 1
; %bb.12981:                            ;   in Loop: Header=BB4_12924 Depth=3
	s_or_b32 exec_lo, exec_lo, s13
	s_delay_alu instid0(VALU_DEP_2) | instskip(NEXT) | instid1(VALU_DEP_2)
	v_lshrrev_b64 v[4:5], 21, v[4:5]
	v_cmp_gt_i32_e32 vcc_lo, 32, v12
	v_min_i32_e32 v13, 31, v12
	v_cmp_eq_u32_e64 s13, 0, v12
	s_delay_alu instid0(VALU_DEP_4) | instskip(NEXT) | instid1(VALU_DEP_3)
	v_cndmask_b32_e32 v5, 0, v5, vcc_lo
	v_dual_cndmask_b32 v4, 3, v4 :: v_dual_lshlrev_b32 v13, 2, v13
	s_delay_alu instid0(VALU_DEP_1) | instskip(NEXT) | instid1(VALU_DEP_2)
	v_and_b32_e32 v13, 0xfc, v13
	v_cmp_eq_u64_e32 vcc_lo, 0, v[4:5]
	s_delay_alu instid0(VALU_DEP_2)
	v_and_or_b32 v4, v4, 3, v13
	s_and_b32 s13, s13, vcc_lo
	s_delay_alu instid0(VALU_DEP_1) | instid1(SALU_CYCLE_1)
	v_cndmask_b32_e64 v4, v4, 0, s13
	s_delay_alu instid0(VALU_DEP_1)
	v_or_b32_e32 v17, v4, v2
.LBB4_12982:                            ;   in Loop: Header=BB4_12924 Depth=3
	s_or_b32 exec_lo, exec_lo, s76
                                        ; implicit-def: $vgpr2
.LBB4_12983:                            ;   in Loop: Header=BB4_12924 Depth=3
	s_and_not1_saveexec_b32 s13, s75
; %bb.12984:                            ;   in Loop: Header=BB4_12924 Depth=3
	v_or_b32_e32 v17, 0x7b, v2
; %bb.12985:                            ;   in Loop: Header=BB4_12924 Depth=3
	s_or_b32 exec_lo, exec_lo, s13
                                        ; implicit-def: $vgpr12
                                        ; implicit-def: $vgpr4_vgpr5
                                        ; implicit-def: $vgpr2
.LBB4_12986:                            ;   in Loop: Header=BB4_12924 Depth=3
	s_and_not1_saveexec_b32 s13, s74
	s_cbranch_execz .LBB4_12992
; %bb.12987:                            ;   in Loop: Header=BB4_12924 Depth=3
	s_mov_b32 s74, exec_lo
                                        ; implicit-def: $vgpr17
	v_cmpx_ne_u64_e32 0, v[4:5]
	s_xor_b32 s74, exec_lo, s74
; %bb.12988:                            ;   in Loop: Header=BB4_12924 Depth=3
	v_or_b32_e32 v17, 0x7f, v2
                                        ; implicit-def: $vgpr12
; %bb.12989:                            ;   in Loop: Header=BB4_12924 Depth=3
	s_and_not1_saveexec_b32 s74, s74
; %bb.12990:                            ;   in Loop: Header=BB4_12924 Depth=3
	v_cmp_lt_i32_e32 vcc_lo, -1, v12
	v_cndmask_b32_e32 v17, 0xfc, v49, vcc_lo
; %bb.12991:                            ;   in Loop: Header=BB4_12924 Depth=3
	s_or_b32 exec_lo, exec_lo, s74
.LBB4_12992:                            ;   in Loop: Header=BB4_12924 Depth=3
	s_delay_alu instid0(SALU_CYCLE_1) | instskip(SKIP_2) | instid1(VALU_DEP_1)
	s_or_b32 exec_lo, exec_lo, s13
	v_dual_lshrrev_b32 v2, 16, v8 :: v_dual_mov_b32 v4, 0
	s_mov_b32 s13, exec_lo
	v_and_b32_e32 v5, 0xff, v2
	s_delay_alu instid0(VALU_DEP_1)
	v_cmpx_ne_u16_e32 0, v5
	s_cbranch_execz .LBB4_13002
; %bb.12993:                            ;   in Loop: Header=BB4_12924 Depth=3
	v_bfrev_b32_e32 v4, 1
	s_mov_b32 s74, exec_lo
	v_cmpx_ne_u16_e32 0x80, v5
	s_cbranch_execz .LBB4_13001
; %bb.12994:                            ;   in Loop: Header=BB4_12924 Depth=3
	v_and_b32_e32 v4, 0x7c0000, v8
	v_bfe_u32 v5, v8, 16, 2
	s_delay_alu instid0(VALU_DEP_2) | instskip(SKIP_1) | instid1(SALU_CYCLE_1)
	v_cmp_ne_u32_e32 vcc_lo, 0x7c0000, v4
                                        ; implicit-def: $vgpr4
	s_and_saveexec_b32 s75, vcc_lo
	s_xor_b32 s75, exec_lo, s75
	s_cbranch_execz .LBB4_12998
; %bb.12995:                            ;   in Loop: Header=BB4_12924 Depth=3
	v_bfe_u32 v4, v8, 18, 5
	s_mov_b32 s76, exec_lo
	s_delay_alu instid0(VALU_DEP_1)
	v_cmpx_eq_u32_e32 0, v4
; %bb.12996:                            ;   in Loop: Header=BB4_12924 Depth=3
	v_clz_i32_u32_e32 v4, v5
	s_delay_alu instid0(VALU_DEP_1) | instskip(NEXT) | instid1(VALU_DEP_1)
	v_min_u32_e32 v4, 32, v4
	v_subrev_nc_u32_e32 v5, 29, v4
	v_sub_nc_u32_e32 v4, 30, v4
	s_delay_alu instid0(VALU_DEP_2) | instskip(NEXT) | instid1(VALU_DEP_1)
	v_lshlrev_b64_e32 v[12:13], v5, v[2:3]
	v_and_b32_e32 v5, 3, v12
; %bb.12997:                            ;   in Loop: Header=BB4_12924 Depth=3
	s_or_b32 exec_lo, exec_lo, s76
	v_lshlrev_b32_e32 v2, 24, v2
	s_delay_alu instid0(VALU_DEP_1) | instskip(NEXT) | instid1(VALU_DEP_1)
	v_and_b32_e32 v2, 0x80000000, v2
	v_lshl_add_u32 v2, v4, 23, v2
	s_delay_alu instid0(VALU_DEP_1) | instskip(NEXT) | instid1(VALU_DEP_1)
	v_lshl_or_b32 v2, v5, 21, v2
                                        ; implicit-def: $vgpr5
	v_add_nc_u32_e32 v4, 0x38000000, v2
                                        ; implicit-def: $vgpr2
.LBB4_12998:                            ;   in Loop: Header=BB4_12924 Depth=3
	s_and_not1_saveexec_b32 s75, s75
; %bb.12999:                            ;   in Loop: Header=BB4_12924 Depth=3
	v_bfe_i32 v2, v2, 0, 8
	s_delay_alu instid0(VALU_DEP_1) | instskip(SKIP_2) | instid1(VALU_DEP_2)
	v_cmp_lt_i16_e32 vcc_lo, -1, v2
	v_cndmask_b32_e32 v2, 0xff800000, v48, vcc_lo
	v_cmp_eq_u32_e32 vcc_lo, 0, v5
	v_cndmask_b32_e32 v4, 0x7f800001, v2, vcc_lo
; %bb.13000:                            ;   in Loop: Header=BB4_12924 Depth=3
	s_or_b32 exec_lo, exec_lo, s75
.LBB4_13001:                            ;   in Loop: Header=BB4_12924 Depth=3
	s_delay_alu instid0(SALU_CYCLE_1)
	s_or_b32 exec_lo, exec_lo, s74
.LBB4_13002:                            ;   in Loop: Header=BB4_12924 Depth=3
	s_delay_alu instid0(SALU_CYCLE_1) | instskip(NEXT) | instid1(VALU_DEP_1)
	s_or_b32 exec_lo, exec_lo, s13
	v_dual_mul_f32 v12, s73, v4 :: v_dual_mov_b32 v15, v3
	v_mov_b32_e32 v5, v3
                                        ; implicit-def: $vgpr18
	s_mov_b32 s13, exec_lo
	s_delay_alu instid0(VALU_DEP_2) | instskip(SKIP_2) | instid1(VALU_DEP_3)
	v_and_b32_e32 v14, 0x7f800000, v12
	v_and_b32_e32 v4, 0x7fffff, v12
	v_lshrrev_b32_e32 v2, 24, v12
	v_cmpx_ne_u64_e32 0x7f800000, v[14:15]
	s_xor_b32 s74, exec_lo, s13
	s_cbranch_execz .LBB4_13016
; %bb.13003:                            ;   in Loop: Header=BB4_12924 Depth=3
	v_and_b32_e32 v14, 0x7fffffff, v12
	v_mov_b32_e32 v15, v3
	v_and_b32_e32 v2, 0x80, v2
                                        ; implicit-def: $vgpr18
	s_mov_b32 s13, exec_lo
	s_delay_alu instid0(VALU_DEP_2)
	v_cmpx_gt_u64_e32 0x47600001, v[14:15]
	s_xor_b32 s75, exec_lo, s13
	s_cbranch_execz .LBB4_13013
; %bb.13004:                            ;   in Loop: Header=BB4_12924 Depth=3
	v_mov_b32_e32 v18, 0
	s_mov_b32 s76, exec_lo
	v_cmpx_ne_u32_e32 0, v12
	s_cbranch_execz .LBB4_13012
; %bb.13005:                            ;   in Loop: Header=BB4_12924 Depth=3
	v_bfe_u32 v14, v12, 23, 8
	v_or_b32_e32 v18, 0x800000, v4
	s_delay_alu instid0(VALU_DEP_2) | instskip(SKIP_1) | instid1(VALU_DEP_2)
	v_sub_nc_u32_e32 v12, 0x71, v14
	v_cmp_gt_u32_e32 vcc_lo, 0x72, v14
	v_cndmask_b32_e32 v12, 0, v12, vcc_lo
	v_cmp_eq_u32_e32 vcc_lo, 0, v14
	s_delay_alu instid0(VALU_DEP_2) | instskip(NEXT) | instid1(VALU_DEP_1)
	v_cndmask_b32_e64 v15, v12, 0x70, vcc_lo
	v_dual_cndmask_b32 v4, v18, v4, vcc_lo :: v_dual_add_nc_u32 v12, 21, v15
	v_add_nc_u32_e32 v19, 20, v15
	s_delay_alu instid0(VALU_DEP_2) | instskip(NEXT) | instid1(VALU_DEP_2)
	v_lshlrev_b64_e64 v[12:13], v12, -1
	v_lshlrev_b64_e64 v[18:19], v19, 1
	s_delay_alu instid0(VALU_DEP_2) | instskip(SKIP_1) | instid1(VALU_DEP_4)
	v_bfi_b32 v12, v12, 0, v4
	v_lshrrev_b64 v[4:5], v15, v[4:5]
	v_bfi_b32 v13, v13, 0, 0
	s_delay_alu instid0(VALU_DEP_1) | instskip(NEXT) | instid1(VALU_DEP_3)
	v_cmp_eq_u64_e64 s13, v[12:13], v[18:19]
	v_mov_b64_e32 v[12:13], v[4:5]
	s_and_saveexec_b32 s77, s13
; %bb.13006:                            ;   in Loop: Header=BB4_12924 Depth=3
	v_bfe_u32 v12, v4, 21, 1
	v_mov_b32_e32 v13, v3
	s_delay_alu instid0(VALU_DEP_1) | instskip(NEXT) | instid1(VALU_DEP_1)
	v_add_nc_u64_e32 v[12:13], v[4:5], v[12:13]
	v_add_nc_u64_e32 v[12:13], -1, v[12:13]
; %bb.13007:                            ;   in Loop: Header=BB4_12924 Depth=3
	s_or_b32 exec_lo, exec_lo, s77
	v_add_nc_u32_e32 v5, 0xffffff81, v14
	v_lshrrev_b32_e32 v13, 23, v4
	s_mov_b32 s13, exec_lo
	s_delay_alu instid0(VALU_DEP_2) | instskip(NEXT) | instid1(VALU_DEP_1)
	v_cndmask_b32_e64 v5, v5, 0xffffff82, vcc_lo
	v_add3_u32 v13, v15, v5, v13
	v_and_b32_e32 v5, 0x1fffff, v12
                                        ; implicit-def: $vgpr12
	s_delay_alu instid0(VALU_DEP_1) | instskip(SKIP_1) | instid1(VALU_DEP_2)
	v_dual_add_nc_u32 v14, 14, v13 :: v_dual_add_nc_u32 v4, v5, v4
	v_mov_b32_e32 v5, v3
	v_cmpx_ne_u32_e32 0, v14
	s_xor_b32 s13, exec_lo, s13
; %bb.13008:                            ;   in Loop: Header=BB4_12924 Depth=3
	s_delay_alu instid0(VALU_DEP_2) | instskip(SKIP_2) | instid1(VALU_DEP_2)
	v_cmp_lt_u64_e32 vcc_lo, 0xffffff, v[4:5]
	v_add_nc_u32_e32 v12, 15, v13
	v_cndmask_b32_e64 v13, 0, 1, vcc_lo
	v_cndmask_b32_e32 v12, v14, v12, vcc_lo
	s_delay_alu instid0(VALU_DEP_2)
	v_lshrrev_b64 v[4:5], v13, v[4:5]
; %bb.13009:                            ;   in Loop: Header=BB4_12924 Depth=3
	s_and_not1_saveexec_b32 s13, s13
; %bb.13010:                            ;   in Loop: Header=BB4_12924 Depth=3
	s_delay_alu instid0(VALU_DEP_1)
	v_bfe_u32 v12, v4, 23, 1
; %bb.13011:                            ;   in Loop: Header=BB4_12924 Depth=3
	s_or_b32 exec_lo, exec_lo, s13
	s_delay_alu instid0(VALU_DEP_2) | instskip(NEXT) | instid1(VALU_DEP_2)
	v_lshrrev_b64 v[4:5], 21, v[4:5]
	v_cmp_gt_i32_e32 vcc_lo, 32, v12
	v_min_i32_e32 v13, 31, v12
	v_cmp_eq_u32_e64 s13, 0, v12
	s_delay_alu instid0(VALU_DEP_4) | instskip(NEXT) | instid1(VALU_DEP_3)
	v_cndmask_b32_e32 v5, 0, v5, vcc_lo
	v_dual_cndmask_b32 v4, 3, v4 :: v_dual_lshlrev_b32 v13, 2, v13
	s_delay_alu instid0(VALU_DEP_1) | instskip(NEXT) | instid1(VALU_DEP_2)
	v_and_b32_e32 v13, 0xfc, v13
	v_cmp_eq_u64_e32 vcc_lo, 0, v[4:5]
	s_delay_alu instid0(VALU_DEP_2)
	v_and_or_b32 v4, v4, 3, v13
	s_and_b32 s13, s13, vcc_lo
	s_delay_alu instid0(VALU_DEP_1) | instid1(SALU_CYCLE_1)
	v_cndmask_b32_e64 v4, v4, 0, s13
	s_delay_alu instid0(VALU_DEP_1)
	v_or_b32_e32 v18, v4, v2
.LBB4_13012:                            ;   in Loop: Header=BB4_12924 Depth=3
	s_or_b32 exec_lo, exec_lo, s76
                                        ; implicit-def: $vgpr2
.LBB4_13013:                            ;   in Loop: Header=BB4_12924 Depth=3
	s_and_not1_saveexec_b32 s13, s75
; %bb.13014:                            ;   in Loop: Header=BB4_12924 Depth=3
	v_or_b32_e32 v18, 0x7b, v2
; %bb.13015:                            ;   in Loop: Header=BB4_12924 Depth=3
	s_or_b32 exec_lo, exec_lo, s13
                                        ; implicit-def: $vgpr12
                                        ; implicit-def: $vgpr4_vgpr5
                                        ; implicit-def: $vgpr2
.LBB4_13016:                            ;   in Loop: Header=BB4_12924 Depth=3
	s_and_not1_saveexec_b32 s13, s74
	s_cbranch_execz .LBB4_13022
; %bb.13017:                            ;   in Loop: Header=BB4_12924 Depth=3
	s_mov_b32 s74, exec_lo
                                        ; implicit-def: $vgpr18
	v_cmpx_ne_u64_e32 0, v[4:5]
	s_xor_b32 s74, exec_lo, s74
; %bb.13018:                            ;   in Loop: Header=BB4_12924 Depth=3
	v_or_b32_e32 v18, 0x7f, v2
                                        ; implicit-def: $vgpr12
; %bb.13019:                            ;   in Loop: Header=BB4_12924 Depth=3
	s_and_not1_saveexec_b32 s74, s74
; %bb.13020:                            ;   in Loop: Header=BB4_12924 Depth=3
	v_cmp_lt_i32_e32 vcc_lo, -1, v12
	v_cndmask_b32_e32 v18, 0xfc, v49, vcc_lo
; %bb.13021:                            ;   in Loop: Header=BB4_12924 Depth=3
	s_or_b32 exec_lo, exec_lo, s74
.LBB4_13022:                            ;   in Loop: Header=BB4_12924 Depth=3
	s_delay_alu instid0(SALU_CYCLE_1)
	s_or_b32 exec_lo, exec_lo, s13
	v_mov_b32_e32 v4, 0
	s_mov_b32 s13, exec_lo
	v_cmpx_lt_u32_e32 0xffffff, v8
	s_cbranch_execz .LBB4_13032
; %bb.13023:                            ;   in Loop: Header=BB4_12924 Depth=3
	v_lshrrev_b32_e32 v2, 24, v8
	v_bfrev_b32_e32 v4, 1
	s_mov_b32 s74, exec_lo
	s_delay_alu instid0(VALU_DEP_2)
	v_cmpx_ne_u32_e32 0x80, v2
	s_cbranch_execz .LBB4_13031
; %bb.13024:                            ;   in Loop: Header=BB4_12924 Depth=3
	v_and_b32_e32 v4, 0x7c000000, v8
	v_bfe_u32 v5, v8, 24, 2
	s_delay_alu instid0(VALU_DEP_2) | instskip(SKIP_1) | instid1(SALU_CYCLE_1)
	v_cmp_ne_u32_e32 vcc_lo, 0x7c000000, v4
                                        ; implicit-def: $vgpr4
	s_and_saveexec_b32 s75, vcc_lo
	s_xor_b32 s75, exec_lo, s75
	s_cbranch_execz .LBB4_13028
; %bb.13025:                            ;   in Loop: Header=BB4_12924 Depth=3
	v_bfe_u32 v4, v8, 26, 5
	s_mov_b32 s76, exec_lo
	s_delay_alu instid0(VALU_DEP_1)
	v_cmpx_eq_u32_e32 0, v4
; %bb.13026:                            ;   in Loop: Header=BB4_12924 Depth=3
	v_clz_i32_u32_e32 v4, v5
	s_delay_alu instid0(VALU_DEP_1) | instskip(NEXT) | instid1(VALU_DEP_1)
	v_min_u32_e32 v4, 32, v4
	v_subrev_nc_u32_e32 v5, 29, v4
	v_sub_nc_u32_e32 v4, 30, v4
	s_delay_alu instid0(VALU_DEP_2) | instskip(NEXT) | instid1(VALU_DEP_1)
	v_lshlrev_b64_e32 v[12:13], v5, v[2:3]
	v_and_b32_e32 v5, 3, v12
; %bb.13027:                            ;   in Loop: Header=BB4_12924 Depth=3
	s_or_b32 exec_lo, exec_lo, s76
	v_and_b32_e32 v2, 0x80000000, v8
	s_delay_alu instid0(VALU_DEP_1) | instskip(NEXT) | instid1(VALU_DEP_1)
	v_lshl_add_u32 v2, v4, 23, v2
	v_lshl_or_b32 v2, v5, 21, v2
                                        ; implicit-def: $vgpr5
	s_delay_alu instid0(VALU_DEP_1)
	v_add_nc_u32_e32 v4, 0x38000000, v2
.LBB4_13028:                            ;   in Loop: Header=BB4_12924 Depth=3
	s_and_not1_saveexec_b32 s75, s75
; %bb.13029:                            ;   in Loop: Header=BB4_12924 Depth=3
	v_cmp_lt_i32_e32 vcc_lo, -1, v8
	v_cndmask_b32_e32 v2, 0xff800000, v48, vcc_lo
	v_cmp_eq_u32_e32 vcc_lo, 0, v5
	s_delay_alu instid0(VALU_DEP_2)
	v_cndmask_b32_e32 v4, 0x7f800001, v2, vcc_lo
; %bb.13030:                            ;   in Loop: Header=BB4_12924 Depth=3
	s_or_b32 exec_lo, exec_lo, s75
.LBB4_13031:                            ;   in Loop: Header=BB4_12924 Depth=3
	s_delay_alu instid0(SALU_CYCLE_1)
	s_or_b32 exec_lo, exec_lo, s74
.LBB4_13032:                            ;   in Loop: Header=BB4_12924 Depth=3
	s_delay_alu instid0(SALU_CYCLE_1) | instskip(NEXT) | instid1(VALU_DEP_1)
	s_or_b32 exec_lo, exec_lo, s13
	v_dual_mul_f32 v12, s73, v4 :: v_dual_mov_b32 v15, v3
	v_mov_b32_e32 v5, v3
                                        ; implicit-def: $vgpr19
	s_mov_b32 s13, exec_lo
	s_delay_alu instid0(VALU_DEP_2) | instskip(SKIP_2) | instid1(VALU_DEP_3)
	v_and_b32_e32 v14, 0x7f800000, v12
	v_and_b32_e32 v4, 0x7fffff, v12
	v_lshrrev_b32_e32 v2, 24, v12
	v_cmpx_ne_u64_e32 0x7f800000, v[14:15]
	s_xor_b32 s74, exec_lo, s13
	s_cbranch_execz .LBB4_13046
; %bb.13033:                            ;   in Loop: Header=BB4_12924 Depth=3
	v_and_b32_e32 v14, 0x7fffffff, v12
	v_mov_b32_e32 v15, v3
	v_and_b32_e32 v2, 0x80, v2
                                        ; implicit-def: $vgpr19
	s_mov_b32 s13, exec_lo
	s_delay_alu instid0(VALU_DEP_2)
	v_cmpx_gt_u64_e32 0x47600001, v[14:15]
	s_xor_b32 s75, exec_lo, s13
	s_cbranch_execz .LBB4_13043
; %bb.13034:                            ;   in Loop: Header=BB4_12924 Depth=3
	v_mov_b32_e32 v19, 0
	s_mov_b32 s76, exec_lo
	v_cmpx_ne_u32_e32 0, v12
	s_cbranch_execz .LBB4_13042
; %bb.13035:                            ;   in Loop: Header=BB4_12924 Depth=3
	v_bfe_u32 v14, v12, 23, 8
	v_or_b32_e32 v19, 0x800000, v4
	s_delay_alu instid0(VALU_DEP_2) | instskip(SKIP_1) | instid1(VALU_DEP_2)
	v_sub_nc_u32_e32 v12, 0x71, v14
	v_cmp_gt_u32_e32 vcc_lo, 0x72, v14
	v_cndmask_b32_e32 v12, 0, v12, vcc_lo
	v_cmp_eq_u32_e32 vcc_lo, 0, v14
	s_delay_alu instid0(VALU_DEP_2) | instskip(NEXT) | instid1(VALU_DEP_1)
	v_cndmask_b32_e64 v15, v12, 0x70, vcc_lo
	v_dual_cndmask_b32 v4, v19, v4, vcc_lo :: v_dual_add_nc_u32 v12, 21, v15
	v_add_nc_u32_e32 v30, 20, v15
	s_delay_alu instid0(VALU_DEP_2) | instskip(NEXT) | instid1(VALU_DEP_2)
	v_lshlrev_b64_e64 v[12:13], v12, -1
	v_lshlrev_b64_e64 v[30:31], v30, 1
	s_delay_alu instid0(VALU_DEP_2) | instskip(SKIP_1) | instid1(VALU_DEP_4)
	v_bfi_b32 v12, v12, 0, v4
	v_lshrrev_b64 v[4:5], v15, v[4:5]
	v_bfi_b32 v13, v13, 0, 0
	s_delay_alu instid0(VALU_DEP_1) | instskip(NEXT) | instid1(VALU_DEP_3)
	v_cmp_eq_u64_e64 s13, v[12:13], v[30:31]
	v_mov_b64_e32 v[12:13], v[4:5]
	s_and_saveexec_b32 s77, s13
; %bb.13036:                            ;   in Loop: Header=BB4_12924 Depth=3
	v_bfe_u32 v12, v4, 21, 1
	v_mov_b32_e32 v13, v3
	s_delay_alu instid0(VALU_DEP_1) | instskip(NEXT) | instid1(VALU_DEP_1)
	v_add_nc_u64_e32 v[12:13], v[4:5], v[12:13]
	v_add_nc_u64_e32 v[12:13], -1, v[12:13]
; %bb.13037:                            ;   in Loop: Header=BB4_12924 Depth=3
	s_or_b32 exec_lo, exec_lo, s77
	v_add_nc_u32_e32 v5, 0xffffff81, v14
	v_lshrrev_b32_e32 v13, 23, v4
	s_mov_b32 s13, exec_lo
	s_delay_alu instid0(VALU_DEP_2) | instskip(NEXT) | instid1(VALU_DEP_1)
	v_cndmask_b32_e64 v5, v5, 0xffffff82, vcc_lo
	v_add3_u32 v13, v15, v5, v13
	v_and_b32_e32 v5, 0x1fffff, v12
                                        ; implicit-def: $vgpr12
	s_delay_alu instid0(VALU_DEP_1) | instskip(SKIP_1) | instid1(VALU_DEP_2)
	v_dual_add_nc_u32 v14, 14, v13 :: v_dual_add_nc_u32 v4, v5, v4
	v_mov_b32_e32 v5, v3
	v_cmpx_ne_u32_e32 0, v14
	s_xor_b32 s13, exec_lo, s13
; %bb.13038:                            ;   in Loop: Header=BB4_12924 Depth=3
	s_delay_alu instid0(VALU_DEP_2) | instskip(SKIP_2) | instid1(VALU_DEP_2)
	v_cmp_lt_u64_e32 vcc_lo, 0xffffff, v[4:5]
	v_add_nc_u32_e32 v12, 15, v13
	v_cndmask_b32_e64 v13, 0, 1, vcc_lo
	v_cndmask_b32_e32 v12, v14, v12, vcc_lo
	s_delay_alu instid0(VALU_DEP_2)
	v_lshrrev_b64 v[4:5], v13, v[4:5]
; %bb.13039:                            ;   in Loop: Header=BB4_12924 Depth=3
	s_and_not1_saveexec_b32 s13, s13
; %bb.13040:                            ;   in Loop: Header=BB4_12924 Depth=3
	s_delay_alu instid0(VALU_DEP_1)
	v_bfe_u32 v12, v4, 23, 1
; %bb.13041:                            ;   in Loop: Header=BB4_12924 Depth=3
	s_or_b32 exec_lo, exec_lo, s13
	s_delay_alu instid0(VALU_DEP_2) | instskip(NEXT) | instid1(VALU_DEP_2)
	v_lshrrev_b64 v[4:5], 21, v[4:5]
	v_cmp_gt_i32_e32 vcc_lo, 32, v12
	v_min_i32_e32 v13, 31, v12
	v_cmp_eq_u32_e64 s13, 0, v12
	s_delay_alu instid0(VALU_DEP_4) | instskip(NEXT) | instid1(VALU_DEP_3)
	v_cndmask_b32_e32 v5, 0, v5, vcc_lo
	v_dual_cndmask_b32 v4, 3, v4 :: v_dual_lshlrev_b32 v13, 2, v13
	s_delay_alu instid0(VALU_DEP_1) | instskip(NEXT) | instid1(VALU_DEP_2)
	v_and_b32_e32 v13, 0xfc, v13
	v_cmp_eq_u64_e32 vcc_lo, 0, v[4:5]
	s_delay_alu instid0(VALU_DEP_2)
	v_and_or_b32 v4, v4, 3, v13
	s_and_b32 s13, s13, vcc_lo
	s_delay_alu instid0(VALU_DEP_1) | instid1(SALU_CYCLE_1)
	v_cndmask_b32_e64 v4, v4, 0, s13
	s_delay_alu instid0(VALU_DEP_1)
	v_or_b32_e32 v19, v4, v2
.LBB4_13042:                            ;   in Loop: Header=BB4_12924 Depth=3
	s_or_b32 exec_lo, exec_lo, s76
                                        ; implicit-def: $vgpr2
.LBB4_13043:                            ;   in Loop: Header=BB4_12924 Depth=3
	s_and_not1_saveexec_b32 s13, s75
; %bb.13044:                            ;   in Loop: Header=BB4_12924 Depth=3
	v_or_b32_e32 v19, 0x7b, v2
; %bb.13045:                            ;   in Loop: Header=BB4_12924 Depth=3
	s_or_b32 exec_lo, exec_lo, s13
                                        ; implicit-def: $vgpr12
                                        ; implicit-def: $vgpr4_vgpr5
                                        ; implicit-def: $vgpr2
.LBB4_13046:                            ;   in Loop: Header=BB4_12924 Depth=3
	s_and_not1_saveexec_b32 s13, s74
	s_cbranch_execz .LBB4_13052
; %bb.13047:                            ;   in Loop: Header=BB4_12924 Depth=3
	s_mov_b32 s74, exec_lo
                                        ; implicit-def: $vgpr19
	v_cmpx_ne_u64_e32 0, v[4:5]
	s_xor_b32 s74, exec_lo, s74
; %bb.13048:                            ;   in Loop: Header=BB4_12924 Depth=3
	v_or_b32_e32 v19, 0x7f, v2
                                        ; implicit-def: $vgpr12
; %bb.13049:                            ;   in Loop: Header=BB4_12924 Depth=3
	s_and_not1_saveexec_b32 s74, s74
; %bb.13050:                            ;   in Loop: Header=BB4_12924 Depth=3
	v_cmp_lt_i32_e32 vcc_lo, -1, v12
	v_cndmask_b32_e32 v19, 0xfc, v49, vcc_lo
; %bb.13051:                            ;   in Loop: Header=BB4_12924 Depth=3
	s_or_b32 exec_lo, exec_lo, s74
.LBB4_13052:                            ;   in Loop: Header=BB4_12924 Depth=3
	s_delay_alu instid0(SALU_CYCLE_1) | instskip(SKIP_4) | instid1(VALU_DEP_3)
	s_or_b32 exec_lo, exec_lo, s13
	v_and_b32_e32 v12, 0xff, v9
	v_dual_mov_b32 v4, v9 :: v_dual_mov_b32 v5, v3
	v_mov_b32_e32 v2, 0
	s_mov_b32 s13, exec_lo
	v_cmpx_ne_u16_e32 0, v12
	s_cbranch_execz .LBB4_13062
; %bb.13053:                            ;   in Loop: Header=BB4_12924 Depth=3
	v_bfrev_b32_e32 v2, 1
	s_mov_b32 s74, exec_lo
	v_cmpx_ne_u16_e32 0x80, v12
	s_cbranch_execz .LBB4_13061
; %bb.13054:                            ;   in Loop: Header=BB4_12924 Depth=3
	v_and_b32_e32 v2, 0x7c, v9
	v_and_b32_e32 v12, 3, v9
	s_delay_alu instid0(VALU_DEP_2) | instskip(SKIP_1) | instid1(SALU_CYCLE_1)
	v_cmp_ne_u32_e32 vcc_lo, 0x7c, v2
                                        ; implicit-def: $vgpr2
	s_and_saveexec_b32 s75, vcc_lo
	s_xor_b32 s75, exec_lo, s75
	s_cbranch_execz .LBB4_13058
; %bb.13055:                            ;   in Loop: Header=BB4_12924 Depth=3
	v_bfe_u32 v2, v9, 2, 5
	s_mov_b32 s76, exec_lo
	s_delay_alu instid0(VALU_DEP_1)
	v_cmpx_eq_u32_e32 0, v2
; %bb.13056:                            ;   in Loop: Header=BB4_12924 Depth=3
	v_clz_i32_u32_e32 v2, v12
	s_delay_alu instid0(VALU_DEP_1) | instskip(NEXT) | instid1(VALU_DEP_1)
	v_min_u32_e32 v2, 32, v2
	v_subrev_nc_u32_e32 v12, 29, v2
	s_delay_alu instid0(VALU_DEP_1) | instskip(NEXT) | instid1(VALU_DEP_1)
	v_lshlrev_b64_e32 v[12:13], v12, v[4:5]
	v_dual_sub_nc_u32 v2, 30, v2 :: v_dual_bitop2_b32 v12, 3, v12 bitop3:0x40
; %bb.13057:                            ;   in Loop: Header=BB4_12924 Depth=3
	s_or_b32 exec_lo, exec_lo, s76
	v_lshlrev_b32_e32 v5, 24, v9
	s_delay_alu instid0(VALU_DEP_1) | instskip(NEXT) | instid1(VALU_DEP_1)
	v_and_b32_e32 v5, 0x80000000, v5
	v_lshl_add_u32 v2, v2, 23, v5
	s_delay_alu instid0(VALU_DEP_1) | instskip(NEXT) | instid1(VALU_DEP_1)
	v_lshl_or_b32 v2, v12, 21, v2
                                        ; implicit-def: $vgpr12
	v_add_nc_u32_e32 v2, 0x38000000, v2
.LBB4_13058:                            ;   in Loop: Header=BB4_12924 Depth=3
	s_and_not1_saveexec_b32 s75, s75
; %bb.13059:                            ;   in Loop: Header=BB4_12924 Depth=3
	v_bfe_i32 v2, v9, 0, 8
	s_delay_alu instid0(VALU_DEP_1) | instskip(SKIP_2) | instid1(VALU_DEP_2)
	v_cmp_lt_i16_e32 vcc_lo, -1, v2
	v_cndmask_b32_e32 v2, 0xff800000, v48, vcc_lo
	v_cmp_eq_u32_e32 vcc_lo, 0, v12
	v_cndmask_b32_e32 v2, 0x7f800001, v2, vcc_lo
; %bb.13060:                            ;   in Loop: Header=BB4_12924 Depth=3
	s_or_b32 exec_lo, exec_lo, s75
.LBB4_13061:                            ;   in Loop: Header=BB4_12924 Depth=3
	s_delay_alu instid0(SALU_CYCLE_1)
	s_or_b32 exec_lo, exec_lo, s74
.LBB4_13062:                            ;   in Loop: Header=BB4_12924 Depth=3
	s_delay_alu instid0(SALU_CYCLE_1) | instskip(NEXT) | instid1(VALU_DEP_1)
	s_or_b32 exec_lo, exec_lo, s13
	v_dual_mul_f32 v5, s73, v2 :: v_dual_mov_b32 v15, v3
	v_mov_b32_e32 v13, v3
                                        ; implicit-def: $vgpr119
	s_mov_b32 s13, exec_lo
	s_delay_alu instid0(VALU_DEP_2) | instskip(SKIP_2) | instid1(VALU_DEP_3)
	v_and_b32_e32 v14, 0x7f800000, v5
	v_and_b32_e32 v12, 0x7fffff, v5
	v_lshrrev_b32_e32 v2, 24, v5
	v_cmpx_ne_u64_e32 0x7f800000, v[14:15]
	s_xor_b32 s74, exec_lo, s13
	s_cbranch_execz .LBB4_13076
; %bb.13063:                            ;   in Loop: Header=BB4_12924 Depth=3
	v_and_b32_e32 v14, 0x7fffffff, v5
	v_mov_b32_e32 v15, v3
	v_and_b32_e32 v2, 0x80, v2
                                        ; implicit-def: $vgpr119
	s_mov_b32 s13, exec_lo
	s_delay_alu instid0(VALU_DEP_2)
	v_cmpx_gt_u64_e32 0x47600001, v[14:15]
	s_xor_b32 s75, exec_lo, s13
	s_cbranch_execz .LBB4_13073
; %bb.13064:                            ;   in Loop: Header=BB4_12924 Depth=3
	v_mov_b32_e32 v119, 0
	s_mov_b32 s76, exec_lo
	v_cmpx_ne_u32_e32 0, v5
	s_cbranch_execz .LBB4_13072
; %bb.13065:                            ;   in Loop: Header=BB4_12924 Depth=3
	v_bfe_u32 v5, v5, 23, 8
	v_or_b32_e32 v31, 0x800000, v12
	s_delay_alu instid0(VALU_DEP_2) | instskip(SKIP_1) | instid1(VALU_DEP_2)
	v_sub_nc_u32_e32 v14, 0x71, v5
	v_cmp_gt_u32_e32 vcc_lo, 0x72, v5
	v_cndmask_b32_e32 v14, 0, v14, vcc_lo
	v_cmp_eq_u32_e32 vcc_lo, 0, v5
	v_cndmask_b32_e32 v12, v31, v12, vcc_lo
	s_delay_alu instid0(VALU_DEP_3) | instskip(NEXT) | instid1(VALU_DEP_1)
	v_cndmask_b32_e64 v30, v14, 0x70, vcc_lo
	v_dual_add_nc_u32 v14, 21, v30 :: v_dual_add_nc_u32 v50, 20, v30
	s_delay_alu instid0(VALU_DEP_1) | instskip(NEXT) | instid1(VALU_DEP_2)
	v_lshlrev_b64_e64 v[14:15], v14, -1
	v_lshlrev_b64_e64 v[50:51], v50, 1
	s_delay_alu instid0(VALU_DEP_2) | instskip(SKIP_1) | instid1(VALU_DEP_4)
	v_bfi_b32 v14, v14, 0, v12
	v_lshrrev_b64 v[12:13], v30, v[12:13]
	v_bfi_b32 v15, v15, 0, 0
	s_delay_alu instid0(VALU_DEP_1) | instskip(NEXT) | instid1(VALU_DEP_3)
	v_cmp_eq_u64_e64 s13, v[14:15], v[50:51]
	v_mov_b64_e32 v[14:15], v[12:13]
	s_and_saveexec_b32 s77, s13
; %bb.13066:                            ;   in Loop: Header=BB4_12924 Depth=3
	v_bfe_u32 v14, v12, 21, 1
	v_mov_b32_e32 v15, v3
	s_delay_alu instid0(VALU_DEP_1) | instskip(NEXT) | instid1(VALU_DEP_1)
	v_add_nc_u64_e32 v[14:15], v[12:13], v[14:15]
	v_add_nc_u64_e32 v[14:15], -1, v[14:15]
; %bb.13067:                            ;   in Loop: Header=BB4_12924 Depth=3
	s_or_b32 exec_lo, exec_lo, s77
	v_add_nc_u32_e32 v5, 0xffffff81, v5
	v_lshrrev_b32_e32 v13, 23, v12
	s_mov_b32 s13, exec_lo
	s_delay_alu instid0(VALU_DEP_2) | instskip(NEXT) | instid1(VALU_DEP_1)
	v_cndmask_b32_e64 v5, v5, 0xffffff82, vcc_lo
	v_add3_u32 v15, v30, v5, v13
	v_and_b32_e32 v5, 0x1fffff, v14
	s_delay_alu instid0(VALU_DEP_2) | instskip(NEXT) | instid1(VALU_DEP_2)
	v_dual_mov_b32 v13, v3 :: v_dual_add_nc_u32 v14, 14, v15
	v_add_nc_u32_e32 v12, v5, v12
                                        ; implicit-def: $vgpr5
	s_delay_alu instid0(VALU_DEP_2)
	v_cmpx_ne_u32_e32 0, v14
	s_xor_b32 s13, exec_lo, s13
; %bb.13068:                            ;   in Loop: Header=BB4_12924 Depth=3
	s_delay_alu instid0(VALU_DEP_2) | instskip(SKIP_1) | instid1(VALU_DEP_1)
	v_cmp_lt_u64_e32 vcc_lo, 0xffffff, v[12:13]
	v_add_nc_u32_e32 v5, 15, v15
	v_cndmask_b32_e32 v5, v14, v5, vcc_lo
	v_cndmask_b32_e64 v14, 0, 1, vcc_lo
	s_delay_alu instid0(VALU_DEP_1)
	v_lshrrev_b64 v[12:13], v14, v[12:13]
; %bb.13069:                            ;   in Loop: Header=BB4_12924 Depth=3
	s_and_not1_saveexec_b32 s13, s13
; %bb.13070:                            ;   in Loop: Header=BB4_12924 Depth=3
	s_delay_alu instid0(VALU_DEP_1)
	v_bfe_u32 v5, v12, 23, 1
; %bb.13071:                            ;   in Loop: Header=BB4_12924 Depth=3
	s_or_b32 exec_lo, exec_lo, s13
	s_delay_alu instid0(VALU_DEP_2) | instskip(NEXT) | instid1(VALU_DEP_2)
	v_lshrrev_b64 v[12:13], 21, v[12:13]
	v_cmp_gt_i32_e32 vcc_lo, 32, v5
	v_min_i32_e32 v14, 31, v5
	v_cmp_eq_u32_e64 s13, 0, v5
	s_delay_alu instid0(VALU_DEP_2) | instskip(SKIP_1) | instid1(VALU_DEP_2)
	v_dual_cndmask_b32 v12, 3, v12, vcc_lo :: v_dual_lshlrev_b32 v14, 2, v14
	v_cndmask_b32_e32 v13, 0, v13, vcc_lo
	v_and_b32_e32 v14, 0xfc, v14
	s_delay_alu instid0(VALU_DEP_2) | instskip(NEXT) | instid1(VALU_DEP_2)
	v_cmp_eq_u64_e32 vcc_lo, 0, v[12:13]
	v_and_or_b32 v5, v12, 3, v14
	s_and_b32 s13, s13, vcc_lo
	s_delay_alu instid0(VALU_DEP_1) | instid1(SALU_CYCLE_1)
	v_cndmask_b32_e64 v5, v5, 0, s13
	s_delay_alu instid0(VALU_DEP_1)
	v_or_b32_e32 v119, v5, v2
.LBB4_13072:                            ;   in Loop: Header=BB4_12924 Depth=3
	s_or_b32 exec_lo, exec_lo, s76
                                        ; implicit-def: $vgpr2
.LBB4_13073:                            ;   in Loop: Header=BB4_12924 Depth=3
	s_and_not1_saveexec_b32 s13, s75
; %bb.13074:                            ;   in Loop: Header=BB4_12924 Depth=3
	v_or_b32_e32 v119, 0x7b, v2
; %bb.13075:                            ;   in Loop: Header=BB4_12924 Depth=3
	s_or_b32 exec_lo, exec_lo, s13
                                        ; implicit-def: $vgpr5
                                        ; implicit-def: $vgpr12_vgpr13
                                        ; implicit-def: $vgpr2
.LBB4_13076:                            ;   in Loop: Header=BB4_12924 Depth=3
	s_and_not1_saveexec_b32 s13, s74
	s_cbranch_execz .LBB4_13082
; %bb.13077:                            ;   in Loop: Header=BB4_12924 Depth=3
	s_mov_b32 s74, exec_lo
                                        ; implicit-def: $vgpr119
	v_cmpx_ne_u64_e32 0, v[12:13]
	s_xor_b32 s74, exec_lo, s74
; %bb.13078:                            ;   in Loop: Header=BB4_12924 Depth=3
	v_or_b32_e32 v119, 0x7f, v2
                                        ; implicit-def: $vgpr5
; %bb.13079:                            ;   in Loop: Header=BB4_12924 Depth=3
	s_and_not1_saveexec_b32 s74, s74
; %bb.13080:                            ;   in Loop: Header=BB4_12924 Depth=3
	v_cmp_lt_i32_e32 vcc_lo, -1, v5
	v_cndmask_b32_e32 v119, 0xfc, v49, vcc_lo
; %bb.13081:                            ;   in Loop: Header=BB4_12924 Depth=3
	s_or_b32 exec_lo, exec_lo, s74
.LBB4_13082:                            ;   in Loop: Header=BB4_12924 Depth=3
	s_delay_alu instid0(SALU_CYCLE_1) | instskip(SKIP_3) | instid1(VALU_DEP_2)
	s_or_b32 exec_lo, exec_lo, s13
	v_lshrrev_b16 v12, 8, v4
	v_mov_b32_e32 v13, 0
	s_mov_b32 s13, exec_lo
	v_cmpx_ne_u16_e32 0, v12
	s_cbranch_execz .LBB4_13092
; %bb.13083:                            ;   in Loop: Header=BB4_12924 Depth=3
	v_bfrev_b32_e32 v13, 1
	s_mov_b32 s74, exec_lo
	v_cmpx_ne_u16_e32 0x80, v12
	s_cbranch_execz .LBB4_13091
; %bb.13084:                            ;   in Loop: Header=BB4_12924 Depth=3
	v_and_b32_e32 v5, 0xffff, v12
	s_delay_alu instid0(VALU_DEP_1) | instskip(SKIP_1) | instid1(VALU_DEP_2)
	v_and_b32_e32 v13, 0x7c, v5
	v_and_b32_e32 v2, 3, v5
	v_cmp_ne_u32_e32 vcc_lo, 0x7c, v13
                                        ; implicit-def: $vgpr13
	s_and_saveexec_b32 s75, vcc_lo
	s_delay_alu instid0(SALU_CYCLE_1)
	s_xor_b32 s75, exec_lo, s75
	s_cbranch_execz .LBB4_13088
; %bb.13085:                            ;   in Loop: Header=BB4_12924 Depth=3
	v_bfe_u32 v5, v5, 2, 5
	s_mov_b32 s76, exec_lo
	s_delay_alu instid0(VALU_DEP_1)
	v_cmpx_eq_u32_e32 0, v5
; %bb.13086:                            ;   in Loop: Header=BB4_12924 Depth=3
	v_clz_i32_u32_e32 v2, v2
	s_delay_alu instid0(VALU_DEP_1) | instskip(SKIP_1) | instid1(VALU_DEP_2)
	v_min_u32_e32 v2, 32, v2
	v_mov_b32_e32 v13, v3
	v_subrev_nc_u32_e32 v5, 29, v2
	s_delay_alu instid0(VALU_DEP_1) | instskip(NEXT) | instid1(VALU_DEP_1)
	v_lshlrev_b64_e32 v[12:13], v5, v[12:13]
	v_dual_sub_nc_u32 v5, 30, v2 :: v_dual_bitop2_b32 v2, 3, v12 bitop3:0x40
; %bb.13087:                            ;   in Loop: Header=BB4_12924 Depth=3
	s_or_b32 exec_lo, exec_lo, s76
	v_lshlrev_b32_e32 v4, 16, v4
	s_delay_alu instid0(VALU_DEP_1) | instskip(NEXT) | instid1(VALU_DEP_1)
	v_and_b32_e32 v4, 0x80000000, v4
	v_lshl_add_u32 v4, v5, 23, v4
	s_delay_alu instid0(VALU_DEP_1) | instskip(NEXT) | instid1(VALU_DEP_1)
	v_lshl_or_b32 v2, v2, 21, v4
                                        ; implicit-def: $vgpr4_vgpr5
	v_add_nc_u32_e32 v13, 0x38000000, v2
                                        ; implicit-def: $vgpr2
.LBB4_13088:                            ;   in Loop: Header=BB4_12924 Depth=3
	s_and_not1_saveexec_b32 s75, s75
; %bb.13089:                            ;   in Loop: Header=BB4_12924 Depth=3
	v_cmp_lt_i16_e32 vcc_lo, -1, v4
	v_cndmask_b32_e32 v4, 0xff800000, v48, vcc_lo
	v_cmp_eq_u32_e32 vcc_lo, 0, v2
	s_delay_alu instid0(VALU_DEP_2)
	v_cndmask_b32_e32 v13, 0x7f800001, v4, vcc_lo
; %bb.13090:                            ;   in Loop: Header=BB4_12924 Depth=3
	s_or_b32 exec_lo, exec_lo, s75
.LBB4_13091:                            ;   in Loop: Header=BB4_12924 Depth=3
	s_delay_alu instid0(SALU_CYCLE_1)
	s_or_b32 exec_lo, exec_lo, s74
.LBB4_13092:                            ;   in Loop: Header=BB4_12924 Depth=3
	s_delay_alu instid0(SALU_CYCLE_1) | instskip(NEXT) | instid1(VALU_DEP_1)
	s_or_b32 exec_lo, exec_lo, s13
	v_dual_mul_f32 v12, s73, v13 :: v_dual_mov_b32 v15, v3
	v_mov_b32_e32 v5, v3
                                        ; implicit-def: $vgpr57
	s_mov_b32 s13, exec_lo
	s_delay_alu instid0(VALU_DEP_2) | instskip(SKIP_2) | instid1(VALU_DEP_3)
	v_and_b32_e32 v14, 0x7f800000, v12
	v_and_b32_e32 v4, 0x7fffff, v12
	v_lshrrev_b32_e32 v2, 24, v12
	v_cmpx_ne_u64_e32 0x7f800000, v[14:15]
	s_xor_b32 s74, exec_lo, s13
	s_cbranch_execz .LBB4_13106
; %bb.13093:                            ;   in Loop: Header=BB4_12924 Depth=3
	v_and_b32_e32 v14, 0x7fffffff, v12
	v_mov_b32_e32 v15, v3
	v_and_b32_e32 v2, 0x80, v2
                                        ; implicit-def: $vgpr57
	s_mov_b32 s13, exec_lo
	s_delay_alu instid0(VALU_DEP_2)
	v_cmpx_gt_u64_e32 0x47600001, v[14:15]
	s_xor_b32 s75, exec_lo, s13
	s_cbranch_execz .LBB4_13103
; %bb.13094:                            ;   in Loop: Header=BB4_12924 Depth=3
	v_mov_b32_e32 v57, 0
	s_mov_b32 s76, exec_lo
	v_cmpx_ne_u32_e32 0, v12
	s_cbranch_execz .LBB4_13102
; %bb.13095:                            ;   in Loop: Header=BB4_12924 Depth=3
	v_bfe_u32 v14, v12, 23, 8
	v_or_b32_e32 v30, 0x800000, v4
	s_delay_alu instid0(VALU_DEP_2) | instskip(SKIP_1) | instid1(VALU_DEP_2)
	v_sub_nc_u32_e32 v12, 0x71, v14
	v_cmp_gt_u32_e32 vcc_lo, 0x72, v14
	v_cndmask_b32_e32 v12, 0, v12, vcc_lo
	v_cmp_eq_u32_e32 vcc_lo, 0, v14
	s_delay_alu instid0(VALU_DEP_2) | instskip(NEXT) | instid1(VALU_DEP_1)
	v_cndmask_b32_e64 v15, v12, 0x70, vcc_lo
	v_dual_cndmask_b32 v4, v30, v4, vcc_lo :: v_dual_add_nc_u32 v12, 21, v15
	v_add_nc_u32_e32 v31, 20, v15
	s_delay_alu instid0(VALU_DEP_2) | instskip(NEXT) | instid1(VALU_DEP_2)
	v_lshlrev_b64_e64 v[12:13], v12, -1
	v_lshlrev_b64_e64 v[30:31], v31, 1
	s_delay_alu instid0(VALU_DEP_2) | instskip(SKIP_1) | instid1(VALU_DEP_4)
	v_bfi_b32 v12, v12, 0, v4
	v_lshrrev_b64 v[4:5], v15, v[4:5]
	v_bfi_b32 v13, v13, 0, 0
	s_delay_alu instid0(VALU_DEP_1) | instskip(NEXT) | instid1(VALU_DEP_3)
	v_cmp_eq_u64_e64 s13, v[12:13], v[30:31]
	v_mov_b64_e32 v[12:13], v[4:5]
	s_and_saveexec_b32 s77, s13
; %bb.13096:                            ;   in Loop: Header=BB4_12924 Depth=3
	v_bfe_u32 v12, v4, 21, 1
	v_mov_b32_e32 v13, v3
	s_delay_alu instid0(VALU_DEP_1) | instskip(NEXT) | instid1(VALU_DEP_1)
	v_add_nc_u64_e32 v[12:13], v[4:5], v[12:13]
	v_add_nc_u64_e32 v[12:13], -1, v[12:13]
; %bb.13097:                            ;   in Loop: Header=BB4_12924 Depth=3
	s_or_b32 exec_lo, exec_lo, s77
	v_add_nc_u32_e32 v5, 0xffffff81, v14
	v_lshrrev_b32_e32 v13, 23, v4
	s_mov_b32 s13, exec_lo
	s_delay_alu instid0(VALU_DEP_2) | instskip(NEXT) | instid1(VALU_DEP_1)
	v_cndmask_b32_e64 v5, v5, 0xffffff82, vcc_lo
	v_add3_u32 v13, v15, v5, v13
	v_and_b32_e32 v5, 0x1fffff, v12
                                        ; implicit-def: $vgpr12
	s_delay_alu instid0(VALU_DEP_1) | instskip(SKIP_1) | instid1(VALU_DEP_2)
	v_dual_add_nc_u32 v14, 14, v13 :: v_dual_add_nc_u32 v4, v5, v4
	v_mov_b32_e32 v5, v3
	v_cmpx_ne_u32_e32 0, v14
	s_xor_b32 s13, exec_lo, s13
; %bb.13098:                            ;   in Loop: Header=BB4_12924 Depth=3
	s_delay_alu instid0(VALU_DEP_2) | instskip(SKIP_2) | instid1(VALU_DEP_2)
	v_cmp_lt_u64_e32 vcc_lo, 0xffffff, v[4:5]
	v_add_nc_u32_e32 v12, 15, v13
	v_cndmask_b32_e64 v13, 0, 1, vcc_lo
	v_cndmask_b32_e32 v12, v14, v12, vcc_lo
	s_delay_alu instid0(VALU_DEP_2)
	v_lshrrev_b64 v[4:5], v13, v[4:5]
; %bb.13099:                            ;   in Loop: Header=BB4_12924 Depth=3
	s_and_not1_saveexec_b32 s13, s13
; %bb.13100:                            ;   in Loop: Header=BB4_12924 Depth=3
	s_delay_alu instid0(VALU_DEP_1)
	v_bfe_u32 v12, v4, 23, 1
; %bb.13101:                            ;   in Loop: Header=BB4_12924 Depth=3
	s_or_b32 exec_lo, exec_lo, s13
	s_delay_alu instid0(VALU_DEP_2) | instskip(NEXT) | instid1(VALU_DEP_2)
	v_lshrrev_b64 v[4:5], 21, v[4:5]
	v_cmp_gt_i32_e32 vcc_lo, 32, v12
	v_min_i32_e32 v13, 31, v12
	v_cmp_eq_u32_e64 s13, 0, v12
	s_delay_alu instid0(VALU_DEP_4) | instskip(NEXT) | instid1(VALU_DEP_3)
	v_cndmask_b32_e32 v5, 0, v5, vcc_lo
	v_dual_cndmask_b32 v4, 3, v4 :: v_dual_lshlrev_b32 v13, 2, v13
	s_delay_alu instid0(VALU_DEP_1) | instskip(NEXT) | instid1(VALU_DEP_2)
	v_and_b32_e32 v13, 0xfc, v13
	v_cmp_eq_u64_e32 vcc_lo, 0, v[4:5]
	s_delay_alu instid0(VALU_DEP_2)
	v_and_or_b32 v4, v4, 3, v13
	s_and_b32 s13, s13, vcc_lo
	s_delay_alu instid0(VALU_DEP_1) | instid1(SALU_CYCLE_1)
	v_cndmask_b32_e64 v4, v4, 0, s13
	s_delay_alu instid0(VALU_DEP_1)
	v_or_b32_e32 v57, v4, v2
.LBB4_13102:                            ;   in Loop: Header=BB4_12924 Depth=3
	s_or_b32 exec_lo, exec_lo, s76
                                        ; implicit-def: $vgpr2
.LBB4_13103:                            ;   in Loop: Header=BB4_12924 Depth=3
	s_and_not1_saveexec_b32 s13, s75
; %bb.13104:                            ;   in Loop: Header=BB4_12924 Depth=3
	v_or_b32_e32 v57, 0x7b, v2
; %bb.13105:                            ;   in Loop: Header=BB4_12924 Depth=3
	s_or_b32 exec_lo, exec_lo, s13
                                        ; implicit-def: $vgpr12
                                        ; implicit-def: $vgpr4_vgpr5
                                        ; implicit-def: $vgpr2
.LBB4_13106:                            ;   in Loop: Header=BB4_12924 Depth=3
	s_and_not1_saveexec_b32 s13, s74
	s_cbranch_execz .LBB4_13112
; %bb.13107:                            ;   in Loop: Header=BB4_12924 Depth=3
	s_mov_b32 s74, exec_lo
                                        ; implicit-def: $vgpr57
	v_cmpx_ne_u64_e32 0, v[4:5]
	s_xor_b32 s74, exec_lo, s74
; %bb.13108:                            ;   in Loop: Header=BB4_12924 Depth=3
	v_or_b32_e32 v57, 0x7f, v2
                                        ; implicit-def: $vgpr12
; %bb.13109:                            ;   in Loop: Header=BB4_12924 Depth=3
	s_and_not1_saveexec_b32 s74, s74
; %bb.13110:                            ;   in Loop: Header=BB4_12924 Depth=3
	v_cmp_lt_i32_e32 vcc_lo, -1, v12
	v_cndmask_b32_e32 v57, 0xfc, v49, vcc_lo
; %bb.13111:                            ;   in Loop: Header=BB4_12924 Depth=3
	s_or_b32 exec_lo, exec_lo, s74
.LBB4_13112:                            ;   in Loop: Header=BB4_12924 Depth=3
	s_delay_alu instid0(SALU_CYCLE_1) | instskip(SKIP_2) | instid1(VALU_DEP_1)
	s_or_b32 exec_lo, exec_lo, s13
	v_dual_lshrrev_b32 v2, 16, v9 :: v_dual_mov_b32 v4, 0
	s_mov_b32 s13, exec_lo
	v_and_b32_e32 v5, 0xff, v2
	s_delay_alu instid0(VALU_DEP_1)
	v_cmpx_ne_u16_e32 0, v5
	s_cbranch_execz .LBB4_13122
; %bb.13113:                            ;   in Loop: Header=BB4_12924 Depth=3
	v_bfrev_b32_e32 v4, 1
	s_mov_b32 s74, exec_lo
	v_cmpx_ne_u16_e32 0x80, v5
	s_cbranch_execz .LBB4_13121
; %bb.13114:                            ;   in Loop: Header=BB4_12924 Depth=3
	v_and_b32_e32 v4, 0x7c0000, v9
	v_bfe_u32 v5, v9, 16, 2
	s_delay_alu instid0(VALU_DEP_2) | instskip(SKIP_1) | instid1(SALU_CYCLE_1)
	v_cmp_ne_u32_e32 vcc_lo, 0x7c0000, v4
                                        ; implicit-def: $vgpr4
	s_and_saveexec_b32 s75, vcc_lo
	s_xor_b32 s75, exec_lo, s75
	s_cbranch_execz .LBB4_13118
; %bb.13115:                            ;   in Loop: Header=BB4_12924 Depth=3
	v_bfe_u32 v4, v9, 18, 5
	s_mov_b32 s76, exec_lo
	s_delay_alu instid0(VALU_DEP_1)
	v_cmpx_eq_u32_e32 0, v4
; %bb.13116:                            ;   in Loop: Header=BB4_12924 Depth=3
	v_clz_i32_u32_e32 v4, v5
	s_delay_alu instid0(VALU_DEP_1) | instskip(NEXT) | instid1(VALU_DEP_1)
	v_min_u32_e32 v4, 32, v4
	v_subrev_nc_u32_e32 v5, 29, v4
	v_sub_nc_u32_e32 v4, 30, v4
	s_delay_alu instid0(VALU_DEP_2) | instskip(NEXT) | instid1(VALU_DEP_1)
	v_lshlrev_b64_e32 v[12:13], v5, v[2:3]
	v_and_b32_e32 v5, 3, v12
; %bb.13117:                            ;   in Loop: Header=BB4_12924 Depth=3
	s_or_b32 exec_lo, exec_lo, s76
	v_lshlrev_b32_e32 v2, 24, v2
	s_delay_alu instid0(VALU_DEP_1) | instskip(NEXT) | instid1(VALU_DEP_1)
	v_and_b32_e32 v2, 0x80000000, v2
	v_lshl_add_u32 v2, v4, 23, v2
	s_delay_alu instid0(VALU_DEP_1) | instskip(NEXT) | instid1(VALU_DEP_1)
	v_lshl_or_b32 v2, v5, 21, v2
                                        ; implicit-def: $vgpr5
	v_add_nc_u32_e32 v4, 0x38000000, v2
                                        ; implicit-def: $vgpr2
.LBB4_13118:                            ;   in Loop: Header=BB4_12924 Depth=3
	s_and_not1_saveexec_b32 s75, s75
; %bb.13119:                            ;   in Loop: Header=BB4_12924 Depth=3
	v_bfe_i32 v2, v2, 0, 8
	s_delay_alu instid0(VALU_DEP_1) | instskip(SKIP_2) | instid1(VALU_DEP_2)
	v_cmp_lt_i16_e32 vcc_lo, -1, v2
	v_cndmask_b32_e32 v2, 0xff800000, v48, vcc_lo
	v_cmp_eq_u32_e32 vcc_lo, 0, v5
	v_cndmask_b32_e32 v4, 0x7f800001, v2, vcc_lo
; %bb.13120:                            ;   in Loop: Header=BB4_12924 Depth=3
	s_or_b32 exec_lo, exec_lo, s75
.LBB4_13121:                            ;   in Loop: Header=BB4_12924 Depth=3
	s_delay_alu instid0(SALU_CYCLE_1)
	s_or_b32 exec_lo, exec_lo, s74
.LBB4_13122:                            ;   in Loop: Header=BB4_12924 Depth=3
	s_delay_alu instid0(SALU_CYCLE_1) | instskip(NEXT) | instid1(VALU_DEP_1)
	s_or_b32 exec_lo, exec_lo, s13
	v_dual_mul_f32 v12, s73, v4 :: v_dual_mov_b32 v15, v3
	v_mov_b32_e32 v5, v3
                                        ; implicit-def: $vgpr75
	s_mov_b32 s13, exec_lo
	s_delay_alu instid0(VALU_DEP_2) | instskip(SKIP_2) | instid1(VALU_DEP_3)
	v_and_b32_e32 v14, 0x7f800000, v12
	v_and_b32_e32 v4, 0x7fffff, v12
	v_lshrrev_b32_e32 v2, 24, v12
	v_cmpx_ne_u64_e32 0x7f800000, v[14:15]
	s_xor_b32 s74, exec_lo, s13
	s_cbranch_execz .LBB4_13136
; %bb.13123:                            ;   in Loop: Header=BB4_12924 Depth=3
	v_and_b32_e32 v14, 0x7fffffff, v12
	v_mov_b32_e32 v15, v3
	v_and_b32_e32 v2, 0x80, v2
                                        ; implicit-def: $vgpr75
	s_mov_b32 s13, exec_lo
	s_delay_alu instid0(VALU_DEP_2)
	v_cmpx_gt_u64_e32 0x47600001, v[14:15]
	s_xor_b32 s75, exec_lo, s13
	s_cbranch_execz .LBB4_13133
; %bb.13124:                            ;   in Loop: Header=BB4_12924 Depth=3
	v_mov_b32_e32 v75, 0
	s_mov_b32 s76, exec_lo
	v_cmpx_ne_u32_e32 0, v12
	s_cbranch_execz .LBB4_13132
; %bb.13125:                            ;   in Loop: Header=BB4_12924 Depth=3
	v_bfe_u32 v14, v12, 23, 8
	v_or_b32_e32 v30, 0x800000, v4
	s_delay_alu instid0(VALU_DEP_2) | instskip(SKIP_1) | instid1(VALU_DEP_2)
	v_sub_nc_u32_e32 v12, 0x71, v14
	v_cmp_gt_u32_e32 vcc_lo, 0x72, v14
	v_cndmask_b32_e32 v12, 0, v12, vcc_lo
	v_cmp_eq_u32_e32 vcc_lo, 0, v14
	s_delay_alu instid0(VALU_DEP_2) | instskip(NEXT) | instid1(VALU_DEP_1)
	v_cndmask_b32_e64 v15, v12, 0x70, vcc_lo
	v_dual_cndmask_b32 v4, v30, v4, vcc_lo :: v_dual_add_nc_u32 v12, 21, v15
	v_add_nc_u32_e32 v31, 20, v15
	s_delay_alu instid0(VALU_DEP_2) | instskip(NEXT) | instid1(VALU_DEP_2)
	v_lshlrev_b64_e64 v[12:13], v12, -1
	v_lshlrev_b64_e64 v[30:31], v31, 1
	s_delay_alu instid0(VALU_DEP_2) | instskip(SKIP_1) | instid1(VALU_DEP_4)
	v_bfi_b32 v12, v12, 0, v4
	v_lshrrev_b64 v[4:5], v15, v[4:5]
	v_bfi_b32 v13, v13, 0, 0
	s_delay_alu instid0(VALU_DEP_1) | instskip(NEXT) | instid1(VALU_DEP_3)
	v_cmp_eq_u64_e64 s13, v[12:13], v[30:31]
	v_mov_b64_e32 v[12:13], v[4:5]
	s_and_saveexec_b32 s77, s13
; %bb.13126:                            ;   in Loop: Header=BB4_12924 Depth=3
	v_bfe_u32 v12, v4, 21, 1
	v_mov_b32_e32 v13, v3
	s_delay_alu instid0(VALU_DEP_1) | instskip(NEXT) | instid1(VALU_DEP_1)
	v_add_nc_u64_e32 v[12:13], v[4:5], v[12:13]
	v_add_nc_u64_e32 v[12:13], -1, v[12:13]
; %bb.13127:                            ;   in Loop: Header=BB4_12924 Depth=3
	s_or_b32 exec_lo, exec_lo, s77
	v_add_nc_u32_e32 v5, 0xffffff81, v14
	v_lshrrev_b32_e32 v13, 23, v4
	s_mov_b32 s13, exec_lo
	s_delay_alu instid0(VALU_DEP_2) | instskip(NEXT) | instid1(VALU_DEP_1)
	v_cndmask_b32_e64 v5, v5, 0xffffff82, vcc_lo
	v_add3_u32 v13, v15, v5, v13
	v_and_b32_e32 v5, 0x1fffff, v12
                                        ; implicit-def: $vgpr12
	s_delay_alu instid0(VALU_DEP_1) | instskip(SKIP_1) | instid1(VALU_DEP_2)
	v_dual_add_nc_u32 v14, 14, v13 :: v_dual_add_nc_u32 v4, v5, v4
	v_mov_b32_e32 v5, v3
	v_cmpx_ne_u32_e32 0, v14
	s_xor_b32 s13, exec_lo, s13
; %bb.13128:                            ;   in Loop: Header=BB4_12924 Depth=3
	s_delay_alu instid0(VALU_DEP_2) | instskip(SKIP_2) | instid1(VALU_DEP_2)
	v_cmp_lt_u64_e32 vcc_lo, 0xffffff, v[4:5]
	v_add_nc_u32_e32 v12, 15, v13
	v_cndmask_b32_e64 v13, 0, 1, vcc_lo
	v_cndmask_b32_e32 v12, v14, v12, vcc_lo
	s_delay_alu instid0(VALU_DEP_2)
	v_lshrrev_b64 v[4:5], v13, v[4:5]
; %bb.13129:                            ;   in Loop: Header=BB4_12924 Depth=3
	s_and_not1_saveexec_b32 s13, s13
; %bb.13130:                            ;   in Loop: Header=BB4_12924 Depth=3
	s_delay_alu instid0(VALU_DEP_1)
	v_bfe_u32 v12, v4, 23, 1
; %bb.13131:                            ;   in Loop: Header=BB4_12924 Depth=3
	s_or_b32 exec_lo, exec_lo, s13
	s_delay_alu instid0(VALU_DEP_2) | instskip(NEXT) | instid1(VALU_DEP_2)
	v_lshrrev_b64 v[4:5], 21, v[4:5]
	v_cmp_gt_i32_e32 vcc_lo, 32, v12
	v_min_i32_e32 v13, 31, v12
	v_cmp_eq_u32_e64 s13, 0, v12
	s_delay_alu instid0(VALU_DEP_4) | instskip(NEXT) | instid1(VALU_DEP_3)
	v_cndmask_b32_e32 v5, 0, v5, vcc_lo
	v_dual_cndmask_b32 v4, 3, v4 :: v_dual_lshlrev_b32 v13, 2, v13
	s_delay_alu instid0(VALU_DEP_1) | instskip(NEXT) | instid1(VALU_DEP_2)
	v_and_b32_e32 v13, 0xfc, v13
	v_cmp_eq_u64_e32 vcc_lo, 0, v[4:5]
	s_delay_alu instid0(VALU_DEP_2)
	v_and_or_b32 v4, v4, 3, v13
	s_and_b32 s13, s13, vcc_lo
	s_delay_alu instid0(VALU_DEP_1) | instid1(SALU_CYCLE_1)
	v_cndmask_b32_e64 v4, v4, 0, s13
	s_delay_alu instid0(VALU_DEP_1)
	v_or_b32_e32 v75, v4, v2
.LBB4_13132:                            ;   in Loop: Header=BB4_12924 Depth=3
	s_or_b32 exec_lo, exec_lo, s76
                                        ; implicit-def: $vgpr2
.LBB4_13133:                            ;   in Loop: Header=BB4_12924 Depth=3
	s_and_not1_saveexec_b32 s13, s75
; %bb.13134:                            ;   in Loop: Header=BB4_12924 Depth=3
	v_or_b32_e32 v75, 0x7b, v2
; %bb.13135:                            ;   in Loop: Header=BB4_12924 Depth=3
	s_or_b32 exec_lo, exec_lo, s13
                                        ; implicit-def: $vgpr12
                                        ; implicit-def: $vgpr4_vgpr5
                                        ; implicit-def: $vgpr2
.LBB4_13136:                            ;   in Loop: Header=BB4_12924 Depth=3
	s_and_not1_saveexec_b32 s13, s74
	s_cbranch_execz .LBB4_13142
; %bb.13137:                            ;   in Loop: Header=BB4_12924 Depth=3
	s_mov_b32 s74, exec_lo
                                        ; implicit-def: $vgpr75
	v_cmpx_ne_u64_e32 0, v[4:5]
	s_xor_b32 s74, exec_lo, s74
; %bb.13138:                            ;   in Loop: Header=BB4_12924 Depth=3
	v_or_b32_e32 v75, 0x7f, v2
                                        ; implicit-def: $vgpr12
; %bb.13139:                            ;   in Loop: Header=BB4_12924 Depth=3
	s_and_not1_saveexec_b32 s74, s74
; %bb.13140:                            ;   in Loop: Header=BB4_12924 Depth=3
	v_cmp_lt_i32_e32 vcc_lo, -1, v12
	v_cndmask_b32_e32 v75, 0xfc, v49, vcc_lo
; %bb.13141:                            ;   in Loop: Header=BB4_12924 Depth=3
	s_or_b32 exec_lo, exec_lo, s74
.LBB4_13142:                            ;   in Loop: Header=BB4_12924 Depth=3
	s_delay_alu instid0(SALU_CYCLE_1)
	s_or_b32 exec_lo, exec_lo, s13
	v_mov_b32_e32 v4, 0
	s_mov_b32 s13, exec_lo
	v_cmpx_lt_u64_e64 s[22:23], v[8:9]
	s_cbranch_execz .LBB4_13152
; %bb.13143:                            ;   in Loop: Header=BB4_12924 Depth=3
	v_lshrrev_b32_e32 v2, 24, v9
	v_bfrev_b32_e32 v4, 1
	s_mov_b32 s74, exec_lo
	s_delay_alu instid0(VALU_DEP_2)
	v_cmpx_ne_u32_e32 0x80, v2
	s_cbranch_execz .LBB4_13151
; %bb.13144:                            ;   in Loop: Header=BB4_12924 Depth=3
	v_and_b32_e32 v4, 0x7c000000, v9
	v_bfe_u32 v5, v9, 24, 2
	s_delay_alu instid0(VALU_DEP_2) | instskip(SKIP_1) | instid1(SALU_CYCLE_1)
	v_cmp_ne_u32_e32 vcc_lo, 0x7c000000, v4
                                        ; implicit-def: $vgpr4
	s_and_saveexec_b32 s75, vcc_lo
	s_xor_b32 s75, exec_lo, s75
	s_cbranch_execz .LBB4_13148
; %bb.13145:                            ;   in Loop: Header=BB4_12924 Depth=3
	v_bfe_u32 v4, v9, 26, 5
	s_mov_b32 s76, exec_lo
	s_delay_alu instid0(VALU_DEP_1)
	v_cmpx_eq_u32_e32 0, v4
; %bb.13146:                            ;   in Loop: Header=BB4_12924 Depth=3
	v_clz_i32_u32_e32 v4, v5
	s_delay_alu instid0(VALU_DEP_1) | instskip(NEXT) | instid1(VALU_DEP_1)
	v_min_u32_e32 v4, 32, v4
	v_subrev_nc_u32_e32 v5, 29, v4
	v_sub_nc_u32_e32 v4, 30, v4
	s_delay_alu instid0(VALU_DEP_2) | instskip(NEXT) | instid1(VALU_DEP_1)
	v_lshlrev_b64_e32 v[12:13], v5, v[2:3]
	v_and_b32_e32 v5, 3, v12
; %bb.13147:                            ;   in Loop: Header=BB4_12924 Depth=3
	s_or_b32 exec_lo, exec_lo, s76
	v_and_b32_e32 v2, 0x80000000, v9
	s_delay_alu instid0(VALU_DEP_1) | instskip(NEXT) | instid1(VALU_DEP_1)
	v_lshl_add_u32 v2, v4, 23, v2
	v_lshl_or_b32 v2, v5, 21, v2
                                        ; implicit-def: $vgpr5
	s_delay_alu instid0(VALU_DEP_1)
	v_add_nc_u32_e32 v4, 0x38000000, v2
.LBB4_13148:                            ;   in Loop: Header=BB4_12924 Depth=3
	s_and_not1_saveexec_b32 s75, s75
; %bb.13149:                            ;   in Loop: Header=BB4_12924 Depth=3
	v_cmp_lt_i64_e32 vcc_lo, -1, v[8:9]
	v_cndmask_b32_e32 v2, 0xff800000, v48, vcc_lo
	v_cmp_eq_u32_e32 vcc_lo, 0, v5
	s_delay_alu instid0(VALU_DEP_2)
	v_cndmask_b32_e32 v4, 0x7f800001, v2, vcc_lo
; %bb.13150:                            ;   in Loop: Header=BB4_12924 Depth=3
	s_or_b32 exec_lo, exec_lo, s75
.LBB4_13151:                            ;   in Loop: Header=BB4_12924 Depth=3
	s_delay_alu instid0(SALU_CYCLE_1)
	s_or_b32 exec_lo, exec_lo, s74
.LBB4_13152:                            ;   in Loop: Header=BB4_12924 Depth=3
	s_delay_alu instid0(SALU_CYCLE_1) | instskip(NEXT) | instid1(VALU_DEP_1)
	s_or_b32 exec_lo, exec_lo, s13
	v_dual_mul_f32 v8, s73, v4 :: v_dual_mov_b32 v13, v3
	v_mov_b32_e32 v5, v3
                                        ; implicit-def: $vgpr76
	s_mov_b32 s13, exec_lo
	s_delay_alu instid0(VALU_DEP_2) | instskip(SKIP_2) | instid1(VALU_DEP_3)
	v_and_b32_e32 v12, 0x7f800000, v8
	v_and_b32_e32 v4, 0x7fffff, v8
	v_lshrrev_b32_e32 v2, 24, v8
	v_cmpx_ne_u64_e32 0x7f800000, v[12:13]
	s_xor_b32 s74, exec_lo, s13
	s_cbranch_execz .LBB4_13166
; %bb.13153:                            ;   in Loop: Header=BB4_12924 Depth=3
	v_and_b32_e32 v12, 0x7fffffff, v8
	v_mov_b32_e32 v13, v3
	v_and_b32_e32 v2, 0x80, v2
                                        ; implicit-def: $vgpr76
	s_mov_b32 s13, exec_lo
	s_delay_alu instid0(VALU_DEP_2)
	v_cmpx_gt_u64_e32 0x47600001, v[12:13]
	s_xor_b32 s75, exec_lo, s13
	s_cbranch_execz .LBB4_13163
; %bb.13154:                            ;   in Loop: Header=BB4_12924 Depth=3
	v_mov_b32_e32 v76, 0
	s_mov_b32 s76, exec_lo
	v_cmpx_ne_u32_e32 0, v8
	s_cbranch_execz .LBB4_13162
; %bb.13155:                            ;   in Loop: Header=BB4_12924 Depth=3
	v_bfe_u32 v12, v8, 23, 8
	v_or_b32_e32 v14, 0x800000, v4
	s_delay_alu instid0(VALU_DEP_2) | instskip(SKIP_1) | instid1(VALU_DEP_2)
	v_sub_nc_u32_e32 v8, 0x71, v12
	v_cmp_gt_u32_e32 vcc_lo, 0x72, v12
	v_cndmask_b32_e32 v8, 0, v8, vcc_lo
	v_cmp_eq_u32_e32 vcc_lo, 0, v12
	s_delay_alu instid0(VALU_DEP_2) | instskip(NEXT) | instid1(VALU_DEP_1)
	v_cndmask_b32_e64 v13, v8, 0x70, vcc_lo
	v_dual_cndmask_b32 v4, v14, v4, vcc_lo :: v_dual_add_nc_u32 v8, 21, v13
	v_add_nc_u32_e32 v15, 20, v13
	s_delay_alu instid0(VALU_DEP_2) | instskip(NEXT) | instid1(VALU_DEP_2)
	v_lshlrev_b64_e64 v[8:9], v8, -1
	v_lshlrev_b64_e64 v[14:15], v15, 1
	s_delay_alu instid0(VALU_DEP_2) | instskip(SKIP_1) | instid1(VALU_DEP_4)
	v_bfi_b32 v8, v8, 0, v4
	v_lshrrev_b64 v[4:5], v13, v[4:5]
	v_bfi_b32 v9, v9, 0, 0
	s_delay_alu instid0(VALU_DEP_1) | instskip(NEXT) | instid1(VALU_DEP_3)
	v_cmp_eq_u64_e64 s13, v[8:9], v[14:15]
	v_mov_b64_e32 v[8:9], v[4:5]
	s_and_saveexec_b32 s77, s13
; %bb.13156:                            ;   in Loop: Header=BB4_12924 Depth=3
	v_bfe_u32 v8, v4, 21, 1
	v_mov_b32_e32 v9, v3
	s_delay_alu instid0(VALU_DEP_1) | instskip(NEXT) | instid1(VALU_DEP_1)
	v_add_nc_u64_e32 v[8:9], v[4:5], v[8:9]
	v_add_nc_u64_e32 v[8:9], -1, v[8:9]
; %bb.13157:                            ;   in Loop: Header=BB4_12924 Depth=3
	s_or_b32 exec_lo, exec_lo, s77
	v_add_nc_u32_e32 v5, 0xffffff81, v12
	v_lshrrev_b32_e32 v9, 23, v4
	s_mov_b32 s13, exec_lo
	s_delay_alu instid0(VALU_DEP_2) | instskip(NEXT) | instid1(VALU_DEP_1)
	v_cndmask_b32_e64 v5, v5, 0xffffff82, vcc_lo
	v_add3_u32 v9, v13, v5, v9
	v_and_b32_e32 v5, 0x1fffff, v8
                                        ; implicit-def: $vgpr8
	s_delay_alu instid0(VALU_DEP_1) | instskip(SKIP_1) | instid1(VALU_DEP_2)
	v_dual_add_nc_u32 v12, 14, v9 :: v_dual_add_nc_u32 v4, v5, v4
	v_mov_b32_e32 v5, v3
	v_cmpx_ne_u32_e32 0, v12
	s_xor_b32 s13, exec_lo, s13
; %bb.13158:                            ;   in Loop: Header=BB4_12924 Depth=3
	s_delay_alu instid0(VALU_DEP_2) | instskip(SKIP_2) | instid1(VALU_DEP_2)
	v_cmp_lt_u64_e32 vcc_lo, 0xffffff, v[4:5]
	v_add_nc_u32_e32 v8, 15, v9
	v_cndmask_b32_e64 v9, 0, 1, vcc_lo
	v_cndmask_b32_e32 v8, v12, v8, vcc_lo
	s_delay_alu instid0(VALU_DEP_2)
	v_lshrrev_b64 v[4:5], v9, v[4:5]
; %bb.13159:                            ;   in Loop: Header=BB4_12924 Depth=3
	s_and_not1_saveexec_b32 s13, s13
; %bb.13160:                            ;   in Loop: Header=BB4_12924 Depth=3
	s_delay_alu instid0(VALU_DEP_1)
	v_bfe_u32 v8, v4, 23, 1
; %bb.13161:                            ;   in Loop: Header=BB4_12924 Depth=3
	s_or_b32 exec_lo, exec_lo, s13
	s_delay_alu instid0(VALU_DEP_2) | instskip(NEXT) | instid1(VALU_DEP_2)
	v_lshrrev_b64 v[4:5], 21, v[4:5]
	v_cmp_gt_i32_e32 vcc_lo, 32, v8
	v_min_i32_e32 v9, 31, v8
	v_cmp_eq_u32_e64 s13, 0, v8
	s_delay_alu instid0(VALU_DEP_4) | instskip(NEXT) | instid1(VALU_DEP_3)
	v_cndmask_b32_e32 v5, 0, v5, vcc_lo
	v_dual_cndmask_b32 v4, 3, v4 :: v_dual_lshlrev_b32 v9, 2, v9
	s_delay_alu instid0(VALU_DEP_1) | instskip(NEXT) | instid1(VALU_DEP_2)
	v_and_b32_e32 v9, 0xfc, v9
	v_cmp_eq_u64_e32 vcc_lo, 0, v[4:5]
	s_delay_alu instid0(VALU_DEP_2)
	v_and_or_b32 v4, v4, 3, v9
	s_and_b32 s13, s13, vcc_lo
	s_delay_alu instid0(VALU_DEP_1) | instid1(SALU_CYCLE_1)
	v_cndmask_b32_e64 v4, v4, 0, s13
	s_delay_alu instid0(VALU_DEP_1)
	v_or_b32_e32 v76, v4, v2
.LBB4_13162:                            ;   in Loop: Header=BB4_12924 Depth=3
	s_or_b32 exec_lo, exec_lo, s76
                                        ; implicit-def: $vgpr2
.LBB4_13163:                            ;   in Loop: Header=BB4_12924 Depth=3
	s_and_not1_saveexec_b32 s13, s75
; %bb.13164:                            ;   in Loop: Header=BB4_12924 Depth=3
	v_or_b32_e32 v76, 0x7b, v2
; %bb.13165:                            ;   in Loop: Header=BB4_12924 Depth=3
	s_or_b32 exec_lo, exec_lo, s13
                                        ; implicit-def: $vgpr8
                                        ; implicit-def: $vgpr4_vgpr5
                                        ; implicit-def: $vgpr2
.LBB4_13166:                            ;   in Loop: Header=BB4_12924 Depth=3
	s_and_not1_saveexec_b32 s13, s74
	s_cbranch_execz .LBB4_13172
; %bb.13167:                            ;   in Loop: Header=BB4_12924 Depth=3
	s_mov_b32 s74, exec_lo
                                        ; implicit-def: $vgpr76
	v_cmpx_ne_u64_e32 0, v[4:5]
	s_xor_b32 s74, exec_lo, s74
; %bb.13168:                            ;   in Loop: Header=BB4_12924 Depth=3
	v_or_b32_e32 v76, 0x7f, v2
                                        ; implicit-def: $vgpr8
; %bb.13169:                            ;   in Loop: Header=BB4_12924 Depth=3
	s_and_not1_saveexec_b32 s74, s74
; %bb.13170:                            ;   in Loop: Header=BB4_12924 Depth=3
	v_cmp_lt_i32_e32 vcc_lo, -1, v8
	v_cndmask_b32_e32 v76, 0xfc, v49, vcc_lo
; %bb.13171:                            ;   in Loop: Header=BB4_12924 Depth=3
	s_or_b32 exec_lo, exec_lo, s74
.LBB4_13172:                            ;   in Loop: Header=BB4_12924 Depth=3
	s_delay_alu instid0(SALU_CYCLE_1) | instskip(SKIP_1) | instid1(VALU_DEP_1)
	s_or_b32 exec_lo, exec_lo, s13
	v_and_b32_e32 v2, 0xff, v10
	v_cmp_ne_u16_e32 vcc_lo, 0, v2
	v_mov_b32_e32 v2, 0
	s_and_saveexec_b32 s13, vcc_lo
	s_cbranch_execz .LBB4_13182
; %bb.13173:                            ;   in Loop: Header=BB4_12924 Depth=3
	v_bfe_i32 v5, v10, 0, 8
	v_bfrev_b32_e32 v2, 1
	s_mov_b32 s74, exec_lo
	s_delay_alu instid0(VALU_DEP_2)
	v_cmpx_ne_u16_e32 0xff80, v5
	s_cbranch_execz .LBB4_13181
; %bb.13174:                            ;   in Loop: Header=BB4_12924 Depth=3
	v_and_b32_e32 v2, 0x7c, v10
	v_and_b32_e32 v4, 3, v10
	s_delay_alu instid0(VALU_DEP_2) | instskip(SKIP_1) | instid1(SALU_CYCLE_1)
	v_cmp_ne_u32_e32 vcc_lo, 0x7c, v2
                                        ; implicit-def: $vgpr2
	s_and_saveexec_b32 s75, vcc_lo
	s_xor_b32 s75, exec_lo, s75
	s_cbranch_execz .LBB4_13178
; %bb.13175:                            ;   in Loop: Header=BB4_12924 Depth=3
	v_bfe_u32 v2, v10, 2, 5
	s_mov_b32 s76, exec_lo
	s_delay_alu instid0(VALU_DEP_1)
	v_cmpx_eq_u32_e32 0, v2
; %bb.13176:                            ;   in Loop: Header=BB4_12924 Depth=3
	v_clz_i32_u32_e32 v2, v4
	s_delay_alu instid0(VALU_DEP_1) | instskip(NEXT) | instid1(VALU_DEP_1)
	v_min_u32_e32 v2, 32, v2
	v_subrev_nc_u32_e32 v4, 29, v2
	s_delay_alu instid0(VALU_DEP_1) | instskip(NEXT) | instid1(VALU_DEP_1)
	v_lshlrev_b64_e32 v[4:5], v4, v[10:11]
	v_dual_sub_nc_u32 v2, 30, v2 :: v_dual_bitop2_b32 v4, 3, v4 bitop3:0x40
; %bb.13177:                            ;   in Loop: Header=BB4_12924 Depth=3
	s_or_b32 exec_lo, exec_lo, s76
	v_lshlrev_b32_e32 v5, 24, v10
	s_delay_alu instid0(VALU_DEP_1) | instskip(NEXT) | instid1(VALU_DEP_1)
	v_and_b32_e32 v5, 0x80000000, v5
	v_lshl_add_u32 v2, v2, 23, v5
                                        ; implicit-def: $vgpr5
	s_delay_alu instid0(VALU_DEP_1) | instskip(NEXT) | instid1(VALU_DEP_1)
	v_lshl_or_b32 v2, v4, 21, v2
                                        ; implicit-def: $vgpr4
	v_add_nc_u32_e32 v2, 0x38000000, v2
.LBB4_13178:                            ;   in Loop: Header=BB4_12924 Depth=3
	s_and_not1_saveexec_b32 s75, s75
; %bb.13179:                            ;   in Loop: Header=BB4_12924 Depth=3
	v_cmp_lt_i16_e32 vcc_lo, -1, v5
	v_cndmask_b32_e32 v2, 0xff800000, v48, vcc_lo
	v_cmp_eq_u32_e32 vcc_lo, 0, v4
	s_delay_alu instid0(VALU_DEP_2)
	v_cndmask_b32_e32 v2, 0x7f800001, v2, vcc_lo
; %bb.13180:                            ;   in Loop: Header=BB4_12924 Depth=3
	s_or_b32 exec_lo, exec_lo, s75
.LBB4_13181:                            ;   in Loop: Header=BB4_12924 Depth=3
	s_delay_alu instid0(SALU_CYCLE_1)
	s_or_b32 exec_lo, exec_lo, s74
.LBB4_13182:                            ;   in Loop: Header=BB4_12924 Depth=3
	s_delay_alu instid0(SALU_CYCLE_1) | instskip(NEXT) | instid1(VALU_DEP_1)
	s_or_b32 exec_lo, exec_lo, s13
	v_dual_mul_f32 v8, s73, v2 :: v_dual_mov_b32 v13, v3
	v_mov_b32_e32 v5, v3
                                        ; implicit-def: $vgpr61
	s_mov_b32 s13, exec_lo
	s_delay_alu instid0(VALU_DEP_2) | instskip(SKIP_2) | instid1(VALU_DEP_3)
	v_and_b32_e32 v12, 0x7f800000, v8
	v_and_b32_e32 v4, 0x7fffff, v8
	v_lshrrev_b32_e32 v2, 24, v8
	v_cmpx_ne_u64_e32 0x7f800000, v[12:13]
	s_xor_b32 s74, exec_lo, s13
	s_cbranch_execz .LBB4_13196
; %bb.13183:                            ;   in Loop: Header=BB4_12924 Depth=3
	v_and_b32_e32 v12, 0x7fffffff, v8
	v_mov_b32_e32 v13, v3
	v_and_b32_e32 v2, 0x80, v2
                                        ; implicit-def: $vgpr61
	s_mov_b32 s13, exec_lo
	s_delay_alu instid0(VALU_DEP_2)
	v_cmpx_gt_u64_e32 0x47600001, v[12:13]
	s_xor_b32 s75, exec_lo, s13
	s_cbranch_execz .LBB4_13193
; %bb.13184:                            ;   in Loop: Header=BB4_12924 Depth=3
	v_mov_b32_e32 v61, 0
	s_mov_b32 s76, exec_lo
	v_cmpx_ne_u32_e32 0, v8
	s_cbranch_execz .LBB4_13192
; %bb.13185:                            ;   in Loop: Header=BB4_12924 Depth=3
	v_bfe_u32 v12, v8, 23, 8
	v_or_b32_e32 v14, 0x800000, v4
	s_delay_alu instid0(VALU_DEP_2) | instskip(SKIP_1) | instid1(VALU_DEP_2)
	v_sub_nc_u32_e32 v8, 0x71, v12
	v_cmp_gt_u32_e32 vcc_lo, 0x72, v12
	v_cndmask_b32_e32 v8, 0, v8, vcc_lo
	v_cmp_eq_u32_e32 vcc_lo, 0, v12
	s_delay_alu instid0(VALU_DEP_2) | instskip(NEXT) | instid1(VALU_DEP_1)
	v_cndmask_b32_e64 v13, v8, 0x70, vcc_lo
	v_dual_cndmask_b32 v4, v14, v4, vcc_lo :: v_dual_add_nc_u32 v8, 21, v13
	v_add_nc_u32_e32 v15, 20, v13
	s_delay_alu instid0(VALU_DEP_2) | instskip(NEXT) | instid1(VALU_DEP_2)
	v_lshlrev_b64_e64 v[8:9], v8, -1
	v_lshlrev_b64_e64 v[14:15], v15, 1
	s_delay_alu instid0(VALU_DEP_2) | instskip(SKIP_1) | instid1(VALU_DEP_4)
	v_bfi_b32 v8, v8, 0, v4
	v_lshrrev_b64 v[4:5], v13, v[4:5]
	v_bfi_b32 v9, v9, 0, 0
	s_delay_alu instid0(VALU_DEP_1) | instskip(NEXT) | instid1(VALU_DEP_3)
	v_cmp_eq_u64_e64 s13, v[8:9], v[14:15]
	v_mov_b64_e32 v[8:9], v[4:5]
	s_and_saveexec_b32 s77, s13
; %bb.13186:                            ;   in Loop: Header=BB4_12924 Depth=3
	v_bfe_u32 v8, v4, 21, 1
	v_mov_b32_e32 v9, v3
	s_delay_alu instid0(VALU_DEP_1) | instskip(NEXT) | instid1(VALU_DEP_1)
	v_add_nc_u64_e32 v[8:9], v[4:5], v[8:9]
	v_add_nc_u64_e32 v[8:9], -1, v[8:9]
; %bb.13187:                            ;   in Loop: Header=BB4_12924 Depth=3
	s_or_b32 exec_lo, exec_lo, s77
	v_add_nc_u32_e32 v5, 0xffffff81, v12
	v_lshrrev_b32_e32 v9, 23, v4
	s_mov_b32 s13, exec_lo
	s_delay_alu instid0(VALU_DEP_2) | instskip(NEXT) | instid1(VALU_DEP_1)
	v_cndmask_b32_e64 v5, v5, 0xffffff82, vcc_lo
	v_add3_u32 v9, v13, v5, v9
	v_and_b32_e32 v5, 0x1fffff, v8
                                        ; implicit-def: $vgpr8
	s_delay_alu instid0(VALU_DEP_1) | instskip(SKIP_1) | instid1(VALU_DEP_2)
	v_dual_add_nc_u32 v12, 14, v9 :: v_dual_add_nc_u32 v4, v5, v4
	v_mov_b32_e32 v5, v3
	v_cmpx_ne_u32_e32 0, v12
	s_xor_b32 s13, exec_lo, s13
; %bb.13188:                            ;   in Loop: Header=BB4_12924 Depth=3
	s_delay_alu instid0(VALU_DEP_2) | instskip(SKIP_2) | instid1(VALU_DEP_2)
	v_cmp_lt_u64_e32 vcc_lo, 0xffffff, v[4:5]
	v_add_nc_u32_e32 v8, 15, v9
	v_cndmask_b32_e64 v9, 0, 1, vcc_lo
	v_cndmask_b32_e32 v8, v12, v8, vcc_lo
	s_delay_alu instid0(VALU_DEP_2)
	v_lshrrev_b64 v[4:5], v9, v[4:5]
; %bb.13189:                            ;   in Loop: Header=BB4_12924 Depth=3
	s_and_not1_saveexec_b32 s13, s13
; %bb.13190:                            ;   in Loop: Header=BB4_12924 Depth=3
	s_delay_alu instid0(VALU_DEP_1)
	v_bfe_u32 v8, v4, 23, 1
; %bb.13191:                            ;   in Loop: Header=BB4_12924 Depth=3
	s_or_b32 exec_lo, exec_lo, s13
	s_delay_alu instid0(VALU_DEP_2) | instskip(NEXT) | instid1(VALU_DEP_2)
	v_lshrrev_b64 v[4:5], 21, v[4:5]
	v_cmp_gt_i32_e32 vcc_lo, 32, v8
	v_min_i32_e32 v9, 31, v8
	v_cmp_eq_u32_e64 s13, 0, v8
	s_delay_alu instid0(VALU_DEP_4) | instskip(NEXT) | instid1(VALU_DEP_3)
	v_cndmask_b32_e32 v5, 0, v5, vcc_lo
	v_dual_cndmask_b32 v4, 3, v4 :: v_dual_lshlrev_b32 v9, 2, v9
	s_delay_alu instid0(VALU_DEP_1) | instskip(NEXT) | instid1(VALU_DEP_2)
	v_and_b32_e32 v9, 0xfc, v9
	v_cmp_eq_u64_e32 vcc_lo, 0, v[4:5]
	s_delay_alu instid0(VALU_DEP_2)
	v_and_or_b32 v4, v4, 3, v9
	s_and_b32 s13, s13, vcc_lo
	s_delay_alu instid0(VALU_DEP_1) | instid1(SALU_CYCLE_1)
	v_cndmask_b32_e64 v4, v4, 0, s13
	s_delay_alu instid0(VALU_DEP_1)
	v_or_b32_e32 v61, v4, v2
.LBB4_13192:                            ;   in Loop: Header=BB4_12924 Depth=3
	s_or_b32 exec_lo, exec_lo, s76
                                        ; implicit-def: $vgpr2
.LBB4_13193:                            ;   in Loop: Header=BB4_12924 Depth=3
	s_and_not1_saveexec_b32 s13, s75
; %bb.13194:                            ;   in Loop: Header=BB4_12924 Depth=3
	v_or_b32_e32 v61, 0x7b, v2
; %bb.13195:                            ;   in Loop: Header=BB4_12924 Depth=3
	s_or_b32 exec_lo, exec_lo, s13
                                        ; implicit-def: $vgpr8
                                        ; implicit-def: $vgpr4_vgpr5
                                        ; implicit-def: $vgpr2
.LBB4_13196:                            ;   in Loop: Header=BB4_12924 Depth=3
	s_and_not1_saveexec_b32 s13, s74
	s_cbranch_execz .LBB4_13202
; %bb.13197:                            ;   in Loop: Header=BB4_12924 Depth=3
	s_mov_b32 s74, exec_lo
                                        ; implicit-def: $vgpr61
	v_cmpx_ne_u64_e32 0, v[4:5]
	s_xor_b32 s74, exec_lo, s74
; %bb.13198:                            ;   in Loop: Header=BB4_12924 Depth=3
	v_or_b32_e32 v61, 0x7f, v2
                                        ; implicit-def: $vgpr8
; %bb.13199:                            ;   in Loop: Header=BB4_12924 Depth=3
	s_and_not1_saveexec_b32 s74, s74
; %bb.13200:                            ;   in Loop: Header=BB4_12924 Depth=3
	v_cmp_lt_i32_e32 vcc_lo, -1, v8
	v_cndmask_b32_e32 v61, 0xfc, v49, vcc_lo
; %bb.13201:                            ;   in Loop: Header=BB4_12924 Depth=3
	s_or_b32 exec_lo, exec_lo, s74
.LBB4_13202:                            ;   in Loop: Header=BB4_12924 Depth=3
	s_delay_alu instid0(SALU_CYCLE_1) | instskip(SKIP_3) | instid1(VALU_DEP_2)
	s_or_b32 exec_lo, exec_lo, s13
	v_lshrrev_b16 v4, 8, v10
	v_mov_b32_e32 v5, 0
	s_mov_b32 s13, exec_lo
	v_cmpx_ne_u16_e32 0, v4
	s_cbranch_execz .LBB4_13212
; %bb.13203:                            ;   in Loop: Header=BB4_12924 Depth=3
	v_bfrev_b32_e32 v5, 1
	s_mov_b32 s74, exec_lo
	v_cmpx_ne_u16_e32 0x80, v4
	s_cbranch_execz .LBB4_13211
; %bb.13204:                            ;   in Loop: Header=BB4_12924 Depth=3
	v_and_b32_e32 v8, 0xffff, v4
	s_delay_alu instid0(VALU_DEP_1) | instskip(SKIP_1) | instid1(VALU_DEP_2)
	v_and_b32_e32 v5, 0x7c, v8
	v_and_b32_e32 v2, 3, v8
	v_cmp_ne_u32_e32 vcc_lo, 0x7c, v5
                                        ; implicit-def: $vgpr5
	s_and_saveexec_b32 s75, vcc_lo
	s_delay_alu instid0(SALU_CYCLE_1)
	s_xor_b32 s75, exec_lo, s75
	s_cbranch_execz .LBB4_13208
; %bb.13205:                            ;   in Loop: Header=BB4_12924 Depth=3
	v_bfe_u32 v5, v8, 2, 5
	s_mov_b32 s76, exec_lo
	s_delay_alu instid0(VALU_DEP_1)
	v_cmpx_eq_u32_e32 0, v5
; %bb.13206:                            ;   in Loop: Header=BB4_12924 Depth=3
	v_clz_i32_u32_e32 v2, v2
	v_mov_b32_e32 v5, v3
	s_delay_alu instid0(VALU_DEP_2) | instskip(NEXT) | instid1(VALU_DEP_1)
	v_min_u32_e32 v2, 32, v2
	v_subrev_nc_u32_e32 v8, 29, v2
	s_delay_alu instid0(VALU_DEP_1) | instskip(NEXT) | instid1(VALU_DEP_1)
	v_lshlrev_b64_e32 v[4:5], v8, v[4:5]
	v_dual_sub_nc_u32 v5, 30, v2 :: v_dual_bitop2_b32 v2, 3, v4 bitop3:0x40
; %bb.13207:                            ;   in Loop: Header=BB4_12924 Depth=3
	s_or_b32 exec_lo, exec_lo, s76
	v_lshlrev_b32_e32 v4, 16, v10
	s_delay_alu instid0(VALU_DEP_1) | instskip(NEXT) | instid1(VALU_DEP_1)
	v_and_b32_e32 v4, 0x80000000, v4
	v_lshl_add_u32 v4, v5, 23, v4
	s_delay_alu instid0(VALU_DEP_1) | instskip(NEXT) | instid1(VALU_DEP_1)
	v_lshl_or_b32 v2, v2, 21, v4
	v_add_nc_u32_e32 v5, 0x38000000, v2
                                        ; implicit-def: $vgpr2
.LBB4_13208:                            ;   in Loop: Header=BB4_12924 Depth=3
	s_and_not1_saveexec_b32 s75, s75
; %bb.13209:                            ;   in Loop: Header=BB4_12924 Depth=3
	v_cmp_lt_i16_e32 vcc_lo, -1, v10
	v_cndmask_b32_e32 v4, 0xff800000, v48, vcc_lo
	v_cmp_eq_u32_e32 vcc_lo, 0, v2
	s_delay_alu instid0(VALU_DEP_2)
	v_cndmask_b32_e32 v5, 0x7f800001, v4, vcc_lo
; %bb.13210:                            ;   in Loop: Header=BB4_12924 Depth=3
	s_or_b32 exec_lo, exec_lo, s75
.LBB4_13211:                            ;   in Loop: Header=BB4_12924 Depth=3
	s_delay_alu instid0(SALU_CYCLE_1)
	s_or_b32 exec_lo, exec_lo, s74
.LBB4_13212:                            ;   in Loop: Header=BB4_12924 Depth=3
	s_delay_alu instid0(SALU_CYCLE_1) | instskip(NEXT) | instid1(VALU_DEP_1)
	s_or_b32 exec_lo, exec_lo, s13
	v_dual_mul_f32 v8, s73, v5 :: v_dual_mov_b32 v13, v3
	v_mov_b32_e32 v5, v3
                                        ; implicit-def: $vgpr63
	s_mov_b32 s13, exec_lo
	s_delay_alu instid0(VALU_DEP_2) | instskip(SKIP_2) | instid1(VALU_DEP_3)
	v_and_b32_e32 v12, 0x7f800000, v8
	v_and_b32_e32 v4, 0x7fffff, v8
	v_lshrrev_b32_e32 v2, 24, v8
	v_cmpx_ne_u64_e32 0x7f800000, v[12:13]
	s_xor_b32 s74, exec_lo, s13
	s_cbranch_execz .LBB4_13226
; %bb.13213:                            ;   in Loop: Header=BB4_12924 Depth=3
	v_and_b32_e32 v12, 0x7fffffff, v8
	v_mov_b32_e32 v13, v3
	v_and_b32_e32 v2, 0x80, v2
                                        ; implicit-def: $vgpr63
	s_mov_b32 s13, exec_lo
	s_delay_alu instid0(VALU_DEP_2)
	v_cmpx_gt_u64_e32 0x47600001, v[12:13]
	s_xor_b32 s75, exec_lo, s13
	s_cbranch_execz .LBB4_13223
; %bb.13214:                            ;   in Loop: Header=BB4_12924 Depth=3
	v_mov_b32_e32 v63, 0
	s_mov_b32 s76, exec_lo
	v_cmpx_ne_u32_e32 0, v8
	s_cbranch_execz .LBB4_13222
; %bb.13215:                            ;   in Loop: Header=BB4_12924 Depth=3
	v_bfe_u32 v12, v8, 23, 8
	v_or_b32_e32 v14, 0x800000, v4
	s_delay_alu instid0(VALU_DEP_2) | instskip(SKIP_1) | instid1(VALU_DEP_2)
	v_sub_nc_u32_e32 v8, 0x71, v12
	v_cmp_gt_u32_e32 vcc_lo, 0x72, v12
	v_cndmask_b32_e32 v8, 0, v8, vcc_lo
	v_cmp_eq_u32_e32 vcc_lo, 0, v12
	s_delay_alu instid0(VALU_DEP_2) | instskip(NEXT) | instid1(VALU_DEP_1)
	v_cndmask_b32_e64 v13, v8, 0x70, vcc_lo
	v_dual_cndmask_b32 v4, v14, v4, vcc_lo :: v_dual_add_nc_u32 v8, 21, v13
	v_add_nc_u32_e32 v15, 20, v13
	s_delay_alu instid0(VALU_DEP_2) | instskip(NEXT) | instid1(VALU_DEP_2)
	v_lshlrev_b64_e64 v[8:9], v8, -1
	v_lshlrev_b64_e64 v[14:15], v15, 1
	s_delay_alu instid0(VALU_DEP_2) | instskip(SKIP_1) | instid1(VALU_DEP_4)
	v_bfi_b32 v8, v8, 0, v4
	v_lshrrev_b64 v[4:5], v13, v[4:5]
	v_bfi_b32 v9, v9, 0, 0
	s_delay_alu instid0(VALU_DEP_1) | instskip(NEXT) | instid1(VALU_DEP_3)
	v_cmp_eq_u64_e64 s13, v[8:9], v[14:15]
	v_mov_b64_e32 v[8:9], v[4:5]
	s_and_saveexec_b32 s77, s13
; %bb.13216:                            ;   in Loop: Header=BB4_12924 Depth=3
	v_bfe_u32 v8, v4, 21, 1
	v_mov_b32_e32 v9, v3
	s_delay_alu instid0(VALU_DEP_1) | instskip(NEXT) | instid1(VALU_DEP_1)
	v_add_nc_u64_e32 v[8:9], v[4:5], v[8:9]
	v_add_nc_u64_e32 v[8:9], -1, v[8:9]
; %bb.13217:                            ;   in Loop: Header=BB4_12924 Depth=3
	s_or_b32 exec_lo, exec_lo, s77
	v_add_nc_u32_e32 v5, 0xffffff81, v12
	v_lshrrev_b32_e32 v9, 23, v4
	s_mov_b32 s13, exec_lo
	s_delay_alu instid0(VALU_DEP_2) | instskip(NEXT) | instid1(VALU_DEP_1)
	v_cndmask_b32_e64 v5, v5, 0xffffff82, vcc_lo
	v_add3_u32 v9, v13, v5, v9
	v_and_b32_e32 v5, 0x1fffff, v8
                                        ; implicit-def: $vgpr8
	s_delay_alu instid0(VALU_DEP_1) | instskip(SKIP_1) | instid1(VALU_DEP_2)
	v_dual_add_nc_u32 v12, 14, v9 :: v_dual_add_nc_u32 v4, v5, v4
	v_mov_b32_e32 v5, v3
	v_cmpx_ne_u32_e32 0, v12
	s_xor_b32 s13, exec_lo, s13
; %bb.13218:                            ;   in Loop: Header=BB4_12924 Depth=3
	s_delay_alu instid0(VALU_DEP_2) | instskip(SKIP_2) | instid1(VALU_DEP_2)
	v_cmp_lt_u64_e32 vcc_lo, 0xffffff, v[4:5]
	v_add_nc_u32_e32 v8, 15, v9
	v_cndmask_b32_e64 v9, 0, 1, vcc_lo
	v_cndmask_b32_e32 v8, v12, v8, vcc_lo
	s_delay_alu instid0(VALU_DEP_2)
	v_lshrrev_b64 v[4:5], v9, v[4:5]
; %bb.13219:                            ;   in Loop: Header=BB4_12924 Depth=3
	s_and_not1_saveexec_b32 s13, s13
; %bb.13220:                            ;   in Loop: Header=BB4_12924 Depth=3
	s_delay_alu instid0(VALU_DEP_1)
	v_bfe_u32 v8, v4, 23, 1
; %bb.13221:                            ;   in Loop: Header=BB4_12924 Depth=3
	s_or_b32 exec_lo, exec_lo, s13
	s_delay_alu instid0(VALU_DEP_2) | instskip(NEXT) | instid1(VALU_DEP_2)
	v_lshrrev_b64 v[4:5], 21, v[4:5]
	v_cmp_gt_i32_e32 vcc_lo, 32, v8
	v_min_i32_e32 v9, 31, v8
	v_cmp_eq_u32_e64 s13, 0, v8
	s_delay_alu instid0(VALU_DEP_4) | instskip(NEXT) | instid1(VALU_DEP_3)
	v_cndmask_b32_e32 v5, 0, v5, vcc_lo
	v_dual_cndmask_b32 v4, 3, v4 :: v_dual_lshlrev_b32 v9, 2, v9
	s_delay_alu instid0(VALU_DEP_1) | instskip(NEXT) | instid1(VALU_DEP_2)
	v_and_b32_e32 v9, 0xfc, v9
	v_cmp_eq_u64_e32 vcc_lo, 0, v[4:5]
	s_delay_alu instid0(VALU_DEP_2)
	v_and_or_b32 v4, v4, 3, v9
	s_and_b32 s13, s13, vcc_lo
	s_delay_alu instid0(VALU_DEP_1) | instid1(SALU_CYCLE_1)
	v_cndmask_b32_e64 v4, v4, 0, s13
	s_delay_alu instid0(VALU_DEP_1)
	v_or_b32_e32 v63, v4, v2
.LBB4_13222:                            ;   in Loop: Header=BB4_12924 Depth=3
	s_or_b32 exec_lo, exec_lo, s76
                                        ; implicit-def: $vgpr2
.LBB4_13223:                            ;   in Loop: Header=BB4_12924 Depth=3
	s_and_not1_saveexec_b32 s13, s75
; %bb.13224:                            ;   in Loop: Header=BB4_12924 Depth=3
	v_or_b32_e32 v63, 0x7b, v2
; %bb.13225:                            ;   in Loop: Header=BB4_12924 Depth=3
	s_or_b32 exec_lo, exec_lo, s13
                                        ; implicit-def: $vgpr8
                                        ; implicit-def: $vgpr4_vgpr5
                                        ; implicit-def: $vgpr2
.LBB4_13226:                            ;   in Loop: Header=BB4_12924 Depth=3
	s_and_not1_saveexec_b32 s13, s74
	s_cbranch_execz .LBB4_13232
; %bb.13227:                            ;   in Loop: Header=BB4_12924 Depth=3
	s_mov_b32 s74, exec_lo
                                        ; implicit-def: $vgpr63
	v_cmpx_ne_u64_e32 0, v[4:5]
	s_xor_b32 s74, exec_lo, s74
; %bb.13228:                            ;   in Loop: Header=BB4_12924 Depth=3
	v_or_b32_e32 v63, 0x7f, v2
                                        ; implicit-def: $vgpr8
; %bb.13229:                            ;   in Loop: Header=BB4_12924 Depth=3
	s_and_not1_saveexec_b32 s74, s74
; %bb.13230:                            ;   in Loop: Header=BB4_12924 Depth=3
	v_cmp_lt_i32_e32 vcc_lo, -1, v8
	v_cndmask_b32_e32 v63, 0xfc, v49, vcc_lo
; %bb.13231:                            ;   in Loop: Header=BB4_12924 Depth=3
	s_or_b32 exec_lo, exec_lo, s74
.LBB4_13232:                            ;   in Loop: Header=BB4_12924 Depth=3
	s_delay_alu instid0(SALU_CYCLE_1) | instskip(SKIP_2) | instid1(VALU_DEP_1)
	s_or_b32 exec_lo, exec_lo, s13
	v_dual_lshrrev_b32 v2, 16, v10 :: v_dual_mov_b32 v4, 0
	s_mov_b32 s13, exec_lo
	v_and_b32_e32 v5, 0xff, v2
	s_delay_alu instid0(VALU_DEP_1)
	v_cmpx_ne_u16_e32 0, v5
	s_cbranch_execz .LBB4_13242
; %bb.13233:                            ;   in Loop: Header=BB4_12924 Depth=3
	v_bfrev_b32_e32 v4, 1
	s_mov_b32 s74, exec_lo
	v_cmpx_ne_u16_e32 0x80, v5
	s_cbranch_execz .LBB4_13241
; %bb.13234:                            ;   in Loop: Header=BB4_12924 Depth=3
	v_and_b32_e32 v4, 0x7c0000, v10
	v_bfe_u32 v5, v10, 16, 2
	s_delay_alu instid0(VALU_DEP_2) | instskip(SKIP_1) | instid1(SALU_CYCLE_1)
	v_cmp_ne_u32_e32 vcc_lo, 0x7c0000, v4
                                        ; implicit-def: $vgpr4
	s_and_saveexec_b32 s75, vcc_lo
	s_xor_b32 s75, exec_lo, s75
	s_cbranch_execz .LBB4_13238
; %bb.13235:                            ;   in Loop: Header=BB4_12924 Depth=3
	v_bfe_u32 v4, v10, 18, 5
	s_mov_b32 s76, exec_lo
	s_delay_alu instid0(VALU_DEP_1)
	v_cmpx_eq_u32_e32 0, v4
; %bb.13236:                            ;   in Loop: Header=BB4_12924 Depth=3
	v_clz_i32_u32_e32 v4, v5
	s_delay_alu instid0(VALU_DEP_1) | instskip(NEXT) | instid1(VALU_DEP_1)
	v_min_u32_e32 v4, 32, v4
	v_subrev_nc_u32_e32 v5, 29, v4
	v_sub_nc_u32_e32 v4, 30, v4
	s_delay_alu instid0(VALU_DEP_2) | instskip(NEXT) | instid1(VALU_DEP_1)
	v_lshlrev_b64_e32 v[8:9], v5, v[2:3]
	v_and_b32_e32 v5, 3, v8
; %bb.13237:                            ;   in Loop: Header=BB4_12924 Depth=3
	s_or_b32 exec_lo, exec_lo, s76
	v_lshlrev_b32_e32 v2, 24, v2
	s_delay_alu instid0(VALU_DEP_1) | instskip(NEXT) | instid1(VALU_DEP_1)
	v_and_b32_e32 v2, 0x80000000, v2
	v_lshl_add_u32 v2, v4, 23, v2
	s_delay_alu instid0(VALU_DEP_1) | instskip(NEXT) | instid1(VALU_DEP_1)
	v_lshl_or_b32 v2, v5, 21, v2
                                        ; implicit-def: $vgpr5
	v_add_nc_u32_e32 v4, 0x38000000, v2
                                        ; implicit-def: $vgpr2
.LBB4_13238:                            ;   in Loop: Header=BB4_12924 Depth=3
	s_and_not1_saveexec_b32 s75, s75
; %bb.13239:                            ;   in Loop: Header=BB4_12924 Depth=3
	v_bfe_i32 v2, v2, 0, 8
	s_delay_alu instid0(VALU_DEP_1) | instskip(SKIP_2) | instid1(VALU_DEP_2)
	v_cmp_lt_i16_e32 vcc_lo, -1, v2
	v_cndmask_b32_e32 v2, 0xff800000, v48, vcc_lo
	v_cmp_eq_u32_e32 vcc_lo, 0, v5
	v_cndmask_b32_e32 v4, 0x7f800001, v2, vcc_lo
; %bb.13240:                            ;   in Loop: Header=BB4_12924 Depth=3
	s_or_b32 exec_lo, exec_lo, s75
.LBB4_13241:                            ;   in Loop: Header=BB4_12924 Depth=3
	s_delay_alu instid0(SALU_CYCLE_1)
	s_or_b32 exec_lo, exec_lo, s74
.LBB4_13242:                            ;   in Loop: Header=BB4_12924 Depth=3
	s_delay_alu instid0(SALU_CYCLE_1) | instskip(NEXT) | instid1(VALU_DEP_1)
	s_or_b32 exec_lo, exec_lo, s13
	v_dual_mul_f32 v8, s73, v4 :: v_dual_mov_b32 v13, v3
	v_mov_b32_e32 v5, v3
                                        ; implicit-def: $vgpr73
	s_mov_b32 s13, exec_lo
	s_delay_alu instid0(VALU_DEP_2) | instskip(SKIP_2) | instid1(VALU_DEP_3)
	v_and_b32_e32 v12, 0x7f800000, v8
	v_and_b32_e32 v4, 0x7fffff, v8
	v_lshrrev_b32_e32 v2, 24, v8
	v_cmpx_ne_u64_e32 0x7f800000, v[12:13]
	s_xor_b32 s74, exec_lo, s13
	s_cbranch_execz .LBB4_13256
; %bb.13243:                            ;   in Loop: Header=BB4_12924 Depth=3
	v_and_b32_e32 v12, 0x7fffffff, v8
	v_mov_b32_e32 v13, v3
	v_and_b32_e32 v2, 0x80, v2
                                        ; implicit-def: $vgpr73
	s_mov_b32 s13, exec_lo
	s_delay_alu instid0(VALU_DEP_2)
	v_cmpx_gt_u64_e32 0x47600001, v[12:13]
	s_xor_b32 s75, exec_lo, s13
	s_cbranch_execz .LBB4_13253
; %bb.13244:                            ;   in Loop: Header=BB4_12924 Depth=3
	v_mov_b32_e32 v73, 0
	s_mov_b32 s76, exec_lo
	v_cmpx_ne_u32_e32 0, v8
	s_cbranch_execz .LBB4_13252
; %bb.13245:                            ;   in Loop: Header=BB4_12924 Depth=3
	v_bfe_u32 v12, v8, 23, 8
	v_or_b32_e32 v14, 0x800000, v4
	s_delay_alu instid0(VALU_DEP_2) | instskip(SKIP_1) | instid1(VALU_DEP_2)
	v_sub_nc_u32_e32 v8, 0x71, v12
	v_cmp_gt_u32_e32 vcc_lo, 0x72, v12
	v_cndmask_b32_e32 v8, 0, v8, vcc_lo
	v_cmp_eq_u32_e32 vcc_lo, 0, v12
	s_delay_alu instid0(VALU_DEP_2) | instskip(NEXT) | instid1(VALU_DEP_1)
	v_cndmask_b32_e64 v13, v8, 0x70, vcc_lo
	v_dual_cndmask_b32 v4, v14, v4, vcc_lo :: v_dual_add_nc_u32 v8, 21, v13
	v_add_nc_u32_e32 v15, 20, v13
	s_delay_alu instid0(VALU_DEP_2) | instskip(NEXT) | instid1(VALU_DEP_2)
	v_lshlrev_b64_e64 v[8:9], v8, -1
	v_lshlrev_b64_e64 v[14:15], v15, 1
	s_delay_alu instid0(VALU_DEP_2) | instskip(SKIP_1) | instid1(VALU_DEP_4)
	v_bfi_b32 v8, v8, 0, v4
	v_lshrrev_b64 v[4:5], v13, v[4:5]
	v_bfi_b32 v9, v9, 0, 0
	s_delay_alu instid0(VALU_DEP_1) | instskip(NEXT) | instid1(VALU_DEP_3)
	v_cmp_eq_u64_e64 s13, v[8:9], v[14:15]
	v_mov_b64_e32 v[8:9], v[4:5]
	s_and_saveexec_b32 s77, s13
; %bb.13246:                            ;   in Loop: Header=BB4_12924 Depth=3
	v_bfe_u32 v8, v4, 21, 1
	v_mov_b32_e32 v9, v3
	s_delay_alu instid0(VALU_DEP_1) | instskip(NEXT) | instid1(VALU_DEP_1)
	v_add_nc_u64_e32 v[8:9], v[4:5], v[8:9]
	v_add_nc_u64_e32 v[8:9], -1, v[8:9]
; %bb.13247:                            ;   in Loop: Header=BB4_12924 Depth=3
	s_or_b32 exec_lo, exec_lo, s77
	v_add_nc_u32_e32 v5, 0xffffff81, v12
	v_lshrrev_b32_e32 v9, 23, v4
	s_mov_b32 s13, exec_lo
	s_delay_alu instid0(VALU_DEP_2) | instskip(NEXT) | instid1(VALU_DEP_1)
	v_cndmask_b32_e64 v5, v5, 0xffffff82, vcc_lo
	v_add3_u32 v9, v13, v5, v9
	v_and_b32_e32 v5, 0x1fffff, v8
                                        ; implicit-def: $vgpr8
	s_delay_alu instid0(VALU_DEP_1) | instskip(SKIP_1) | instid1(VALU_DEP_2)
	v_dual_add_nc_u32 v12, 14, v9 :: v_dual_add_nc_u32 v4, v5, v4
	v_mov_b32_e32 v5, v3
	v_cmpx_ne_u32_e32 0, v12
	s_xor_b32 s13, exec_lo, s13
; %bb.13248:                            ;   in Loop: Header=BB4_12924 Depth=3
	s_delay_alu instid0(VALU_DEP_2) | instskip(SKIP_2) | instid1(VALU_DEP_2)
	v_cmp_lt_u64_e32 vcc_lo, 0xffffff, v[4:5]
	v_add_nc_u32_e32 v8, 15, v9
	v_cndmask_b32_e64 v9, 0, 1, vcc_lo
	v_cndmask_b32_e32 v8, v12, v8, vcc_lo
	s_delay_alu instid0(VALU_DEP_2)
	v_lshrrev_b64 v[4:5], v9, v[4:5]
; %bb.13249:                            ;   in Loop: Header=BB4_12924 Depth=3
	s_and_not1_saveexec_b32 s13, s13
; %bb.13250:                            ;   in Loop: Header=BB4_12924 Depth=3
	s_delay_alu instid0(VALU_DEP_1)
	v_bfe_u32 v8, v4, 23, 1
; %bb.13251:                            ;   in Loop: Header=BB4_12924 Depth=3
	s_or_b32 exec_lo, exec_lo, s13
	s_delay_alu instid0(VALU_DEP_2) | instskip(NEXT) | instid1(VALU_DEP_2)
	v_lshrrev_b64 v[4:5], 21, v[4:5]
	v_cmp_gt_i32_e32 vcc_lo, 32, v8
	v_min_i32_e32 v9, 31, v8
	v_cmp_eq_u32_e64 s13, 0, v8
	s_delay_alu instid0(VALU_DEP_4) | instskip(NEXT) | instid1(VALU_DEP_3)
	v_cndmask_b32_e32 v5, 0, v5, vcc_lo
	v_dual_cndmask_b32 v4, 3, v4 :: v_dual_lshlrev_b32 v9, 2, v9
	s_delay_alu instid0(VALU_DEP_1) | instskip(NEXT) | instid1(VALU_DEP_2)
	v_and_b32_e32 v9, 0xfc, v9
	v_cmp_eq_u64_e32 vcc_lo, 0, v[4:5]
	s_delay_alu instid0(VALU_DEP_2)
	v_and_or_b32 v4, v4, 3, v9
	s_and_b32 s13, s13, vcc_lo
	s_delay_alu instid0(VALU_DEP_1) | instid1(SALU_CYCLE_1)
	v_cndmask_b32_e64 v4, v4, 0, s13
	s_delay_alu instid0(VALU_DEP_1)
	v_or_b32_e32 v73, v4, v2
.LBB4_13252:                            ;   in Loop: Header=BB4_12924 Depth=3
	s_or_b32 exec_lo, exec_lo, s76
                                        ; implicit-def: $vgpr2
.LBB4_13253:                            ;   in Loop: Header=BB4_12924 Depth=3
	s_and_not1_saveexec_b32 s13, s75
; %bb.13254:                            ;   in Loop: Header=BB4_12924 Depth=3
	v_or_b32_e32 v73, 0x7b, v2
; %bb.13255:                            ;   in Loop: Header=BB4_12924 Depth=3
	s_or_b32 exec_lo, exec_lo, s13
                                        ; implicit-def: $vgpr8
                                        ; implicit-def: $vgpr4_vgpr5
                                        ; implicit-def: $vgpr2
.LBB4_13256:                            ;   in Loop: Header=BB4_12924 Depth=3
	s_and_not1_saveexec_b32 s13, s74
	s_cbranch_execz .LBB4_13262
; %bb.13257:                            ;   in Loop: Header=BB4_12924 Depth=3
	s_mov_b32 s74, exec_lo
                                        ; implicit-def: $vgpr73
	v_cmpx_ne_u64_e32 0, v[4:5]
	s_xor_b32 s74, exec_lo, s74
; %bb.13258:                            ;   in Loop: Header=BB4_12924 Depth=3
	v_or_b32_e32 v73, 0x7f, v2
                                        ; implicit-def: $vgpr8
; %bb.13259:                            ;   in Loop: Header=BB4_12924 Depth=3
	s_and_not1_saveexec_b32 s74, s74
; %bb.13260:                            ;   in Loop: Header=BB4_12924 Depth=3
	v_cmp_lt_i32_e32 vcc_lo, -1, v8
	v_cndmask_b32_e32 v73, 0xfc, v49, vcc_lo
; %bb.13261:                            ;   in Loop: Header=BB4_12924 Depth=3
	s_or_b32 exec_lo, exec_lo, s74
.LBB4_13262:                            ;   in Loop: Header=BB4_12924 Depth=3
	s_delay_alu instid0(SALU_CYCLE_1)
	s_or_b32 exec_lo, exec_lo, s13
	v_mov_b32_e32 v4, 0
	s_mov_b32 s13, exec_lo
	v_cmpx_lt_u32_e32 0xffffff, v10
	s_cbranch_execz .LBB4_13272
; %bb.13263:                            ;   in Loop: Header=BB4_12924 Depth=3
	v_lshrrev_b32_e32 v2, 24, v10
	v_bfrev_b32_e32 v4, 1
	s_mov_b32 s74, exec_lo
	s_delay_alu instid0(VALU_DEP_2)
	v_cmpx_ne_u32_e32 0x80, v2
	s_cbranch_execz .LBB4_13271
; %bb.13264:                            ;   in Loop: Header=BB4_12924 Depth=3
	v_and_b32_e32 v4, 0x7c000000, v10
	v_bfe_u32 v5, v10, 24, 2
	s_delay_alu instid0(VALU_DEP_2) | instskip(SKIP_1) | instid1(SALU_CYCLE_1)
	v_cmp_ne_u32_e32 vcc_lo, 0x7c000000, v4
                                        ; implicit-def: $vgpr4
	s_and_saveexec_b32 s75, vcc_lo
	s_xor_b32 s75, exec_lo, s75
	s_cbranch_execz .LBB4_13268
; %bb.13265:                            ;   in Loop: Header=BB4_12924 Depth=3
	v_bfe_u32 v4, v10, 26, 5
	s_mov_b32 s76, exec_lo
	s_delay_alu instid0(VALU_DEP_1)
	v_cmpx_eq_u32_e32 0, v4
; %bb.13266:                            ;   in Loop: Header=BB4_12924 Depth=3
	v_clz_i32_u32_e32 v4, v5
	s_delay_alu instid0(VALU_DEP_1) | instskip(NEXT) | instid1(VALU_DEP_1)
	v_min_u32_e32 v4, 32, v4
	v_subrev_nc_u32_e32 v5, 29, v4
	v_sub_nc_u32_e32 v4, 30, v4
	s_delay_alu instid0(VALU_DEP_2) | instskip(NEXT) | instid1(VALU_DEP_1)
	v_lshlrev_b64_e32 v[8:9], v5, v[2:3]
	v_and_b32_e32 v5, 3, v8
; %bb.13267:                            ;   in Loop: Header=BB4_12924 Depth=3
	s_or_b32 exec_lo, exec_lo, s76
	v_and_b32_e32 v2, 0x80000000, v10
	s_delay_alu instid0(VALU_DEP_1) | instskip(NEXT) | instid1(VALU_DEP_1)
	v_lshl_add_u32 v2, v4, 23, v2
	v_lshl_or_b32 v2, v5, 21, v2
                                        ; implicit-def: $vgpr5
	s_delay_alu instid0(VALU_DEP_1)
	v_add_nc_u32_e32 v4, 0x38000000, v2
.LBB4_13268:                            ;   in Loop: Header=BB4_12924 Depth=3
	s_and_not1_saveexec_b32 s75, s75
; %bb.13269:                            ;   in Loop: Header=BB4_12924 Depth=3
	v_cmp_lt_i32_e32 vcc_lo, -1, v10
	v_cndmask_b32_e32 v2, 0xff800000, v48, vcc_lo
	v_cmp_eq_u32_e32 vcc_lo, 0, v5
	s_delay_alu instid0(VALU_DEP_2)
	v_cndmask_b32_e32 v4, 0x7f800001, v2, vcc_lo
; %bb.13270:                            ;   in Loop: Header=BB4_12924 Depth=3
	s_or_b32 exec_lo, exec_lo, s75
.LBB4_13271:                            ;   in Loop: Header=BB4_12924 Depth=3
	s_delay_alu instid0(SALU_CYCLE_1)
	s_or_b32 exec_lo, exec_lo, s74
.LBB4_13272:                            ;   in Loop: Header=BB4_12924 Depth=3
	s_delay_alu instid0(SALU_CYCLE_1) | instskip(NEXT) | instid1(VALU_DEP_1)
	s_or_b32 exec_lo, exec_lo, s13
	v_dual_mul_f32 v8, s73, v4 :: v_dual_mov_b32 v13, v3
	v_mov_b32_e32 v5, v3
                                        ; implicit-def: $vgpr74
	s_mov_b32 s13, exec_lo
	s_delay_alu instid0(VALU_DEP_2) | instskip(SKIP_2) | instid1(VALU_DEP_3)
	v_and_b32_e32 v12, 0x7f800000, v8
	v_and_b32_e32 v4, 0x7fffff, v8
	v_lshrrev_b32_e32 v2, 24, v8
	v_cmpx_ne_u64_e32 0x7f800000, v[12:13]
	s_xor_b32 s74, exec_lo, s13
	s_cbranch_execz .LBB4_13286
; %bb.13273:                            ;   in Loop: Header=BB4_12924 Depth=3
	v_and_b32_e32 v12, 0x7fffffff, v8
	v_mov_b32_e32 v13, v3
	v_and_b32_e32 v2, 0x80, v2
                                        ; implicit-def: $vgpr74
	s_mov_b32 s13, exec_lo
	s_delay_alu instid0(VALU_DEP_2)
	v_cmpx_gt_u64_e32 0x47600001, v[12:13]
	s_xor_b32 s75, exec_lo, s13
	s_cbranch_execz .LBB4_13283
; %bb.13274:                            ;   in Loop: Header=BB4_12924 Depth=3
	v_mov_b32_e32 v74, 0
	s_mov_b32 s76, exec_lo
	v_cmpx_ne_u32_e32 0, v8
	s_cbranch_execz .LBB4_13282
; %bb.13275:                            ;   in Loop: Header=BB4_12924 Depth=3
	v_bfe_u32 v12, v8, 23, 8
	v_or_b32_e32 v14, 0x800000, v4
	s_delay_alu instid0(VALU_DEP_2) | instskip(SKIP_1) | instid1(VALU_DEP_2)
	v_sub_nc_u32_e32 v8, 0x71, v12
	v_cmp_gt_u32_e32 vcc_lo, 0x72, v12
	v_cndmask_b32_e32 v8, 0, v8, vcc_lo
	v_cmp_eq_u32_e32 vcc_lo, 0, v12
	s_delay_alu instid0(VALU_DEP_2) | instskip(NEXT) | instid1(VALU_DEP_1)
	v_cndmask_b32_e64 v13, v8, 0x70, vcc_lo
	v_dual_cndmask_b32 v4, v14, v4, vcc_lo :: v_dual_add_nc_u32 v8, 21, v13
	v_add_nc_u32_e32 v15, 20, v13
	s_delay_alu instid0(VALU_DEP_2) | instskip(NEXT) | instid1(VALU_DEP_2)
	v_lshlrev_b64_e64 v[8:9], v8, -1
	v_lshlrev_b64_e64 v[14:15], v15, 1
	s_delay_alu instid0(VALU_DEP_2) | instskip(SKIP_1) | instid1(VALU_DEP_4)
	v_bfi_b32 v8, v8, 0, v4
	v_lshrrev_b64 v[4:5], v13, v[4:5]
	v_bfi_b32 v9, v9, 0, 0
	s_delay_alu instid0(VALU_DEP_1) | instskip(NEXT) | instid1(VALU_DEP_3)
	v_cmp_eq_u64_e64 s13, v[8:9], v[14:15]
	v_mov_b64_e32 v[8:9], v[4:5]
	s_and_saveexec_b32 s77, s13
; %bb.13276:                            ;   in Loop: Header=BB4_12924 Depth=3
	v_bfe_u32 v8, v4, 21, 1
	v_mov_b32_e32 v9, v3
	s_delay_alu instid0(VALU_DEP_1) | instskip(NEXT) | instid1(VALU_DEP_1)
	v_add_nc_u64_e32 v[8:9], v[4:5], v[8:9]
	v_add_nc_u64_e32 v[8:9], -1, v[8:9]
; %bb.13277:                            ;   in Loop: Header=BB4_12924 Depth=3
	s_or_b32 exec_lo, exec_lo, s77
	v_add_nc_u32_e32 v5, 0xffffff81, v12
	v_lshrrev_b32_e32 v9, 23, v4
	s_mov_b32 s13, exec_lo
	s_delay_alu instid0(VALU_DEP_2) | instskip(NEXT) | instid1(VALU_DEP_1)
	v_cndmask_b32_e64 v5, v5, 0xffffff82, vcc_lo
	v_add3_u32 v9, v13, v5, v9
	v_and_b32_e32 v5, 0x1fffff, v8
                                        ; implicit-def: $vgpr8
	s_delay_alu instid0(VALU_DEP_1) | instskip(SKIP_1) | instid1(VALU_DEP_2)
	v_dual_add_nc_u32 v12, 14, v9 :: v_dual_add_nc_u32 v4, v5, v4
	v_mov_b32_e32 v5, v3
	v_cmpx_ne_u32_e32 0, v12
	s_xor_b32 s13, exec_lo, s13
; %bb.13278:                            ;   in Loop: Header=BB4_12924 Depth=3
	s_delay_alu instid0(VALU_DEP_2) | instskip(SKIP_2) | instid1(VALU_DEP_2)
	v_cmp_lt_u64_e32 vcc_lo, 0xffffff, v[4:5]
	v_add_nc_u32_e32 v8, 15, v9
	v_cndmask_b32_e64 v9, 0, 1, vcc_lo
	v_cndmask_b32_e32 v8, v12, v8, vcc_lo
	s_delay_alu instid0(VALU_DEP_2)
	v_lshrrev_b64 v[4:5], v9, v[4:5]
; %bb.13279:                            ;   in Loop: Header=BB4_12924 Depth=3
	s_and_not1_saveexec_b32 s13, s13
; %bb.13280:                            ;   in Loop: Header=BB4_12924 Depth=3
	s_delay_alu instid0(VALU_DEP_1)
	v_bfe_u32 v8, v4, 23, 1
; %bb.13281:                            ;   in Loop: Header=BB4_12924 Depth=3
	s_or_b32 exec_lo, exec_lo, s13
	s_delay_alu instid0(VALU_DEP_2) | instskip(NEXT) | instid1(VALU_DEP_2)
	v_lshrrev_b64 v[4:5], 21, v[4:5]
	v_cmp_gt_i32_e32 vcc_lo, 32, v8
	v_min_i32_e32 v9, 31, v8
	v_cmp_eq_u32_e64 s13, 0, v8
	s_delay_alu instid0(VALU_DEP_4) | instskip(NEXT) | instid1(VALU_DEP_3)
	v_cndmask_b32_e32 v5, 0, v5, vcc_lo
	v_dual_cndmask_b32 v4, 3, v4 :: v_dual_lshlrev_b32 v9, 2, v9
	s_delay_alu instid0(VALU_DEP_1) | instskip(NEXT) | instid1(VALU_DEP_2)
	v_and_b32_e32 v9, 0xfc, v9
	v_cmp_eq_u64_e32 vcc_lo, 0, v[4:5]
	s_delay_alu instid0(VALU_DEP_2)
	v_and_or_b32 v4, v4, 3, v9
	s_and_b32 s13, s13, vcc_lo
	s_delay_alu instid0(VALU_DEP_1) | instid1(SALU_CYCLE_1)
	v_cndmask_b32_e64 v4, v4, 0, s13
	s_delay_alu instid0(VALU_DEP_1)
	v_or_b32_e32 v74, v4, v2
.LBB4_13282:                            ;   in Loop: Header=BB4_12924 Depth=3
	s_or_b32 exec_lo, exec_lo, s76
                                        ; implicit-def: $vgpr2
.LBB4_13283:                            ;   in Loop: Header=BB4_12924 Depth=3
	s_and_not1_saveexec_b32 s13, s75
; %bb.13284:                            ;   in Loop: Header=BB4_12924 Depth=3
	v_or_b32_e32 v74, 0x7b, v2
; %bb.13285:                            ;   in Loop: Header=BB4_12924 Depth=3
	s_or_b32 exec_lo, exec_lo, s13
                                        ; implicit-def: $vgpr8
                                        ; implicit-def: $vgpr4_vgpr5
                                        ; implicit-def: $vgpr2
.LBB4_13286:                            ;   in Loop: Header=BB4_12924 Depth=3
	s_and_not1_saveexec_b32 s13, s74
	s_cbranch_execz .LBB4_13292
; %bb.13287:                            ;   in Loop: Header=BB4_12924 Depth=3
	s_mov_b32 s74, exec_lo
                                        ; implicit-def: $vgpr74
	v_cmpx_ne_u64_e32 0, v[4:5]
	s_xor_b32 s74, exec_lo, s74
; %bb.13288:                            ;   in Loop: Header=BB4_12924 Depth=3
	v_or_b32_e32 v74, 0x7f, v2
                                        ; implicit-def: $vgpr8
; %bb.13289:                            ;   in Loop: Header=BB4_12924 Depth=3
	s_and_not1_saveexec_b32 s74, s74
; %bb.13290:                            ;   in Loop: Header=BB4_12924 Depth=3
	v_cmp_lt_i32_e32 vcc_lo, -1, v8
	v_cndmask_b32_e32 v74, 0xfc, v49, vcc_lo
; %bb.13291:                            ;   in Loop: Header=BB4_12924 Depth=3
	s_or_b32 exec_lo, exec_lo, s74
.LBB4_13292:                            ;   in Loop: Header=BB4_12924 Depth=3
	s_delay_alu instid0(SALU_CYCLE_1) | instskip(SKIP_4) | instid1(VALU_DEP_3)
	s_or_b32 exec_lo, exec_lo, s13
	v_and_b32_e32 v8, 0xff, v11
	v_dual_mov_b32 v4, v11 :: v_dual_mov_b32 v5, v3
	v_mov_b32_e32 v2, 0
	s_mov_b32 s13, exec_lo
	v_cmpx_ne_u16_e32 0, v8
	s_cbranch_execz .LBB4_13302
; %bb.13293:                            ;   in Loop: Header=BB4_12924 Depth=3
	v_bfrev_b32_e32 v2, 1
	s_mov_b32 s74, exec_lo
	v_cmpx_ne_u16_e32 0x80, v8
	s_cbranch_execz .LBB4_13301
; %bb.13294:                            ;   in Loop: Header=BB4_12924 Depth=3
	v_and_b32_e32 v2, 0x7c, v11
	v_and_b32_e32 v8, 3, v11
	s_delay_alu instid0(VALU_DEP_2) | instskip(SKIP_1) | instid1(SALU_CYCLE_1)
	v_cmp_ne_u32_e32 vcc_lo, 0x7c, v2
                                        ; implicit-def: $vgpr2
	s_and_saveexec_b32 s75, vcc_lo
	s_xor_b32 s75, exec_lo, s75
	s_cbranch_execz .LBB4_13298
; %bb.13295:                            ;   in Loop: Header=BB4_12924 Depth=3
	v_bfe_u32 v2, v11, 2, 5
	s_mov_b32 s76, exec_lo
	s_delay_alu instid0(VALU_DEP_1)
	v_cmpx_eq_u32_e32 0, v2
; %bb.13296:                            ;   in Loop: Header=BB4_12924 Depth=3
	v_clz_i32_u32_e32 v2, v8
	s_delay_alu instid0(VALU_DEP_1) | instskip(NEXT) | instid1(VALU_DEP_1)
	v_min_u32_e32 v2, 32, v2
	v_subrev_nc_u32_e32 v8, 29, v2
	s_delay_alu instid0(VALU_DEP_1) | instskip(NEXT) | instid1(VALU_DEP_1)
	v_lshlrev_b64_e32 v[8:9], v8, v[4:5]
	v_dual_sub_nc_u32 v2, 30, v2 :: v_dual_bitop2_b32 v8, 3, v8 bitop3:0x40
; %bb.13297:                            ;   in Loop: Header=BB4_12924 Depth=3
	s_or_b32 exec_lo, exec_lo, s76
	v_lshlrev_b32_e32 v5, 24, v11
	s_delay_alu instid0(VALU_DEP_1) | instskip(NEXT) | instid1(VALU_DEP_1)
	v_and_b32_e32 v5, 0x80000000, v5
	v_lshl_add_u32 v2, v2, 23, v5
	s_delay_alu instid0(VALU_DEP_1) | instskip(NEXT) | instid1(VALU_DEP_1)
	v_lshl_or_b32 v2, v8, 21, v2
                                        ; implicit-def: $vgpr8
	v_add_nc_u32_e32 v2, 0x38000000, v2
.LBB4_13298:                            ;   in Loop: Header=BB4_12924 Depth=3
	s_and_not1_saveexec_b32 s75, s75
; %bb.13299:                            ;   in Loop: Header=BB4_12924 Depth=3
	v_bfe_i32 v2, v11, 0, 8
	s_delay_alu instid0(VALU_DEP_1) | instskip(SKIP_2) | instid1(VALU_DEP_2)
	v_cmp_lt_i16_e32 vcc_lo, -1, v2
	v_cndmask_b32_e32 v2, 0xff800000, v48, vcc_lo
	v_cmp_eq_u32_e32 vcc_lo, 0, v8
	v_cndmask_b32_e32 v2, 0x7f800001, v2, vcc_lo
; %bb.13300:                            ;   in Loop: Header=BB4_12924 Depth=3
	s_or_b32 exec_lo, exec_lo, s75
.LBB4_13301:                            ;   in Loop: Header=BB4_12924 Depth=3
	s_delay_alu instid0(SALU_CYCLE_1)
	s_or_b32 exec_lo, exec_lo, s74
.LBB4_13302:                            ;   in Loop: Header=BB4_12924 Depth=3
	s_delay_alu instid0(SALU_CYCLE_1) | instskip(NEXT) | instid1(VALU_DEP_1)
	s_or_b32 exec_lo, exec_lo, s13
	v_dual_mul_f32 v5, s73, v2 :: v_dual_mov_b32 v13, v3
	v_mov_b32_e32 v9, v3
                                        ; implicit-def: $vgpr56
	s_mov_b32 s13, exec_lo
	s_delay_alu instid0(VALU_DEP_2) | instskip(SKIP_2) | instid1(VALU_DEP_3)
	v_and_b32_e32 v12, 0x7f800000, v5
	v_and_b32_e32 v8, 0x7fffff, v5
	v_lshrrev_b32_e32 v2, 24, v5
	v_cmpx_ne_u64_e32 0x7f800000, v[12:13]
	s_xor_b32 s74, exec_lo, s13
	s_cbranch_execz .LBB4_13316
; %bb.13303:                            ;   in Loop: Header=BB4_12924 Depth=3
	v_and_b32_e32 v12, 0x7fffffff, v5
	v_mov_b32_e32 v13, v3
	v_and_b32_e32 v2, 0x80, v2
                                        ; implicit-def: $vgpr56
	s_mov_b32 s13, exec_lo
	s_delay_alu instid0(VALU_DEP_2)
	v_cmpx_gt_u64_e32 0x47600001, v[12:13]
	s_xor_b32 s75, exec_lo, s13
	s_cbranch_execz .LBB4_13313
; %bb.13304:                            ;   in Loop: Header=BB4_12924 Depth=3
	v_mov_b32_e32 v56, 0
	s_mov_b32 s76, exec_lo
	v_cmpx_ne_u32_e32 0, v5
	s_cbranch_execz .LBB4_13312
; %bb.13305:                            ;   in Loop: Header=BB4_12924 Depth=3
	v_bfe_u32 v5, v5, 23, 8
	v_or_b32_e32 v15, 0x800000, v8
	s_delay_alu instid0(VALU_DEP_2) | instskip(SKIP_1) | instid1(VALU_DEP_2)
	v_sub_nc_u32_e32 v12, 0x71, v5
	v_cmp_gt_u32_e32 vcc_lo, 0x72, v5
	v_cndmask_b32_e32 v12, 0, v12, vcc_lo
	v_cmp_eq_u32_e32 vcc_lo, 0, v5
	s_delay_alu instid0(VALU_DEP_2) | instskip(NEXT) | instid1(VALU_DEP_1)
	v_cndmask_b32_e64 v14, v12, 0x70, vcc_lo
	v_dual_cndmask_b32 v8, v15, v8, vcc_lo :: v_dual_add_nc_u32 v12, 21, v14
	v_add_nc_u32_e32 v30, 20, v14
	s_delay_alu instid0(VALU_DEP_2) | instskip(NEXT) | instid1(VALU_DEP_2)
	v_lshlrev_b64_e64 v[12:13], v12, -1
	v_lshlrev_b64_e64 v[30:31], v30, 1
	s_delay_alu instid0(VALU_DEP_2) | instskip(SKIP_1) | instid1(VALU_DEP_4)
	v_bfi_b32 v12, v12, 0, v8
	v_lshrrev_b64 v[8:9], v14, v[8:9]
	v_bfi_b32 v13, v13, 0, 0
	s_delay_alu instid0(VALU_DEP_1) | instskip(NEXT) | instid1(VALU_DEP_3)
	v_cmp_eq_u64_e64 s13, v[12:13], v[30:31]
	v_mov_b64_e32 v[12:13], v[8:9]
	s_and_saveexec_b32 s77, s13
; %bb.13306:                            ;   in Loop: Header=BB4_12924 Depth=3
	v_bfe_u32 v12, v8, 21, 1
	v_mov_b32_e32 v13, v3
	s_delay_alu instid0(VALU_DEP_1) | instskip(NEXT) | instid1(VALU_DEP_1)
	v_add_nc_u64_e32 v[12:13], v[8:9], v[12:13]
	v_add_nc_u64_e32 v[12:13], -1, v[12:13]
; %bb.13307:                            ;   in Loop: Header=BB4_12924 Depth=3
	s_or_b32 exec_lo, exec_lo, s77
	v_add_nc_u32_e32 v5, 0xffffff81, v5
	v_lshrrev_b32_e32 v9, 23, v8
	s_mov_b32 s13, exec_lo
	s_delay_alu instid0(VALU_DEP_2) | instskip(NEXT) | instid1(VALU_DEP_1)
	v_cndmask_b32_e64 v5, v5, 0xffffff82, vcc_lo
	v_add3_u32 v13, v14, v5, v9
	v_and_b32_e32 v5, 0x1fffff, v12
	s_delay_alu instid0(VALU_DEP_2) | instskip(NEXT) | instid1(VALU_DEP_2)
	v_dual_mov_b32 v9, v3 :: v_dual_add_nc_u32 v12, 14, v13
	v_add_nc_u32_e32 v8, v5, v8
                                        ; implicit-def: $vgpr5
	s_delay_alu instid0(VALU_DEP_2)
	v_cmpx_ne_u32_e32 0, v12
	s_xor_b32 s13, exec_lo, s13
; %bb.13308:                            ;   in Loop: Header=BB4_12924 Depth=3
	s_delay_alu instid0(VALU_DEP_2) | instskip(SKIP_1) | instid1(VALU_DEP_1)
	v_cmp_lt_u64_e32 vcc_lo, 0xffffff, v[8:9]
	v_add_nc_u32_e32 v5, 15, v13
	v_cndmask_b32_e32 v5, v12, v5, vcc_lo
	v_cndmask_b32_e64 v12, 0, 1, vcc_lo
	s_delay_alu instid0(VALU_DEP_1)
	v_lshrrev_b64 v[8:9], v12, v[8:9]
; %bb.13309:                            ;   in Loop: Header=BB4_12924 Depth=3
	s_and_not1_saveexec_b32 s13, s13
; %bb.13310:                            ;   in Loop: Header=BB4_12924 Depth=3
	s_delay_alu instid0(VALU_DEP_1)
	v_bfe_u32 v5, v8, 23, 1
; %bb.13311:                            ;   in Loop: Header=BB4_12924 Depth=3
	s_or_b32 exec_lo, exec_lo, s13
	s_delay_alu instid0(VALU_DEP_2) | instskip(NEXT) | instid1(VALU_DEP_2)
	v_lshrrev_b64 v[8:9], 21, v[8:9]
	v_cmp_gt_i32_e32 vcc_lo, 32, v5
	v_min_i32_e32 v12, 31, v5
	v_cmp_eq_u32_e64 s13, 0, v5
	s_delay_alu instid0(VALU_DEP_4) | instskip(NEXT) | instid1(VALU_DEP_3)
	v_cndmask_b32_e32 v8, 3, v8, vcc_lo
	v_dual_cndmask_b32 v9, 0, v9 :: v_dual_lshlrev_b32 v12, 2, v12
	s_delay_alu instid0(VALU_DEP_1) | instskip(NEXT) | instid1(VALU_DEP_2)
	v_and_b32_e32 v12, 0xfc, v12
	v_cmp_eq_u64_e32 vcc_lo, 0, v[8:9]
	s_delay_alu instid0(VALU_DEP_2)
	v_and_or_b32 v5, v8, 3, v12
	s_and_b32 s13, s13, vcc_lo
	s_delay_alu instid0(VALU_DEP_1) | instid1(SALU_CYCLE_1)
	v_cndmask_b32_e64 v5, v5, 0, s13
	s_delay_alu instid0(VALU_DEP_1)
	v_or_b32_e32 v56, v5, v2
.LBB4_13312:                            ;   in Loop: Header=BB4_12924 Depth=3
	s_or_b32 exec_lo, exec_lo, s76
                                        ; implicit-def: $vgpr2
.LBB4_13313:                            ;   in Loop: Header=BB4_12924 Depth=3
	s_and_not1_saveexec_b32 s13, s75
; %bb.13314:                            ;   in Loop: Header=BB4_12924 Depth=3
	v_or_b32_e32 v56, 0x7b, v2
; %bb.13315:                            ;   in Loop: Header=BB4_12924 Depth=3
	s_or_b32 exec_lo, exec_lo, s13
                                        ; implicit-def: $vgpr5
                                        ; implicit-def: $vgpr8_vgpr9
                                        ; implicit-def: $vgpr2
.LBB4_13316:                            ;   in Loop: Header=BB4_12924 Depth=3
	s_and_not1_saveexec_b32 s13, s74
	s_cbranch_execz .LBB4_13322
; %bb.13317:                            ;   in Loop: Header=BB4_12924 Depth=3
	s_mov_b32 s74, exec_lo
                                        ; implicit-def: $vgpr56
	v_cmpx_ne_u64_e32 0, v[8:9]
	s_xor_b32 s74, exec_lo, s74
; %bb.13318:                            ;   in Loop: Header=BB4_12924 Depth=3
	v_or_b32_e32 v56, 0x7f, v2
                                        ; implicit-def: $vgpr5
; %bb.13319:                            ;   in Loop: Header=BB4_12924 Depth=3
	s_and_not1_saveexec_b32 s74, s74
; %bb.13320:                            ;   in Loop: Header=BB4_12924 Depth=3
	v_cmp_lt_i32_e32 vcc_lo, -1, v5
	v_cndmask_b32_e32 v56, 0xfc, v49, vcc_lo
; %bb.13321:                            ;   in Loop: Header=BB4_12924 Depth=3
	s_or_b32 exec_lo, exec_lo, s74
.LBB4_13322:                            ;   in Loop: Header=BB4_12924 Depth=3
	s_delay_alu instid0(SALU_CYCLE_1) | instskip(SKIP_3) | instid1(VALU_DEP_2)
	s_or_b32 exec_lo, exec_lo, s13
	v_lshrrev_b16 v8, 8, v4
	v_mov_b32_e32 v9, 0
	s_mov_b32 s13, exec_lo
	v_cmpx_ne_u16_e32 0, v8
	s_cbranch_execz .LBB4_13332
; %bb.13323:                            ;   in Loop: Header=BB4_12924 Depth=3
	v_bfrev_b32_e32 v9, 1
	s_mov_b32 s74, exec_lo
	v_cmpx_ne_u16_e32 0x80, v8
	s_cbranch_execz .LBB4_13331
; %bb.13324:                            ;   in Loop: Header=BB4_12924 Depth=3
	v_and_b32_e32 v5, 0xffff, v8
	s_delay_alu instid0(VALU_DEP_1) | instskip(SKIP_1) | instid1(VALU_DEP_2)
	v_and_b32_e32 v9, 0x7c, v5
	v_and_b32_e32 v2, 3, v5
	v_cmp_ne_u32_e32 vcc_lo, 0x7c, v9
                                        ; implicit-def: $vgpr9
	s_and_saveexec_b32 s75, vcc_lo
	s_delay_alu instid0(SALU_CYCLE_1)
	s_xor_b32 s75, exec_lo, s75
	s_cbranch_execz .LBB4_13328
; %bb.13325:                            ;   in Loop: Header=BB4_12924 Depth=3
	v_bfe_u32 v5, v5, 2, 5
	s_mov_b32 s76, exec_lo
	s_delay_alu instid0(VALU_DEP_1)
	v_cmpx_eq_u32_e32 0, v5
; %bb.13326:                            ;   in Loop: Header=BB4_12924 Depth=3
	v_clz_i32_u32_e32 v2, v2
	s_delay_alu instid0(VALU_DEP_1) | instskip(SKIP_1) | instid1(VALU_DEP_2)
	v_min_u32_e32 v2, 32, v2
	v_mov_b32_e32 v9, v3
	v_subrev_nc_u32_e32 v5, 29, v2
	s_delay_alu instid0(VALU_DEP_1) | instskip(NEXT) | instid1(VALU_DEP_1)
	v_lshlrev_b64_e32 v[8:9], v5, v[8:9]
	v_dual_sub_nc_u32 v5, 30, v2 :: v_dual_bitop2_b32 v2, 3, v8 bitop3:0x40
; %bb.13327:                            ;   in Loop: Header=BB4_12924 Depth=3
	s_or_b32 exec_lo, exec_lo, s76
	v_lshlrev_b32_e32 v4, 16, v4
	s_delay_alu instid0(VALU_DEP_1) | instskip(NEXT) | instid1(VALU_DEP_1)
	v_and_b32_e32 v4, 0x80000000, v4
	v_lshl_add_u32 v4, v5, 23, v4
	s_delay_alu instid0(VALU_DEP_1) | instskip(NEXT) | instid1(VALU_DEP_1)
	v_lshl_or_b32 v2, v2, 21, v4
                                        ; implicit-def: $vgpr4_vgpr5
	v_add_nc_u32_e32 v9, 0x38000000, v2
                                        ; implicit-def: $vgpr2
.LBB4_13328:                            ;   in Loop: Header=BB4_12924 Depth=3
	s_and_not1_saveexec_b32 s75, s75
; %bb.13329:                            ;   in Loop: Header=BB4_12924 Depth=3
	v_cmp_lt_i16_e32 vcc_lo, -1, v4
	v_cndmask_b32_e32 v4, 0xff800000, v48, vcc_lo
	v_cmp_eq_u32_e32 vcc_lo, 0, v2
	s_delay_alu instid0(VALU_DEP_2)
	v_cndmask_b32_e32 v9, 0x7f800001, v4, vcc_lo
; %bb.13330:                            ;   in Loop: Header=BB4_12924 Depth=3
	s_or_b32 exec_lo, exec_lo, s75
.LBB4_13331:                            ;   in Loop: Header=BB4_12924 Depth=3
	s_delay_alu instid0(SALU_CYCLE_1)
	s_or_b32 exec_lo, exec_lo, s74
.LBB4_13332:                            ;   in Loop: Header=BB4_12924 Depth=3
	s_delay_alu instid0(SALU_CYCLE_1) | instskip(NEXT) | instid1(VALU_DEP_1)
	s_or_b32 exec_lo, exec_lo, s13
	v_dual_mul_f32 v8, s73, v9 :: v_dual_mov_b32 v13, v3
	v_mov_b32_e32 v5, v3
                                        ; implicit-def: $vgpr59
	s_mov_b32 s13, exec_lo
	s_delay_alu instid0(VALU_DEP_2) | instskip(SKIP_2) | instid1(VALU_DEP_3)
	v_and_b32_e32 v12, 0x7f800000, v8
	v_and_b32_e32 v4, 0x7fffff, v8
	v_lshrrev_b32_e32 v2, 24, v8
	v_cmpx_ne_u64_e32 0x7f800000, v[12:13]
	s_xor_b32 s74, exec_lo, s13
	s_cbranch_execz .LBB4_13346
; %bb.13333:                            ;   in Loop: Header=BB4_12924 Depth=3
	v_and_b32_e32 v12, 0x7fffffff, v8
	v_mov_b32_e32 v13, v3
	v_and_b32_e32 v2, 0x80, v2
                                        ; implicit-def: $vgpr59
	s_mov_b32 s13, exec_lo
	s_delay_alu instid0(VALU_DEP_2)
	v_cmpx_gt_u64_e32 0x47600001, v[12:13]
	s_xor_b32 s75, exec_lo, s13
	s_cbranch_execz .LBB4_13343
; %bb.13334:                            ;   in Loop: Header=BB4_12924 Depth=3
	v_mov_b32_e32 v59, 0
	s_mov_b32 s76, exec_lo
	v_cmpx_ne_u32_e32 0, v8
	s_cbranch_execz .LBB4_13342
; %bb.13335:                            ;   in Loop: Header=BB4_12924 Depth=3
	v_bfe_u32 v12, v8, 23, 8
	v_or_b32_e32 v14, 0x800000, v4
	s_delay_alu instid0(VALU_DEP_2) | instskip(SKIP_1) | instid1(VALU_DEP_2)
	v_sub_nc_u32_e32 v8, 0x71, v12
	v_cmp_gt_u32_e32 vcc_lo, 0x72, v12
	v_cndmask_b32_e32 v8, 0, v8, vcc_lo
	v_cmp_eq_u32_e32 vcc_lo, 0, v12
	s_delay_alu instid0(VALU_DEP_2) | instskip(NEXT) | instid1(VALU_DEP_1)
	v_cndmask_b32_e64 v13, v8, 0x70, vcc_lo
	v_dual_cndmask_b32 v4, v14, v4, vcc_lo :: v_dual_add_nc_u32 v8, 21, v13
	v_add_nc_u32_e32 v15, 20, v13
	s_delay_alu instid0(VALU_DEP_2) | instskip(NEXT) | instid1(VALU_DEP_2)
	v_lshlrev_b64_e64 v[8:9], v8, -1
	v_lshlrev_b64_e64 v[14:15], v15, 1
	s_delay_alu instid0(VALU_DEP_2) | instskip(SKIP_1) | instid1(VALU_DEP_4)
	v_bfi_b32 v8, v8, 0, v4
	v_lshrrev_b64 v[4:5], v13, v[4:5]
	v_bfi_b32 v9, v9, 0, 0
	s_delay_alu instid0(VALU_DEP_1) | instskip(NEXT) | instid1(VALU_DEP_3)
	v_cmp_eq_u64_e64 s13, v[8:9], v[14:15]
	v_mov_b64_e32 v[8:9], v[4:5]
	s_and_saveexec_b32 s77, s13
; %bb.13336:                            ;   in Loop: Header=BB4_12924 Depth=3
	v_bfe_u32 v8, v4, 21, 1
	v_mov_b32_e32 v9, v3
	s_delay_alu instid0(VALU_DEP_1) | instskip(NEXT) | instid1(VALU_DEP_1)
	v_add_nc_u64_e32 v[8:9], v[4:5], v[8:9]
	v_add_nc_u64_e32 v[8:9], -1, v[8:9]
; %bb.13337:                            ;   in Loop: Header=BB4_12924 Depth=3
	s_or_b32 exec_lo, exec_lo, s77
	v_add_nc_u32_e32 v5, 0xffffff81, v12
	v_lshrrev_b32_e32 v9, 23, v4
	s_mov_b32 s13, exec_lo
	s_delay_alu instid0(VALU_DEP_2) | instskip(NEXT) | instid1(VALU_DEP_1)
	v_cndmask_b32_e64 v5, v5, 0xffffff82, vcc_lo
	v_add3_u32 v9, v13, v5, v9
	v_and_b32_e32 v5, 0x1fffff, v8
                                        ; implicit-def: $vgpr8
	s_delay_alu instid0(VALU_DEP_1) | instskip(SKIP_1) | instid1(VALU_DEP_2)
	v_dual_add_nc_u32 v12, 14, v9 :: v_dual_add_nc_u32 v4, v5, v4
	v_mov_b32_e32 v5, v3
	v_cmpx_ne_u32_e32 0, v12
	s_xor_b32 s13, exec_lo, s13
; %bb.13338:                            ;   in Loop: Header=BB4_12924 Depth=3
	s_delay_alu instid0(VALU_DEP_2) | instskip(SKIP_2) | instid1(VALU_DEP_2)
	v_cmp_lt_u64_e32 vcc_lo, 0xffffff, v[4:5]
	v_add_nc_u32_e32 v8, 15, v9
	v_cndmask_b32_e64 v9, 0, 1, vcc_lo
	v_cndmask_b32_e32 v8, v12, v8, vcc_lo
	s_delay_alu instid0(VALU_DEP_2)
	v_lshrrev_b64 v[4:5], v9, v[4:5]
; %bb.13339:                            ;   in Loop: Header=BB4_12924 Depth=3
	s_and_not1_saveexec_b32 s13, s13
; %bb.13340:                            ;   in Loop: Header=BB4_12924 Depth=3
	s_delay_alu instid0(VALU_DEP_1)
	v_bfe_u32 v8, v4, 23, 1
; %bb.13341:                            ;   in Loop: Header=BB4_12924 Depth=3
	s_or_b32 exec_lo, exec_lo, s13
	s_delay_alu instid0(VALU_DEP_2) | instskip(NEXT) | instid1(VALU_DEP_2)
	v_lshrrev_b64 v[4:5], 21, v[4:5]
	v_cmp_gt_i32_e32 vcc_lo, 32, v8
	v_min_i32_e32 v9, 31, v8
	v_cmp_eq_u32_e64 s13, 0, v8
	s_delay_alu instid0(VALU_DEP_4) | instskip(NEXT) | instid1(VALU_DEP_3)
	v_cndmask_b32_e32 v5, 0, v5, vcc_lo
	v_dual_cndmask_b32 v4, 3, v4 :: v_dual_lshlrev_b32 v9, 2, v9
	s_delay_alu instid0(VALU_DEP_1) | instskip(NEXT) | instid1(VALU_DEP_2)
	v_and_b32_e32 v9, 0xfc, v9
	v_cmp_eq_u64_e32 vcc_lo, 0, v[4:5]
	s_delay_alu instid0(VALU_DEP_2)
	v_and_or_b32 v4, v4, 3, v9
	s_and_b32 s13, s13, vcc_lo
	s_delay_alu instid0(VALU_DEP_1) | instid1(SALU_CYCLE_1)
	v_cndmask_b32_e64 v4, v4, 0, s13
	s_delay_alu instid0(VALU_DEP_1)
	v_or_b32_e32 v59, v4, v2
.LBB4_13342:                            ;   in Loop: Header=BB4_12924 Depth=3
	s_or_b32 exec_lo, exec_lo, s76
                                        ; implicit-def: $vgpr2
.LBB4_13343:                            ;   in Loop: Header=BB4_12924 Depth=3
	s_and_not1_saveexec_b32 s13, s75
; %bb.13344:                            ;   in Loop: Header=BB4_12924 Depth=3
	v_or_b32_e32 v59, 0x7b, v2
; %bb.13345:                            ;   in Loop: Header=BB4_12924 Depth=3
	s_or_b32 exec_lo, exec_lo, s13
                                        ; implicit-def: $vgpr8
                                        ; implicit-def: $vgpr4_vgpr5
                                        ; implicit-def: $vgpr2
.LBB4_13346:                            ;   in Loop: Header=BB4_12924 Depth=3
	s_and_not1_saveexec_b32 s13, s74
	s_cbranch_execz .LBB4_13352
; %bb.13347:                            ;   in Loop: Header=BB4_12924 Depth=3
	s_mov_b32 s74, exec_lo
                                        ; implicit-def: $vgpr59
	v_cmpx_ne_u64_e32 0, v[4:5]
	s_xor_b32 s74, exec_lo, s74
; %bb.13348:                            ;   in Loop: Header=BB4_12924 Depth=3
	v_or_b32_e32 v59, 0x7f, v2
                                        ; implicit-def: $vgpr8
; %bb.13349:                            ;   in Loop: Header=BB4_12924 Depth=3
	s_and_not1_saveexec_b32 s74, s74
; %bb.13350:                            ;   in Loop: Header=BB4_12924 Depth=3
	v_cmp_lt_i32_e32 vcc_lo, -1, v8
	v_cndmask_b32_e32 v59, 0xfc, v49, vcc_lo
; %bb.13351:                            ;   in Loop: Header=BB4_12924 Depth=3
	s_or_b32 exec_lo, exec_lo, s74
.LBB4_13352:                            ;   in Loop: Header=BB4_12924 Depth=3
	s_delay_alu instid0(SALU_CYCLE_1) | instskip(SKIP_2) | instid1(VALU_DEP_1)
	s_or_b32 exec_lo, exec_lo, s13
	v_dual_lshrrev_b32 v2, 16, v11 :: v_dual_mov_b32 v4, 0
	s_mov_b32 s13, exec_lo
	v_and_b32_e32 v5, 0xff, v2
	s_delay_alu instid0(VALU_DEP_1)
	v_cmpx_ne_u16_e32 0, v5
	s_cbranch_execz .LBB4_13362
; %bb.13353:                            ;   in Loop: Header=BB4_12924 Depth=3
	v_bfrev_b32_e32 v4, 1
	s_mov_b32 s74, exec_lo
	v_cmpx_ne_u16_e32 0x80, v5
	s_cbranch_execz .LBB4_13361
; %bb.13354:                            ;   in Loop: Header=BB4_12924 Depth=3
	v_and_b32_e32 v4, 0x7c0000, v11
	v_bfe_u32 v5, v11, 16, 2
	s_delay_alu instid0(VALU_DEP_2) | instskip(SKIP_1) | instid1(SALU_CYCLE_1)
	v_cmp_ne_u32_e32 vcc_lo, 0x7c0000, v4
                                        ; implicit-def: $vgpr4
	s_and_saveexec_b32 s75, vcc_lo
	s_xor_b32 s75, exec_lo, s75
	s_cbranch_execz .LBB4_13358
; %bb.13355:                            ;   in Loop: Header=BB4_12924 Depth=3
	v_bfe_u32 v4, v11, 18, 5
	s_mov_b32 s76, exec_lo
	s_delay_alu instid0(VALU_DEP_1)
	v_cmpx_eq_u32_e32 0, v4
; %bb.13356:                            ;   in Loop: Header=BB4_12924 Depth=3
	v_clz_i32_u32_e32 v4, v5
	s_delay_alu instid0(VALU_DEP_1) | instskip(NEXT) | instid1(VALU_DEP_1)
	v_min_u32_e32 v4, 32, v4
	v_subrev_nc_u32_e32 v5, 29, v4
	v_sub_nc_u32_e32 v4, 30, v4
	s_delay_alu instid0(VALU_DEP_2) | instskip(NEXT) | instid1(VALU_DEP_1)
	v_lshlrev_b64_e32 v[8:9], v5, v[2:3]
	v_and_b32_e32 v5, 3, v8
; %bb.13357:                            ;   in Loop: Header=BB4_12924 Depth=3
	s_or_b32 exec_lo, exec_lo, s76
	v_lshlrev_b32_e32 v2, 24, v2
	s_delay_alu instid0(VALU_DEP_1) | instskip(NEXT) | instid1(VALU_DEP_1)
	v_and_b32_e32 v2, 0x80000000, v2
	v_lshl_add_u32 v2, v4, 23, v2
	s_delay_alu instid0(VALU_DEP_1) | instskip(NEXT) | instid1(VALU_DEP_1)
	v_lshl_or_b32 v2, v5, 21, v2
                                        ; implicit-def: $vgpr5
	v_add_nc_u32_e32 v4, 0x38000000, v2
                                        ; implicit-def: $vgpr2
.LBB4_13358:                            ;   in Loop: Header=BB4_12924 Depth=3
	s_and_not1_saveexec_b32 s75, s75
; %bb.13359:                            ;   in Loop: Header=BB4_12924 Depth=3
	v_bfe_i32 v2, v2, 0, 8
	s_delay_alu instid0(VALU_DEP_1) | instskip(SKIP_2) | instid1(VALU_DEP_2)
	v_cmp_lt_i16_e32 vcc_lo, -1, v2
	v_cndmask_b32_e32 v2, 0xff800000, v48, vcc_lo
	v_cmp_eq_u32_e32 vcc_lo, 0, v5
	v_cndmask_b32_e32 v4, 0x7f800001, v2, vcc_lo
; %bb.13360:                            ;   in Loop: Header=BB4_12924 Depth=3
	s_or_b32 exec_lo, exec_lo, s75
.LBB4_13361:                            ;   in Loop: Header=BB4_12924 Depth=3
	s_delay_alu instid0(SALU_CYCLE_1)
	s_or_b32 exec_lo, exec_lo, s74
.LBB4_13362:                            ;   in Loop: Header=BB4_12924 Depth=3
	s_delay_alu instid0(SALU_CYCLE_1) | instskip(NEXT) | instid1(VALU_DEP_1)
	s_or_b32 exec_lo, exec_lo, s13
	v_dual_mul_f32 v8, s73, v4 :: v_dual_mov_b32 v13, v3
	v_mov_b32_e32 v5, v3
                                        ; implicit-def: $vgpr62
	s_mov_b32 s13, exec_lo
	s_delay_alu instid0(VALU_DEP_2) | instskip(SKIP_2) | instid1(VALU_DEP_3)
	v_and_b32_e32 v12, 0x7f800000, v8
	v_and_b32_e32 v4, 0x7fffff, v8
	v_lshrrev_b32_e32 v2, 24, v8
	v_cmpx_ne_u64_e32 0x7f800000, v[12:13]
	s_xor_b32 s74, exec_lo, s13
	s_cbranch_execz .LBB4_13376
; %bb.13363:                            ;   in Loop: Header=BB4_12924 Depth=3
	v_and_b32_e32 v12, 0x7fffffff, v8
	v_mov_b32_e32 v13, v3
	v_and_b32_e32 v2, 0x80, v2
                                        ; implicit-def: $vgpr62
	s_mov_b32 s13, exec_lo
	s_delay_alu instid0(VALU_DEP_2)
	v_cmpx_gt_u64_e32 0x47600001, v[12:13]
	s_xor_b32 s75, exec_lo, s13
	s_cbranch_execz .LBB4_13373
; %bb.13364:                            ;   in Loop: Header=BB4_12924 Depth=3
	v_mov_b32_e32 v62, 0
	s_mov_b32 s76, exec_lo
	v_cmpx_ne_u32_e32 0, v8
	s_cbranch_execz .LBB4_13372
; %bb.13365:                            ;   in Loop: Header=BB4_12924 Depth=3
	v_bfe_u32 v12, v8, 23, 8
	v_or_b32_e32 v14, 0x800000, v4
	s_delay_alu instid0(VALU_DEP_2) | instskip(SKIP_1) | instid1(VALU_DEP_2)
	v_sub_nc_u32_e32 v8, 0x71, v12
	v_cmp_gt_u32_e32 vcc_lo, 0x72, v12
	v_cndmask_b32_e32 v8, 0, v8, vcc_lo
	v_cmp_eq_u32_e32 vcc_lo, 0, v12
	s_delay_alu instid0(VALU_DEP_2) | instskip(NEXT) | instid1(VALU_DEP_1)
	v_cndmask_b32_e64 v13, v8, 0x70, vcc_lo
	v_dual_cndmask_b32 v4, v14, v4, vcc_lo :: v_dual_add_nc_u32 v8, 21, v13
	v_add_nc_u32_e32 v15, 20, v13
	s_delay_alu instid0(VALU_DEP_2) | instskip(NEXT) | instid1(VALU_DEP_2)
	v_lshlrev_b64_e64 v[8:9], v8, -1
	v_lshlrev_b64_e64 v[14:15], v15, 1
	s_delay_alu instid0(VALU_DEP_2) | instskip(SKIP_1) | instid1(VALU_DEP_4)
	v_bfi_b32 v8, v8, 0, v4
	v_lshrrev_b64 v[4:5], v13, v[4:5]
	v_bfi_b32 v9, v9, 0, 0
	s_delay_alu instid0(VALU_DEP_1) | instskip(NEXT) | instid1(VALU_DEP_3)
	v_cmp_eq_u64_e64 s13, v[8:9], v[14:15]
	v_mov_b64_e32 v[8:9], v[4:5]
	s_and_saveexec_b32 s77, s13
; %bb.13366:                            ;   in Loop: Header=BB4_12924 Depth=3
	v_bfe_u32 v8, v4, 21, 1
	v_mov_b32_e32 v9, v3
	s_delay_alu instid0(VALU_DEP_1) | instskip(NEXT) | instid1(VALU_DEP_1)
	v_add_nc_u64_e32 v[8:9], v[4:5], v[8:9]
	v_add_nc_u64_e32 v[8:9], -1, v[8:9]
; %bb.13367:                            ;   in Loop: Header=BB4_12924 Depth=3
	s_or_b32 exec_lo, exec_lo, s77
	v_add_nc_u32_e32 v5, 0xffffff81, v12
	v_lshrrev_b32_e32 v9, 23, v4
	s_mov_b32 s13, exec_lo
	s_delay_alu instid0(VALU_DEP_2) | instskip(NEXT) | instid1(VALU_DEP_1)
	v_cndmask_b32_e64 v5, v5, 0xffffff82, vcc_lo
	v_add3_u32 v9, v13, v5, v9
	v_and_b32_e32 v5, 0x1fffff, v8
                                        ; implicit-def: $vgpr8
	s_delay_alu instid0(VALU_DEP_1) | instskip(SKIP_1) | instid1(VALU_DEP_2)
	v_dual_add_nc_u32 v12, 14, v9 :: v_dual_add_nc_u32 v4, v5, v4
	v_mov_b32_e32 v5, v3
	v_cmpx_ne_u32_e32 0, v12
	s_xor_b32 s13, exec_lo, s13
; %bb.13368:                            ;   in Loop: Header=BB4_12924 Depth=3
	s_delay_alu instid0(VALU_DEP_2) | instskip(SKIP_2) | instid1(VALU_DEP_2)
	v_cmp_lt_u64_e32 vcc_lo, 0xffffff, v[4:5]
	v_add_nc_u32_e32 v8, 15, v9
	v_cndmask_b32_e64 v9, 0, 1, vcc_lo
	v_cndmask_b32_e32 v8, v12, v8, vcc_lo
	s_delay_alu instid0(VALU_DEP_2)
	v_lshrrev_b64 v[4:5], v9, v[4:5]
; %bb.13369:                            ;   in Loop: Header=BB4_12924 Depth=3
	s_and_not1_saveexec_b32 s13, s13
; %bb.13370:                            ;   in Loop: Header=BB4_12924 Depth=3
	s_delay_alu instid0(VALU_DEP_1)
	v_bfe_u32 v8, v4, 23, 1
; %bb.13371:                            ;   in Loop: Header=BB4_12924 Depth=3
	s_or_b32 exec_lo, exec_lo, s13
	s_delay_alu instid0(VALU_DEP_2) | instskip(NEXT) | instid1(VALU_DEP_2)
	v_lshrrev_b64 v[4:5], 21, v[4:5]
	v_cmp_gt_i32_e32 vcc_lo, 32, v8
	v_min_i32_e32 v9, 31, v8
	v_cmp_eq_u32_e64 s13, 0, v8
	s_delay_alu instid0(VALU_DEP_4) | instskip(NEXT) | instid1(VALU_DEP_3)
	v_cndmask_b32_e32 v5, 0, v5, vcc_lo
	v_dual_cndmask_b32 v4, 3, v4 :: v_dual_lshlrev_b32 v9, 2, v9
	s_delay_alu instid0(VALU_DEP_1) | instskip(NEXT) | instid1(VALU_DEP_2)
	v_and_b32_e32 v9, 0xfc, v9
	v_cmp_eq_u64_e32 vcc_lo, 0, v[4:5]
	s_delay_alu instid0(VALU_DEP_2)
	v_and_or_b32 v4, v4, 3, v9
	s_and_b32 s13, s13, vcc_lo
	s_delay_alu instid0(VALU_DEP_1) | instid1(SALU_CYCLE_1)
	v_cndmask_b32_e64 v4, v4, 0, s13
	s_delay_alu instid0(VALU_DEP_1)
	v_or_b32_e32 v62, v4, v2
.LBB4_13372:                            ;   in Loop: Header=BB4_12924 Depth=3
	s_or_b32 exec_lo, exec_lo, s76
                                        ; implicit-def: $vgpr2
.LBB4_13373:                            ;   in Loop: Header=BB4_12924 Depth=3
	s_and_not1_saveexec_b32 s13, s75
; %bb.13374:                            ;   in Loop: Header=BB4_12924 Depth=3
	v_or_b32_e32 v62, 0x7b, v2
; %bb.13375:                            ;   in Loop: Header=BB4_12924 Depth=3
	s_or_b32 exec_lo, exec_lo, s13
                                        ; implicit-def: $vgpr8
                                        ; implicit-def: $vgpr4_vgpr5
                                        ; implicit-def: $vgpr2
.LBB4_13376:                            ;   in Loop: Header=BB4_12924 Depth=3
	s_and_not1_saveexec_b32 s13, s74
	s_cbranch_execz .LBB4_13382
; %bb.13377:                            ;   in Loop: Header=BB4_12924 Depth=3
	s_mov_b32 s74, exec_lo
                                        ; implicit-def: $vgpr62
	v_cmpx_ne_u64_e32 0, v[4:5]
	s_xor_b32 s74, exec_lo, s74
; %bb.13378:                            ;   in Loop: Header=BB4_12924 Depth=3
	v_or_b32_e32 v62, 0x7f, v2
                                        ; implicit-def: $vgpr8
; %bb.13379:                            ;   in Loop: Header=BB4_12924 Depth=3
	s_and_not1_saveexec_b32 s74, s74
; %bb.13380:                            ;   in Loop: Header=BB4_12924 Depth=3
	v_cmp_lt_i32_e32 vcc_lo, -1, v8
	v_cndmask_b32_e32 v62, 0xfc, v49, vcc_lo
; %bb.13381:                            ;   in Loop: Header=BB4_12924 Depth=3
	s_or_b32 exec_lo, exec_lo, s74
.LBB4_13382:                            ;   in Loop: Header=BB4_12924 Depth=3
	s_delay_alu instid0(SALU_CYCLE_1)
	s_or_b32 exec_lo, exec_lo, s13
	v_mov_b32_e32 v4, 0
	s_mov_b32 s13, exec_lo
	v_cmpx_lt_u64_e64 s[22:23], v[10:11]
	s_cbranch_execz .LBB4_13392
; %bb.13383:                            ;   in Loop: Header=BB4_12924 Depth=3
	v_lshrrev_b32_e32 v2, 24, v11
	v_bfrev_b32_e32 v4, 1
	s_mov_b32 s74, exec_lo
	s_delay_alu instid0(VALU_DEP_2)
	v_cmpx_ne_u32_e32 0x80, v2
	s_cbranch_execz .LBB4_13391
; %bb.13384:                            ;   in Loop: Header=BB4_12924 Depth=3
	v_and_b32_e32 v4, 0x7c000000, v11
	v_bfe_u32 v5, v11, 24, 2
	s_delay_alu instid0(VALU_DEP_2) | instskip(SKIP_1) | instid1(SALU_CYCLE_1)
	v_cmp_ne_u32_e32 vcc_lo, 0x7c000000, v4
                                        ; implicit-def: $vgpr4
	s_and_saveexec_b32 s75, vcc_lo
	s_xor_b32 s75, exec_lo, s75
	s_cbranch_execz .LBB4_13388
; %bb.13385:                            ;   in Loop: Header=BB4_12924 Depth=3
	v_bfe_u32 v4, v11, 26, 5
	s_mov_b32 s76, exec_lo
	s_delay_alu instid0(VALU_DEP_1)
	v_cmpx_eq_u32_e32 0, v4
; %bb.13386:                            ;   in Loop: Header=BB4_12924 Depth=3
	v_clz_i32_u32_e32 v4, v5
	s_delay_alu instid0(VALU_DEP_1) | instskip(NEXT) | instid1(VALU_DEP_1)
	v_min_u32_e32 v4, 32, v4
	v_subrev_nc_u32_e32 v5, 29, v4
	v_sub_nc_u32_e32 v4, 30, v4
	s_delay_alu instid0(VALU_DEP_2) | instskip(NEXT) | instid1(VALU_DEP_1)
	v_lshlrev_b64_e32 v[8:9], v5, v[2:3]
	v_and_b32_e32 v5, 3, v8
; %bb.13387:                            ;   in Loop: Header=BB4_12924 Depth=3
	s_or_b32 exec_lo, exec_lo, s76
	v_and_b32_e32 v2, 0x80000000, v11
                                        ; implicit-def: $vgpr10_vgpr11
	s_delay_alu instid0(VALU_DEP_1) | instskip(NEXT) | instid1(VALU_DEP_1)
	v_lshl_add_u32 v2, v4, 23, v2
	v_lshl_or_b32 v2, v5, 21, v2
                                        ; implicit-def: $vgpr5
	s_delay_alu instid0(VALU_DEP_1)
	v_add_nc_u32_e32 v4, 0x38000000, v2
.LBB4_13388:                            ;   in Loop: Header=BB4_12924 Depth=3
	s_and_not1_saveexec_b32 s75, s75
; %bb.13389:                            ;   in Loop: Header=BB4_12924 Depth=3
	v_cmp_lt_i64_e32 vcc_lo, -1, v[10:11]
	v_cndmask_b32_e32 v2, 0xff800000, v48, vcc_lo
	v_cmp_eq_u32_e32 vcc_lo, 0, v5
	s_delay_alu instid0(VALU_DEP_2)
	v_cndmask_b32_e32 v4, 0x7f800001, v2, vcc_lo
; %bb.13390:                            ;   in Loop: Header=BB4_12924 Depth=3
	s_or_b32 exec_lo, exec_lo, s75
.LBB4_13391:                            ;   in Loop: Header=BB4_12924 Depth=3
	s_delay_alu instid0(SALU_CYCLE_1)
	s_or_b32 exec_lo, exec_lo, s74
.LBB4_13392:                            ;   in Loop: Header=BB4_12924 Depth=3
	s_delay_alu instid0(SALU_CYCLE_1) | instskip(NEXT) | instid1(VALU_DEP_1)
	s_or_b32 exec_lo, exec_lo, s13
	v_dual_mul_f32 v8, s73, v4 :: v_dual_mov_b32 v11, v3
	v_mov_b32_e32 v5, v3
                                        ; implicit-def: $vgpr72
	s_mov_b32 s13, exec_lo
	s_delay_alu instid0(VALU_DEP_2) | instskip(SKIP_2) | instid1(VALU_DEP_3)
	v_and_b32_e32 v10, 0x7f800000, v8
	v_and_b32_e32 v4, 0x7fffff, v8
	v_lshrrev_b32_e32 v2, 24, v8
	v_cmpx_ne_u64_e32 0x7f800000, v[10:11]
	s_xor_b32 s74, exec_lo, s13
	s_cbranch_execz .LBB4_13406
; %bb.13393:                            ;   in Loop: Header=BB4_12924 Depth=3
	v_and_b32_e32 v10, 0x7fffffff, v8
	v_mov_b32_e32 v11, v3
	v_and_b32_e32 v2, 0x80, v2
                                        ; implicit-def: $vgpr72
	s_mov_b32 s13, exec_lo
	s_delay_alu instid0(VALU_DEP_2)
	v_cmpx_gt_u64_e32 0x47600001, v[10:11]
	s_xor_b32 s75, exec_lo, s13
	s_cbranch_execz .LBB4_13403
; %bb.13394:                            ;   in Loop: Header=BB4_12924 Depth=3
	v_mov_b32_e32 v72, 0
	s_mov_b32 s76, exec_lo
	v_cmpx_ne_u32_e32 0, v8
	s_cbranch_execz .LBB4_13402
; %bb.13395:                            ;   in Loop: Header=BB4_12924 Depth=3
	v_bfe_u32 v10, v8, 23, 8
	v_or_b32_e32 v12, 0x800000, v4
	s_delay_alu instid0(VALU_DEP_2) | instskip(SKIP_1) | instid1(VALU_DEP_2)
	v_sub_nc_u32_e32 v8, 0x71, v10
	v_cmp_gt_u32_e32 vcc_lo, 0x72, v10
	v_cndmask_b32_e32 v8, 0, v8, vcc_lo
	v_cmp_eq_u32_e32 vcc_lo, 0, v10
	s_delay_alu instid0(VALU_DEP_2) | instskip(NEXT) | instid1(VALU_DEP_1)
	v_cndmask_b32_e64 v11, v8, 0x70, vcc_lo
	v_dual_cndmask_b32 v4, v12, v4, vcc_lo :: v_dual_add_nc_u32 v8, 21, v11
	v_add_nc_u32_e32 v13, 20, v11
	s_delay_alu instid0(VALU_DEP_2) | instskip(NEXT) | instid1(VALU_DEP_2)
	v_lshlrev_b64_e64 v[8:9], v8, -1
	v_lshlrev_b64_e64 v[12:13], v13, 1
	s_delay_alu instid0(VALU_DEP_2) | instskip(SKIP_1) | instid1(VALU_DEP_4)
	v_bfi_b32 v8, v8, 0, v4
	v_lshrrev_b64 v[4:5], v11, v[4:5]
	v_bfi_b32 v9, v9, 0, 0
	s_delay_alu instid0(VALU_DEP_1) | instskip(NEXT) | instid1(VALU_DEP_3)
	v_cmp_eq_u64_e64 s13, v[8:9], v[12:13]
	v_mov_b64_e32 v[8:9], v[4:5]
	s_and_saveexec_b32 s77, s13
; %bb.13396:                            ;   in Loop: Header=BB4_12924 Depth=3
	v_bfe_u32 v8, v4, 21, 1
	v_mov_b32_e32 v9, v3
	s_delay_alu instid0(VALU_DEP_1) | instskip(NEXT) | instid1(VALU_DEP_1)
	v_add_nc_u64_e32 v[8:9], v[4:5], v[8:9]
	v_add_nc_u64_e32 v[8:9], -1, v[8:9]
; %bb.13397:                            ;   in Loop: Header=BB4_12924 Depth=3
	s_or_b32 exec_lo, exec_lo, s77
	v_add_nc_u32_e32 v5, 0xffffff81, v10
	v_lshrrev_b32_e32 v9, 23, v4
	s_mov_b32 s13, exec_lo
	s_delay_alu instid0(VALU_DEP_2) | instskip(NEXT) | instid1(VALU_DEP_1)
	v_cndmask_b32_e64 v5, v5, 0xffffff82, vcc_lo
	v_add3_u32 v9, v11, v5, v9
	v_and_b32_e32 v5, 0x1fffff, v8
                                        ; implicit-def: $vgpr8
	s_delay_alu instid0(VALU_DEP_1) | instskip(SKIP_1) | instid1(VALU_DEP_2)
	v_dual_add_nc_u32 v10, 14, v9 :: v_dual_add_nc_u32 v4, v5, v4
	v_mov_b32_e32 v5, v3
	v_cmpx_ne_u32_e32 0, v10
	s_xor_b32 s13, exec_lo, s13
; %bb.13398:                            ;   in Loop: Header=BB4_12924 Depth=3
	s_delay_alu instid0(VALU_DEP_2) | instskip(SKIP_2) | instid1(VALU_DEP_2)
	v_cmp_lt_u64_e32 vcc_lo, 0xffffff, v[4:5]
	v_add_nc_u32_e32 v8, 15, v9
	v_cndmask_b32_e64 v9, 0, 1, vcc_lo
	v_cndmask_b32_e32 v8, v10, v8, vcc_lo
	s_delay_alu instid0(VALU_DEP_2)
	v_lshrrev_b64 v[4:5], v9, v[4:5]
; %bb.13399:                            ;   in Loop: Header=BB4_12924 Depth=3
	s_and_not1_saveexec_b32 s13, s13
; %bb.13400:                            ;   in Loop: Header=BB4_12924 Depth=3
	s_delay_alu instid0(VALU_DEP_1)
	v_bfe_u32 v8, v4, 23, 1
; %bb.13401:                            ;   in Loop: Header=BB4_12924 Depth=3
	s_or_b32 exec_lo, exec_lo, s13
	s_delay_alu instid0(VALU_DEP_2) | instskip(NEXT) | instid1(VALU_DEP_2)
	v_lshrrev_b64 v[4:5], 21, v[4:5]
	v_cmp_gt_i32_e32 vcc_lo, 32, v8
	v_min_i32_e32 v9, 31, v8
	v_cmp_eq_u32_e64 s13, 0, v8
	s_delay_alu instid0(VALU_DEP_4) | instskip(NEXT) | instid1(VALU_DEP_3)
	v_cndmask_b32_e32 v5, 0, v5, vcc_lo
	v_dual_cndmask_b32 v4, 3, v4 :: v_dual_lshlrev_b32 v9, 2, v9
	s_delay_alu instid0(VALU_DEP_1) | instskip(NEXT) | instid1(VALU_DEP_2)
	v_and_b32_e32 v9, 0xfc, v9
	v_cmp_eq_u64_e32 vcc_lo, 0, v[4:5]
	s_delay_alu instid0(VALU_DEP_2)
	v_and_or_b32 v4, v4, 3, v9
	s_and_b32 s13, s13, vcc_lo
	s_delay_alu instid0(VALU_DEP_1) | instid1(SALU_CYCLE_1)
	v_cndmask_b32_e64 v4, v4, 0, s13
	s_delay_alu instid0(VALU_DEP_1)
	v_or_b32_e32 v72, v4, v2
.LBB4_13402:                            ;   in Loop: Header=BB4_12924 Depth=3
	s_or_b32 exec_lo, exec_lo, s76
                                        ; implicit-def: $vgpr2
.LBB4_13403:                            ;   in Loop: Header=BB4_12924 Depth=3
	s_and_not1_saveexec_b32 s13, s75
; %bb.13404:                            ;   in Loop: Header=BB4_12924 Depth=3
	v_or_b32_e32 v72, 0x7b, v2
; %bb.13405:                            ;   in Loop: Header=BB4_12924 Depth=3
	s_or_b32 exec_lo, exec_lo, s13
                                        ; implicit-def: $vgpr8
                                        ; implicit-def: $vgpr4_vgpr5
                                        ; implicit-def: $vgpr2
.LBB4_13406:                            ;   in Loop: Header=BB4_12924 Depth=3
	s_and_not1_saveexec_b32 s13, s74
	s_cbranch_execz .LBB4_13412
; %bb.13407:                            ;   in Loop: Header=BB4_12924 Depth=3
	s_mov_b32 s74, exec_lo
                                        ; implicit-def: $vgpr72
	v_cmpx_ne_u64_e32 0, v[4:5]
	s_xor_b32 s74, exec_lo, s74
; %bb.13408:                            ;   in Loop: Header=BB4_12924 Depth=3
	v_or_b32_e32 v72, 0x7f, v2
                                        ; implicit-def: $vgpr8
; %bb.13409:                            ;   in Loop: Header=BB4_12924 Depth=3
	s_and_not1_saveexec_b32 s74, s74
; %bb.13410:                            ;   in Loop: Header=BB4_12924 Depth=3
	v_cmp_lt_i32_e32 vcc_lo, -1, v8
	v_cndmask_b32_e32 v72, 0xfc, v49, vcc_lo
; %bb.13411:                            ;   in Loop: Header=BB4_12924 Depth=3
	s_or_b32 exec_lo, exec_lo, s74
.LBB4_13412:                            ;   in Loop: Header=BB4_12924 Depth=3
	s_delay_alu instid0(SALU_CYCLE_1) | instskip(SKIP_3) | instid1(VALU_DEP_1)
	s_or_b32 exec_lo, exec_lo, s13
	global_load_b128 v[8:11], v[42:43], off offset:512 th:TH_LOAD_NT
	s_wait_loadcnt 0x0
	v_and_b32_e32 v2, 0xff, v8
	v_cmp_ne_u16_e32 vcc_lo, 0, v2
	v_mov_b32_e32 v2, 0
	s_wait_xcnt 0x0
	s_and_saveexec_b32 s13, vcc_lo
	s_cbranch_execz .LBB4_13422
; %bb.13413:                            ;   in Loop: Header=BB4_12924 Depth=3
	v_bfe_i32 v5, v8, 0, 8
	v_bfrev_b32_e32 v2, 1
	s_mov_b32 s74, exec_lo
	s_delay_alu instid0(VALU_DEP_2)
	v_cmpx_ne_u16_e32 0xff80, v5
	s_cbranch_execz .LBB4_13421
; %bb.13414:                            ;   in Loop: Header=BB4_12924 Depth=3
	v_and_b32_e32 v2, 0x7c, v8
	v_and_b32_e32 v4, 3, v8
	s_delay_alu instid0(VALU_DEP_2) | instskip(SKIP_1) | instid1(SALU_CYCLE_1)
	v_cmp_ne_u32_e32 vcc_lo, 0x7c, v2
                                        ; implicit-def: $vgpr2
	s_and_saveexec_b32 s75, vcc_lo
	s_xor_b32 s75, exec_lo, s75
	s_cbranch_execz .LBB4_13418
; %bb.13415:                            ;   in Loop: Header=BB4_12924 Depth=3
	v_bfe_u32 v2, v8, 2, 5
	s_mov_b32 s76, exec_lo
	s_delay_alu instid0(VALU_DEP_1)
	v_cmpx_eq_u32_e32 0, v2
; %bb.13416:                            ;   in Loop: Header=BB4_12924 Depth=3
	v_clz_i32_u32_e32 v2, v4
	s_delay_alu instid0(VALU_DEP_1) | instskip(NEXT) | instid1(VALU_DEP_1)
	v_min_u32_e32 v2, 32, v2
	v_subrev_nc_u32_e32 v4, 29, v2
	s_delay_alu instid0(VALU_DEP_1) | instskip(NEXT) | instid1(VALU_DEP_1)
	v_lshlrev_b64_e32 v[4:5], v4, v[8:9]
	v_dual_sub_nc_u32 v2, 30, v2 :: v_dual_bitop2_b32 v4, 3, v4 bitop3:0x40
; %bb.13417:                            ;   in Loop: Header=BB4_12924 Depth=3
	s_or_b32 exec_lo, exec_lo, s76
	v_lshlrev_b32_e32 v5, 24, v8
	s_delay_alu instid0(VALU_DEP_1) | instskip(NEXT) | instid1(VALU_DEP_1)
	v_and_b32_e32 v5, 0x80000000, v5
	v_lshl_add_u32 v2, v2, 23, v5
                                        ; implicit-def: $vgpr5
	s_delay_alu instid0(VALU_DEP_1) | instskip(NEXT) | instid1(VALU_DEP_1)
	v_lshl_or_b32 v2, v4, 21, v2
                                        ; implicit-def: $vgpr4
	v_add_nc_u32_e32 v2, 0x38000000, v2
.LBB4_13418:                            ;   in Loop: Header=BB4_12924 Depth=3
	s_and_not1_saveexec_b32 s75, s75
; %bb.13419:                            ;   in Loop: Header=BB4_12924 Depth=3
	v_cmp_lt_i16_e32 vcc_lo, -1, v5
	v_cndmask_b32_e32 v2, 0xff800000, v48, vcc_lo
	v_cmp_eq_u32_e32 vcc_lo, 0, v4
	s_delay_alu instid0(VALU_DEP_2)
	v_cndmask_b32_e32 v2, 0x7f800001, v2, vcc_lo
; %bb.13420:                            ;   in Loop: Header=BB4_12924 Depth=3
	s_or_b32 exec_lo, exec_lo, s75
.LBB4_13421:                            ;   in Loop: Header=BB4_12924 Depth=3
	s_delay_alu instid0(SALU_CYCLE_1)
	s_or_b32 exec_lo, exec_lo, s74
.LBB4_13422:                            ;   in Loop: Header=BB4_12924 Depth=3
	s_delay_alu instid0(SALU_CYCLE_1) | instskip(NEXT) | instid1(VALU_DEP_1)
	s_or_b32 exec_lo, exec_lo, s13
	v_dual_mul_f32 v12, s73, v2 :: v_dual_mov_b32 v15, v3
	v_mov_b32_e32 v5, v3
                                        ; implicit-def: $vgpr67
	s_mov_b32 s13, exec_lo
	s_delay_alu instid0(VALU_DEP_2) | instskip(SKIP_2) | instid1(VALU_DEP_3)
	v_and_b32_e32 v14, 0x7f800000, v12
	v_and_b32_e32 v4, 0x7fffff, v12
	v_lshrrev_b32_e32 v2, 24, v12
	v_cmpx_ne_u64_e32 0x7f800000, v[14:15]
	s_xor_b32 s74, exec_lo, s13
	s_cbranch_execz .LBB4_13436
; %bb.13423:                            ;   in Loop: Header=BB4_12924 Depth=3
	v_and_b32_e32 v14, 0x7fffffff, v12
	v_mov_b32_e32 v15, v3
	v_and_b32_e32 v2, 0x80, v2
                                        ; implicit-def: $vgpr67
	s_mov_b32 s13, exec_lo
	s_delay_alu instid0(VALU_DEP_2)
	v_cmpx_gt_u64_e32 0x47600001, v[14:15]
	s_xor_b32 s75, exec_lo, s13
	s_cbranch_execz .LBB4_13433
; %bb.13424:                            ;   in Loop: Header=BB4_12924 Depth=3
	v_mov_b32_e32 v67, 0
	s_mov_b32 s76, exec_lo
	v_cmpx_ne_u32_e32 0, v12
	s_cbranch_execz .LBB4_13432
; %bb.13425:                            ;   in Loop: Header=BB4_12924 Depth=3
	v_bfe_u32 v14, v12, 23, 8
	v_or_b32_e32 v30, 0x800000, v4
	s_delay_alu instid0(VALU_DEP_2) | instskip(SKIP_1) | instid1(VALU_DEP_2)
	v_sub_nc_u32_e32 v12, 0x71, v14
	v_cmp_gt_u32_e32 vcc_lo, 0x72, v14
	v_cndmask_b32_e32 v12, 0, v12, vcc_lo
	v_cmp_eq_u32_e32 vcc_lo, 0, v14
	s_delay_alu instid0(VALU_DEP_2) | instskip(NEXT) | instid1(VALU_DEP_1)
	v_cndmask_b32_e64 v15, v12, 0x70, vcc_lo
	v_dual_cndmask_b32 v4, v30, v4, vcc_lo :: v_dual_add_nc_u32 v12, 21, v15
	v_add_nc_u32_e32 v31, 20, v15
	s_delay_alu instid0(VALU_DEP_2) | instskip(NEXT) | instid1(VALU_DEP_2)
	v_lshlrev_b64_e64 v[12:13], v12, -1
	v_lshlrev_b64_e64 v[30:31], v31, 1
	s_delay_alu instid0(VALU_DEP_2) | instskip(SKIP_1) | instid1(VALU_DEP_4)
	v_bfi_b32 v12, v12, 0, v4
	v_lshrrev_b64 v[4:5], v15, v[4:5]
	v_bfi_b32 v13, v13, 0, 0
	s_delay_alu instid0(VALU_DEP_1) | instskip(NEXT) | instid1(VALU_DEP_3)
	v_cmp_eq_u64_e64 s13, v[12:13], v[30:31]
	v_mov_b64_e32 v[12:13], v[4:5]
	s_and_saveexec_b32 s77, s13
; %bb.13426:                            ;   in Loop: Header=BB4_12924 Depth=3
	v_bfe_u32 v12, v4, 21, 1
	v_mov_b32_e32 v13, v3
	s_delay_alu instid0(VALU_DEP_1) | instskip(NEXT) | instid1(VALU_DEP_1)
	v_add_nc_u64_e32 v[12:13], v[4:5], v[12:13]
	v_add_nc_u64_e32 v[12:13], -1, v[12:13]
; %bb.13427:                            ;   in Loop: Header=BB4_12924 Depth=3
	s_or_b32 exec_lo, exec_lo, s77
	v_add_nc_u32_e32 v5, 0xffffff81, v14
	v_lshrrev_b32_e32 v13, 23, v4
	s_mov_b32 s13, exec_lo
	s_delay_alu instid0(VALU_DEP_2) | instskip(NEXT) | instid1(VALU_DEP_1)
	v_cndmask_b32_e64 v5, v5, 0xffffff82, vcc_lo
	v_add3_u32 v13, v15, v5, v13
	v_and_b32_e32 v5, 0x1fffff, v12
                                        ; implicit-def: $vgpr12
	s_delay_alu instid0(VALU_DEP_1) | instskip(SKIP_1) | instid1(VALU_DEP_2)
	v_dual_add_nc_u32 v14, 14, v13 :: v_dual_add_nc_u32 v4, v5, v4
	v_mov_b32_e32 v5, v3
	v_cmpx_ne_u32_e32 0, v14
	s_xor_b32 s13, exec_lo, s13
; %bb.13428:                            ;   in Loop: Header=BB4_12924 Depth=3
	s_delay_alu instid0(VALU_DEP_2) | instskip(SKIP_2) | instid1(VALU_DEP_2)
	v_cmp_lt_u64_e32 vcc_lo, 0xffffff, v[4:5]
	v_add_nc_u32_e32 v12, 15, v13
	v_cndmask_b32_e64 v13, 0, 1, vcc_lo
	v_cndmask_b32_e32 v12, v14, v12, vcc_lo
	s_delay_alu instid0(VALU_DEP_2)
	v_lshrrev_b64 v[4:5], v13, v[4:5]
; %bb.13429:                            ;   in Loop: Header=BB4_12924 Depth=3
	s_and_not1_saveexec_b32 s13, s13
; %bb.13430:                            ;   in Loop: Header=BB4_12924 Depth=3
	s_delay_alu instid0(VALU_DEP_1)
	v_bfe_u32 v12, v4, 23, 1
; %bb.13431:                            ;   in Loop: Header=BB4_12924 Depth=3
	s_or_b32 exec_lo, exec_lo, s13
	s_delay_alu instid0(VALU_DEP_2) | instskip(NEXT) | instid1(VALU_DEP_2)
	v_lshrrev_b64 v[4:5], 21, v[4:5]
	v_cmp_gt_i32_e32 vcc_lo, 32, v12
	v_min_i32_e32 v13, 31, v12
	v_cmp_eq_u32_e64 s13, 0, v12
	s_delay_alu instid0(VALU_DEP_4) | instskip(NEXT) | instid1(VALU_DEP_3)
	v_cndmask_b32_e32 v5, 0, v5, vcc_lo
	v_dual_cndmask_b32 v4, 3, v4 :: v_dual_lshlrev_b32 v13, 2, v13
	s_delay_alu instid0(VALU_DEP_1) | instskip(NEXT) | instid1(VALU_DEP_2)
	v_and_b32_e32 v13, 0xfc, v13
	v_cmp_eq_u64_e32 vcc_lo, 0, v[4:5]
	s_delay_alu instid0(VALU_DEP_2)
	v_and_or_b32 v4, v4, 3, v13
	s_and_b32 s13, s13, vcc_lo
	s_delay_alu instid0(VALU_DEP_1) | instid1(SALU_CYCLE_1)
	v_cndmask_b32_e64 v4, v4, 0, s13
	s_delay_alu instid0(VALU_DEP_1)
	v_or_b32_e32 v67, v4, v2
.LBB4_13432:                            ;   in Loop: Header=BB4_12924 Depth=3
	s_or_b32 exec_lo, exec_lo, s76
                                        ; implicit-def: $vgpr2
.LBB4_13433:                            ;   in Loop: Header=BB4_12924 Depth=3
	s_and_not1_saveexec_b32 s13, s75
; %bb.13434:                            ;   in Loop: Header=BB4_12924 Depth=3
	v_or_b32_e32 v67, 0x7b, v2
; %bb.13435:                            ;   in Loop: Header=BB4_12924 Depth=3
	s_or_b32 exec_lo, exec_lo, s13
                                        ; implicit-def: $vgpr12
                                        ; implicit-def: $vgpr4_vgpr5
                                        ; implicit-def: $vgpr2
.LBB4_13436:                            ;   in Loop: Header=BB4_12924 Depth=3
	s_and_not1_saveexec_b32 s13, s74
	s_cbranch_execz .LBB4_13442
; %bb.13437:                            ;   in Loop: Header=BB4_12924 Depth=3
	s_mov_b32 s74, exec_lo
                                        ; implicit-def: $vgpr67
	v_cmpx_ne_u64_e32 0, v[4:5]
	s_xor_b32 s74, exec_lo, s74
; %bb.13438:                            ;   in Loop: Header=BB4_12924 Depth=3
	v_or_b32_e32 v67, 0x7f, v2
                                        ; implicit-def: $vgpr12
; %bb.13439:                            ;   in Loop: Header=BB4_12924 Depth=3
	s_and_not1_saveexec_b32 s74, s74
; %bb.13440:                            ;   in Loop: Header=BB4_12924 Depth=3
	v_cmp_lt_i32_e32 vcc_lo, -1, v12
	v_cndmask_b32_e32 v67, 0xfc, v49, vcc_lo
; %bb.13441:                            ;   in Loop: Header=BB4_12924 Depth=3
	s_or_b32 exec_lo, exec_lo, s74
.LBB4_13442:                            ;   in Loop: Header=BB4_12924 Depth=3
	s_delay_alu instid0(SALU_CYCLE_1) | instskip(SKIP_3) | instid1(VALU_DEP_2)
	s_or_b32 exec_lo, exec_lo, s13
	v_lshrrev_b16 v4, 8, v8
	v_mov_b32_e32 v5, 0
	s_mov_b32 s13, exec_lo
	v_cmpx_ne_u16_e32 0, v4
	s_cbranch_execz .LBB4_13452
; %bb.13443:                            ;   in Loop: Header=BB4_12924 Depth=3
	v_bfrev_b32_e32 v5, 1
	s_mov_b32 s74, exec_lo
	v_cmpx_ne_u16_e32 0x80, v4
	s_cbranch_execz .LBB4_13451
; %bb.13444:                            ;   in Loop: Header=BB4_12924 Depth=3
	v_and_b32_e32 v12, 0xffff, v4
	s_delay_alu instid0(VALU_DEP_1) | instskip(SKIP_1) | instid1(VALU_DEP_2)
	v_and_b32_e32 v5, 0x7c, v12
	v_and_b32_e32 v2, 3, v12
	v_cmp_ne_u32_e32 vcc_lo, 0x7c, v5
                                        ; implicit-def: $vgpr5
	s_and_saveexec_b32 s75, vcc_lo
	s_delay_alu instid0(SALU_CYCLE_1)
	s_xor_b32 s75, exec_lo, s75
	s_cbranch_execz .LBB4_13448
; %bb.13445:                            ;   in Loop: Header=BB4_12924 Depth=3
	v_bfe_u32 v5, v12, 2, 5
	s_mov_b32 s76, exec_lo
	s_delay_alu instid0(VALU_DEP_1)
	v_cmpx_eq_u32_e32 0, v5
; %bb.13446:                            ;   in Loop: Header=BB4_12924 Depth=3
	v_clz_i32_u32_e32 v2, v2
	v_mov_b32_e32 v5, v3
	s_delay_alu instid0(VALU_DEP_2) | instskip(NEXT) | instid1(VALU_DEP_1)
	v_min_u32_e32 v2, 32, v2
	v_subrev_nc_u32_e32 v12, 29, v2
	s_delay_alu instid0(VALU_DEP_1) | instskip(NEXT) | instid1(VALU_DEP_1)
	v_lshlrev_b64_e32 v[4:5], v12, v[4:5]
	v_dual_sub_nc_u32 v5, 30, v2 :: v_dual_bitop2_b32 v2, 3, v4 bitop3:0x40
; %bb.13447:                            ;   in Loop: Header=BB4_12924 Depth=3
	s_or_b32 exec_lo, exec_lo, s76
	v_lshlrev_b32_e32 v4, 16, v8
	s_delay_alu instid0(VALU_DEP_1) | instskip(NEXT) | instid1(VALU_DEP_1)
	v_and_b32_e32 v4, 0x80000000, v4
	v_lshl_add_u32 v4, v5, 23, v4
	s_delay_alu instid0(VALU_DEP_1) | instskip(NEXT) | instid1(VALU_DEP_1)
	v_lshl_or_b32 v2, v2, 21, v4
	v_add_nc_u32_e32 v5, 0x38000000, v2
                                        ; implicit-def: $vgpr2
.LBB4_13448:                            ;   in Loop: Header=BB4_12924 Depth=3
	s_and_not1_saveexec_b32 s75, s75
; %bb.13449:                            ;   in Loop: Header=BB4_12924 Depth=3
	v_cmp_lt_i16_e32 vcc_lo, -1, v8
	v_cndmask_b32_e32 v4, 0xff800000, v48, vcc_lo
	v_cmp_eq_u32_e32 vcc_lo, 0, v2
	s_delay_alu instid0(VALU_DEP_2)
	v_cndmask_b32_e32 v5, 0x7f800001, v4, vcc_lo
; %bb.13450:                            ;   in Loop: Header=BB4_12924 Depth=3
	s_or_b32 exec_lo, exec_lo, s75
.LBB4_13451:                            ;   in Loop: Header=BB4_12924 Depth=3
	s_delay_alu instid0(SALU_CYCLE_1)
	s_or_b32 exec_lo, exec_lo, s74
.LBB4_13452:                            ;   in Loop: Header=BB4_12924 Depth=3
	s_delay_alu instid0(SALU_CYCLE_1) | instskip(NEXT) | instid1(VALU_DEP_1)
	s_or_b32 exec_lo, exec_lo, s13
	v_dual_mul_f32 v12, s73, v5 :: v_dual_mov_b32 v15, v3
	v_mov_b32_e32 v5, v3
                                        ; implicit-def: $vgpr40
	s_mov_b32 s13, exec_lo
	s_delay_alu instid0(VALU_DEP_2) | instskip(SKIP_2) | instid1(VALU_DEP_3)
	v_and_b32_e32 v14, 0x7f800000, v12
	v_and_b32_e32 v4, 0x7fffff, v12
	v_lshrrev_b32_e32 v2, 24, v12
	v_cmpx_ne_u64_e32 0x7f800000, v[14:15]
	s_xor_b32 s74, exec_lo, s13
	s_cbranch_execz .LBB4_13466
; %bb.13453:                            ;   in Loop: Header=BB4_12924 Depth=3
	v_and_b32_e32 v14, 0x7fffffff, v12
	v_mov_b32_e32 v15, v3
	v_and_b32_e32 v2, 0x80, v2
                                        ; implicit-def: $vgpr40
	s_mov_b32 s13, exec_lo
	s_delay_alu instid0(VALU_DEP_2)
	v_cmpx_gt_u64_e32 0x47600001, v[14:15]
	s_xor_b32 s75, exec_lo, s13
	s_cbranch_execz .LBB4_13463
; %bb.13454:                            ;   in Loop: Header=BB4_12924 Depth=3
	v_mov_b32_e32 v40, 0
	s_mov_b32 s76, exec_lo
	v_cmpx_ne_u32_e32 0, v12
	s_cbranch_execz .LBB4_13462
; %bb.13455:                            ;   in Loop: Header=BB4_12924 Depth=3
	v_bfe_u32 v14, v12, 23, 8
	v_or_b32_e32 v30, 0x800000, v4
	s_delay_alu instid0(VALU_DEP_2) | instskip(SKIP_1) | instid1(VALU_DEP_2)
	v_sub_nc_u32_e32 v12, 0x71, v14
	v_cmp_gt_u32_e32 vcc_lo, 0x72, v14
	v_cndmask_b32_e32 v12, 0, v12, vcc_lo
	v_cmp_eq_u32_e32 vcc_lo, 0, v14
	s_delay_alu instid0(VALU_DEP_2) | instskip(NEXT) | instid1(VALU_DEP_1)
	v_cndmask_b32_e64 v15, v12, 0x70, vcc_lo
	v_dual_cndmask_b32 v4, v30, v4, vcc_lo :: v_dual_add_nc_u32 v12, 21, v15
	v_add_nc_u32_e32 v31, 20, v15
	s_delay_alu instid0(VALU_DEP_2) | instskip(NEXT) | instid1(VALU_DEP_2)
	v_lshlrev_b64_e64 v[12:13], v12, -1
	v_lshlrev_b64_e64 v[30:31], v31, 1
	s_delay_alu instid0(VALU_DEP_2) | instskip(SKIP_1) | instid1(VALU_DEP_4)
	v_bfi_b32 v12, v12, 0, v4
	v_lshrrev_b64 v[4:5], v15, v[4:5]
	v_bfi_b32 v13, v13, 0, 0
	s_delay_alu instid0(VALU_DEP_1) | instskip(NEXT) | instid1(VALU_DEP_3)
	v_cmp_eq_u64_e64 s13, v[12:13], v[30:31]
	v_mov_b64_e32 v[12:13], v[4:5]
	s_and_saveexec_b32 s77, s13
; %bb.13456:                            ;   in Loop: Header=BB4_12924 Depth=3
	v_bfe_u32 v12, v4, 21, 1
	v_mov_b32_e32 v13, v3
	s_delay_alu instid0(VALU_DEP_1) | instskip(NEXT) | instid1(VALU_DEP_1)
	v_add_nc_u64_e32 v[12:13], v[4:5], v[12:13]
	v_add_nc_u64_e32 v[12:13], -1, v[12:13]
; %bb.13457:                            ;   in Loop: Header=BB4_12924 Depth=3
	s_or_b32 exec_lo, exec_lo, s77
	v_add_nc_u32_e32 v5, 0xffffff81, v14
	v_lshrrev_b32_e32 v13, 23, v4
	s_mov_b32 s13, exec_lo
	s_delay_alu instid0(VALU_DEP_2) | instskip(NEXT) | instid1(VALU_DEP_1)
	v_cndmask_b32_e64 v5, v5, 0xffffff82, vcc_lo
	v_add3_u32 v13, v15, v5, v13
	v_and_b32_e32 v5, 0x1fffff, v12
                                        ; implicit-def: $vgpr12
	s_delay_alu instid0(VALU_DEP_1) | instskip(SKIP_1) | instid1(VALU_DEP_2)
	v_dual_add_nc_u32 v14, 14, v13 :: v_dual_add_nc_u32 v4, v5, v4
	v_mov_b32_e32 v5, v3
	v_cmpx_ne_u32_e32 0, v14
	s_xor_b32 s13, exec_lo, s13
; %bb.13458:                            ;   in Loop: Header=BB4_12924 Depth=3
	s_delay_alu instid0(VALU_DEP_2) | instskip(SKIP_2) | instid1(VALU_DEP_2)
	v_cmp_lt_u64_e32 vcc_lo, 0xffffff, v[4:5]
	v_add_nc_u32_e32 v12, 15, v13
	v_cndmask_b32_e64 v13, 0, 1, vcc_lo
	v_cndmask_b32_e32 v12, v14, v12, vcc_lo
	s_delay_alu instid0(VALU_DEP_2)
	v_lshrrev_b64 v[4:5], v13, v[4:5]
; %bb.13459:                            ;   in Loop: Header=BB4_12924 Depth=3
	s_and_not1_saveexec_b32 s13, s13
; %bb.13460:                            ;   in Loop: Header=BB4_12924 Depth=3
	s_delay_alu instid0(VALU_DEP_1)
	v_bfe_u32 v12, v4, 23, 1
; %bb.13461:                            ;   in Loop: Header=BB4_12924 Depth=3
	s_or_b32 exec_lo, exec_lo, s13
	s_delay_alu instid0(VALU_DEP_2) | instskip(NEXT) | instid1(VALU_DEP_2)
	v_lshrrev_b64 v[4:5], 21, v[4:5]
	v_cmp_gt_i32_e32 vcc_lo, 32, v12
	v_min_i32_e32 v13, 31, v12
	v_cmp_eq_u32_e64 s13, 0, v12
	s_delay_alu instid0(VALU_DEP_4) | instskip(NEXT) | instid1(VALU_DEP_3)
	v_cndmask_b32_e32 v5, 0, v5, vcc_lo
	v_dual_cndmask_b32 v4, 3, v4 :: v_dual_lshlrev_b32 v13, 2, v13
	s_delay_alu instid0(VALU_DEP_1) | instskip(NEXT) | instid1(VALU_DEP_2)
	v_and_b32_e32 v13, 0xfc, v13
	v_cmp_eq_u64_e32 vcc_lo, 0, v[4:5]
	s_delay_alu instid0(VALU_DEP_2)
	v_and_or_b32 v4, v4, 3, v13
	s_and_b32 s13, s13, vcc_lo
	s_delay_alu instid0(VALU_DEP_1) | instid1(SALU_CYCLE_1)
	v_cndmask_b32_e64 v4, v4, 0, s13
	s_delay_alu instid0(VALU_DEP_1)
	v_or_b32_e32 v40, v4, v2
.LBB4_13462:                            ;   in Loop: Header=BB4_12924 Depth=3
	s_or_b32 exec_lo, exec_lo, s76
                                        ; implicit-def: $vgpr2
.LBB4_13463:                            ;   in Loop: Header=BB4_12924 Depth=3
	s_and_not1_saveexec_b32 s13, s75
; %bb.13464:                            ;   in Loop: Header=BB4_12924 Depth=3
	v_or_b32_e32 v40, 0x7b, v2
; %bb.13465:                            ;   in Loop: Header=BB4_12924 Depth=3
	s_or_b32 exec_lo, exec_lo, s13
                                        ; implicit-def: $vgpr12
                                        ; implicit-def: $vgpr4_vgpr5
                                        ; implicit-def: $vgpr2
.LBB4_13466:                            ;   in Loop: Header=BB4_12924 Depth=3
	s_and_not1_saveexec_b32 s13, s74
	s_cbranch_execz .LBB4_13472
; %bb.13467:                            ;   in Loop: Header=BB4_12924 Depth=3
	s_mov_b32 s74, exec_lo
                                        ; implicit-def: $vgpr40
	v_cmpx_ne_u64_e32 0, v[4:5]
	s_xor_b32 s74, exec_lo, s74
; %bb.13468:                            ;   in Loop: Header=BB4_12924 Depth=3
	v_or_b32_e32 v40, 0x7f, v2
                                        ; implicit-def: $vgpr12
; %bb.13469:                            ;   in Loop: Header=BB4_12924 Depth=3
	s_and_not1_saveexec_b32 s74, s74
; %bb.13470:                            ;   in Loop: Header=BB4_12924 Depth=3
	v_cmp_lt_i32_e32 vcc_lo, -1, v12
	v_cndmask_b32_e32 v40, 0xfc, v49, vcc_lo
; %bb.13471:                            ;   in Loop: Header=BB4_12924 Depth=3
	s_or_b32 exec_lo, exec_lo, s74
.LBB4_13472:                            ;   in Loop: Header=BB4_12924 Depth=3
	s_delay_alu instid0(SALU_CYCLE_1) | instskip(SKIP_2) | instid1(VALU_DEP_1)
	s_or_b32 exec_lo, exec_lo, s13
	v_dual_mov_b32 v5, 0 :: v_dual_lshrrev_b32 v2, 16, v8
	s_mov_b32 s13, exec_lo
	v_and_b32_e32 v4, 0xff, v2
	s_delay_alu instid0(VALU_DEP_1)
	v_cmpx_ne_u16_e32 0, v4
	s_cbranch_execz .LBB4_13482
; %bb.13473:                            ;   in Loop: Header=BB4_12924 Depth=3
	v_bfrev_b32_e32 v5, 1
	s_mov_b32 s74, exec_lo
	v_cmpx_ne_u16_e32 0x80, v4
	s_cbranch_execz .LBB4_13481
; %bb.13474:                            ;   in Loop: Header=BB4_12924 Depth=3
	v_and_b32_e32 v5, 0x7c0000, v8
	v_bfe_u32 v4, v8, 16, 2
	s_delay_alu instid0(VALU_DEP_2) | instskip(SKIP_1) | instid1(SALU_CYCLE_1)
	v_cmp_ne_u32_e32 vcc_lo, 0x7c0000, v5
                                        ; implicit-def: $vgpr5
	s_and_saveexec_b32 s75, vcc_lo
	s_xor_b32 s75, exec_lo, s75
	s_cbranch_execz .LBB4_13478
; %bb.13475:                            ;   in Loop: Header=BB4_12924 Depth=3
	v_bfe_u32 v5, v8, 18, 5
	s_mov_b32 s76, exec_lo
	s_delay_alu instid0(VALU_DEP_1)
	v_cmpx_eq_u32_e32 0, v5
; %bb.13476:                            ;   in Loop: Header=BB4_12924 Depth=3
	v_clz_i32_u32_e32 v4, v4
	s_delay_alu instid0(VALU_DEP_1) | instskip(NEXT) | instid1(VALU_DEP_1)
	v_min_u32_e32 v12, 32, v4
	v_subrev_nc_u32_e32 v4, 29, v12
	s_delay_alu instid0(VALU_DEP_1) | instskip(SKIP_1) | instid1(VALU_DEP_2)
	v_lshlrev_b64_e32 v[4:5], v4, v[2:3]
	v_sub_nc_u32_e32 v5, 30, v12
	v_and_b32_e32 v4, 3, v4
; %bb.13477:                            ;   in Loop: Header=BB4_12924 Depth=3
	s_or_b32 exec_lo, exec_lo, s76
	v_lshlrev_b32_e32 v2, 24, v2
	s_delay_alu instid0(VALU_DEP_1) | instskip(NEXT) | instid1(VALU_DEP_1)
	v_and_b32_e32 v2, 0x80000000, v2
	v_lshl_add_u32 v2, v5, 23, v2
	s_delay_alu instid0(VALU_DEP_1) | instskip(NEXT) | instid1(VALU_DEP_1)
	v_lshl_or_b32 v2, v4, 21, v2
                                        ; implicit-def: $vgpr4
	v_add_nc_u32_e32 v5, 0x38000000, v2
                                        ; implicit-def: $vgpr2
.LBB4_13478:                            ;   in Loop: Header=BB4_12924 Depth=3
	s_and_not1_saveexec_b32 s75, s75
; %bb.13479:                            ;   in Loop: Header=BB4_12924 Depth=3
	v_bfe_i32 v2, v2, 0, 8
	s_delay_alu instid0(VALU_DEP_1) | instskip(SKIP_2) | instid1(VALU_DEP_2)
	v_cmp_lt_i16_e32 vcc_lo, -1, v2
	v_cndmask_b32_e32 v2, 0xff800000, v48, vcc_lo
	v_cmp_eq_u32_e32 vcc_lo, 0, v4
	v_cndmask_b32_e32 v5, 0x7f800001, v2, vcc_lo
; %bb.13480:                            ;   in Loop: Header=BB4_12924 Depth=3
	s_or_b32 exec_lo, exec_lo, s75
.LBB4_13481:                            ;   in Loop: Header=BB4_12924 Depth=3
	s_delay_alu instid0(SALU_CYCLE_1)
	s_or_b32 exec_lo, exec_lo, s74
.LBB4_13482:                            ;   in Loop: Header=BB4_12924 Depth=3
	s_delay_alu instid0(SALU_CYCLE_1) | instskip(NEXT) | instid1(VALU_DEP_1)
	s_or_b32 exec_lo, exec_lo, s13
	v_dual_mul_f32 v12, s73, v5 :: v_dual_mov_b32 v15, v3
	v_mov_b32_e32 v5, v3
                                        ; implicit-def: $vgpr58
	s_mov_b32 s13, exec_lo
	s_delay_alu instid0(VALU_DEP_2) | instskip(SKIP_2) | instid1(VALU_DEP_3)
	v_and_b32_e32 v14, 0x7f800000, v12
	v_and_b32_e32 v4, 0x7fffff, v12
	v_lshrrev_b32_e32 v2, 24, v12
	v_cmpx_ne_u64_e32 0x7f800000, v[14:15]
	s_xor_b32 s74, exec_lo, s13
	s_cbranch_execz .LBB4_13496
; %bb.13483:                            ;   in Loop: Header=BB4_12924 Depth=3
	v_and_b32_e32 v14, 0x7fffffff, v12
	v_mov_b32_e32 v15, v3
	v_and_b32_e32 v2, 0x80, v2
                                        ; implicit-def: $vgpr58
	s_mov_b32 s13, exec_lo
	s_delay_alu instid0(VALU_DEP_2)
	v_cmpx_gt_u64_e32 0x47600001, v[14:15]
	s_xor_b32 s75, exec_lo, s13
	s_cbranch_execz .LBB4_13493
; %bb.13484:                            ;   in Loop: Header=BB4_12924 Depth=3
	v_mov_b32_e32 v58, 0
	s_mov_b32 s76, exec_lo
	v_cmpx_ne_u32_e32 0, v12
	s_cbranch_execz .LBB4_13492
; %bb.13485:                            ;   in Loop: Header=BB4_12924 Depth=3
	v_bfe_u32 v14, v12, 23, 8
	v_or_b32_e32 v30, 0x800000, v4
	s_delay_alu instid0(VALU_DEP_2) | instskip(SKIP_1) | instid1(VALU_DEP_2)
	v_sub_nc_u32_e32 v12, 0x71, v14
	v_cmp_gt_u32_e32 vcc_lo, 0x72, v14
	v_cndmask_b32_e32 v12, 0, v12, vcc_lo
	v_cmp_eq_u32_e32 vcc_lo, 0, v14
	s_delay_alu instid0(VALU_DEP_2) | instskip(NEXT) | instid1(VALU_DEP_1)
	v_cndmask_b32_e64 v15, v12, 0x70, vcc_lo
	v_dual_cndmask_b32 v4, v30, v4, vcc_lo :: v_dual_add_nc_u32 v12, 21, v15
	v_add_nc_u32_e32 v31, 20, v15
	s_delay_alu instid0(VALU_DEP_2) | instskip(NEXT) | instid1(VALU_DEP_2)
	v_lshlrev_b64_e64 v[12:13], v12, -1
	v_lshlrev_b64_e64 v[30:31], v31, 1
	s_delay_alu instid0(VALU_DEP_2) | instskip(SKIP_1) | instid1(VALU_DEP_4)
	v_bfi_b32 v12, v12, 0, v4
	v_lshrrev_b64 v[4:5], v15, v[4:5]
	v_bfi_b32 v13, v13, 0, 0
	s_delay_alu instid0(VALU_DEP_1) | instskip(NEXT) | instid1(VALU_DEP_3)
	v_cmp_eq_u64_e64 s13, v[12:13], v[30:31]
	v_mov_b64_e32 v[12:13], v[4:5]
	s_and_saveexec_b32 s77, s13
; %bb.13486:                            ;   in Loop: Header=BB4_12924 Depth=3
	v_bfe_u32 v12, v4, 21, 1
	v_mov_b32_e32 v13, v3
	s_delay_alu instid0(VALU_DEP_1) | instskip(NEXT) | instid1(VALU_DEP_1)
	v_add_nc_u64_e32 v[12:13], v[4:5], v[12:13]
	v_add_nc_u64_e32 v[12:13], -1, v[12:13]
; %bb.13487:                            ;   in Loop: Header=BB4_12924 Depth=3
	s_or_b32 exec_lo, exec_lo, s77
	v_add_nc_u32_e32 v5, 0xffffff81, v14
	v_lshrrev_b32_e32 v13, 23, v4
	s_mov_b32 s13, exec_lo
	s_delay_alu instid0(VALU_DEP_2) | instskip(NEXT) | instid1(VALU_DEP_1)
	v_cndmask_b32_e64 v5, v5, 0xffffff82, vcc_lo
	v_add3_u32 v13, v15, v5, v13
	v_and_b32_e32 v5, 0x1fffff, v12
                                        ; implicit-def: $vgpr12
	s_delay_alu instid0(VALU_DEP_1) | instskip(SKIP_1) | instid1(VALU_DEP_2)
	v_dual_add_nc_u32 v14, 14, v13 :: v_dual_add_nc_u32 v4, v5, v4
	v_mov_b32_e32 v5, v3
	v_cmpx_ne_u32_e32 0, v14
	s_xor_b32 s13, exec_lo, s13
; %bb.13488:                            ;   in Loop: Header=BB4_12924 Depth=3
	s_delay_alu instid0(VALU_DEP_2) | instskip(SKIP_2) | instid1(VALU_DEP_2)
	v_cmp_lt_u64_e32 vcc_lo, 0xffffff, v[4:5]
	v_add_nc_u32_e32 v12, 15, v13
	v_cndmask_b32_e64 v13, 0, 1, vcc_lo
	v_cndmask_b32_e32 v12, v14, v12, vcc_lo
	s_delay_alu instid0(VALU_DEP_2)
	v_lshrrev_b64 v[4:5], v13, v[4:5]
; %bb.13489:                            ;   in Loop: Header=BB4_12924 Depth=3
	s_and_not1_saveexec_b32 s13, s13
; %bb.13490:                            ;   in Loop: Header=BB4_12924 Depth=3
	s_delay_alu instid0(VALU_DEP_1)
	v_bfe_u32 v12, v4, 23, 1
; %bb.13491:                            ;   in Loop: Header=BB4_12924 Depth=3
	s_or_b32 exec_lo, exec_lo, s13
	s_delay_alu instid0(VALU_DEP_2) | instskip(NEXT) | instid1(VALU_DEP_2)
	v_lshrrev_b64 v[4:5], 21, v[4:5]
	v_cmp_gt_i32_e32 vcc_lo, 32, v12
	v_min_i32_e32 v13, 31, v12
	v_cmp_eq_u32_e64 s13, 0, v12
	s_delay_alu instid0(VALU_DEP_4) | instskip(NEXT) | instid1(VALU_DEP_3)
	v_cndmask_b32_e32 v5, 0, v5, vcc_lo
	v_dual_cndmask_b32 v4, 3, v4 :: v_dual_lshlrev_b32 v13, 2, v13
	s_delay_alu instid0(VALU_DEP_1) | instskip(NEXT) | instid1(VALU_DEP_2)
	v_and_b32_e32 v13, 0xfc, v13
	v_cmp_eq_u64_e32 vcc_lo, 0, v[4:5]
	s_delay_alu instid0(VALU_DEP_2)
	v_and_or_b32 v4, v4, 3, v13
	s_and_b32 s13, s13, vcc_lo
	s_delay_alu instid0(VALU_DEP_1) | instid1(SALU_CYCLE_1)
	v_cndmask_b32_e64 v4, v4, 0, s13
	s_delay_alu instid0(VALU_DEP_1)
	v_or_b32_e32 v58, v4, v2
.LBB4_13492:                            ;   in Loop: Header=BB4_12924 Depth=3
	s_or_b32 exec_lo, exec_lo, s76
                                        ; implicit-def: $vgpr2
.LBB4_13493:                            ;   in Loop: Header=BB4_12924 Depth=3
	s_and_not1_saveexec_b32 s13, s75
; %bb.13494:                            ;   in Loop: Header=BB4_12924 Depth=3
	v_or_b32_e32 v58, 0x7b, v2
; %bb.13495:                            ;   in Loop: Header=BB4_12924 Depth=3
	s_or_b32 exec_lo, exec_lo, s13
                                        ; implicit-def: $vgpr12
                                        ; implicit-def: $vgpr4_vgpr5
                                        ; implicit-def: $vgpr2
.LBB4_13496:                            ;   in Loop: Header=BB4_12924 Depth=3
	s_and_not1_saveexec_b32 s13, s74
	s_cbranch_execz .LBB4_13502
; %bb.13497:                            ;   in Loop: Header=BB4_12924 Depth=3
	s_mov_b32 s74, exec_lo
                                        ; implicit-def: $vgpr58
	v_cmpx_ne_u64_e32 0, v[4:5]
	s_xor_b32 s74, exec_lo, s74
; %bb.13498:                            ;   in Loop: Header=BB4_12924 Depth=3
	v_or_b32_e32 v58, 0x7f, v2
                                        ; implicit-def: $vgpr12
; %bb.13499:                            ;   in Loop: Header=BB4_12924 Depth=3
	s_and_not1_saveexec_b32 s74, s74
; %bb.13500:                            ;   in Loop: Header=BB4_12924 Depth=3
	v_cmp_lt_i32_e32 vcc_lo, -1, v12
	v_cndmask_b32_e32 v58, 0xfc, v49, vcc_lo
; %bb.13501:                            ;   in Loop: Header=BB4_12924 Depth=3
	s_or_b32 exec_lo, exec_lo, s74
.LBB4_13502:                            ;   in Loop: Header=BB4_12924 Depth=3
	s_delay_alu instid0(SALU_CYCLE_1)
	s_or_b32 exec_lo, exec_lo, s13
	v_mov_b32_e32 v4, 0
	s_mov_b32 s13, exec_lo
	v_cmpx_lt_u32_e32 0xffffff, v8
	s_cbranch_execz .LBB4_13512
; %bb.13503:                            ;   in Loop: Header=BB4_12924 Depth=3
	v_lshrrev_b32_e32 v2, 24, v8
	v_bfrev_b32_e32 v4, 1
	s_mov_b32 s74, exec_lo
	s_delay_alu instid0(VALU_DEP_2)
	v_cmpx_ne_u32_e32 0x80, v2
	s_cbranch_execz .LBB4_13511
; %bb.13504:                            ;   in Loop: Header=BB4_12924 Depth=3
	v_and_b32_e32 v4, 0x7c000000, v8
	v_bfe_u32 v5, v8, 24, 2
	s_delay_alu instid0(VALU_DEP_2) | instskip(SKIP_1) | instid1(SALU_CYCLE_1)
	v_cmp_ne_u32_e32 vcc_lo, 0x7c000000, v4
                                        ; implicit-def: $vgpr4
	s_and_saveexec_b32 s75, vcc_lo
	s_xor_b32 s75, exec_lo, s75
	s_cbranch_execz .LBB4_13508
; %bb.13505:                            ;   in Loop: Header=BB4_12924 Depth=3
	v_bfe_u32 v4, v8, 26, 5
	s_mov_b32 s76, exec_lo
	s_delay_alu instid0(VALU_DEP_1)
	v_cmpx_eq_u32_e32 0, v4
; %bb.13506:                            ;   in Loop: Header=BB4_12924 Depth=3
	v_clz_i32_u32_e32 v4, v5
	s_delay_alu instid0(VALU_DEP_1) | instskip(NEXT) | instid1(VALU_DEP_1)
	v_min_u32_e32 v4, 32, v4
	v_subrev_nc_u32_e32 v5, 29, v4
	v_sub_nc_u32_e32 v4, 30, v4
	s_delay_alu instid0(VALU_DEP_2) | instskip(NEXT) | instid1(VALU_DEP_1)
	v_lshlrev_b64_e32 v[12:13], v5, v[2:3]
	v_and_b32_e32 v5, 3, v12
; %bb.13507:                            ;   in Loop: Header=BB4_12924 Depth=3
	s_or_b32 exec_lo, exec_lo, s76
	v_and_b32_e32 v2, 0x80000000, v8
	s_delay_alu instid0(VALU_DEP_1) | instskip(NEXT) | instid1(VALU_DEP_1)
	v_lshl_add_u32 v2, v4, 23, v2
	v_lshl_or_b32 v2, v5, 21, v2
                                        ; implicit-def: $vgpr5
	s_delay_alu instid0(VALU_DEP_1)
	v_add_nc_u32_e32 v4, 0x38000000, v2
.LBB4_13508:                            ;   in Loop: Header=BB4_12924 Depth=3
	s_and_not1_saveexec_b32 s75, s75
; %bb.13509:                            ;   in Loop: Header=BB4_12924 Depth=3
	v_cmp_lt_i32_e32 vcc_lo, -1, v8
	v_cndmask_b32_e32 v2, 0xff800000, v48, vcc_lo
	v_cmp_eq_u32_e32 vcc_lo, 0, v5
	s_delay_alu instid0(VALU_DEP_2)
	v_cndmask_b32_e32 v4, 0x7f800001, v2, vcc_lo
; %bb.13510:                            ;   in Loop: Header=BB4_12924 Depth=3
	s_or_b32 exec_lo, exec_lo, s75
.LBB4_13511:                            ;   in Loop: Header=BB4_12924 Depth=3
	s_delay_alu instid0(SALU_CYCLE_1)
	s_or_b32 exec_lo, exec_lo, s74
.LBB4_13512:                            ;   in Loop: Header=BB4_12924 Depth=3
	s_delay_alu instid0(SALU_CYCLE_1) | instskip(NEXT) | instid1(VALU_DEP_1)
	s_or_b32 exec_lo, exec_lo, s13
	v_dual_mul_f32 v12, s73, v4 :: v_dual_mov_b32 v15, v3
	v_mov_b32_e32 v5, v3
                                        ; implicit-def: $vgpr60
	s_mov_b32 s13, exec_lo
	s_delay_alu instid0(VALU_DEP_2) | instskip(SKIP_2) | instid1(VALU_DEP_3)
	v_and_b32_e32 v14, 0x7f800000, v12
	v_and_b32_e32 v4, 0x7fffff, v12
	v_lshrrev_b32_e32 v2, 24, v12
	v_cmpx_ne_u64_e32 0x7f800000, v[14:15]
	s_xor_b32 s74, exec_lo, s13
	s_cbranch_execz .LBB4_13526
; %bb.13513:                            ;   in Loop: Header=BB4_12924 Depth=3
	v_and_b32_e32 v14, 0x7fffffff, v12
	v_mov_b32_e32 v15, v3
	v_and_b32_e32 v2, 0x80, v2
                                        ; implicit-def: $vgpr60
	s_mov_b32 s13, exec_lo
	s_delay_alu instid0(VALU_DEP_2)
	v_cmpx_gt_u64_e32 0x47600001, v[14:15]
	s_xor_b32 s75, exec_lo, s13
	s_cbranch_execz .LBB4_13523
; %bb.13514:                            ;   in Loop: Header=BB4_12924 Depth=3
	v_mov_b32_e32 v60, 0
	s_mov_b32 s76, exec_lo
	v_cmpx_ne_u32_e32 0, v12
	s_cbranch_execz .LBB4_13522
; %bb.13515:                            ;   in Loop: Header=BB4_12924 Depth=3
	v_bfe_u32 v14, v12, 23, 8
	v_or_b32_e32 v30, 0x800000, v4
	s_delay_alu instid0(VALU_DEP_2) | instskip(SKIP_1) | instid1(VALU_DEP_2)
	v_sub_nc_u32_e32 v12, 0x71, v14
	v_cmp_gt_u32_e32 vcc_lo, 0x72, v14
	v_cndmask_b32_e32 v12, 0, v12, vcc_lo
	v_cmp_eq_u32_e32 vcc_lo, 0, v14
	s_delay_alu instid0(VALU_DEP_2) | instskip(NEXT) | instid1(VALU_DEP_1)
	v_cndmask_b32_e64 v15, v12, 0x70, vcc_lo
	v_dual_cndmask_b32 v4, v30, v4, vcc_lo :: v_dual_add_nc_u32 v12, 21, v15
	v_add_nc_u32_e32 v31, 20, v15
	s_delay_alu instid0(VALU_DEP_2) | instskip(NEXT) | instid1(VALU_DEP_2)
	v_lshlrev_b64_e64 v[12:13], v12, -1
	v_lshlrev_b64_e64 v[30:31], v31, 1
	s_delay_alu instid0(VALU_DEP_2) | instskip(SKIP_1) | instid1(VALU_DEP_4)
	v_bfi_b32 v12, v12, 0, v4
	v_lshrrev_b64 v[4:5], v15, v[4:5]
	v_bfi_b32 v13, v13, 0, 0
	s_delay_alu instid0(VALU_DEP_1) | instskip(NEXT) | instid1(VALU_DEP_3)
	v_cmp_eq_u64_e64 s13, v[12:13], v[30:31]
	v_mov_b64_e32 v[12:13], v[4:5]
	s_and_saveexec_b32 s77, s13
; %bb.13516:                            ;   in Loop: Header=BB4_12924 Depth=3
	v_bfe_u32 v12, v4, 21, 1
	v_mov_b32_e32 v13, v3
	s_delay_alu instid0(VALU_DEP_1) | instskip(NEXT) | instid1(VALU_DEP_1)
	v_add_nc_u64_e32 v[12:13], v[4:5], v[12:13]
	v_add_nc_u64_e32 v[12:13], -1, v[12:13]
; %bb.13517:                            ;   in Loop: Header=BB4_12924 Depth=3
	s_or_b32 exec_lo, exec_lo, s77
	v_add_nc_u32_e32 v5, 0xffffff81, v14
	v_lshrrev_b32_e32 v13, 23, v4
	s_mov_b32 s13, exec_lo
	s_delay_alu instid0(VALU_DEP_2) | instskip(NEXT) | instid1(VALU_DEP_1)
	v_cndmask_b32_e64 v5, v5, 0xffffff82, vcc_lo
	v_add3_u32 v13, v15, v5, v13
	v_and_b32_e32 v5, 0x1fffff, v12
                                        ; implicit-def: $vgpr12
	s_delay_alu instid0(VALU_DEP_1) | instskip(SKIP_1) | instid1(VALU_DEP_2)
	v_dual_add_nc_u32 v14, 14, v13 :: v_dual_add_nc_u32 v4, v5, v4
	v_mov_b32_e32 v5, v3
	v_cmpx_ne_u32_e32 0, v14
	s_xor_b32 s13, exec_lo, s13
; %bb.13518:                            ;   in Loop: Header=BB4_12924 Depth=3
	s_delay_alu instid0(VALU_DEP_2) | instskip(SKIP_2) | instid1(VALU_DEP_2)
	v_cmp_lt_u64_e32 vcc_lo, 0xffffff, v[4:5]
	v_add_nc_u32_e32 v12, 15, v13
	v_cndmask_b32_e64 v13, 0, 1, vcc_lo
	v_cndmask_b32_e32 v12, v14, v12, vcc_lo
	s_delay_alu instid0(VALU_DEP_2)
	v_lshrrev_b64 v[4:5], v13, v[4:5]
; %bb.13519:                            ;   in Loop: Header=BB4_12924 Depth=3
	s_and_not1_saveexec_b32 s13, s13
; %bb.13520:                            ;   in Loop: Header=BB4_12924 Depth=3
	s_delay_alu instid0(VALU_DEP_1)
	v_bfe_u32 v12, v4, 23, 1
; %bb.13521:                            ;   in Loop: Header=BB4_12924 Depth=3
	s_or_b32 exec_lo, exec_lo, s13
	s_delay_alu instid0(VALU_DEP_2) | instskip(NEXT) | instid1(VALU_DEP_2)
	v_lshrrev_b64 v[4:5], 21, v[4:5]
	v_cmp_gt_i32_e32 vcc_lo, 32, v12
	v_min_i32_e32 v13, 31, v12
	v_cmp_eq_u32_e64 s13, 0, v12
	s_delay_alu instid0(VALU_DEP_4) | instskip(NEXT) | instid1(VALU_DEP_3)
	v_cndmask_b32_e32 v5, 0, v5, vcc_lo
	v_dual_cndmask_b32 v4, 3, v4 :: v_dual_lshlrev_b32 v13, 2, v13
	s_delay_alu instid0(VALU_DEP_1) | instskip(NEXT) | instid1(VALU_DEP_2)
	v_and_b32_e32 v13, 0xfc, v13
	v_cmp_eq_u64_e32 vcc_lo, 0, v[4:5]
	s_delay_alu instid0(VALU_DEP_2)
	v_and_or_b32 v4, v4, 3, v13
	s_and_b32 s13, s13, vcc_lo
	s_delay_alu instid0(VALU_DEP_1) | instid1(SALU_CYCLE_1)
	v_cndmask_b32_e64 v4, v4, 0, s13
	s_delay_alu instid0(VALU_DEP_1)
	v_or_b32_e32 v60, v4, v2
.LBB4_13522:                            ;   in Loop: Header=BB4_12924 Depth=3
	s_or_b32 exec_lo, exec_lo, s76
                                        ; implicit-def: $vgpr2
.LBB4_13523:                            ;   in Loop: Header=BB4_12924 Depth=3
	s_and_not1_saveexec_b32 s13, s75
; %bb.13524:                            ;   in Loop: Header=BB4_12924 Depth=3
	v_or_b32_e32 v60, 0x7b, v2
; %bb.13525:                            ;   in Loop: Header=BB4_12924 Depth=3
	s_or_b32 exec_lo, exec_lo, s13
                                        ; implicit-def: $vgpr12
                                        ; implicit-def: $vgpr4_vgpr5
                                        ; implicit-def: $vgpr2
.LBB4_13526:                            ;   in Loop: Header=BB4_12924 Depth=3
	s_and_not1_saveexec_b32 s13, s74
	s_cbranch_execz .LBB4_13532
; %bb.13527:                            ;   in Loop: Header=BB4_12924 Depth=3
	s_mov_b32 s74, exec_lo
                                        ; implicit-def: $vgpr60
	v_cmpx_ne_u64_e32 0, v[4:5]
	s_xor_b32 s74, exec_lo, s74
; %bb.13528:                            ;   in Loop: Header=BB4_12924 Depth=3
	v_or_b32_e32 v60, 0x7f, v2
                                        ; implicit-def: $vgpr12
; %bb.13529:                            ;   in Loop: Header=BB4_12924 Depth=3
	s_and_not1_saveexec_b32 s74, s74
; %bb.13530:                            ;   in Loop: Header=BB4_12924 Depth=3
	v_cmp_lt_i32_e32 vcc_lo, -1, v12
	v_cndmask_b32_e32 v60, 0xfc, v49, vcc_lo
; %bb.13531:                            ;   in Loop: Header=BB4_12924 Depth=3
	s_or_b32 exec_lo, exec_lo, s74
.LBB4_13532:                            ;   in Loop: Header=BB4_12924 Depth=3
	s_delay_alu instid0(SALU_CYCLE_1) | instskip(SKIP_4) | instid1(VALU_DEP_3)
	s_or_b32 exec_lo, exec_lo, s13
	v_and_b32_e32 v2, 0xff, v9
	v_dual_mov_b32 v4, v9 :: v_dual_mov_b32 v5, v3
	v_mov_b32_e32 v12, 0
	s_mov_b32 s13, exec_lo
	v_cmpx_ne_u16_e32 0, v2
	s_cbranch_execz .LBB4_13542
; %bb.13533:                            ;   in Loop: Header=BB4_12924 Depth=3
	v_bfrev_b32_e32 v12, 1
	s_mov_b32 s74, exec_lo
	v_cmpx_ne_u16_e32 0x80, v2
	s_cbranch_execz .LBB4_13541
; %bb.13534:                            ;   in Loop: Header=BB4_12924 Depth=3
	v_and_b32_e32 v12, 0x7c, v9
	v_and_b32_e32 v2, 3, v9
	s_delay_alu instid0(VALU_DEP_2) | instskip(SKIP_1) | instid1(SALU_CYCLE_1)
	v_cmp_ne_u32_e32 vcc_lo, 0x7c, v12
                                        ; implicit-def: $vgpr12
	s_and_saveexec_b32 s75, vcc_lo
	s_xor_b32 s75, exec_lo, s75
	s_cbranch_execz .LBB4_13538
; %bb.13535:                            ;   in Loop: Header=BB4_12924 Depth=3
	v_bfe_u32 v12, v9, 2, 5
	s_mov_b32 s76, exec_lo
	s_delay_alu instid0(VALU_DEP_1)
	v_cmpx_eq_u32_e32 0, v12
; %bb.13536:                            ;   in Loop: Header=BB4_12924 Depth=3
	v_clz_i32_u32_e32 v2, v2
	s_delay_alu instid0(VALU_DEP_1) | instskip(NEXT) | instid1(VALU_DEP_1)
	v_min_u32_e32 v2, 32, v2
	v_subrev_nc_u32_e32 v12, 29, v2
	s_delay_alu instid0(VALU_DEP_1) | instskip(SKIP_1) | instid1(VALU_DEP_2)
	v_lshlrev_b64_e32 v[14:15], v12, v[4:5]
	v_sub_nc_u32_e32 v12, 30, v2
	v_and_b32_e32 v2, 3, v14
; %bb.13537:                            ;   in Loop: Header=BB4_12924 Depth=3
	s_or_b32 exec_lo, exec_lo, s76
	v_lshlrev_b32_e32 v5, 24, v9
	s_delay_alu instid0(VALU_DEP_1) | instskip(NEXT) | instid1(VALU_DEP_1)
	v_and_b32_e32 v5, 0x80000000, v5
	v_lshl_add_u32 v5, v12, 23, v5
	s_delay_alu instid0(VALU_DEP_1) | instskip(NEXT) | instid1(VALU_DEP_1)
	v_lshl_or_b32 v2, v2, 21, v5
	v_add_nc_u32_e32 v12, 0x38000000, v2
                                        ; implicit-def: $vgpr2
.LBB4_13538:                            ;   in Loop: Header=BB4_12924 Depth=3
	s_and_not1_saveexec_b32 s75, s75
; %bb.13539:                            ;   in Loop: Header=BB4_12924 Depth=3
	v_bfe_i32 v5, v9, 0, 8
	s_delay_alu instid0(VALU_DEP_1) | instskip(SKIP_2) | instid1(VALU_DEP_2)
	v_cmp_lt_i16_e32 vcc_lo, -1, v5
	v_cndmask_b32_e32 v5, 0xff800000, v48, vcc_lo
	v_cmp_eq_u32_e32 vcc_lo, 0, v2
	v_cndmask_b32_e32 v12, 0x7f800001, v5, vcc_lo
; %bb.13540:                            ;   in Loop: Header=BB4_12924 Depth=3
	s_or_b32 exec_lo, exec_lo, s75
.LBB4_13541:                            ;   in Loop: Header=BB4_12924 Depth=3
	s_delay_alu instid0(SALU_CYCLE_1)
	s_or_b32 exec_lo, exec_lo, s74
.LBB4_13542:                            ;   in Loop: Header=BB4_12924 Depth=3
	s_delay_alu instid0(SALU_CYCLE_1) | instskip(NEXT) | instid1(VALU_DEP_1)
	s_or_b32 exec_lo, exec_lo, s13
	v_dual_mul_f32 v5, s73, v12 :: v_dual_mov_b32 v15, v3
	v_mov_b32_e32 v13, v3
                                        ; implicit-def: $vgpr113
	s_mov_b32 s13, exec_lo
	s_delay_alu instid0(VALU_DEP_2) | instskip(SKIP_2) | instid1(VALU_DEP_3)
	v_and_b32_e32 v14, 0x7f800000, v5
	v_and_b32_e32 v12, 0x7fffff, v5
	v_lshrrev_b32_e32 v2, 24, v5
	v_cmpx_ne_u64_e32 0x7f800000, v[14:15]
	s_xor_b32 s74, exec_lo, s13
	s_cbranch_execz .LBB4_13556
; %bb.13543:                            ;   in Loop: Header=BB4_12924 Depth=3
	v_and_b32_e32 v14, 0x7fffffff, v5
	v_mov_b32_e32 v15, v3
	v_and_b32_e32 v2, 0x80, v2
                                        ; implicit-def: $vgpr113
	s_mov_b32 s13, exec_lo
	s_delay_alu instid0(VALU_DEP_2)
	v_cmpx_gt_u64_e32 0x47600001, v[14:15]
	s_xor_b32 s75, exec_lo, s13
	s_cbranch_execz .LBB4_13553
; %bb.13544:                            ;   in Loop: Header=BB4_12924 Depth=3
	v_mov_b32_e32 v113, 0
	s_mov_b32 s76, exec_lo
	v_cmpx_ne_u32_e32 0, v5
	s_cbranch_execz .LBB4_13552
; %bb.13545:                            ;   in Loop: Header=BB4_12924 Depth=3
	v_bfe_u32 v5, v5, 23, 8
	v_or_b32_e32 v31, 0x800000, v12
	s_delay_alu instid0(VALU_DEP_2) | instskip(SKIP_1) | instid1(VALU_DEP_2)
	v_sub_nc_u32_e32 v14, 0x71, v5
	v_cmp_gt_u32_e32 vcc_lo, 0x72, v5
	v_cndmask_b32_e32 v14, 0, v14, vcc_lo
	v_cmp_eq_u32_e32 vcc_lo, 0, v5
	v_cndmask_b32_e32 v12, v31, v12, vcc_lo
	s_delay_alu instid0(VALU_DEP_3) | instskip(NEXT) | instid1(VALU_DEP_1)
	v_cndmask_b32_e64 v30, v14, 0x70, vcc_lo
	v_dual_add_nc_u32 v14, 21, v30 :: v_dual_add_nc_u32 v50, 20, v30
	s_delay_alu instid0(VALU_DEP_1) | instskip(NEXT) | instid1(VALU_DEP_2)
	v_lshlrev_b64_e64 v[14:15], v14, -1
	v_lshlrev_b64_e64 v[50:51], v50, 1
	s_delay_alu instid0(VALU_DEP_2) | instskip(SKIP_1) | instid1(VALU_DEP_4)
	v_bfi_b32 v14, v14, 0, v12
	v_lshrrev_b64 v[12:13], v30, v[12:13]
	v_bfi_b32 v15, v15, 0, 0
	s_delay_alu instid0(VALU_DEP_1) | instskip(NEXT) | instid1(VALU_DEP_3)
	v_cmp_eq_u64_e64 s13, v[14:15], v[50:51]
	v_mov_b64_e32 v[14:15], v[12:13]
	s_and_saveexec_b32 s77, s13
; %bb.13546:                            ;   in Loop: Header=BB4_12924 Depth=3
	v_bfe_u32 v14, v12, 21, 1
	v_mov_b32_e32 v15, v3
	s_delay_alu instid0(VALU_DEP_1) | instskip(NEXT) | instid1(VALU_DEP_1)
	v_add_nc_u64_e32 v[14:15], v[12:13], v[14:15]
	v_add_nc_u64_e32 v[14:15], -1, v[14:15]
; %bb.13547:                            ;   in Loop: Header=BB4_12924 Depth=3
	s_or_b32 exec_lo, exec_lo, s77
	v_add_nc_u32_e32 v5, 0xffffff81, v5
	v_lshrrev_b32_e32 v13, 23, v12
	s_mov_b32 s13, exec_lo
	s_delay_alu instid0(VALU_DEP_2) | instskip(NEXT) | instid1(VALU_DEP_1)
	v_cndmask_b32_e64 v5, v5, 0xffffff82, vcc_lo
	v_add3_u32 v15, v30, v5, v13
	v_and_b32_e32 v5, 0x1fffff, v14
	s_delay_alu instid0(VALU_DEP_2) | instskip(NEXT) | instid1(VALU_DEP_2)
	v_dual_mov_b32 v13, v3 :: v_dual_add_nc_u32 v14, 14, v15
	v_add_nc_u32_e32 v12, v5, v12
                                        ; implicit-def: $vgpr5
	s_delay_alu instid0(VALU_DEP_2)
	v_cmpx_ne_u32_e32 0, v14
	s_xor_b32 s13, exec_lo, s13
; %bb.13548:                            ;   in Loop: Header=BB4_12924 Depth=3
	s_delay_alu instid0(VALU_DEP_2) | instskip(SKIP_1) | instid1(VALU_DEP_1)
	v_cmp_lt_u64_e32 vcc_lo, 0xffffff, v[12:13]
	v_add_nc_u32_e32 v5, 15, v15
	v_cndmask_b32_e32 v5, v14, v5, vcc_lo
	v_cndmask_b32_e64 v14, 0, 1, vcc_lo
	s_delay_alu instid0(VALU_DEP_1)
	v_lshrrev_b64 v[12:13], v14, v[12:13]
; %bb.13549:                            ;   in Loop: Header=BB4_12924 Depth=3
	s_and_not1_saveexec_b32 s13, s13
; %bb.13550:                            ;   in Loop: Header=BB4_12924 Depth=3
	s_delay_alu instid0(VALU_DEP_1)
	v_bfe_u32 v5, v12, 23, 1
; %bb.13551:                            ;   in Loop: Header=BB4_12924 Depth=3
	s_or_b32 exec_lo, exec_lo, s13
	s_delay_alu instid0(VALU_DEP_2) | instskip(NEXT) | instid1(VALU_DEP_2)
	v_lshrrev_b64 v[12:13], 21, v[12:13]
	v_cmp_gt_i32_e32 vcc_lo, 32, v5
	v_min_i32_e32 v14, 31, v5
	v_cmp_eq_u32_e64 s13, 0, v5
	s_delay_alu instid0(VALU_DEP_2) | instskip(SKIP_1) | instid1(VALU_DEP_2)
	v_dual_cndmask_b32 v12, 3, v12, vcc_lo :: v_dual_lshlrev_b32 v14, 2, v14
	v_cndmask_b32_e32 v13, 0, v13, vcc_lo
	v_and_b32_e32 v14, 0xfc, v14
	s_delay_alu instid0(VALU_DEP_2) | instskip(NEXT) | instid1(VALU_DEP_2)
	v_cmp_eq_u64_e32 vcc_lo, 0, v[12:13]
	v_and_or_b32 v5, v12, 3, v14
	s_and_b32 s13, s13, vcc_lo
	s_delay_alu instid0(VALU_DEP_1) | instid1(SALU_CYCLE_1)
	v_cndmask_b32_e64 v5, v5, 0, s13
	s_delay_alu instid0(VALU_DEP_1)
	v_or_b32_e32 v113, v5, v2
.LBB4_13552:                            ;   in Loop: Header=BB4_12924 Depth=3
	s_or_b32 exec_lo, exec_lo, s76
                                        ; implicit-def: $vgpr2
.LBB4_13553:                            ;   in Loop: Header=BB4_12924 Depth=3
	s_and_not1_saveexec_b32 s13, s75
; %bb.13554:                            ;   in Loop: Header=BB4_12924 Depth=3
	v_or_b32_e32 v113, 0x7b, v2
; %bb.13555:                            ;   in Loop: Header=BB4_12924 Depth=3
	s_or_b32 exec_lo, exec_lo, s13
                                        ; implicit-def: $vgpr5
                                        ; implicit-def: $vgpr12_vgpr13
                                        ; implicit-def: $vgpr2
.LBB4_13556:                            ;   in Loop: Header=BB4_12924 Depth=3
	s_and_not1_saveexec_b32 s13, s74
	s_cbranch_execz .LBB4_13562
; %bb.13557:                            ;   in Loop: Header=BB4_12924 Depth=3
	s_mov_b32 s74, exec_lo
                                        ; implicit-def: $vgpr113
	v_cmpx_ne_u64_e32 0, v[12:13]
	s_xor_b32 s74, exec_lo, s74
; %bb.13558:                            ;   in Loop: Header=BB4_12924 Depth=3
	v_or_b32_e32 v113, 0x7f, v2
                                        ; implicit-def: $vgpr5
; %bb.13559:                            ;   in Loop: Header=BB4_12924 Depth=3
	s_and_not1_saveexec_b32 s74, s74
; %bb.13560:                            ;   in Loop: Header=BB4_12924 Depth=3
	v_cmp_lt_i32_e32 vcc_lo, -1, v5
	v_cndmask_b32_e32 v113, 0xfc, v49, vcc_lo
; %bb.13561:                            ;   in Loop: Header=BB4_12924 Depth=3
	s_or_b32 exec_lo, exec_lo, s74
.LBB4_13562:                            ;   in Loop: Header=BB4_12924 Depth=3
	s_delay_alu instid0(SALU_CYCLE_1) | instskip(SKIP_3) | instid1(VALU_DEP_2)
	s_or_b32 exec_lo, exec_lo, s13
	v_lshrrev_b16 v12, 8, v4
	v_mov_b32_e32 v13, 0
	s_mov_b32 s13, exec_lo
	v_cmpx_ne_u16_e32 0, v12
	s_cbranch_execz .LBB4_13572
; %bb.13563:                            ;   in Loop: Header=BB4_12924 Depth=3
	v_bfrev_b32_e32 v13, 1
	s_mov_b32 s74, exec_lo
	v_cmpx_ne_u16_e32 0x80, v12
	s_cbranch_execz .LBB4_13571
; %bb.13564:                            ;   in Loop: Header=BB4_12924 Depth=3
	v_and_b32_e32 v5, 0xffff, v12
	s_delay_alu instid0(VALU_DEP_1) | instskip(SKIP_1) | instid1(VALU_DEP_2)
	v_and_b32_e32 v13, 0x7c, v5
	v_and_b32_e32 v2, 3, v5
	v_cmp_ne_u32_e32 vcc_lo, 0x7c, v13
                                        ; implicit-def: $vgpr13
	s_and_saveexec_b32 s75, vcc_lo
	s_delay_alu instid0(SALU_CYCLE_1)
	s_xor_b32 s75, exec_lo, s75
	s_cbranch_execz .LBB4_13568
; %bb.13565:                            ;   in Loop: Header=BB4_12924 Depth=3
	v_bfe_u32 v5, v5, 2, 5
	s_mov_b32 s76, exec_lo
	s_delay_alu instid0(VALU_DEP_1)
	v_cmpx_eq_u32_e32 0, v5
; %bb.13566:                            ;   in Loop: Header=BB4_12924 Depth=3
	v_clz_i32_u32_e32 v2, v2
	s_delay_alu instid0(VALU_DEP_1) | instskip(SKIP_1) | instid1(VALU_DEP_2)
	v_min_u32_e32 v2, 32, v2
	v_mov_b32_e32 v13, v3
	v_subrev_nc_u32_e32 v5, 29, v2
	s_delay_alu instid0(VALU_DEP_1) | instskip(NEXT) | instid1(VALU_DEP_1)
	v_lshlrev_b64_e32 v[12:13], v5, v[12:13]
	v_dual_sub_nc_u32 v5, 30, v2 :: v_dual_bitop2_b32 v2, 3, v12 bitop3:0x40
; %bb.13567:                            ;   in Loop: Header=BB4_12924 Depth=3
	s_or_b32 exec_lo, exec_lo, s76
	v_lshlrev_b32_e32 v4, 16, v4
	s_delay_alu instid0(VALU_DEP_1) | instskip(NEXT) | instid1(VALU_DEP_1)
	v_and_b32_e32 v4, 0x80000000, v4
	v_lshl_add_u32 v4, v5, 23, v4
	s_delay_alu instid0(VALU_DEP_1) | instskip(NEXT) | instid1(VALU_DEP_1)
	v_lshl_or_b32 v2, v2, 21, v4
                                        ; implicit-def: $vgpr4_vgpr5
	v_add_nc_u32_e32 v13, 0x38000000, v2
                                        ; implicit-def: $vgpr2
.LBB4_13568:                            ;   in Loop: Header=BB4_12924 Depth=3
	s_and_not1_saveexec_b32 s75, s75
; %bb.13569:                            ;   in Loop: Header=BB4_12924 Depth=3
	v_cmp_lt_i16_e32 vcc_lo, -1, v4
	v_cndmask_b32_e32 v4, 0xff800000, v48, vcc_lo
	v_cmp_eq_u32_e32 vcc_lo, 0, v2
	s_delay_alu instid0(VALU_DEP_2)
	v_cndmask_b32_e32 v13, 0x7f800001, v4, vcc_lo
; %bb.13570:                            ;   in Loop: Header=BB4_12924 Depth=3
	s_or_b32 exec_lo, exec_lo, s75
.LBB4_13571:                            ;   in Loop: Header=BB4_12924 Depth=3
	s_delay_alu instid0(SALU_CYCLE_1)
	s_or_b32 exec_lo, exec_lo, s74
.LBB4_13572:                            ;   in Loop: Header=BB4_12924 Depth=3
	s_delay_alu instid0(SALU_CYCLE_1) | instskip(NEXT) | instid1(VALU_DEP_1)
	s_or_b32 exec_lo, exec_lo, s13
	v_dual_mul_f32 v12, s73, v13 :: v_dual_mov_b32 v15, v3
	v_mov_b32_e32 v5, v3
                                        ; implicit-def: $vgpr66
	s_mov_b32 s13, exec_lo
	s_delay_alu instid0(VALU_DEP_2) | instskip(SKIP_2) | instid1(VALU_DEP_3)
	v_and_b32_e32 v14, 0x7f800000, v12
	v_and_b32_e32 v4, 0x7fffff, v12
	v_lshrrev_b32_e32 v2, 24, v12
	v_cmpx_ne_u64_e32 0x7f800000, v[14:15]
	s_xor_b32 s74, exec_lo, s13
	s_cbranch_execz .LBB4_13586
; %bb.13573:                            ;   in Loop: Header=BB4_12924 Depth=3
	v_and_b32_e32 v14, 0x7fffffff, v12
	v_mov_b32_e32 v15, v3
	v_and_b32_e32 v2, 0x80, v2
                                        ; implicit-def: $vgpr66
	s_mov_b32 s13, exec_lo
	s_delay_alu instid0(VALU_DEP_2)
	v_cmpx_gt_u64_e32 0x47600001, v[14:15]
	s_xor_b32 s75, exec_lo, s13
	s_cbranch_execz .LBB4_13583
; %bb.13574:                            ;   in Loop: Header=BB4_12924 Depth=3
	v_mov_b32_e32 v66, 0
	s_mov_b32 s76, exec_lo
	v_cmpx_ne_u32_e32 0, v12
	s_cbranch_execz .LBB4_13582
; %bb.13575:                            ;   in Loop: Header=BB4_12924 Depth=3
	v_bfe_u32 v14, v12, 23, 8
	v_or_b32_e32 v30, 0x800000, v4
	s_delay_alu instid0(VALU_DEP_2) | instskip(SKIP_1) | instid1(VALU_DEP_2)
	v_sub_nc_u32_e32 v12, 0x71, v14
	v_cmp_gt_u32_e32 vcc_lo, 0x72, v14
	v_cndmask_b32_e32 v12, 0, v12, vcc_lo
	v_cmp_eq_u32_e32 vcc_lo, 0, v14
	s_delay_alu instid0(VALU_DEP_2) | instskip(NEXT) | instid1(VALU_DEP_1)
	v_cndmask_b32_e64 v15, v12, 0x70, vcc_lo
	v_dual_cndmask_b32 v4, v30, v4, vcc_lo :: v_dual_add_nc_u32 v12, 21, v15
	v_add_nc_u32_e32 v31, 20, v15
	s_delay_alu instid0(VALU_DEP_2) | instskip(NEXT) | instid1(VALU_DEP_2)
	v_lshlrev_b64_e64 v[12:13], v12, -1
	v_lshlrev_b64_e64 v[30:31], v31, 1
	s_delay_alu instid0(VALU_DEP_2) | instskip(SKIP_1) | instid1(VALU_DEP_4)
	v_bfi_b32 v12, v12, 0, v4
	v_lshrrev_b64 v[4:5], v15, v[4:5]
	v_bfi_b32 v13, v13, 0, 0
	s_delay_alu instid0(VALU_DEP_1) | instskip(NEXT) | instid1(VALU_DEP_3)
	v_cmp_eq_u64_e64 s13, v[12:13], v[30:31]
	v_mov_b64_e32 v[12:13], v[4:5]
	s_and_saveexec_b32 s77, s13
; %bb.13576:                            ;   in Loop: Header=BB4_12924 Depth=3
	v_bfe_u32 v12, v4, 21, 1
	v_mov_b32_e32 v13, v3
	s_delay_alu instid0(VALU_DEP_1) | instskip(NEXT) | instid1(VALU_DEP_1)
	v_add_nc_u64_e32 v[12:13], v[4:5], v[12:13]
	v_add_nc_u64_e32 v[12:13], -1, v[12:13]
; %bb.13577:                            ;   in Loop: Header=BB4_12924 Depth=3
	s_or_b32 exec_lo, exec_lo, s77
	v_add_nc_u32_e32 v5, 0xffffff81, v14
	v_lshrrev_b32_e32 v13, 23, v4
	s_mov_b32 s13, exec_lo
	s_delay_alu instid0(VALU_DEP_2) | instskip(NEXT) | instid1(VALU_DEP_1)
	v_cndmask_b32_e64 v5, v5, 0xffffff82, vcc_lo
	v_add3_u32 v13, v15, v5, v13
	v_and_b32_e32 v5, 0x1fffff, v12
                                        ; implicit-def: $vgpr12
	s_delay_alu instid0(VALU_DEP_1) | instskip(SKIP_1) | instid1(VALU_DEP_2)
	v_dual_add_nc_u32 v14, 14, v13 :: v_dual_add_nc_u32 v4, v5, v4
	v_mov_b32_e32 v5, v3
	v_cmpx_ne_u32_e32 0, v14
	s_xor_b32 s13, exec_lo, s13
; %bb.13578:                            ;   in Loop: Header=BB4_12924 Depth=3
	s_delay_alu instid0(VALU_DEP_2) | instskip(SKIP_2) | instid1(VALU_DEP_2)
	v_cmp_lt_u64_e32 vcc_lo, 0xffffff, v[4:5]
	v_add_nc_u32_e32 v12, 15, v13
	v_cndmask_b32_e64 v13, 0, 1, vcc_lo
	v_cndmask_b32_e32 v12, v14, v12, vcc_lo
	s_delay_alu instid0(VALU_DEP_2)
	v_lshrrev_b64 v[4:5], v13, v[4:5]
; %bb.13579:                            ;   in Loop: Header=BB4_12924 Depth=3
	s_and_not1_saveexec_b32 s13, s13
; %bb.13580:                            ;   in Loop: Header=BB4_12924 Depth=3
	s_delay_alu instid0(VALU_DEP_1)
	v_bfe_u32 v12, v4, 23, 1
; %bb.13581:                            ;   in Loop: Header=BB4_12924 Depth=3
	s_or_b32 exec_lo, exec_lo, s13
	s_delay_alu instid0(VALU_DEP_2) | instskip(NEXT) | instid1(VALU_DEP_2)
	v_lshrrev_b64 v[4:5], 21, v[4:5]
	v_cmp_gt_i32_e32 vcc_lo, 32, v12
	v_min_i32_e32 v13, 31, v12
	v_cmp_eq_u32_e64 s13, 0, v12
	s_delay_alu instid0(VALU_DEP_4) | instskip(NEXT) | instid1(VALU_DEP_3)
	v_cndmask_b32_e32 v5, 0, v5, vcc_lo
	v_dual_cndmask_b32 v4, 3, v4 :: v_dual_lshlrev_b32 v13, 2, v13
	s_delay_alu instid0(VALU_DEP_1) | instskip(NEXT) | instid1(VALU_DEP_2)
	v_and_b32_e32 v13, 0xfc, v13
	v_cmp_eq_u64_e32 vcc_lo, 0, v[4:5]
	s_delay_alu instid0(VALU_DEP_2)
	v_and_or_b32 v4, v4, 3, v13
	s_and_b32 s13, s13, vcc_lo
	s_delay_alu instid0(VALU_DEP_1) | instid1(SALU_CYCLE_1)
	v_cndmask_b32_e64 v4, v4, 0, s13
	s_delay_alu instid0(VALU_DEP_1)
	v_or_b32_e32 v66, v4, v2
.LBB4_13582:                            ;   in Loop: Header=BB4_12924 Depth=3
	s_or_b32 exec_lo, exec_lo, s76
                                        ; implicit-def: $vgpr2
.LBB4_13583:                            ;   in Loop: Header=BB4_12924 Depth=3
	s_and_not1_saveexec_b32 s13, s75
; %bb.13584:                            ;   in Loop: Header=BB4_12924 Depth=3
	v_or_b32_e32 v66, 0x7b, v2
; %bb.13585:                            ;   in Loop: Header=BB4_12924 Depth=3
	s_or_b32 exec_lo, exec_lo, s13
                                        ; implicit-def: $vgpr12
                                        ; implicit-def: $vgpr4_vgpr5
                                        ; implicit-def: $vgpr2
.LBB4_13586:                            ;   in Loop: Header=BB4_12924 Depth=3
	s_and_not1_saveexec_b32 s13, s74
	s_cbranch_execz .LBB4_13592
; %bb.13587:                            ;   in Loop: Header=BB4_12924 Depth=3
	s_mov_b32 s74, exec_lo
                                        ; implicit-def: $vgpr66
	v_cmpx_ne_u64_e32 0, v[4:5]
	s_xor_b32 s74, exec_lo, s74
; %bb.13588:                            ;   in Loop: Header=BB4_12924 Depth=3
	v_or_b32_e32 v66, 0x7f, v2
                                        ; implicit-def: $vgpr12
; %bb.13589:                            ;   in Loop: Header=BB4_12924 Depth=3
	s_and_not1_saveexec_b32 s74, s74
; %bb.13590:                            ;   in Loop: Header=BB4_12924 Depth=3
	v_cmp_lt_i32_e32 vcc_lo, -1, v12
	v_cndmask_b32_e32 v66, 0xfc, v49, vcc_lo
; %bb.13591:                            ;   in Loop: Header=BB4_12924 Depth=3
	s_or_b32 exec_lo, exec_lo, s74
.LBB4_13592:                            ;   in Loop: Header=BB4_12924 Depth=3
	s_delay_alu instid0(SALU_CYCLE_1) | instskip(SKIP_2) | instid1(VALU_DEP_1)
	s_or_b32 exec_lo, exec_lo, s13
	v_dual_mov_b32 v5, 0 :: v_dual_lshrrev_b32 v2, 16, v9
	s_mov_b32 s13, exec_lo
	v_and_b32_e32 v4, 0xff, v2
	s_delay_alu instid0(VALU_DEP_1)
	v_cmpx_ne_u16_e32 0, v4
	s_cbranch_execz .LBB4_13602
; %bb.13593:                            ;   in Loop: Header=BB4_12924 Depth=3
	v_bfrev_b32_e32 v5, 1
	s_mov_b32 s74, exec_lo
	v_cmpx_ne_u16_e32 0x80, v4
	s_cbranch_execz .LBB4_13601
; %bb.13594:                            ;   in Loop: Header=BB4_12924 Depth=3
	v_and_b32_e32 v5, 0x7c0000, v9
	v_bfe_u32 v4, v9, 16, 2
	s_delay_alu instid0(VALU_DEP_2) | instskip(SKIP_1) | instid1(SALU_CYCLE_1)
	v_cmp_ne_u32_e32 vcc_lo, 0x7c0000, v5
                                        ; implicit-def: $vgpr5
	s_and_saveexec_b32 s75, vcc_lo
	s_xor_b32 s75, exec_lo, s75
	s_cbranch_execz .LBB4_13598
; %bb.13595:                            ;   in Loop: Header=BB4_12924 Depth=3
	v_bfe_u32 v5, v9, 18, 5
	s_mov_b32 s76, exec_lo
	s_delay_alu instid0(VALU_DEP_1)
	v_cmpx_eq_u32_e32 0, v5
; %bb.13596:                            ;   in Loop: Header=BB4_12924 Depth=3
	v_clz_i32_u32_e32 v4, v4
	s_delay_alu instid0(VALU_DEP_1) | instskip(NEXT) | instid1(VALU_DEP_1)
	v_min_u32_e32 v12, 32, v4
	v_subrev_nc_u32_e32 v4, 29, v12
	s_delay_alu instid0(VALU_DEP_1) | instskip(SKIP_1) | instid1(VALU_DEP_2)
	v_lshlrev_b64_e32 v[4:5], v4, v[2:3]
	v_sub_nc_u32_e32 v5, 30, v12
	v_and_b32_e32 v4, 3, v4
; %bb.13597:                            ;   in Loop: Header=BB4_12924 Depth=3
	s_or_b32 exec_lo, exec_lo, s76
	v_lshlrev_b32_e32 v2, 24, v2
	s_delay_alu instid0(VALU_DEP_1) | instskip(NEXT) | instid1(VALU_DEP_1)
	v_and_b32_e32 v2, 0x80000000, v2
	v_lshl_add_u32 v2, v5, 23, v2
	s_delay_alu instid0(VALU_DEP_1) | instskip(NEXT) | instid1(VALU_DEP_1)
	v_lshl_or_b32 v2, v4, 21, v2
                                        ; implicit-def: $vgpr4
	v_add_nc_u32_e32 v5, 0x38000000, v2
                                        ; implicit-def: $vgpr2
.LBB4_13598:                            ;   in Loop: Header=BB4_12924 Depth=3
	s_and_not1_saveexec_b32 s75, s75
; %bb.13599:                            ;   in Loop: Header=BB4_12924 Depth=3
	v_bfe_i32 v2, v2, 0, 8
	s_delay_alu instid0(VALU_DEP_1) | instskip(SKIP_2) | instid1(VALU_DEP_2)
	v_cmp_lt_i16_e32 vcc_lo, -1, v2
	v_cndmask_b32_e32 v2, 0xff800000, v48, vcc_lo
	v_cmp_eq_u32_e32 vcc_lo, 0, v4
	v_cndmask_b32_e32 v5, 0x7f800001, v2, vcc_lo
; %bb.13600:                            ;   in Loop: Header=BB4_12924 Depth=3
	s_or_b32 exec_lo, exec_lo, s75
.LBB4_13601:                            ;   in Loop: Header=BB4_12924 Depth=3
	s_delay_alu instid0(SALU_CYCLE_1)
	s_or_b32 exec_lo, exec_lo, s74
.LBB4_13602:                            ;   in Loop: Header=BB4_12924 Depth=3
	s_delay_alu instid0(SALU_CYCLE_1) | instskip(NEXT) | instid1(VALU_DEP_1)
	s_or_b32 exec_lo, exec_lo, s13
	v_dual_mul_f32 v12, s73, v5 :: v_dual_mov_b32 v15, v3
	v_mov_b32_e32 v5, v3
                                        ; implicit-def: $vgpr118
	s_mov_b32 s13, exec_lo
	s_delay_alu instid0(VALU_DEP_2) | instskip(SKIP_2) | instid1(VALU_DEP_3)
	v_and_b32_e32 v14, 0x7f800000, v12
	v_and_b32_e32 v4, 0x7fffff, v12
	v_lshrrev_b32_e32 v2, 24, v12
	v_cmpx_ne_u64_e32 0x7f800000, v[14:15]
	s_xor_b32 s74, exec_lo, s13
	s_cbranch_execz .LBB4_13616
; %bb.13603:                            ;   in Loop: Header=BB4_12924 Depth=3
	v_and_b32_e32 v14, 0x7fffffff, v12
	v_mov_b32_e32 v15, v3
	v_and_b32_e32 v2, 0x80, v2
                                        ; implicit-def: $vgpr118
	s_mov_b32 s13, exec_lo
	s_delay_alu instid0(VALU_DEP_2)
	v_cmpx_gt_u64_e32 0x47600001, v[14:15]
	s_xor_b32 s75, exec_lo, s13
	s_cbranch_execz .LBB4_13613
; %bb.13604:                            ;   in Loop: Header=BB4_12924 Depth=3
	v_mov_b32_e32 v118, 0
	s_mov_b32 s76, exec_lo
	v_cmpx_ne_u32_e32 0, v12
	s_cbranch_execz .LBB4_13612
; %bb.13605:                            ;   in Loop: Header=BB4_12924 Depth=3
	v_bfe_u32 v14, v12, 23, 8
	v_or_b32_e32 v30, 0x800000, v4
	s_delay_alu instid0(VALU_DEP_2) | instskip(SKIP_1) | instid1(VALU_DEP_2)
	v_sub_nc_u32_e32 v12, 0x71, v14
	v_cmp_gt_u32_e32 vcc_lo, 0x72, v14
	v_cndmask_b32_e32 v12, 0, v12, vcc_lo
	v_cmp_eq_u32_e32 vcc_lo, 0, v14
	s_delay_alu instid0(VALU_DEP_2) | instskip(NEXT) | instid1(VALU_DEP_1)
	v_cndmask_b32_e64 v15, v12, 0x70, vcc_lo
	v_dual_cndmask_b32 v4, v30, v4, vcc_lo :: v_dual_add_nc_u32 v12, 21, v15
	v_add_nc_u32_e32 v31, 20, v15
	s_delay_alu instid0(VALU_DEP_2) | instskip(NEXT) | instid1(VALU_DEP_2)
	v_lshlrev_b64_e64 v[12:13], v12, -1
	v_lshlrev_b64_e64 v[30:31], v31, 1
	s_delay_alu instid0(VALU_DEP_2) | instskip(SKIP_1) | instid1(VALU_DEP_4)
	v_bfi_b32 v12, v12, 0, v4
	v_lshrrev_b64 v[4:5], v15, v[4:5]
	v_bfi_b32 v13, v13, 0, 0
	s_delay_alu instid0(VALU_DEP_1) | instskip(NEXT) | instid1(VALU_DEP_3)
	v_cmp_eq_u64_e64 s13, v[12:13], v[30:31]
	v_mov_b64_e32 v[12:13], v[4:5]
	s_and_saveexec_b32 s77, s13
; %bb.13606:                            ;   in Loop: Header=BB4_12924 Depth=3
	v_bfe_u32 v12, v4, 21, 1
	v_mov_b32_e32 v13, v3
	s_delay_alu instid0(VALU_DEP_1) | instskip(NEXT) | instid1(VALU_DEP_1)
	v_add_nc_u64_e32 v[12:13], v[4:5], v[12:13]
	v_add_nc_u64_e32 v[12:13], -1, v[12:13]
; %bb.13607:                            ;   in Loop: Header=BB4_12924 Depth=3
	s_or_b32 exec_lo, exec_lo, s77
	v_add_nc_u32_e32 v5, 0xffffff81, v14
	v_lshrrev_b32_e32 v13, 23, v4
	s_mov_b32 s13, exec_lo
	s_delay_alu instid0(VALU_DEP_2) | instskip(NEXT) | instid1(VALU_DEP_1)
	v_cndmask_b32_e64 v5, v5, 0xffffff82, vcc_lo
	v_add3_u32 v13, v15, v5, v13
	v_and_b32_e32 v5, 0x1fffff, v12
                                        ; implicit-def: $vgpr12
	s_delay_alu instid0(VALU_DEP_1) | instskip(SKIP_1) | instid1(VALU_DEP_2)
	v_dual_add_nc_u32 v14, 14, v13 :: v_dual_add_nc_u32 v4, v5, v4
	v_mov_b32_e32 v5, v3
	v_cmpx_ne_u32_e32 0, v14
	s_xor_b32 s13, exec_lo, s13
; %bb.13608:                            ;   in Loop: Header=BB4_12924 Depth=3
	s_delay_alu instid0(VALU_DEP_2) | instskip(SKIP_2) | instid1(VALU_DEP_2)
	v_cmp_lt_u64_e32 vcc_lo, 0xffffff, v[4:5]
	v_add_nc_u32_e32 v12, 15, v13
	v_cndmask_b32_e64 v13, 0, 1, vcc_lo
	v_cndmask_b32_e32 v12, v14, v12, vcc_lo
	s_delay_alu instid0(VALU_DEP_2)
	v_lshrrev_b64 v[4:5], v13, v[4:5]
; %bb.13609:                            ;   in Loop: Header=BB4_12924 Depth=3
	s_and_not1_saveexec_b32 s13, s13
; %bb.13610:                            ;   in Loop: Header=BB4_12924 Depth=3
	s_delay_alu instid0(VALU_DEP_1)
	v_bfe_u32 v12, v4, 23, 1
; %bb.13611:                            ;   in Loop: Header=BB4_12924 Depth=3
	s_or_b32 exec_lo, exec_lo, s13
	s_delay_alu instid0(VALU_DEP_2) | instskip(NEXT) | instid1(VALU_DEP_2)
	v_lshrrev_b64 v[4:5], 21, v[4:5]
	v_cmp_gt_i32_e32 vcc_lo, 32, v12
	v_min_i32_e32 v13, 31, v12
	v_cmp_eq_u32_e64 s13, 0, v12
	s_delay_alu instid0(VALU_DEP_4) | instskip(NEXT) | instid1(VALU_DEP_3)
	v_cndmask_b32_e32 v5, 0, v5, vcc_lo
	v_dual_cndmask_b32 v4, 3, v4 :: v_dual_lshlrev_b32 v13, 2, v13
	s_delay_alu instid0(VALU_DEP_1) | instskip(NEXT) | instid1(VALU_DEP_2)
	v_and_b32_e32 v13, 0xfc, v13
	v_cmp_eq_u64_e32 vcc_lo, 0, v[4:5]
	s_delay_alu instid0(VALU_DEP_2)
	v_and_or_b32 v4, v4, 3, v13
	s_and_b32 s13, s13, vcc_lo
	s_delay_alu instid0(VALU_DEP_1) | instid1(SALU_CYCLE_1)
	v_cndmask_b32_e64 v4, v4, 0, s13
	s_delay_alu instid0(VALU_DEP_1)
	v_or_b32_e32 v118, v4, v2
.LBB4_13612:                            ;   in Loop: Header=BB4_12924 Depth=3
	s_or_b32 exec_lo, exec_lo, s76
                                        ; implicit-def: $vgpr2
.LBB4_13613:                            ;   in Loop: Header=BB4_12924 Depth=3
	s_and_not1_saveexec_b32 s13, s75
; %bb.13614:                            ;   in Loop: Header=BB4_12924 Depth=3
	v_or_b32_e32 v118, 0x7b, v2
; %bb.13615:                            ;   in Loop: Header=BB4_12924 Depth=3
	s_or_b32 exec_lo, exec_lo, s13
                                        ; implicit-def: $vgpr12
                                        ; implicit-def: $vgpr4_vgpr5
                                        ; implicit-def: $vgpr2
.LBB4_13616:                            ;   in Loop: Header=BB4_12924 Depth=3
	s_and_not1_saveexec_b32 s13, s74
	s_cbranch_execz .LBB4_13622
; %bb.13617:                            ;   in Loop: Header=BB4_12924 Depth=3
	s_mov_b32 s74, exec_lo
                                        ; implicit-def: $vgpr118
	v_cmpx_ne_u64_e32 0, v[4:5]
	s_xor_b32 s74, exec_lo, s74
; %bb.13618:                            ;   in Loop: Header=BB4_12924 Depth=3
	v_or_b32_e32 v118, 0x7f, v2
                                        ; implicit-def: $vgpr12
; %bb.13619:                            ;   in Loop: Header=BB4_12924 Depth=3
	s_and_not1_saveexec_b32 s74, s74
; %bb.13620:                            ;   in Loop: Header=BB4_12924 Depth=3
	v_cmp_lt_i32_e32 vcc_lo, -1, v12
	v_cndmask_b32_e32 v118, 0xfc, v49, vcc_lo
; %bb.13621:                            ;   in Loop: Header=BB4_12924 Depth=3
	s_or_b32 exec_lo, exec_lo, s74
.LBB4_13622:                            ;   in Loop: Header=BB4_12924 Depth=3
	s_delay_alu instid0(SALU_CYCLE_1)
	s_or_b32 exec_lo, exec_lo, s13
	v_mov_b32_e32 v4, 0
	s_mov_b32 s13, exec_lo
	v_cmpx_lt_u64_e64 s[22:23], v[8:9]
	s_cbranch_execz .LBB4_13632
; %bb.13623:                            ;   in Loop: Header=BB4_12924 Depth=3
	v_lshrrev_b32_e32 v2, 24, v9
	v_bfrev_b32_e32 v4, 1
	s_mov_b32 s74, exec_lo
	s_delay_alu instid0(VALU_DEP_2)
	v_cmpx_ne_u32_e32 0x80, v2
	s_cbranch_execz .LBB4_13631
; %bb.13624:                            ;   in Loop: Header=BB4_12924 Depth=3
	v_and_b32_e32 v4, 0x7c000000, v9
	v_bfe_u32 v5, v9, 24, 2
	s_delay_alu instid0(VALU_DEP_2) | instskip(SKIP_1) | instid1(SALU_CYCLE_1)
	v_cmp_ne_u32_e32 vcc_lo, 0x7c000000, v4
                                        ; implicit-def: $vgpr4
	s_and_saveexec_b32 s75, vcc_lo
	s_xor_b32 s75, exec_lo, s75
	s_cbranch_execz .LBB4_13628
; %bb.13625:                            ;   in Loop: Header=BB4_12924 Depth=3
	v_bfe_u32 v4, v9, 26, 5
	s_mov_b32 s76, exec_lo
	s_delay_alu instid0(VALU_DEP_1)
	v_cmpx_eq_u32_e32 0, v4
; %bb.13626:                            ;   in Loop: Header=BB4_12924 Depth=3
	v_clz_i32_u32_e32 v4, v5
	s_delay_alu instid0(VALU_DEP_1) | instskip(NEXT) | instid1(VALU_DEP_1)
	v_min_u32_e32 v4, 32, v4
	v_subrev_nc_u32_e32 v5, 29, v4
	v_sub_nc_u32_e32 v4, 30, v4
	s_delay_alu instid0(VALU_DEP_2) | instskip(NEXT) | instid1(VALU_DEP_1)
	v_lshlrev_b64_e32 v[12:13], v5, v[2:3]
	v_and_b32_e32 v5, 3, v12
; %bb.13627:                            ;   in Loop: Header=BB4_12924 Depth=3
	s_or_b32 exec_lo, exec_lo, s76
	v_and_b32_e32 v2, 0x80000000, v9
	s_delay_alu instid0(VALU_DEP_1) | instskip(NEXT) | instid1(VALU_DEP_1)
	v_lshl_add_u32 v2, v4, 23, v2
	v_lshl_or_b32 v2, v5, 21, v2
                                        ; implicit-def: $vgpr5
	s_delay_alu instid0(VALU_DEP_1)
	v_add_nc_u32_e32 v4, 0x38000000, v2
.LBB4_13628:                            ;   in Loop: Header=BB4_12924 Depth=3
	s_and_not1_saveexec_b32 s75, s75
; %bb.13629:                            ;   in Loop: Header=BB4_12924 Depth=3
	v_cmp_lt_i64_e32 vcc_lo, -1, v[8:9]
	v_cndmask_b32_e32 v2, 0xff800000, v48, vcc_lo
	v_cmp_eq_u32_e32 vcc_lo, 0, v5
	s_delay_alu instid0(VALU_DEP_2)
	v_cndmask_b32_e32 v4, 0x7f800001, v2, vcc_lo
; %bb.13630:                            ;   in Loop: Header=BB4_12924 Depth=3
	s_or_b32 exec_lo, exec_lo, s75
.LBB4_13631:                            ;   in Loop: Header=BB4_12924 Depth=3
	s_delay_alu instid0(SALU_CYCLE_1)
	s_or_b32 exec_lo, exec_lo, s74
.LBB4_13632:                            ;   in Loop: Header=BB4_12924 Depth=3
	s_delay_alu instid0(SALU_CYCLE_1) | instskip(NEXT) | instid1(VALU_DEP_1)
	s_or_b32 exec_lo, exec_lo, s13
	v_dual_mul_f32 v8, s73, v4 :: v_dual_mov_b32 v13, v3
	v_mov_b32_e32 v5, v3
                                        ; implicit-def: $vgpr41
	s_mov_b32 s13, exec_lo
	s_delay_alu instid0(VALU_DEP_2) | instskip(SKIP_2) | instid1(VALU_DEP_3)
	v_and_b32_e32 v12, 0x7f800000, v8
	v_and_b32_e32 v4, 0x7fffff, v8
	v_lshrrev_b32_e32 v2, 24, v8
	v_cmpx_ne_u64_e32 0x7f800000, v[12:13]
	s_xor_b32 s74, exec_lo, s13
	s_cbranch_execz .LBB4_13646
; %bb.13633:                            ;   in Loop: Header=BB4_12924 Depth=3
	v_and_b32_e32 v12, 0x7fffffff, v8
	v_mov_b32_e32 v13, v3
	v_and_b32_e32 v2, 0x80, v2
                                        ; implicit-def: $vgpr41
	s_mov_b32 s13, exec_lo
	s_delay_alu instid0(VALU_DEP_2)
	v_cmpx_gt_u64_e32 0x47600001, v[12:13]
	s_xor_b32 s75, exec_lo, s13
	s_cbranch_execz .LBB4_13643
; %bb.13634:                            ;   in Loop: Header=BB4_12924 Depth=3
	v_mov_b32_e32 v41, 0
	s_mov_b32 s76, exec_lo
	v_cmpx_ne_u32_e32 0, v8
	s_cbranch_execz .LBB4_13642
; %bb.13635:                            ;   in Loop: Header=BB4_12924 Depth=3
	v_bfe_u32 v12, v8, 23, 8
	v_or_b32_e32 v14, 0x800000, v4
	s_delay_alu instid0(VALU_DEP_2) | instskip(SKIP_1) | instid1(VALU_DEP_2)
	v_sub_nc_u32_e32 v8, 0x71, v12
	v_cmp_gt_u32_e32 vcc_lo, 0x72, v12
	v_cndmask_b32_e32 v8, 0, v8, vcc_lo
	v_cmp_eq_u32_e32 vcc_lo, 0, v12
	s_delay_alu instid0(VALU_DEP_2) | instskip(NEXT) | instid1(VALU_DEP_1)
	v_cndmask_b32_e64 v13, v8, 0x70, vcc_lo
	v_dual_cndmask_b32 v4, v14, v4, vcc_lo :: v_dual_add_nc_u32 v8, 21, v13
	v_add_nc_u32_e32 v15, 20, v13
	s_delay_alu instid0(VALU_DEP_2) | instskip(NEXT) | instid1(VALU_DEP_2)
	v_lshlrev_b64_e64 v[8:9], v8, -1
	v_lshlrev_b64_e64 v[14:15], v15, 1
	s_delay_alu instid0(VALU_DEP_2) | instskip(SKIP_1) | instid1(VALU_DEP_4)
	v_bfi_b32 v8, v8, 0, v4
	v_lshrrev_b64 v[4:5], v13, v[4:5]
	v_bfi_b32 v9, v9, 0, 0
	s_delay_alu instid0(VALU_DEP_1) | instskip(NEXT) | instid1(VALU_DEP_3)
	v_cmp_eq_u64_e64 s13, v[8:9], v[14:15]
	v_mov_b64_e32 v[8:9], v[4:5]
	s_and_saveexec_b32 s77, s13
; %bb.13636:                            ;   in Loop: Header=BB4_12924 Depth=3
	v_bfe_u32 v8, v4, 21, 1
	v_mov_b32_e32 v9, v3
	s_delay_alu instid0(VALU_DEP_1) | instskip(NEXT) | instid1(VALU_DEP_1)
	v_add_nc_u64_e32 v[8:9], v[4:5], v[8:9]
	v_add_nc_u64_e32 v[8:9], -1, v[8:9]
; %bb.13637:                            ;   in Loop: Header=BB4_12924 Depth=3
	s_or_b32 exec_lo, exec_lo, s77
	v_add_nc_u32_e32 v5, 0xffffff81, v12
	v_lshrrev_b32_e32 v9, 23, v4
	s_mov_b32 s13, exec_lo
	s_delay_alu instid0(VALU_DEP_2) | instskip(NEXT) | instid1(VALU_DEP_1)
	v_cndmask_b32_e64 v5, v5, 0xffffff82, vcc_lo
	v_add3_u32 v9, v13, v5, v9
	v_and_b32_e32 v5, 0x1fffff, v8
                                        ; implicit-def: $vgpr8
	s_delay_alu instid0(VALU_DEP_1) | instskip(SKIP_1) | instid1(VALU_DEP_2)
	v_dual_add_nc_u32 v12, 14, v9 :: v_dual_add_nc_u32 v4, v5, v4
	v_mov_b32_e32 v5, v3
	v_cmpx_ne_u32_e32 0, v12
	s_xor_b32 s13, exec_lo, s13
; %bb.13638:                            ;   in Loop: Header=BB4_12924 Depth=3
	s_delay_alu instid0(VALU_DEP_2) | instskip(SKIP_2) | instid1(VALU_DEP_2)
	v_cmp_lt_u64_e32 vcc_lo, 0xffffff, v[4:5]
	v_add_nc_u32_e32 v8, 15, v9
	v_cndmask_b32_e64 v9, 0, 1, vcc_lo
	v_cndmask_b32_e32 v8, v12, v8, vcc_lo
	s_delay_alu instid0(VALU_DEP_2)
	v_lshrrev_b64 v[4:5], v9, v[4:5]
; %bb.13639:                            ;   in Loop: Header=BB4_12924 Depth=3
	s_and_not1_saveexec_b32 s13, s13
; %bb.13640:                            ;   in Loop: Header=BB4_12924 Depth=3
	s_delay_alu instid0(VALU_DEP_1)
	v_bfe_u32 v8, v4, 23, 1
; %bb.13641:                            ;   in Loop: Header=BB4_12924 Depth=3
	s_or_b32 exec_lo, exec_lo, s13
	s_delay_alu instid0(VALU_DEP_2) | instskip(NEXT) | instid1(VALU_DEP_2)
	v_lshrrev_b64 v[4:5], 21, v[4:5]
	v_cmp_gt_i32_e32 vcc_lo, 32, v8
	v_min_i32_e32 v9, 31, v8
	v_cmp_eq_u32_e64 s13, 0, v8
	s_delay_alu instid0(VALU_DEP_4) | instskip(NEXT) | instid1(VALU_DEP_3)
	v_cndmask_b32_e32 v5, 0, v5, vcc_lo
	v_dual_cndmask_b32 v4, 3, v4 :: v_dual_lshlrev_b32 v9, 2, v9
	s_delay_alu instid0(VALU_DEP_1) | instskip(NEXT) | instid1(VALU_DEP_2)
	v_and_b32_e32 v9, 0xfc, v9
	v_cmp_eq_u64_e32 vcc_lo, 0, v[4:5]
	s_delay_alu instid0(VALU_DEP_2)
	v_and_or_b32 v4, v4, 3, v9
	s_and_b32 s13, s13, vcc_lo
	s_delay_alu instid0(VALU_DEP_1) | instid1(SALU_CYCLE_1)
	v_cndmask_b32_e64 v4, v4, 0, s13
	s_delay_alu instid0(VALU_DEP_1)
	v_or_b32_e32 v41, v4, v2
.LBB4_13642:                            ;   in Loop: Header=BB4_12924 Depth=3
	s_or_b32 exec_lo, exec_lo, s76
                                        ; implicit-def: $vgpr2
.LBB4_13643:                            ;   in Loop: Header=BB4_12924 Depth=3
	s_and_not1_saveexec_b32 s13, s75
; %bb.13644:                            ;   in Loop: Header=BB4_12924 Depth=3
	v_or_b32_e32 v41, 0x7b, v2
; %bb.13645:                            ;   in Loop: Header=BB4_12924 Depth=3
	s_or_b32 exec_lo, exec_lo, s13
                                        ; implicit-def: $vgpr8
                                        ; implicit-def: $vgpr4_vgpr5
                                        ; implicit-def: $vgpr2
.LBB4_13646:                            ;   in Loop: Header=BB4_12924 Depth=3
	s_and_not1_saveexec_b32 s13, s74
	s_cbranch_execz .LBB4_13652
; %bb.13647:                            ;   in Loop: Header=BB4_12924 Depth=3
	s_mov_b32 s74, exec_lo
                                        ; implicit-def: $vgpr41
	v_cmpx_ne_u64_e32 0, v[4:5]
	s_xor_b32 s74, exec_lo, s74
; %bb.13648:                            ;   in Loop: Header=BB4_12924 Depth=3
	v_or_b32_e32 v41, 0x7f, v2
                                        ; implicit-def: $vgpr8
; %bb.13649:                            ;   in Loop: Header=BB4_12924 Depth=3
	s_and_not1_saveexec_b32 s74, s74
; %bb.13650:                            ;   in Loop: Header=BB4_12924 Depth=3
	v_cmp_lt_i32_e32 vcc_lo, -1, v8
	v_cndmask_b32_e32 v41, 0xfc, v49, vcc_lo
; %bb.13651:                            ;   in Loop: Header=BB4_12924 Depth=3
	s_or_b32 exec_lo, exec_lo, s74
.LBB4_13652:                            ;   in Loop: Header=BB4_12924 Depth=3
	s_delay_alu instid0(SALU_CYCLE_1) | instskip(SKIP_1) | instid1(VALU_DEP_1)
	s_or_b32 exec_lo, exec_lo, s13
	v_and_b32_e32 v2, 0xff, v10
	v_cmp_ne_u16_e32 vcc_lo, 0, v2
	v_mov_b32_e32 v2, 0
	s_and_saveexec_b32 s13, vcc_lo
	s_cbranch_execz .LBB4_13662
; %bb.13653:                            ;   in Loop: Header=BB4_12924 Depth=3
	v_bfe_i32 v5, v10, 0, 8
	v_bfrev_b32_e32 v2, 1
	s_mov_b32 s74, exec_lo
	s_delay_alu instid0(VALU_DEP_2)
	v_cmpx_ne_u16_e32 0xff80, v5
	s_cbranch_execz .LBB4_13661
; %bb.13654:                            ;   in Loop: Header=BB4_12924 Depth=3
	v_and_b32_e32 v2, 0x7c, v10
	v_and_b32_e32 v4, 3, v10
	s_delay_alu instid0(VALU_DEP_2) | instskip(SKIP_1) | instid1(SALU_CYCLE_1)
	v_cmp_ne_u32_e32 vcc_lo, 0x7c, v2
                                        ; implicit-def: $vgpr2
	s_and_saveexec_b32 s75, vcc_lo
	s_xor_b32 s75, exec_lo, s75
	s_cbranch_execz .LBB4_13658
; %bb.13655:                            ;   in Loop: Header=BB4_12924 Depth=3
	v_bfe_u32 v2, v10, 2, 5
	s_mov_b32 s76, exec_lo
	s_delay_alu instid0(VALU_DEP_1)
	v_cmpx_eq_u32_e32 0, v2
; %bb.13656:                            ;   in Loop: Header=BB4_12924 Depth=3
	v_clz_i32_u32_e32 v2, v4
	s_delay_alu instid0(VALU_DEP_1) | instskip(NEXT) | instid1(VALU_DEP_1)
	v_min_u32_e32 v2, 32, v2
	v_subrev_nc_u32_e32 v4, 29, v2
	s_delay_alu instid0(VALU_DEP_1) | instskip(NEXT) | instid1(VALU_DEP_1)
	v_lshlrev_b64_e32 v[4:5], v4, v[10:11]
	v_dual_sub_nc_u32 v2, 30, v2 :: v_dual_bitop2_b32 v4, 3, v4 bitop3:0x40
; %bb.13657:                            ;   in Loop: Header=BB4_12924 Depth=3
	s_or_b32 exec_lo, exec_lo, s76
	v_lshlrev_b32_e32 v5, 24, v10
	s_delay_alu instid0(VALU_DEP_1) | instskip(NEXT) | instid1(VALU_DEP_1)
	v_and_b32_e32 v5, 0x80000000, v5
	v_lshl_add_u32 v2, v2, 23, v5
                                        ; implicit-def: $vgpr5
	s_delay_alu instid0(VALU_DEP_1) | instskip(NEXT) | instid1(VALU_DEP_1)
	v_lshl_or_b32 v2, v4, 21, v2
                                        ; implicit-def: $vgpr4
	v_add_nc_u32_e32 v2, 0x38000000, v2
.LBB4_13658:                            ;   in Loop: Header=BB4_12924 Depth=3
	s_and_not1_saveexec_b32 s75, s75
; %bb.13659:                            ;   in Loop: Header=BB4_12924 Depth=3
	v_cmp_lt_i16_e32 vcc_lo, -1, v5
	v_cndmask_b32_e32 v2, 0xff800000, v48, vcc_lo
	v_cmp_eq_u32_e32 vcc_lo, 0, v4
	s_delay_alu instid0(VALU_DEP_2)
	v_cndmask_b32_e32 v2, 0x7f800001, v2, vcc_lo
; %bb.13660:                            ;   in Loop: Header=BB4_12924 Depth=3
	s_or_b32 exec_lo, exec_lo, s75
.LBB4_13661:                            ;   in Loop: Header=BB4_12924 Depth=3
	s_delay_alu instid0(SALU_CYCLE_1)
	s_or_b32 exec_lo, exec_lo, s74
.LBB4_13662:                            ;   in Loop: Header=BB4_12924 Depth=3
	s_delay_alu instid0(SALU_CYCLE_1) | instskip(NEXT) | instid1(VALU_DEP_1)
	s_or_b32 exec_lo, exec_lo, s13
	v_dual_mul_f32 v8, s73, v2 :: v_dual_mov_b32 v13, v3
	v_mov_b32_e32 v5, v3
                                        ; implicit-def: $vgpr51
	s_mov_b32 s13, exec_lo
	s_delay_alu instid0(VALU_DEP_2) | instskip(SKIP_2) | instid1(VALU_DEP_3)
	v_and_b32_e32 v12, 0x7f800000, v8
	v_and_b32_e32 v4, 0x7fffff, v8
	v_lshrrev_b32_e32 v2, 24, v8
	v_cmpx_ne_u64_e32 0x7f800000, v[12:13]
	s_xor_b32 s74, exec_lo, s13
	s_cbranch_execz .LBB4_13676
; %bb.13663:                            ;   in Loop: Header=BB4_12924 Depth=3
	v_and_b32_e32 v12, 0x7fffffff, v8
	v_mov_b32_e32 v13, v3
	v_and_b32_e32 v2, 0x80, v2
                                        ; implicit-def: $vgpr51
	s_mov_b32 s13, exec_lo
	s_delay_alu instid0(VALU_DEP_2)
	v_cmpx_gt_u64_e32 0x47600001, v[12:13]
	s_xor_b32 s75, exec_lo, s13
	s_cbranch_execz .LBB4_13673
; %bb.13664:                            ;   in Loop: Header=BB4_12924 Depth=3
	v_mov_b32_e32 v51, 0
	s_mov_b32 s76, exec_lo
	v_cmpx_ne_u32_e32 0, v8
	s_cbranch_execz .LBB4_13672
; %bb.13665:                            ;   in Loop: Header=BB4_12924 Depth=3
	v_bfe_u32 v12, v8, 23, 8
	v_or_b32_e32 v14, 0x800000, v4
	s_delay_alu instid0(VALU_DEP_2) | instskip(SKIP_1) | instid1(VALU_DEP_2)
	v_sub_nc_u32_e32 v8, 0x71, v12
	v_cmp_gt_u32_e32 vcc_lo, 0x72, v12
	v_cndmask_b32_e32 v8, 0, v8, vcc_lo
	v_cmp_eq_u32_e32 vcc_lo, 0, v12
	s_delay_alu instid0(VALU_DEP_2) | instskip(NEXT) | instid1(VALU_DEP_1)
	v_cndmask_b32_e64 v13, v8, 0x70, vcc_lo
	v_dual_cndmask_b32 v4, v14, v4, vcc_lo :: v_dual_add_nc_u32 v8, 21, v13
	v_add_nc_u32_e32 v15, 20, v13
	s_delay_alu instid0(VALU_DEP_2) | instskip(NEXT) | instid1(VALU_DEP_2)
	v_lshlrev_b64_e64 v[8:9], v8, -1
	v_lshlrev_b64_e64 v[14:15], v15, 1
	s_delay_alu instid0(VALU_DEP_2) | instskip(SKIP_1) | instid1(VALU_DEP_4)
	v_bfi_b32 v8, v8, 0, v4
	v_lshrrev_b64 v[4:5], v13, v[4:5]
	v_bfi_b32 v9, v9, 0, 0
	s_delay_alu instid0(VALU_DEP_1) | instskip(NEXT) | instid1(VALU_DEP_3)
	v_cmp_eq_u64_e64 s13, v[8:9], v[14:15]
	v_mov_b64_e32 v[8:9], v[4:5]
	s_and_saveexec_b32 s77, s13
; %bb.13666:                            ;   in Loop: Header=BB4_12924 Depth=3
	v_bfe_u32 v8, v4, 21, 1
	v_mov_b32_e32 v9, v3
	s_delay_alu instid0(VALU_DEP_1) | instskip(NEXT) | instid1(VALU_DEP_1)
	v_add_nc_u64_e32 v[8:9], v[4:5], v[8:9]
	v_add_nc_u64_e32 v[8:9], -1, v[8:9]
; %bb.13667:                            ;   in Loop: Header=BB4_12924 Depth=3
	s_or_b32 exec_lo, exec_lo, s77
	v_add_nc_u32_e32 v5, 0xffffff81, v12
	v_lshrrev_b32_e32 v9, 23, v4
	s_mov_b32 s13, exec_lo
	s_delay_alu instid0(VALU_DEP_2) | instskip(NEXT) | instid1(VALU_DEP_1)
	v_cndmask_b32_e64 v5, v5, 0xffffff82, vcc_lo
	v_add3_u32 v9, v13, v5, v9
	v_and_b32_e32 v5, 0x1fffff, v8
                                        ; implicit-def: $vgpr8
	s_delay_alu instid0(VALU_DEP_1) | instskip(SKIP_1) | instid1(VALU_DEP_2)
	v_dual_add_nc_u32 v12, 14, v9 :: v_dual_add_nc_u32 v4, v5, v4
	v_mov_b32_e32 v5, v3
	v_cmpx_ne_u32_e32 0, v12
	s_xor_b32 s13, exec_lo, s13
; %bb.13668:                            ;   in Loop: Header=BB4_12924 Depth=3
	s_delay_alu instid0(VALU_DEP_2) | instskip(SKIP_2) | instid1(VALU_DEP_2)
	v_cmp_lt_u64_e32 vcc_lo, 0xffffff, v[4:5]
	v_add_nc_u32_e32 v8, 15, v9
	v_cndmask_b32_e64 v9, 0, 1, vcc_lo
	v_cndmask_b32_e32 v8, v12, v8, vcc_lo
	s_delay_alu instid0(VALU_DEP_2)
	v_lshrrev_b64 v[4:5], v9, v[4:5]
; %bb.13669:                            ;   in Loop: Header=BB4_12924 Depth=3
	s_and_not1_saveexec_b32 s13, s13
; %bb.13670:                            ;   in Loop: Header=BB4_12924 Depth=3
	s_delay_alu instid0(VALU_DEP_1)
	v_bfe_u32 v8, v4, 23, 1
; %bb.13671:                            ;   in Loop: Header=BB4_12924 Depth=3
	s_or_b32 exec_lo, exec_lo, s13
	s_delay_alu instid0(VALU_DEP_2) | instskip(NEXT) | instid1(VALU_DEP_2)
	v_lshrrev_b64 v[4:5], 21, v[4:5]
	v_cmp_gt_i32_e32 vcc_lo, 32, v8
	v_min_i32_e32 v9, 31, v8
	v_cmp_eq_u32_e64 s13, 0, v8
	s_delay_alu instid0(VALU_DEP_4) | instskip(NEXT) | instid1(VALU_DEP_3)
	v_cndmask_b32_e32 v5, 0, v5, vcc_lo
	v_dual_cndmask_b32 v4, 3, v4 :: v_dual_lshlrev_b32 v9, 2, v9
	s_delay_alu instid0(VALU_DEP_1) | instskip(NEXT) | instid1(VALU_DEP_2)
	v_and_b32_e32 v9, 0xfc, v9
	v_cmp_eq_u64_e32 vcc_lo, 0, v[4:5]
	s_delay_alu instid0(VALU_DEP_2)
	v_and_or_b32 v4, v4, 3, v9
	s_and_b32 s13, s13, vcc_lo
	s_delay_alu instid0(VALU_DEP_1) | instid1(SALU_CYCLE_1)
	v_cndmask_b32_e64 v4, v4, 0, s13
	s_delay_alu instid0(VALU_DEP_1)
	v_or_b32_e32 v51, v4, v2
.LBB4_13672:                            ;   in Loop: Header=BB4_12924 Depth=3
	s_or_b32 exec_lo, exec_lo, s76
                                        ; implicit-def: $vgpr2
.LBB4_13673:                            ;   in Loop: Header=BB4_12924 Depth=3
	s_and_not1_saveexec_b32 s13, s75
; %bb.13674:                            ;   in Loop: Header=BB4_12924 Depth=3
	v_or_b32_e32 v51, 0x7b, v2
; %bb.13675:                            ;   in Loop: Header=BB4_12924 Depth=3
	s_or_b32 exec_lo, exec_lo, s13
                                        ; implicit-def: $vgpr8
                                        ; implicit-def: $vgpr4_vgpr5
                                        ; implicit-def: $vgpr2
.LBB4_13676:                            ;   in Loop: Header=BB4_12924 Depth=3
	s_and_not1_saveexec_b32 s13, s74
	s_cbranch_execz .LBB4_13682
; %bb.13677:                            ;   in Loop: Header=BB4_12924 Depth=3
	s_mov_b32 s74, exec_lo
                                        ; implicit-def: $vgpr51
	v_cmpx_ne_u64_e32 0, v[4:5]
	s_xor_b32 s74, exec_lo, s74
; %bb.13678:                            ;   in Loop: Header=BB4_12924 Depth=3
	v_or_b32_e32 v51, 0x7f, v2
                                        ; implicit-def: $vgpr8
; %bb.13679:                            ;   in Loop: Header=BB4_12924 Depth=3
	s_and_not1_saveexec_b32 s74, s74
; %bb.13680:                            ;   in Loop: Header=BB4_12924 Depth=3
	v_cmp_lt_i32_e32 vcc_lo, -1, v8
	v_cndmask_b32_e32 v51, 0xfc, v49, vcc_lo
; %bb.13681:                            ;   in Loop: Header=BB4_12924 Depth=3
	s_or_b32 exec_lo, exec_lo, s74
.LBB4_13682:                            ;   in Loop: Header=BB4_12924 Depth=3
	s_delay_alu instid0(SALU_CYCLE_1) | instskip(SKIP_3) | instid1(VALU_DEP_2)
	s_or_b32 exec_lo, exec_lo, s13
	v_lshrrev_b16 v4, 8, v10
	v_mov_b32_e32 v5, 0
	s_mov_b32 s13, exec_lo
	v_cmpx_ne_u16_e32 0, v4
	s_cbranch_execz .LBB4_13692
; %bb.13683:                            ;   in Loop: Header=BB4_12924 Depth=3
	v_bfrev_b32_e32 v5, 1
	s_mov_b32 s74, exec_lo
	v_cmpx_ne_u16_e32 0x80, v4
	s_cbranch_execz .LBB4_13691
; %bb.13684:                            ;   in Loop: Header=BB4_12924 Depth=3
	v_and_b32_e32 v8, 0xffff, v4
	s_delay_alu instid0(VALU_DEP_1) | instskip(SKIP_1) | instid1(VALU_DEP_2)
	v_and_b32_e32 v5, 0x7c, v8
	v_and_b32_e32 v2, 3, v8
	v_cmp_ne_u32_e32 vcc_lo, 0x7c, v5
                                        ; implicit-def: $vgpr5
	s_and_saveexec_b32 s75, vcc_lo
	s_delay_alu instid0(SALU_CYCLE_1)
	s_xor_b32 s75, exec_lo, s75
	s_cbranch_execz .LBB4_13688
; %bb.13685:                            ;   in Loop: Header=BB4_12924 Depth=3
	v_bfe_u32 v5, v8, 2, 5
	s_mov_b32 s76, exec_lo
	s_delay_alu instid0(VALU_DEP_1)
	v_cmpx_eq_u32_e32 0, v5
; %bb.13686:                            ;   in Loop: Header=BB4_12924 Depth=3
	v_clz_i32_u32_e32 v2, v2
	v_mov_b32_e32 v5, v3
	s_delay_alu instid0(VALU_DEP_2) | instskip(NEXT) | instid1(VALU_DEP_1)
	v_min_u32_e32 v2, 32, v2
	v_subrev_nc_u32_e32 v8, 29, v2
	s_delay_alu instid0(VALU_DEP_1) | instskip(NEXT) | instid1(VALU_DEP_1)
	v_lshlrev_b64_e32 v[4:5], v8, v[4:5]
	v_dual_sub_nc_u32 v5, 30, v2 :: v_dual_bitop2_b32 v2, 3, v4 bitop3:0x40
; %bb.13687:                            ;   in Loop: Header=BB4_12924 Depth=3
	s_or_b32 exec_lo, exec_lo, s76
	v_lshlrev_b32_e32 v4, 16, v10
	s_delay_alu instid0(VALU_DEP_1) | instskip(NEXT) | instid1(VALU_DEP_1)
	v_and_b32_e32 v4, 0x80000000, v4
	v_lshl_add_u32 v4, v5, 23, v4
	s_delay_alu instid0(VALU_DEP_1) | instskip(NEXT) | instid1(VALU_DEP_1)
	v_lshl_or_b32 v2, v2, 21, v4
	v_add_nc_u32_e32 v5, 0x38000000, v2
                                        ; implicit-def: $vgpr2
.LBB4_13688:                            ;   in Loop: Header=BB4_12924 Depth=3
	s_and_not1_saveexec_b32 s75, s75
; %bb.13689:                            ;   in Loop: Header=BB4_12924 Depth=3
	v_cmp_lt_i16_e32 vcc_lo, -1, v10
	v_cndmask_b32_e32 v4, 0xff800000, v48, vcc_lo
	v_cmp_eq_u32_e32 vcc_lo, 0, v2
	s_delay_alu instid0(VALU_DEP_2)
	v_cndmask_b32_e32 v5, 0x7f800001, v4, vcc_lo
; %bb.13690:                            ;   in Loop: Header=BB4_12924 Depth=3
	s_or_b32 exec_lo, exec_lo, s75
.LBB4_13691:                            ;   in Loop: Header=BB4_12924 Depth=3
	s_delay_alu instid0(SALU_CYCLE_1)
	s_or_b32 exec_lo, exec_lo, s74
.LBB4_13692:                            ;   in Loop: Header=BB4_12924 Depth=3
	s_delay_alu instid0(SALU_CYCLE_1) | instskip(NEXT) | instid1(VALU_DEP_1)
	s_or_b32 exec_lo, exec_lo, s13
	v_dual_mul_f32 v8, s73, v5 :: v_dual_mov_b32 v13, v3
	v_mov_b32_e32 v5, v3
                                        ; implicit-def: $vgpr101
	s_mov_b32 s13, exec_lo
	s_delay_alu instid0(VALU_DEP_2) | instskip(SKIP_2) | instid1(VALU_DEP_3)
	v_and_b32_e32 v12, 0x7f800000, v8
	v_and_b32_e32 v4, 0x7fffff, v8
	v_lshrrev_b32_e32 v2, 24, v8
	v_cmpx_ne_u64_e32 0x7f800000, v[12:13]
	s_xor_b32 s74, exec_lo, s13
	s_cbranch_execz .LBB4_13706
; %bb.13693:                            ;   in Loop: Header=BB4_12924 Depth=3
	v_and_b32_e32 v12, 0x7fffffff, v8
	v_mov_b32_e32 v13, v3
	v_and_b32_e32 v2, 0x80, v2
                                        ; implicit-def: $vgpr101
	s_mov_b32 s13, exec_lo
	s_delay_alu instid0(VALU_DEP_2)
	v_cmpx_gt_u64_e32 0x47600001, v[12:13]
	s_xor_b32 s75, exec_lo, s13
	s_cbranch_execz .LBB4_13703
; %bb.13694:                            ;   in Loop: Header=BB4_12924 Depth=3
	v_mov_b32_e32 v101, 0
	s_mov_b32 s76, exec_lo
	v_cmpx_ne_u32_e32 0, v8
	s_cbranch_execz .LBB4_13702
; %bb.13695:                            ;   in Loop: Header=BB4_12924 Depth=3
	v_bfe_u32 v12, v8, 23, 8
	v_or_b32_e32 v14, 0x800000, v4
	s_delay_alu instid0(VALU_DEP_2) | instskip(SKIP_1) | instid1(VALU_DEP_2)
	v_sub_nc_u32_e32 v8, 0x71, v12
	v_cmp_gt_u32_e32 vcc_lo, 0x72, v12
	v_cndmask_b32_e32 v8, 0, v8, vcc_lo
	v_cmp_eq_u32_e32 vcc_lo, 0, v12
	s_delay_alu instid0(VALU_DEP_2) | instskip(NEXT) | instid1(VALU_DEP_1)
	v_cndmask_b32_e64 v13, v8, 0x70, vcc_lo
	v_dual_cndmask_b32 v4, v14, v4, vcc_lo :: v_dual_add_nc_u32 v8, 21, v13
	v_add_nc_u32_e32 v15, 20, v13
	s_delay_alu instid0(VALU_DEP_2) | instskip(NEXT) | instid1(VALU_DEP_2)
	v_lshlrev_b64_e64 v[8:9], v8, -1
	v_lshlrev_b64_e64 v[14:15], v15, 1
	s_delay_alu instid0(VALU_DEP_2) | instskip(SKIP_1) | instid1(VALU_DEP_4)
	v_bfi_b32 v8, v8, 0, v4
	v_lshrrev_b64 v[4:5], v13, v[4:5]
	v_bfi_b32 v9, v9, 0, 0
	s_delay_alu instid0(VALU_DEP_1) | instskip(NEXT) | instid1(VALU_DEP_3)
	v_cmp_eq_u64_e64 s13, v[8:9], v[14:15]
	v_mov_b64_e32 v[8:9], v[4:5]
	s_and_saveexec_b32 s77, s13
; %bb.13696:                            ;   in Loop: Header=BB4_12924 Depth=3
	v_bfe_u32 v8, v4, 21, 1
	v_mov_b32_e32 v9, v3
	s_delay_alu instid0(VALU_DEP_1) | instskip(NEXT) | instid1(VALU_DEP_1)
	v_add_nc_u64_e32 v[8:9], v[4:5], v[8:9]
	v_add_nc_u64_e32 v[8:9], -1, v[8:9]
; %bb.13697:                            ;   in Loop: Header=BB4_12924 Depth=3
	s_or_b32 exec_lo, exec_lo, s77
	v_add_nc_u32_e32 v5, 0xffffff81, v12
	v_lshrrev_b32_e32 v9, 23, v4
	s_mov_b32 s13, exec_lo
	s_delay_alu instid0(VALU_DEP_2) | instskip(NEXT) | instid1(VALU_DEP_1)
	v_cndmask_b32_e64 v5, v5, 0xffffff82, vcc_lo
	v_add3_u32 v9, v13, v5, v9
	v_and_b32_e32 v5, 0x1fffff, v8
                                        ; implicit-def: $vgpr8
	s_delay_alu instid0(VALU_DEP_1) | instskip(SKIP_1) | instid1(VALU_DEP_2)
	v_dual_add_nc_u32 v12, 14, v9 :: v_dual_add_nc_u32 v4, v5, v4
	v_mov_b32_e32 v5, v3
	v_cmpx_ne_u32_e32 0, v12
	s_xor_b32 s13, exec_lo, s13
; %bb.13698:                            ;   in Loop: Header=BB4_12924 Depth=3
	s_delay_alu instid0(VALU_DEP_2) | instskip(SKIP_2) | instid1(VALU_DEP_2)
	v_cmp_lt_u64_e32 vcc_lo, 0xffffff, v[4:5]
	v_add_nc_u32_e32 v8, 15, v9
	v_cndmask_b32_e64 v9, 0, 1, vcc_lo
	v_cndmask_b32_e32 v8, v12, v8, vcc_lo
	s_delay_alu instid0(VALU_DEP_2)
	v_lshrrev_b64 v[4:5], v9, v[4:5]
; %bb.13699:                            ;   in Loop: Header=BB4_12924 Depth=3
	s_and_not1_saveexec_b32 s13, s13
; %bb.13700:                            ;   in Loop: Header=BB4_12924 Depth=3
	s_delay_alu instid0(VALU_DEP_1)
	v_bfe_u32 v8, v4, 23, 1
; %bb.13701:                            ;   in Loop: Header=BB4_12924 Depth=3
	s_or_b32 exec_lo, exec_lo, s13
	s_delay_alu instid0(VALU_DEP_2) | instskip(NEXT) | instid1(VALU_DEP_2)
	v_lshrrev_b64 v[4:5], 21, v[4:5]
	v_cmp_gt_i32_e32 vcc_lo, 32, v8
	v_min_i32_e32 v9, 31, v8
	v_cmp_eq_u32_e64 s13, 0, v8
	s_delay_alu instid0(VALU_DEP_4) | instskip(NEXT) | instid1(VALU_DEP_3)
	v_cndmask_b32_e32 v5, 0, v5, vcc_lo
	v_dual_cndmask_b32 v4, 3, v4 :: v_dual_lshlrev_b32 v9, 2, v9
	s_delay_alu instid0(VALU_DEP_1) | instskip(NEXT) | instid1(VALU_DEP_2)
	v_and_b32_e32 v9, 0xfc, v9
	v_cmp_eq_u64_e32 vcc_lo, 0, v[4:5]
	s_delay_alu instid0(VALU_DEP_2)
	v_and_or_b32 v4, v4, 3, v9
	s_and_b32 s13, s13, vcc_lo
	s_delay_alu instid0(VALU_DEP_1) | instid1(SALU_CYCLE_1)
	v_cndmask_b32_e64 v4, v4, 0, s13
	s_delay_alu instid0(VALU_DEP_1)
	v_or_b32_e32 v101, v4, v2
.LBB4_13702:                            ;   in Loop: Header=BB4_12924 Depth=3
	s_or_b32 exec_lo, exec_lo, s76
                                        ; implicit-def: $vgpr2
.LBB4_13703:                            ;   in Loop: Header=BB4_12924 Depth=3
	s_and_not1_saveexec_b32 s13, s75
; %bb.13704:                            ;   in Loop: Header=BB4_12924 Depth=3
	v_or_b32_e32 v101, 0x7b, v2
; %bb.13705:                            ;   in Loop: Header=BB4_12924 Depth=3
	s_or_b32 exec_lo, exec_lo, s13
                                        ; implicit-def: $vgpr8
                                        ; implicit-def: $vgpr4_vgpr5
                                        ; implicit-def: $vgpr2
.LBB4_13706:                            ;   in Loop: Header=BB4_12924 Depth=3
	s_and_not1_saveexec_b32 s13, s74
	s_cbranch_execz .LBB4_13712
; %bb.13707:                            ;   in Loop: Header=BB4_12924 Depth=3
	s_mov_b32 s74, exec_lo
                                        ; implicit-def: $vgpr101
	v_cmpx_ne_u64_e32 0, v[4:5]
	s_xor_b32 s74, exec_lo, s74
; %bb.13708:                            ;   in Loop: Header=BB4_12924 Depth=3
	v_or_b32_e32 v101, 0x7f, v2
                                        ; implicit-def: $vgpr8
; %bb.13709:                            ;   in Loop: Header=BB4_12924 Depth=3
	s_and_not1_saveexec_b32 s74, s74
; %bb.13710:                            ;   in Loop: Header=BB4_12924 Depth=3
	v_cmp_lt_i32_e32 vcc_lo, -1, v8
	v_cndmask_b32_e32 v101, 0xfc, v49, vcc_lo
; %bb.13711:                            ;   in Loop: Header=BB4_12924 Depth=3
	s_or_b32 exec_lo, exec_lo, s74
.LBB4_13712:                            ;   in Loop: Header=BB4_12924 Depth=3
	s_delay_alu instid0(SALU_CYCLE_1) | instskip(SKIP_2) | instid1(VALU_DEP_1)
	s_or_b32 exec_lo, exec_lo, s13
	v_dual_mov_b32 v5, 0 :: v_dual_lshrrev_b32 v2, 16, v10
	s_mov_b32 s13, exec_lo
	v_and_b32_e32 v4, 0xff, v2
	s_delay_alu instid0(VALU_DEP_1)
	v_cmpx_ne_u16_e32 0, v4
	s_cbranch_execz .LBB4_13722
; %bb.13713:                            ;   in Loop: Header=BB4_12924 Depth=3
	v_bfrev_b32_e32 v5, 1
	s_mov_b32 s74, exec_lo
	v_cmpx_ne_u16_e32 0x80, v4
	s_cbranch_execz .LBB4_13721
; %bb.13714:                            ;   in Loop: Header=BB4_12924 Depth=3
	v_and_b32_e32 v5, 0x7c0000, v10
	v_bfe_u32 v4, v10, 16, 2
	s_delay_alu instid0(VALU_DEP_2) | instskip(SKIP_1) | instid1(SALU_CYCLE_1)
	v_cmp_ne_u32_e32 vcc_lo, 0x7c0000, v5
                                        ; implicit-def: $vgpr5
	s_and_saveexec_b32 s75, vcc_lo
	s_xor_b32 s75, exec_lo, s75
	s_cbranch_execz .LBB4_13718
; %bb.13715:                            ;   in Loop: Header=BB4_12924 Depth=3
	v_bfe_u32 v5, v10, 18, 5
	s_mov_b32 s76, exec_lo
	s_delay_alu instid0(VALU_DEP_1)
	v_cmpx_eq_u32_e32 0, v5
; %bb.13716:                            ;   in Loop: Header=BB4_12924 Depth=3
	v_clz_i32_u32_e32 v4, v4
	s_delay_alu instid0(VALU_DEP_1) | instskip(NEXT) | instid1(VALU_DEP_1)
	v_min_u32_e32 v8, 32, v4
	v_subrev_nc_u32_e32 v4, 29, v8
	s_delay_alu instid0(VALU_DEP_1) | instskip(SKIP_1) | instid1(VALU_DEP_2)
	v_lshlrev_b64_e32 v[4:5], v4, v[2:3]
	v_sub_nc_u32_e32 v5, 30, v8
	v_and_b32_e32 v4, 3, v4
; %bb.13717:                            ;   in Loop: Header=BB4_12924 Depth=3
	s_or_b32 exec_lo, exec_lo, s76
	v_lshlrev_b32_e32 v2, 24, v2
	s_delay_alu instid0(VALU_DEP_1) | instskip(NEXT) | instid1(VALU_DEP_1)
	v_and_b32_e32 v2, 0x80000000, v2
	v_lshl_add_u32 v2, v5, 23, v2
	s_delay_alu instid0(VALU_DEP_1) | instskip(NEXT) | instid1(VALU_DEP_1)
	v_lshl_or_b32 v2, v4, 21, v2
                                        ; implicit-def: $vgpr4
	v_add_nc_u32_e32 v5, 0x38000000, v2
                                        ; implicit-def: $vgpr2
.LBB4_13718:                            ;   in Loop: Header=BB4_12924 Depth=3
	s_and_not1_saveexec_b32 s75, s75
; %bb.13719:                            ;   in Loop: Header=BB4_12924 Depth=3
	v_bfe_i32 v2, v2, 0, 8
	s_delay_alu instid0(VALU_DEP_1) | instskip(SKIP_2) | instid1(VALU_DEP_2)
	v_cmp_lt_i16_e32 vcc_lo, -1, v2
	v_cndmask_b32_e32 v2, 0xff800000, v48, vcc_lo
	v_cmp_eq_u32_e32 vcc_lo, 0, v4
	v_cndmask_b32_e32 v5, 0x7f800001, v2, vcc_lo
; %bb.13720:                            ;   in Loop: Header=BB4_12924 Depth=3
	s_or_b32 exec_lo, exec_lo, s75
.LBB4_13721:                            ;   in Loop: Header=BB4_12924 Depth=3
	s_delay_alu instid0(SALU_CYCLE_1)
	s_or_b32 exec_lo, exec_lo, s74
.LBB4_13722:                            ;   in Loop: Header=BB4_12924 Depth=3
	s_delay_alu instid0(SALU_CYCLE_1) | instskip(NEXT) | instid1(VALU_DEP_1)
	s_or_b32 exec_lo, exec_lo, s13
	v_dual_mul_f32 v8, s73, v5 :: v_dual_mov_b32 v13, v3
	v_mov_b32_e32 v5, v3
                                        ; implicit-def: $vgpr115
	s_mov_b32 s13, exec_lo
	s_delay_alu instid0(VALU_DEP_2) | instskip(SKIP_2) | instid1(VALU_DEP_3)
	v_and_b32_e32 v12, 0x7f800000, v8
	v_and_b32_e32 v4, 0x7fffff, v8
	v_lshrrev_b32_e32 v2, 24, v8
	v_cmpx_ne_u64_e32 0x7f800000, v[12:13]
	s_xor_b32 s74, exec_lo, s13
	s_cbranch_execz .LBB4_13736
; %bb.13723:                            ;   in Loop: Header=BB4_12924 Depth=3
	v_and_b32_e32 v12, 0x7fffffff, v8
	v_mov_b32_e32 v13, v3
	v_and_b32_e32 v2, 0x80, v2
                                        ; implicit-def: $vgpr115
	s_mov_b32 s13, exec_lo
	s_delay_alu instid0(VALU_DEP_2)
	v_cmpx_gt_u64_e32 0x47600001, v[12:13]
	s_xor_b32 s75, exec_lo, s13
	s_cbranch_execz .LBB4_13733
; %bb.13724:                            ;   in Loop: Header=BB4_12924 Depth=3
	v_mov_b32_e32 v115, 0
	s_mov_b32 s76, exec_lo
	v_cmpx_ne_u32_e32 0, v8
	s_cbranch_execz .LBB4_13732
; %bb.13725:                            ;   in Loop: Header=BB4_12924 Depth=3
	v_bfe_u32 v12, v8, 23, 8
	v_or_b32_e32 v9, 0x800000, v4
	s_delay_alu instid0(VALU_DEP_2) | instskip(SKIP_2) | instid1(VALU_DEP_2)
	v_cmp_gt_u32_e64 s13, 0x72, v12
	v_sub_nc_u32_e32 v8, 0x71, v12
	v_cmp_eq_u32_e32 vcc_lo, 0, v12
	v_cndmask_b32_e64 v8, 0, v8, s13
	s_delay_alu instid0(VALU_DEP_1) | instskip(NEXT) | instid1(VALU_DEP_1)
	v_cndmask_b32_e64 v13, v8, 0x70, vcc_lo
	v_dual_cndmask_b32 v4, v9, v4, vcc_lo :: v_dual_add_nc_u32 v8, 21, v13
	v_add_nc_u32_e32 v14, 20, v13
	s_delay_alu instid0(VALU_DEP_2) | instskip(NEXT) | instid1(VALU_DEP_2)
	v_lshlrev_b64_e64 v[8:9], v8, -1
	v_lshlrev_b64_e64 v[14:15], v14, 1
	s_delay_alu instid0(VALU_DEP_2) | instskip(SKIP_1) | instid1(VALU_DEP_4)
	v_bfi_b32 v8, v8, 0, v4
	v_lshrrev_b64 v[4:5], v13, v[4:5]
	v_bfi_b32 v9, v9, 0, 0
	s_delay_alu instid0(VALU_DEP_1) | instskip(NEXT) | instid1(VALU_DEP_3)
	v_cmp_eq_u64_e64 s13, v[8:9], v[14:15]
	v_mov_b64_e32 v[8:9], v[4:5]
	s_and_saveexec_b32 s77, s13
; %bb.13726:                            ;   in Loop: Header=BB4_12924 Depth=3
	v_bfe_u32 v8, v4, 21, 1
	v_mov_b32_e32 v9, v3
	s_delay_alu instid0(VALU_DEP_1) | instskip(NEXT) | instid1(VALU_DEP_1)
	v_add_nc_u64_e32 v[8:9], v[4:5], v[8:9]
	v_add_nc_u64_e32 v[8:9], -1, v[8:9]
; %bb.13727:                            ;   in Loop: Header=BB4_12924 Depth=3
	s_or_b32 exec_lo, exec_lo, s77
	v_add_nc_u32_e32 v5, 0xffffff81, v12
	v_lshrrev_b32_e32 v9, 23, v4
	s_mov_b32 s13, exec_lo
	s_delay_alu instid0(VALU_DEP_2) | instskip(NEXT) | instid1(VALU_DEP_1)
	v_cndmask_b32_e64 v5, v5, 0xffffff82, vcc_lo
	v_add3_u32 v9, v13, v5, v9
	v_and_b32_e32 v5, 0x1fffff, v8
                                        ; implicit-def: $vgpr8
	s_delay_alu instid0(VALU_DEP_1) | instskip(SKIP_1) | instid1(VALU_DEP_2)
	v_dual_add_nc_u32 v12, 14, v9 :: v_dual_add_nc_u32 v4, v5, v4
	v_mov_b32_e32 v5, v3
	v_cmpx_ne_u32_e32 0, v12
	s_xor_b32 s13, exec_lo, s13
; %bb.13728:                            ;   in Loop: Header=BB4_12924 Depth=3
	s_delay_alu instid0(VALU_DEP_2) | instskip(SKIP_2) | instid1(VALU_DEP_2)
	v_cmp_lt_u64_e32 vcc_lo, 0xffffff, v[4:5]
	v_add_nc_u32_e32 v8, 15, v9
	v_cndmask_b32_e64 v9, 0, 1, vcc_lo
	v_cndmask_b32_e32 v8, v12, v8, vcc_lo
	s_delay_alu instid0(VALU_DEP_2)
	v_lshrrev_b64 v[4:5], v9, v[4:5]
; %bb.13729:                            ;   in Loop: Header=BB4_12924 Depth=3
	s_and_not1_saveexec_b32 s13, s13
; %bb.13730:                            ;   in Loop: Header=BB4_12924 Depth=3
	s_delay_alu instid0(VALU_DEP_1)
	v_bfe_u32 v8, v4, 23, 1
; %bb.13731:                            ;   in Loop: Header=BB4_12924 Depth=3
	s_or_b32 exec_lo, exec_lo, s13
	s_delay_alu instid0(VALU_DEP_2) | instskip(NEXT) | instid1(VALU_DEP_2)
	v_lshrrev_b64 v[4:5], 21, v[4:5]
	v_cmp_gt_i32_e32 vcc_lo, 32, v8
	v_min_i32_e32 v9, 31, v8
	v_cmp_eq_u32_e64 s13, 0, v8
	s_delay_alu instid0(VALU_DEP_4) | instskip(NEXT) | instid1(VALU_DEP_3)
	v_cndmask_b32_e32 v5, 0, v5, vcc_lo
	v_dual_cndmask_b32 v4, 3, v4 :: v_dual_lshlrev_b32 v9, 2, v9
	s_delay_alu instid0(VALU_DEP_1) | instskip(NEXT) | instid1(VALU_DEP_2)
	v_and_b32_e32 v9, 0xfc, v9
	v_cmp_eq_u64_e32 vcc_lo, 0, v[4:5]
	s_delay_alu instid0(VALU_DEP_2)
	v_and_or_b32 v4, v4, 3, v9
	s_and_b32 s13, s13, vcc_lo
	s_delay_alu instid0(VALU_DEP_1) | instid1(SALU_CYCLE_1)
	v_cndmask_b32_e64 v4, v4, 0, s13
	s_delay_alu instid0(VALU_DEP_1)
	v_or_b32_e32 v115, v4, v2
.LBB4_13732:                            ;   in Loop: Header=BB4_12924 Depth=3
	s_or_b32 exec_lo, exec_lo, s76
                                        ; implicit-def: $vgpr2
.LBB4_13733:                            ;   in Loop: Header=BB4_12924 Depth=3
	s_and_not1_saveexec_b32 s13, s75
; %bb.13734:                            ;   in Loop: Header=BB4_12924 Depth=3
	v_or_b32_e32 v115, 0x7b, v2
; %bb.13735:                            ;   in Loop: Header=BB4_12924 Depth=3
	s_or_b32 exec_lo, exec_lo, s13
                                        ; implicit-def: $vgpr8
                                        ; implicit-def: $vgpr4_vgpr5
                                        ; implicit-def: $vgpr2
.LBB4_13736:                            ;   in Loop: Header=BB4_12924 Depth=3
	s_and_not1_saveexec_b32 s13, s74
	s_cbranch_execz .LBB4_13742
; %bb.13737:                            ;   in Loop: Header=BB4_12924 Depth=3
	s_mov_b32 s74, exec_lo
                                        ; implicit-def: $vgpr115
	v_cmpx_ne_u64_e32 0, v[4:5]
	s_xor_b32 s74, exec_lo, s74
; %bb.13738:                            ;   in Loop: Header=BB4_12924 Depth=3
	v_or_b32_e32 v115, 0x7f, v2
                                        ; implicit-def: $vgpr8
; %bb.13739:                            ;   in Loop: Header=BB4_12924 Depth=3
	s_and_not1_saveexec_b32 s74, s74
; %bb.13740:                            ;   in Loop: Header=BB4_12924 Depth=3
	v_cmp_lt_i32_e32 vcc_lo, -1, v8
	v_cndmask_b32_e32 v115, 0xfc, v49, vcc_lo
; %bb.13741:                            ;   in Loop: Header=BB4_12924 Depth=3
	s_or_b32 exec_lo, exec_lo, s74
.LBB4_13742:                            ;   in Loop: Header=BB4_12924 Depth=3
	s_delay_alu instid0(SALU_CYCLE_1)
	s_or_b32 exec_lo, exec_lo, s13
	v_mov_b32_e32 v4, 0
	s_mov_b32 s13, exec_lo
	v_cmpx_lt_u32_e32 0xffffff, v10
	s_cbranch_execz .LBB4_13752
; %bb.13743:                            ;   in Loop: Header=BB4_12924 Depth=3
	v_lshrrev_b32_e32 v2, 24, v10
	v_bfrev_b32_e32 v4, 1
	s_mov_b32 s74, exec_lo
	s_delay_alu instid0(VALU_DEP_2)
	v_cmpx_ne_u32_e32 0x80, v2
	s_cbranch_execz .LBB4_13751
; %bb.13744:                            ;   in Loop: Header=BB4_12924 Depth=3
	v_and_b32_e32 v4, 0x7c000000, v10
	v_bfe_u32 v5, v10, 24, 2
	s_delay_alu instid0(VALU_DEP_2) | instskip(SKIP_1) | instid1(SALU_CYCLE_1)
	v_cmp_ne_u32_e32 vcc_lo, 0x7c000000, v4
                                        ; implicit-def: $vgpr4
	s_and_saveexec_b32 s75, vcc_lo
	s_xor_b32 s75, exec_lo, s75
	s_cbranch_execz .LBB4_13748
; %bb.13745:                            ;   in Loop: Header=BB4_12924 Depth=3
	v_bfe_u32 v4, v10, 26, 5
	s_mov_b32 s76, exec_lo
	s_delay_alu instid0(VALU_DEP_1)
	v_cmpx_eq_u32_e32 0, v4
; %bb.13746:                            ;   in Loop: Header=BB4_12924 Depth=3
	v_clz_i32_u32_e32 v4, v5
	s_delay_alu instid0(VALU_DEP_1) | instskip(NEXT) | instid1(VALU_DEP_1)
	v_min_u32_e32 v4, 32, v4
	v_subrev_nc_u32_e32 v5, 29, v4
	v_sub_nc_u32_e32 v4, 30, v4
	s_delay_alu instid0(VALU_DEP_2) | instskip(NEXT) | instid1(VALU_DEP_1)
	v_lshlrev_b64_e32 v[8:9], v5, v[2:3]
	v_and_b32_e32 v5, 3, v8
; %bb.13747:                            ;   in Loop: Header=BB4_12924 Depth=3
	s_or_b32 exec_lo, exec_lo, s76
	v_and_b32_e32 v2, 0x80000000, v10
	s_delay_alu instid0(VALU_DEP_1) | instskip(NEXT) | instid1(VALU_DEP_1)
	v_lshl_add_u32 v2, v4, 23, v2
	v_lshl_or_b32 v2, v5, 21, v2
                                        ; implicit-def: $vgpr5
	s_delay_alu instid0(VALU_DEP_1)
	v_add_nc_u32_e32 v4, 0x38000000, v2
.LBB4_13748:                            ;   in Loop: Header=BB4_12924 Depth=3
	s_and_not1_saveexec_b32 s75, s75
; %bb.13749:                            ;   in Loop: Header=BB4_12924 Depth=3
	v_cmp_lt_i32_e32 vcc_lo, -1, v10
	v_cndmask_b32_e32 v2, 0xff800000, v48, vcc_lo
	v_cmp_eq_u32_e32 vcc_lo, 0, v5
	s_delay_alu instid0(VALU_DEP_2)
	v_cndmask_b32_e32 v4, 0x7f800001, v2, vcc_lo
; %bb.13750:                            ;   in Loop: Header=BB4_12924 Depth=3
	s_or_b32 exec_lo, exec_lo, s75
.LBB4_13751:                            ;   in Loop: Header=BB4_12924 Depth=3
	s_delay_alu instid0(SALU_CYCLE_1)
	s_or_b32 exec_lo, exec_lo, s74
.LBB4_13752:                            ;   in Loop: Header=BB4_12924 Depth=3
	s_delay_alu instid0(SALU_CYCLE_1) | instskip(NEXT) | instid1(VALU_DEP_1)
	s_or_b32 exec_lo, exec_lo, s13
	v_dual_mul_f32 v8, s73, v4 :: v_dual_mov_b32 v13, v3
	v_mov_b32_e32 v5, v3
                                        ; implicit-def: $vgpr117
	s_mov_b32 s13, exec_lo
	s_delay_alu instid0(VALU_DEP_2) | instskip(SKIP_2) | instid1(VALU_DEP_3)
	v_and_b32_e32 v12, 0x7f800000, v8
	v_and_b32_e32 v4, 0x7fffff, v8
	v_lshrrev_b32_e32 v2, 24, v8
	v_cmpx_ne_u64_e32 0x7f800000, v[12:13]
	s_xor_b32 s74, exec_lo, s13
	s_cbranch_execz .LBB4_13766
; %bb.13753:                            ;   in Loop: Header=BB4_12924 Depth=3
	v_and_b32_e32 v12, 0x7fffffff, v8
	v_mov_b32_e32 v13, v3
	v_and_b32_e32 v2, 0x80, v2
                                        ; implicit-def: $vgpr117
	s_mov_b32 s13, exec_lo
	s_delay_alu instid0(VALU_DEP_2)
	v_cmpx_gt_u64_e32 0x47600001, v[12:13]
	s_xor_b32 s75, exec_lo, s13
	s_cbranch_execz .LBB4_13763
; %bb.13754:                            ;   in Loop: Header=BB4_12924 Depth=3
	v_mov_b32_e32 v117, 0
	s_mov_b32 s76, exec_lo
	v_cmpx_ne_u32_e32 0, v8
	s_cbranch_execz .LBB4_13762
; %bb.13755:                            ;   in Loop: Header=BB4_12924 Depth=3
	v_bfe_u32 v12, v8, 23, 8
	v_or_b32_e32 v9, 0x800000, v4
	s_delay_alu instid0(VALU_DEP_2) | instskip(SKIP_2) | instid1(VALU_DEP_2)
	v_cmp_gt_u32_e64 s13, 0x72, v12
	v_sub_nc_u32_e32 v8, 0x71, v12
	v_cmp_eq_u32_e32 vcc_lo, 0, v12
	v_cndmask_b32_e64 v8, 0, v8, s13
	s_delay_alu instid0(VALU_DEP_1) | instskip(NEXT) | instid1(VALU_DEP_1)
	v_cndmask_b32_e64 v13, v8, 0x70, vcc_lo
	v_dual_cndmask_b32 v4, v9, v4, vcc_lo :: v_dual_add_nc_u32 v8, 21, v13
	v_add_nc_u32_e32 v14, 20, v13
	s_delay_alu instid0(VALU_DEP_2) | instskip(NEXT) | instid1(VALU_DEP_2)
	v_lshlrev_b64_e64 v[8:9], v8, -1
	v_lshlrev_b64_e64 v[14:15], v14, 1
	s_delay_alu instid0(VALU_DEP_2) | instskip(SKIP_1) | instid1(VALU_DEP_4)
	v_bfi_b32 v8, v8, 0, v4
	v_lshrrev_b64 v[4:5], v13, v[4:5]
	v_bfi_b32 v9, v9, 0, 0
	s_delay_alu instid0(VALU_DEP_1) | instskip(NEXT) | instid1(VALU_DEP_3)
	v_cmp_eq_u64_e64 s13, v[8:9], v[14:15]
	v_mov_b64_e32 v[8:9], v[4:5]
	s_and_saveexec_b32 s77, s13
; %bb.13756:                            ;   in Loop: Header=BB4_12924 Depth=3
	v_bfe_u32 v8, v4, 21, 1
	v_mov_b32_e32 v9, v3
	s_delay_alu instid0(VALU_DEP_1) | instskip(NEXT) | instid1(VALU_DEP_1)
	v_add_nc_u64_e32 v[8:9], v[4:5], v[8:9]
	v_add_nc_u64_e32 v[8:9], -1, v[8:9]
; %bb.13757:                            ;   in Loop: Header=BB4_12924 Depth=3
	s_or_b32 exec_lo, exec_lo, s77
	v_add_nc_u32_e32 v5, 0xffffff81, v12
	v_lshrrev_b32_e32 v9, 23, v4
	s_mov_b32 s13, exec_lo
	s_delay_alu instid0(VALU_DEP_2) | instskip(NEXT) | instid1(VALU_DEP_1)
	v_cndmask_b32_e64 v5, v5, 0xffffff82, vcc_lo
	v_add3_u32 v9, v13, v5, v9
	v_and_b32_e32 v5, 0x1fffff, v8
                                        ; implicit-def: $vgpr8
	s_delay_alu instid0(VALU_DEP_1) | instskip(SKIP_1) | instid1(VALU_DEP_2)
	v_dual_add_nc_u32 v12, 14, v9 :: v_dual_add_nc_u32 v4, v5, v4
	v_mov_b32_e32 v5, v3
	v_cmpx_ne_u32_e32 0, v12
	s_xor_b32 s13, exec_lo, s13
; %bb.13758:                            ;   in Loop: Header=BB4_12924 Depth=3
	s_delay_alu instid0(VALU_DEP_2) | instskip(SKIP_2) | instid1(VALU_DEP_2)
	v_cmp_lt_u64_e32 vcc_lo, 0xffffff, v[4:5]
	v_add_nc_u32_e32 v8, 15, v9
	v_cndmask_b32_e64 v9, 0, 1, vcc_lo
	v_cndmask_b32_e32 v8, v12, v8, vcc_lo
	s_delay_alu instid0(VALU_DEP_2)
	v_lshrrev_b64 v[4:5], v9, v[4:5]
; %bb.13759:                            ;   in Loop: Header=BB4_12924 Depth=3
	s_and_not1_saveexec_b32 s13, s13
; %bb.13760:                            ;   in Loop: Header=BB4_12924 Depth=3
	s_delay_alu instid0(VALU_DEP_1)
	v_bfe_u32 v8, v4, 23, 1
; %bb.13761:                            ;   in Loop: Header=BB4_12924 Depth=3
	s_or_b32 exec_lo, exec_lo, s13
	s_delay_alu instid0(VALU_DEP_2) | instskip(NEXT) | instid1(VALU_DEP_2)
	v_lshrrev_b64 v[4:5], 21, v[4:5]
	v_cmp_gt_i32_e32 vcc_lo, 32, v8
	v_min_i32_e32 v9, 31, v8
	v_cmp_eq_u32_e64 s13, 0, v8
	s_delay_alu instid0(VALU_DEP_4) | instskip(NEXT) | instid1(VALU_DEP_3)
	v_cndmask_b32_e32 v5, 0, v5, vcc_lo
	v_dual_cndmask_b32 v4, 3, v4 :: v_dual_lshlrev_b32 v9, 2, v9
	s_delay_alu instid0(VALU_DEP_1) | instskip(NEXT) | instid1(VALU_DEP_2)
	v_and_b32_e32 v9, 0xfc, v9
	v_cmp_eq_u64_e32 vcc_lo, 0, v[4:5]
	s_delay_alu instid0(VALU_DEP_2)
	v_and_or_b32 v4, v4, 3, v9
	s_and_b32 s13, s13, vcc_lo
	s_delay_alu instid0(VALU_DEP_1) | instid1(SALU_CYCLE_1)
	v_cndmask_b32_e64 v4, v4, 0, s13
	s_delay_alu instid0(VALU_DEP_1)
	v_or_b32_e32 v117, v4, v2
.LBB4_13762:                            ;   in Loop: Header=BB4_12924 Depth=3
	s_or_b32 exec_lo, exec_lo, s76
                                        ; implicit-def: $vgpr2
.LBB4_13763:                            ;   in Loop: Header=BB4_12924 Depth=3
	s_and_not1_saveexec_b32 s13, s75
; %bb.13764:                            ;   in Loop: Header=BB4_12924 Depth=3
	v_or_b32_e32 v117, 0x7b, v2
; %bb.13765:                            ;   in Loop: Header=BB4_12924 Depth=3
	s_or_b32 exec_lo, exec_lo, s13
                                        ; implicit-def: $vgpr8
                                        ; implicit-def: $vgpr4_vgpr5
                                        ; implicit-def: $vgpr2
.LBB4_13766:                            ;   in Loop: Header=BB4_12924 Depth=3
	s_and_not1_saveexec_b32 s13, s74
	s_cbranch_execz .LBB4_13772
; %bb.13767:                            ;   in Loop: Header=BB4_12924 Depth=3
	s_mov_b32 s74, exec_lo
                                        ; implicit-def: $vgpr117
	v_cmpx_ne_u64_e32 0, v[4:5]
	s_xor_b32 s74, exec_lo, s74
; %bb.13768:                            ;   in Loop: Header=BB4_12924 Depth=3
	v_or_b32_e32 v117, 0x7f, v2
                                        ; implicit-def: $vgpr8
; %bb.13769:                            ;   in Loop: Header=BB4_12924 Depth=3
	s_and_not1_saveexec_b32 s74, s74
; %bb.13770:                            ;   in Loop: Header=BB4_12924 Depth=3
	v_cmp_lt_i32_e32 vcc_lo, -1, v8
	v_cndmask_b32_e32 v117, 0xfc, v49, vcc_lo
; %bb.13771:                            ;   in Loop: Header=BB4_12924 Depth=3
	s_or_b32 exec_lo, exec_lo, s74
.LBB4_13772:                            ;   in Loop: Header=BB4_12924 Depth=3
	s_delay_alu instid0(SALU_CYCLE_1) | instskip(SKIP_4) | instid1(VALU_DEP_3)
	s_or_b32 exec_lo, exec_lo, s13
	v_and_b32_e32 v2, 0xff, v11
	v_dual_mov_b32 v4, v11 :: v_dual_mov_b32 v5, v3
	v_mov_b32_e32 v8, 0
	s_mov_b32 s13, exec_lo
	v_cmpx_ne_u16_e32 0, v2
	s_cbranch_execz .LBB4_13782
; %bb.13773:                            ;   in Loop: Header=BB4_12924 Depth=3
	v_bfrev_b32_e32 v8, 1
	s_mov_b32 s74, exec_lo
	v_cmpx_ne_u16_e32 0x80, v2
	s_cbranch_execz .LBB4_13781
; %bb.13774:                            ;   in Loop: Header=BB4_12924 Depth=3
	v_and_b32_e32 v8, 0x7c, v11
	v_and_b32_e32 v2, 3, v11
	s_delay_alu instid0(VALU_DEP_2) | instskip(SKIP_1) | instid1(SALU_CYCLE_1)
	v_cmp_ne_u32_e32 vcc_lo, 0x7c, v8
                                        ; implicit-def: $vgpr8
	s_and_saveexec_b32 s75, vcc_lo
	s_xor_b32 s75, exec_lo, s75
	s_cbranch_execz .LBB4_13778
; %bb.13775:                            ;   in Loop: Header=BB4_12924 Depth=3
	v_bfe_u32 v8, v11, 2, 5
	s_mov_b32 s76, exec_lo
	s_delay_alu instid0(VALU_DEP_1)
	v_cmpx_eq_u32_e32 0, v8
; %bb.13776:                            ;   in Loop: Header=BB4_12924 Depth=3
	v_clz_i32_u32_e32 v2, v2
	s_delay_alu instid0(VALU_DEP_1) | instskip(NEXT) | instid1(VALU_DEP_1)
	v_min_u32_e32 v2, 32, v2
	v_subrev_nc_u32_e32 v8, 29, v2
	s_delay_alu instid0(VALU_DEP_1) | instskip(NEXT) | instid1(VALU_DEP_1)
	v_lshlrev_b64_e32 v[12:13], v8, v[4:5]
	v_dual_sub_nc_u32 v8, 30, v2 :: v_dual_bitop2_b32 v2, 3, v12 bitop3:0x40
; %bb.13777:                            ;   in Loop: Header=BB4_12924 Depth=3
	s_or_b32 exec_lo, exec_lo, s76
	v_lshlrev_b32_e32 v5, 24, v11
	s_delay_alu instid0(VALU_DEP_1) | instskip(NEXT) | instid1(VALU_DEP_1)
	v_and_b32_e32 v5, 0x80000000, v5
	v_lshl_add_u32 v5, v8, 23, v5
	s_delay_alu instid0(VALU_DEP_1) | instskip(NEXT) | instid1(VALU_DEP_1)
	v_lshl_or_b32 v2, v2, 21, v5
	v_add_nc_u32_e32 v8, 0x38000000, v2
                                        ; implicit-def: $vgpr2
.LBB4_13778:                            ;   in Loop: Header=BB4_12924 Depth=3
	s_and_not1_saveexec_b32 s75, s75
; %bb.13779:                            ;   in Loop: Header=BB4_12924 Depth=3
	v_bfe_i32 v5, v11, 0, 8
	s_delay_alu instid0(VALU_DEP_1) | instskip(SKIP_2) | instid1(VALU_DEP_2)
	v_cmp_lt_i16_e32 vcc_lo, -1, v5
	v_cndmask_b32_e32 v5, 0xff800000, v48, vcc_lo
	v_cmp_eq_u32_e32 vcc_lo, 0, v2
	v_cndmask_b32_e32 v8, 0x7f800001, v5, vcc_lo
; %bb.13780:                            ;   in Loop: Header=BB4_12924 Depth=3
	s_or_b32 exec_lo, exec_lo, s75
.LBB4_13781:                            ;   in Loop: Header=BB4_12924 Depth=3
	s_delay_alu instid0(SALU_CYCLE_1)
	s_or_b32 exec_lo, exec_lo, s74
.LBB4_13782:                            ;   in Loop: Header=BB4_12924 Depth=3
	s_delay_alu instid0(SALU_CYCLE_1) | instskip(NEXT) | instid1(VALU_DEP_1)
	s_or_b32 exec_lo, exec_lo, s13
	v_dual_mul_f32 v5, s73, v8 :: v_dual_mov_b32 v13, v3
	v_mov_b32_e32 v9, v3
                                        ; implicit-def: $vgpr31
	s_mov_b32 s13, exec_lo
	s_delay_alu instid0(VALU_DEP_2) | instskip(SKIP_2) | instid1(VALU_DEP_3)
	v_and_b32_e32 v12, 0x7f800000, v5
	v_and_b32_e32 v8, 0x7fffff, v5
	v_lshrrev_b32_e32 v2, 24, v5
	v_cmpx_ne_u64_e32 0x7f800000, v[12:13]
	s_xor_b32 s74, exec_lo, s13
	s_cbranch_execz .LBB4_13796
; %bb.13783:                            ;   in Loop: Header=BB4_12924 Depth=3
	v_and_b32_e32 v12, 0x7fffffff, v5
	v_mov_b32_e32 v13, v3
	v_and_b32_e32 v2, 0x80, v2
                                        ; implicit-def: $vgpr31
	s_mov_b32 s13, exec_lo
	s_delay_alu instid0(VALU_DEP_2)
	v_cmpx_gt_u64_e32 0x47600001, v[12:13]
	s_xor_b32 s75, exec_lo, s13
	s_cbranch_execz .LBB4_13793
; %bb.13784:                            ;   in Loop: Header=BB4_12924 Depth=3
	v_mov_b32_e32 v31, 0
	s_mov_b32 s76, exec_lo
	v_cmpx_ne_u32_e32 0, v5
	s_cbranch_execz .LBB4_13792
; %bb.13785:                            ;   in Loop: Header=BB4_12924 Depth=3
	v_bfe_u32 v5, v5, 23, 8
	v_or_b32_e32 v13, 0x800000, v8
	s_delay_alu instid0(VALU_DEP_2) | instskip(SKIP_2) | instid1(VALU_DEP_2)
	v_cmp_gt_u32_e64 s13, 0x72, v5
	v_sub_nc_u32_e32 v12, 0x71, v5
	v_cmp_eq_u32_e32 vcc_lo, 0, v5
	v_cndmask_b32_e64 v12, 0, v12, s13
	s_delay_alu instid0(VALU_DEP_1) | instskip(NEXT) | instid1(VALU_DEP_1)
	v_cndmask_b32_e64 v14, v12, 0x70, vcc_lo
	v_dual_cndmask_b32 v8, v13, v8, vcc_lo :: v_dual_add_nc_u32 v12, 21, v14
	v_add_nc_u32_e32 v15, 20, v14
	s_delay_alu instid0(VALU_DEP_2) | instskip(NEXT) | instid1(VALU_DEP_2)
	v_lshlrev_b64_e64 v[12:13], v12, -1
	v_lshlrev_b64_e64 v[30:31], v15, 1
	s_delay_alu instid0(VALU_DEP_2) | instskip(SKIP_1) | instid1(VALU_DEP_4)
	v_bfi_b32 v12, v12, 0, v8
	v_lshrrev_b64 v[8:9], v14, v[8:9]
	v_bfi_b32 v13, v13, 0, 0
	s_delay_alu instid0(VALU_DEP_1) | instskip(NEXT) | instid1(VALU_DEP_3)
	v_cmp_eq_u64_e64 s13, v[12:13], v[30:31]
	v_mov_b64_e32 v[12:13], v[8:9]
	s_and_saveexec_b32 s77, s13
; %bb.13786:                            ;   in Loop: Header=BB4_12924 Depth=3
	v_bfe_u32 v12, v8, 21, 1
	v_mov_b32_e32 v13, v3
	s_delay_alu instid0(VALU_DEP_1) | instskip(NEXT) | instid1(VALU_DEP_1)
	v_add_nc_u64_e32 v[12:13], v[8:9], v[12:13]
	v_add_nc_u64_e32 v[12:13], -1, v[12:13]
; %bb.13787:                            ;   in Loop: Header=BB4_12924 Depth=3
	s_or_b32 exec_lo, exec_lo, s77
	v_add_nc_u32_e32 v5, 0xffffff81, v5
	v_lshrrev_b32_e32 v9, 23, v8
	s_mov_b32 s13, exec_lo
	s_delay_alu instid0(VALU_DEP_2) | instskip(NEXT) | instid1(VALU_DEP_1)
	v_cndmask_b32_e64 v5, v5, 0xffffff82, vcc_lo
	v_add3_u32 v13, v14, v5, v9
	v_and_b32_e32 v5, 0x1fffff, v12
	s_delay_alu instid0(VALU_DEP_2) | instskip(NEXT) | instid1(VALU_DEP_2)
	v_dual_mov_b32 v9, v3 :: v_dual_add_nc_u32 v12, 14, v13
	v_add_nc_u32_e32 v8, v5, v8
                                        ; implicit-def: $vgpr5
	s_delay_alu instid0(VALU_DEP_2)
	v_cmpx_ne_u32_e32 0, v12
	s_xor_b32 s13, exec_lo, s13
; %bb.13788:                            ;   in Loop: Header=BB4_12924 Depth=3
	s_delay_alu instid0(VALU_DEP_2) | instskip(SKIP_1) | instid1(VALU_DEP_1)
	v_cmp_lt_u64_e32 vcc_lo, 0xffffff, v[8:9]
	v_add_nc_u32_e32 v5, 15, v13
	v_cndmask_b32_e32 v5, v12, v5, vcc_lo
	v_cndmask_b32_e64 v12, 0, 1, vcc_lo
	s_delay_alu instid0(VALU_DEP_1)
	v_lshrrev_b64 v[8:9], v12, v[8:9]
; %bb.13789:                            ;   in Loop: Header=BB4_12924 Depth=3
	s_and_not1_saveexec_b32 s13, s13
; %bb.13790:                            ;   in Loop: Header=BB4_12924 Depth=3
	s_delay_alu instid0(VALU_DEP_1)
	v_bfe_u32 v5, v8, 23, 1
; %bb.13791:                            ;   in Loop: Header=BB4_12924 Depth=3
	s_or_b32 exec_lo, exec_lo, s13
	s_delay_alu instid0(VALU_DEP_2) | instskip(NEXT) | instid1(VALU_DEP_2)
	v_lshrrev_b64 v[8:9], 21, v[8:9]
	v_cmp_gt_i32_e32 vcc_lo, 32, v5
	v_min_i32_e32 v12, 31, v5
	v_cmp_eq_u32_e64 s13, 0, v5
	s_delay_alu instid0(VALU_DEP_4) | instskip(NEXT) | instid1(VALU_DEP_3)
	v_cndmask_b32_e32 v8, 3, v8, vcc_lo
	v_dual_cndmask_b32 v9, 0, v9 :: v_dual_lshlrev_b32 v12, 2, v12
	s_delay_alu instid0(VALU_DEP_1) | instskip(NEXT) | instid1(VALU_DEP_2)
	v_and_b32_e32 v12, 0xfc, v12
	v_cmp_eq_u64_e32 vcc_lo, 0, v[8:9]
	s_delay_alu instid0(VALU_DEP_2)
	v_and_or_b32 v5, v8, 3, v12
	s_and_b32 s13, s13, vcc_lo
	s_delay_alu instid0(VALU_DEP_1) | instid1(SALU_CYCLE_1)
	v_cndmask_b32_e64 v5, v5, 0, s13
	s_delay_alu instid0(VALU_DEP_1)
	v_or_b32_e32 v31, v5, v2
.LBB4_13792:                            ;   in Loop: Header=BB4_12924 Depth=3
	s_or_b32 exec_lo, exec_lo, s76
                                        ; implicit-def: $vgpr2
.LBB4_13793:                            ;   in Loop: Header=BB4_12924 Depth=3
	s_and_not1_saveexec_b32 s13, s75
; %bb.13794:                            ;   in Loop: Header=BB4_12924 Depth=3
	v_or_b32_e32 v31, 0x7b, v2
; %bb.13795:                            ;   in Loop: Header=BB4_12924 Depth=3
	s_or_b32 exec_lo, exec_lo, s13
                                        ; implicit-def: $vgpr5
                                        ; implicit-def: $vgpr8_vgpr9
                                        ; implicit-def: $vgpr2
.LBB4_13796:                            ;   in Loop: Header=BB4_12924 Depth=3
	s_and_not1_saveexec_b32 s13, s74
	s_cbranch_execz .LBB4_13802
; %bb.13797:                            ;   in Loop: Header=BB4_12924 Depth=3
	s_mov_b32 s74, exec_lo
                                        ; implicit-def: $vgpr31
	v_cmpx_ne_u64_e32 0, v[8:9]
	s_xor_b32 s74, exec_lo, s74
; %bb.13798:                            ;   in Loop: Header=BB4_12924 Depth=3
	v_or_b32_e32 v31, 0x7f, v2
                                        ; implicit-def: $vgpr5
; %bb.13799:                            ;   in Loop: Header=BB4_12924 Depth=3
	s_and_not1_saveexec_b32 s74, s74
; %bb.13800:                            ;   in Loop: Header=BB4_12924 Depth=3
	v_cmp_lt_i32_e32 vcc_lo, -1, v5
	v_cndmask_b32_e32 v31, 0xfc, v49, vcc_lo
; %bb.13801:                            ;   in Loop: Header=BB4_12924 Depth=3
	s_or_b32 exec_lo, exec_lo, s74
.LBB4_13802:                            ;   in Loop: Header=BB4_12924 Depth=3
	s_delay_alu instid0(SALU_CYCLE_1) | instskip(SKIP_3) | instid1(VALU_DEP_2)
	s_or_b32 exec_lo, exec_lo, s13
	v_lshrrev_b16 v8, 8, v4
	v_mov_b32_e32 v9, 0
	s_mov_b32 s13, exec_lo
	v_cmpx_ne_u16_e32 0, v8
	s_cbranch_execz .LBB4_13812
; %bb.13803:                            ;   in Loop: Header=BB4_12924 Depth=3
	v_bfrev_b32_e32 v9, 1
	s_mov_b32 s74, exec_lo
	v_cmpx_ne_u16_e32 0x80, v8
	s_cbranch_execz .LBB4_13811
; %bb.13804:                            ;   in Loop: Header=BB4_12924 Depth=3
	v_and_b32_e32 v5, 0xffff, v8
	s_delay_alu instid0(VALU_DEP_1) | instskip(SKIP_1) | instid1(VALU_DEP_2)
	v_and_b32_e32 v9, 0x7c, v5
	v_and_b32_e32 v2, 3, v5
	v_cmp_ne_u32_e32 vcc_lo, 0x7c, v9
                                        ; implicit-def: $vgpr9
	s_and_saveexec_b32 s75, vcc_lo
	s_delay_alu instid0(SALU_CYCLE_1)
	s_xor_b32 s75, exec_lo, s75
	s_cbranch_execz .LBB4_13808
; %bb.13805:                            ;   in Loop: Header=BB4_12924 Depth=3
	v_bfe_u32 v5, v5, 2, 5
	s_mov_b32 s76, exec_lo
	s_delay_alu instid0(VALU_DEP_1)
	v_cmpx_eq_u32_e32 0, v5
; %bb.13806:                            ;   in Loop: Header=BB4_12924 Depth=3
	v_clz_i32_u32_e32 v2, v2
	s_delay_alu instid0(VALU_DEP_1) | instskip(SKIP_1) | instid1(VALU_DEP_2)
	v_min_u32_e32 v2, 32, v2
	v_mov_b32_e32 v9, v3
	v_subrev_nc_u32_e32 v5, 29, v2
	s_delay_alu instid0(VALU_DEP_1) | instskip(NEXT) | instid1(VALU_DEP_1)
	v_lshlrev_b64_e32 v[8:9], v5, v[8:9]
	v_dual_sub_nc_u32 v5, 30, v2 :: v_dual_bitop2_b32 v2, 3, v8 bitop3:0x40
; %bb.13807:                            ;   in Loop: Header=BB4_12924 Depth=3
	s_or_b32 exec_lo, exec_lo, s76
	v_lshlrev_b32_e32 v4, 16, v4
	s_delay_alu instid0(VALU_DEP_1) | instskip(NEXT) | instid1(VALU_DEP_1)
	v_and_b32_e32 v4, 0x80000000, v4
	v_lshl_add_u32 v4, v5, 23, v4
	s_delay_alu instid0(VALU_DEP_1) | instskip(NEXT) | instid1(VALU_DEP_1)
	v_lshl_or_b32 v2, v2, 21, v4
                                        ; implicit-def: $vgpr4_vgpr5
	v_add_nc_u32_e32 v9, 0x38000000, v2
                                        ; implicit-def: $vgpr2
.LBB4_13808:                            ;   in Loop: Header=BB4_12924 Depth=3
	s_and_not1_saveexec_b32 s75, s75
; %bb.13809:                            ;   in Loop: Header=BB4_12924 Depth=3
	v_cmp_lt_i16_e32 vcc_lo, -1, v4
	v_cndmask_b32_e32 v4, 0xff800000, v48, vcc_lo
	v_cmp_eq_u32_e32 vcc_lo, 0, v2
	s_delay_alu instid0(VALU_DEP_2)
	v_cndmask_b32_e32 v9, 0x7f800001, v4, vcc_lo
; %bb.13810:                            ;   in Loop: Header=BB4_12924 Depth=3
	s_or_b32 exec_lo, exec_lo, s75
.LBB4_13811:                            ;   in Loop: Header=BB4_12924 Depth=3
	s_delay_alu instid0(SALU_CYCLE_1)
	s_or_b32 exec_lo, exec_lo, s74
.LBB4_13812:                            ;   in Loop: Header=BB4_12924 Depth=3
	s_delay_alu instid0(SALU_CYCLE_1) | instskip(NEXT) | instid1(VALU_DEP_1)
	s_or_b32 exec_lo, exec_lo, s13
	v_dual_mul_f32 v8, s73, v9 :: v_dual_mov_b32 v13, v3
	v_mov_b32_e32 v5, v3
                                        ; implicit-def: $vgpr64
	s_mov_b32 s13, exec_lo
	s_delay_alu instid0(VALU_DEP_2) | instskip(SKIP_2) | instid1(VALU_DEP_3)
	v_and_b32_e32 v12, 0x7f800000, v8
	v_and_b32_e32 v4, 0x7fffff, v8
	v_lshrrev_b32_e32 v2, 24, v8
	v_cmpx_ne_u64_e32 0x7f800000, v[12:13]
	s_xor_b32 s74, exec_lo, s13
	s_cbranch_execz .LBB4_13826
; %bb.13813:                            ;   in Loop: Header=BB4_12924 Depth=3
	v_and_b32_e32 v12, 0x7fffffff, v8
	v_mov_b32_e32 v13, v3
	v_and_b32_e32 v2, 0x80, v2
                                        ; implicit-def: $vgpr64
	s_mov_b32 s13, exec_lo
	s_delay_alu instid0(VALU_DEP_2)
	v_cmpx_gt_u64_e32 0x47600001, v[12:13]
	s_xor_b32 s75, exec_lo, s13
	s_cbranch_execz .LBB4_13823
; %bb.13814:                            ;   in Loop: Header=BB4_12924 Depth=3
	v_mov_b32_e32 v64, 0
	s_mov_b32 s76, exec_lo
	v_cmpx_ne_u32_e32 0, v8
	s_cbranch_execz .LBB4_13822
; %bb.13815:                            ;   in Loop: Header=BB4_12924 Depth=3
	v_bfe_u32 v12, v8, 23, 8
	v_or_b32_e32 v9, 0x800000, v4
	s_delay_alu instid0(VALU_DEP_2) | instskip(SKIP_2) | instid1(VALU_DEP_2)
	v_cmp_gt_u32_e64 s13, 0x72, v12
	v_sub_nc_u32_e32 v8, 0x71, v12
	v_cmp_eq_u32_e32 vcc_lo, 0, v12
	v_cndmask_b32_e64 v8, 0, v8, s13
	s_delay_alu instid0(VALU_DEP_1) | instskip(NEXT) | instid1(VALU_DEP_1)
	v_cndmask_b32_e64 v13, v8, 0x70, vcc_lo
	v_dual_cndmask_b32 v4, v9, v4, vcc_lo :: v_dual_add_nc_u32 v8, 21, v13
	v_add_nc_u32_e32 v14, 20, v13
	s_delay_alu instid0(VALU_DEP_2) | instskip(NEXT) | instid1(VALU_DEP_2)
	v_lshlrev_b64_e64 v[8:9], v8, -1
	v_lshlrev_b64_e64 v[14:15], v14, 1
	s_delay_alu instid0(VALU_DEP_2) | instskip(SKIP_1) | instid1(VALU_DEP_4)
	v_bfi_b32 v8, v8, 0, v4
	v_lshrrev_b64 v[4:5], v13, v[4:5]
	v_bfi_b32 v9, v9, 0, 0
	s_delay_alu instid0(VALU_DEP_1) | instskip(NEXT) | instid1(VALU_DEP_3)
	v_cmp_eq_u64_e64 s13, v[8:9], v[14:15]
	v_mov_b64_e32 v[8:9], v[4:5]
	s_and_saveexec_b32 s77, s13
; %bb.13816:                            ;   in Loop: Header=BB4_12924 Depth=3
	v_bfe_u32 v8, v4, 21, 1
	v_mov_b32_e32 v9, v3
	s_delay_alu instid0(VALU_DEP_1) | instskip(NEXT) | instid1(VALU_DEP_1)
	v_add_nc_u64_e32 v[8:9], v[4:5], v[8:9]
	v_add_nc_u64_e32 v[8:9], -1, v[8:9]
; %bb.13817:                            ;   in Loop: Header=BB4_12924 Depth=3
	s_or_b32 exec_lo, exec_lo, s77
	v_add_nc_u32_e32 v5, 0xffffff81, v12
	v_lshrrev_b32_e32 v9, 23, v4
	s_mov_b32 s13, exec_lo
	s_delay_alu instid0(VALU_DEP_2) | instskip(NEXT) | instid1(VALU_DEP_1)
	v_cndmask_b32_e64 v5, v5, 0xffffff82, vcc_lo
	v_add3_u32 v9, v13, v5, v9
	v_and_b32_e32 v5, 0x1fffff, v8
                                        ; implicit-def: $vgpr8
	s_delay_alu instid0(VALU_DEP_1) | instskip(SKIP_1) | instid1(VALU_DEP_2)
	v_dual_add_nc_u32 v12, 14, v9 :: v_dual_add_nc_u32 v4, v5, v4
	v_mov_b32_e32 v5, v3
	v_cmpx_ne_u32_e32 0, v12
	s_xor_b32 s13, exec_lo, s13
; %bb.13818:                            ;   in Loop: Header=BB4_12924 Depth=3
	s_delay_alu instid0(VALU_DEP_2) | instskip(SKIP_2) | instid1(VALU_DEP_2)
	v_cmp_lt_u64_e32 vcc_lo, 0xffffff, v[4:5]
	v_add_nc_u32_e32 v8, 15, v9
	v_cndmask_b32_e64 v9, 0, 1, vcc_lo
	v_cndmask_b32_e32 v8, v12, v8, vcc_lo
	s_delay_alu instid0(VALU_DEP_2)
	v_lshrrev_b64 v[4:5], v9, v[4:5]
; %bb.13819:                            ;   in Loop: Header=BB4_12924 Depth=3
	s_and_not1_saveexec_b32 s13, s13
; %bb.13820:                            ;   in Loop: Header=BB4_12924 Depth=3
	s_delay_alu instid0(VALU_DEP_1)
	v_bfe_u32 v8, v4, 23, 1
; %bb.13821:                            ;   in Loop: Header=BB4_12924 Depth=3
	s_or_b32 exec_lo, exec_lo, s13
	s_delay_alu instid0(VALU_DEP_2) | instskip(NEXT) | instid1(VALU_DEP_2)
	v_lshrrev_b64 v[4:5], 21, v[4:5]
	v_cmp_gt_i32_e32 vcc_lo, 32, v8
	v_min_i32_e32 v9, 31, v8
	v_cmp_eq_u32_e64 s13, 0, v8
	s_delay_alu instid0(VALU_DEP_4) | instskip(NEXT) | instid1(VALU_DEP_3)
	v_cndmask_b32_e32 v5, 0, v5, vcc_lo
	v_dual_cndmask_b32 v4, 3, v4 :: v_dual_lshlrev_b32 v9, 2, v9
	s_delay_alu instid0(VALU_DEP_1) | instskip(NEXT) | instid1(VALU_DEP_2)
	v_and_b32_e32 v9, 0xfc, v9
	v_cmp_eq_u64_e32 vcc_lo, 0, v[4:5]
	s_delay_alu instid0(VALU_DEP_2)
	v_and_or_b32 v4, v4, 3, v9
	s_and_b32 s13, s13, vcc_lo
	s_delay_alu instid0(VALU_DEP_1) | instid1(SALU_CYCLE_1)
	v_cndmask_b32_e64 v4, v4, 0, s13
	s_delay_alu instid0(VALU_DEP_1)
	v_or_b32_e32 v64, v4, v2
.LBB4_13822:                            ;   in Loop: Header=BB4_12924 Depth=3
	s_or_b32 exec_lo, exec_lo, s76
                                        ; implicit-def: $vgpr2
.LBB4_13823:                            ;   in Loop: Header=BB4_12924 Depth=3
	s_and_not1_saveexec_b32 s13, s75
; %bb.13824:                            ;   in Loop: Header=BB4_12924 Depth=3
	v_or_b32_e32 v64, 0x7b, v2
; %bb.13825:                            ;   in Loop: Header=BB4_12924 Depth=3
	s_or_b32 exec_lo, exec_lo, s13
                                        ; implicit-def: $vgpr8
                                        ; implicit-def: $vgpr4_vgpr5
                                        ; implicit-def: $vgpr2
.LBB4_13826:                            ;   in Loop: Header=BB4_12924 Depth=3
	s_and_not1_saveexec_b32 s13, s74
	s_cbranch_execz .LBB4_13832
; %bb.13827:                            ;   in Loop: Header=BB4_12924 Depth=3
	s_mov_b32 s74, exec_lo
                                        ; implicit-def: $vgpr64
	v_cmpx_ne_u64_e32 0, v[4:5]
	s_xor_b32 s74, exec_lo, s74
; %bb.13828:                            ;   in Loop: Header=BB4_12924 Depth=3
	v_or_b32_e32 v64, 0x7f, v2
                                        ; implicit-def: $vgpr8
; %bb.13829:                            ;   in Loop: Header=BB4_12924 Depth=3
	s_and_not1_saveexec_b32 s74, s74
; %bb.13830:                            ;   in Loop: Header=BB4_12924 Depth=3
	v_cmp_lt_i32_e32 vcc_lo, -1, v8
	v_cndmask_b32_e32 v64, 0xfc, v49, vcc_lo
; %bb.13831:                            ;   in Loop: Header=BB4_12924 Depth=3
	s_or_b32 exec_lo, exec_lo, s74
.LBB4_13832:                            ;   in Loop: Header=BB4_12924 Depth=3
	s_delay_alu instid0(SALU_CYCLE_1) | instskip(SKIP_2) | instid1(VALU_DEP_1)
	s_or_b32 exec_lo, exec_lo, s13
	v_dual_mov_b32 v5, 0 :: v_dual_lshrrev_b32 v2, 16, v11
	s_mov_b32 s13, exec_lo
	v_and_b32_e32 v4, 0xff, v2
	s_delay_alu instid0(VALU_DEP_1)
	v_cmpx_ne_u16_e32 0, v4
	s_cbranch_execz .LBB4_13842
; %bb.13833:                            ;   in Loop: Header=BB4_12924 Depth=3
	v_bfrev_b32_e32 v5, 1
	s_mov_b32 s74, exec_lo
	v_cmpx_ne_u16_e32 0x80, v4
	s_cbranch_execz .LBB4_13841
; %bb.13834:                            ;   in Loop: Header=BB4_12924 Depth=3
	v_and_b32_e32 v5, 0x7c0000, v11
	v_bfe_u32 v4, v11, 16, 2
	s_delay_alu instid0(VALU_DEP_2) | instskip(SKIP_1) | instid1(SALU_CYCLE_1)
	v_cmp_ne_u32_e32 vcc_lo, 0x7c0000, v5
                                        ; implicit-def: $vgpr5
	s_and_saveexec_b32 s75, vcc_lo
	s_xor_b32 s75, exec_lo, s75
	s_cbranch_execz .LBB4_13838
; %bb.13835:                            ;   in Loop: Header=BB4_12924 Depth=3
	v_bfe_u32 v5, v11, 18, 5
	s_mov_b32 s76, exec_lo
	s_delay_alu instid0(VALU_DEP_1)
	v_cmpx_eq_u32_e32 0, v5
; %bb.13836:                            ;   in Loop: Header=BB4_12924 Depth=3
	v_clz_i32_u32_e32 v4, v4
	s_delay_alu instid0(VALU_DEP_1) | instskip(NEXT) | instid1(VALU_DEP_1)
	v_min_u32_e32 v8, 32, v4
	v_subrev_nc_u32_e32 v4, 29, v8
	s_delay_alu instid0(VALU_DEP_1) | instskip(SKIP_1) | instid1(VALU_DEP_2)
	v_lshlrev_b64_e32 v[4:5], v4, v[2:3]
	v_sub_nc_u32_e32 v5, 30, v8
	v_and_b32_e32 v4, 3, v4
; %bb.13837:                            ;   in Loop: Header=BB4_12924 Depth=3
	s_or_b32 exec_lo, exec_lo, s76
	v_lshlrev_b32_e32 v2, 24, v2
	s_delay_alu instid0(VALU_DEP_1) | instskip(NEXT) | instid1(VALU_DEP_1)
	v_and_b32_e32 v2, 0x80000000, v2
	v_lshl_add_u32 v2, v5, 23, v2
	s_delay_alu instid0(VALU_DEP_1) | instskip(NEXT) | instid1(VALU_DEP_1)
	v_lshl_or_b32 v2, v4, 21, v2
                                        ; implicit-def: $vgpr4
	v_add_nc_u32_e32 v5, 0x38000000, v2
                                        ; implicit-def: $vgpr2
.LBB4_13838:                            ;   in Loop: Header=BB4_12924 Depth=3
	s_and_not1_saveexec_b32 s75, s75
; %bb.13839:                            ;   in Loop: Header=BB4_12924 Depth=3
	v_bfe_i32 v2, v2, 0, 8
	s_delay_alu instid0(VALU_DEP_1) | instskip(SKIP_2) | instid1(VALU_DEP_2)
	v_cmp_lt_i16_e32 vcc_lo, -1, v2
	v_cndmask_b32_e32 v2, 0xff800000, v48, vcc_lo
	v_cmp_eq_u32_e32 vcc_lo, 0, v4
	v_cndmask_b32_e32 v5, 0x7f800001, v2, vcc_lo
; %bb.13840:                            ;   in Loop: Header=BB4_12924 Depth=3
	s_or_b32 exec_lo, exec_lo, s75
.LBB4_13841:                            ;   in Loop: Header=BB4_12924 Depth=3
	s_delay_alu instid0(SALU_CYCLE_1)
	s_or_b32 exec_lo, exec_lo, s74
.LBB4_13842:                            ;   in Loop: Header=BB4_12924 Depth=3
	s_delay_alu instid0(SALU_CYCLE_1) | instskip(NEXT) | instid1(VALU_DEP_1)
	s_or_b32 exec_lo, exec_lo, s13
	v_dual_mul_f32 v8, s73, v5 :: v_dual_mov_b32 v13, v3
	v_mov_b32_e32 v5, v3
                                        ; implicit-def: $vgpr100
	s_mov_b32 s13, exec_lo
	s_delay_alu instid0(VALU_DEP_2) | instskip(SKIP_2) | instid1(VALU_DEP_3)
	v_and_b32_e32 v12, 0x7f800000, v8
	v_and_b32_e32 v4, 0x7fffff, v8
	v_lshrrev_b32_e32 v2, 24, v8
	v_cmpx_ne_u64_e32 0x7f800000, v[12:13]
	s_xor_b32 s74, exec_lo, s13
	s_cbranch_execz .LBB4_13856
; %bb.13843:                            ;   in Loop: Header=BB4_12924 Depth=3
	v_and_b32_e32 v12, 0x7fffffff, v8
	v_mov_b32_e32 v13, v3
	v_and_b32_e32 v2, 0x80, v2
                                        ; implicit-def: $vgpr100
	s_mov_b32 s13, exec_lo
	s_delay_alu instid0(VALU_DEP_2)
	v_cmpx_gt_u64_e32 0x47600001, v[12:13]
	s_xor_b32 s75, exec_lo, s13
	s_cbranch_execz .LBB4_13853
; %bb.13844:                            ;   in Loop: Header=BB4_12924 Depth=3
	v_mov_b32_e32 v100, 0
	s_mov_b32 s76, exec_lo
	v_cmpx_ne_u32_e32 0, v8
	s_cbranch_execz .LBB4_13852
; %bb.13845:                            ;   in Loop: Header=BB4_12924 Depth=3
	v_bfe_u32 v12, v8, 23, 8
	v_or_b32_e32 v9, 0x800000, v4
	s_delay_alu instid0(VALU_DEP_2) | instskip(SKIP_2) | instid1(VALU_DEP_2)
	v_cmp_gt_u32_e64 s13, 0x72, v12
	v_sub_nc_u32_e32 v8, 0x71, v12
	v_cmp_eq_u32_e32 vcc_lo, 0, v12
	v_cndmask_b32_e64 v8, 0, v8, s13
	s_delay_alu instid0(VALU_DEP_1) | instskip(NEXT) | instid1(VALU_DEP_1)
	v_cndmask_b32_e64 v13, v8, 0x70, vcc_lo
	v_dual_cndmask_b32 v4, v9, v4, vcc_lo :: v_dual_add_nc_u32 v8, 21, v13
	v_add_nc_u32_e32 v14, 20, v13
	s_delay_alu instid0(VALU_DEP_2) | instskip(NEXT) | instid1(VALU_DEP_2)
	v_lshlrev_b64_e64 v[8:9], v8, -1
	v_lshlrev_b64_e64 v[14:15], v14, 1
	s_delay_alu instid0(VALU_DEP_2) | instskip(SKIP_1) | instid1(VALU_DEP_4)
	v_bfi_b32 v8, v8, 0, v4
	v_lshrrev_b64 v[4:5], v13, v[4:5]
	v_bfi_b32 v9, v9, 0, 0
	s_delay_alu instid0(VALU_DEP_1) | instskip(NEXT) | instid1(VALU_DEP_3)
	v_cmp_eq_u64_e64 s13, v[8:9], v[14:15]
	v_mov_b64_e32 v[8:9], v[4:5]
	s_and_saveexec_b32 s77, s13
; %bb.13846:                            ;   in Loop: Header=BB4_12924 Depth=3
	v_bfe_u32 v8, v4, 21, 1
	v_mov_b32_e32 v9, v3
	s_delay_alu instid0(VALU_DEP_1) | instskip(NEXT) | instid1(VALU_DEP_1)
	v_add_nc_u64_e32 v[8:9], v[4:5], v[8:9]
	v_add_nc_u64_e32 v[8:9], -1, v[8:9]
; %bb.13847:                            ;   in Loop: Header=BB4_12924 Depth=3
	s_or_b32 exec_lo, exec_lo, s77
	v_add_nc_u32_e32 v5, 0xffffff81, v12
	v_lshrrev_b32_e32 v9, 23, v4
	s_mov_b32 s13, exec_lo
	s_delay_alu instid0(VALU_DEP_2) | instskip(NEXT) | instid1(VALU_DEP_1)
	v_cndmask_b32_e64 v5, v5, 0xffffff82, vcc_lo
	v_add3_u32 v9, v13, v5, v9
	v_and_b32_e32 v5, 0x1fffff, v8
                                        ; implicit-def: $vgpr8
	s_delay_alu instid0(VALU_DEP_1) | instskip(SKIP_1) | instid1(VALU_DEP_2)
	v_dual_add_nc_u32 v12, 14, v9 :: v_dual_add_nc_u32 v4, v5, v4
	v_mov_b32_e32 v5, v3
	v_cmpx_ne_u32_e32 0, v12
	s_xor_b32 s13, exec_lo, s13
; %bb.13848:                            ;   in Loop: Header=BB4_12924 Depth=3
	s_delay_alu instid0(VALU_DEP_2) | instskip(SKIP_2) | instid1(VALU_DEP_2)
	v_cmp_lt_u64_e32 vcc_lo, 0xffffff, v[4:5]
	v_add_nc_u32_e32 v8, 15, v9
	v_cndmask_b32_e64 v9, 0, 1, vcc_lo
	v_cndmask_b32_e32 v8, v12, v8, vcc_lo
	s_delay_alu instid0(VALU_DEP_2)
	v_lshrrev_b64 v[4:5], v9, v[4:5]
; %bb.13849:                            ;   in Loop: Header=BB4_12924 Depth=3
	s_and_not1_saveexec_b32 s13, s13
; %bb.13850:                            ;   in Loop: Header=BB4_12924 Depth=3
	s_delay_alu instid0(VALU_DEP_1)
	v_bfe_u32 v8, v4, 23, 1
; %bb.13851:                            ;   in Loop: Header=BB4_12924 Depth=3
	s_or_b32 exec_lo, exec_lo, s13
	s_delay_alu instid0(VALU_DEP_2) | instskip(NEXT) | instid1(VALU_DEP_2)
	v_lshrrev_b64 v[4:5], 21, v[4:5]
	v_cmp_gt_i32_e32 vcc_lo, 32, v8
	v_min_i32_e32 v9, 31, v8
	v_cmp_eq_u32_e64 s13, 0, v8
	s_delay_alu instid0(VALU_DEP_4) | instskip(NEXT) | instid1(VALU_DEP_3)
	v_cndmask_b32_e32 v5, 0, v5, vcc_lo
	v_dual_cndmask_b32 v4, 3, v4 :: v_dual_lshlrev_b32 v9, 2, v9
	s_delay_alu instid0(VALU_DEP_1) | instskip(NEXT) | instid1(VALU_DEP_2)
	v_and_b32_e32 v9, 0xfc, v9
	v_cmp_eq_u64_e32 vcc_lo, 0, v[4:5]
	s_delay_alu instid0(VALU_DEP_2)
	v_and_or_b32 v4, v4, 3, v9
	s_and_b32 s13, s13, vcc_lo
	s_delay_alu instid0(VALU_DEP_1) | instid1(SALU_CYCLE_1)
	v_cndmask_b32_e64 v4, v4, 0, s13
	s_delay_alu instid0(VALU_DEP_1)
	v_or_b32_e32 v100, v4, v2
.LBB4_13852:                            ;   in Loop: Header=BB4_12924 Depth=3
	s_or_b32 exec_lo, exec_lo, s76
                                        ; implicit-def: $vgpr2
.LBB4_13853:                            ;   in Loop: Header=BB4_12924 Depth=3
	s_and_not1_saveexec_b32 s13, s75
; %bb.13854:                            ;   in Loop: Header=BB4_12924 Depth=3
	v_or_b32_e32 v100, 0x7b, v2
; %bb.13855:                            ;   in Loop: Header=BB4_12924 Depth=3
	s_or_b32 exec_lo, exec_lo, s13
                                        ; implicit-def: $vgpr8
                                        ; implicit-def: $vgpr4_vgpr5
                                        ; implicit-def: $vgpr2
.LBB4_13856:                            ;   in Loop: Header=BB4_12924 Depth=3
	s_and_not1_saveexec_b32 s13, s74
	s_cbranch_execz .LBB4_13862
; %bb.13857:                            ;   in Loop: Header=BB4_12924 Depth=3
	s_mov_b32 s74, exec_lo
                                        ; implicit-def: $vgpr100
	v_cmpx_ne_u64_e32 0, v[4:5]
	s_xor_b32 s74, exec_lo, s74
; %bb.13858:                            ;   in Loop: Header=BB4_12924 Depth=3
	v_or_b32_e32 v100, 0x7f, v2
                                        ; implicit-def: $vgpr8
; %bb.13859:                            ;   in Loop: Header=BB4_12924 Depth=3
	s_and_not1_saveexec_b32 s74, s74
; %bb.13860:                            ;   in Loop: Header=BB4_12924 Depth=3
	v_cmp_lt_i32_e32 vcc_lo, -1, v8
	v_cndmask_b32_e32 v100, 0xfc, v49, vcc_lo
; %bb.13861:                            ;   in Loop: Header=BB4_12924 Depth=3
	s_or_b32 exec_lo, exec_lo, s74
.LBB4_13862:                            ;   in Loop: Header=BB4_12924 Depth=3
	s_delay_alu instid0(SALU_CYCLE_1)
	s_or_b32 exec_lo, exec_lo, s13
	v_mov_b32_e32 v4, 0
	s_mov_b32 s13, exec_lo
	v_cmpx_lt_u64_e64 s[22:23], v[10:11]
	s_cbranch_execz .LBB4_13872
; %bb.13863:                            ;   in Loop: Header=BB4_12924 Depth=3
	v_lshrrev_b32_e32 v2, 24, v11
	v_bfrev_b32_e32 v4, 1
	s_mov_b32 s74, exec_lo
	s_delay_alu instid0(VALU_DEP_2)
	v_cmpx_ne_u32_e32 0x80, v2
	s_cbranch_execz .LBB4_13871
; %bb.13864:                            ;   in Loop: Header=BB4_12924 Depth=3
	v_and_b32_e32 v4, 0x7c000000, v11
	v_bfe_u32 v5, v11, 24, 2
	s_delay_alu instid0(VALU_DEP_2) | instskip(SKIP_1) | instid1(SALU_CYCLE_1)
	v_cmp_ne_u32_e32 vcc_lo, 0x7c000000, v4
                                        ; implicit-def: $vgpr4
	s_and_saveexec_b32 s75, vcc_lo
	s_xor_b32 s75, exec_lo, s75
	s_cbranch_execz .LBB4_13868
; %bb.13865:                            ;   in Loop: Header=BB4_12924 Depth=3
	v_bfe_u32 v4, v11, 26, 5
	s_mov_b32 s76, exec_lo
	s_delay_alu instid0(VALU_DEP_1)
	v_cmpx_eq_u32_e32 0, v4
; %bb.13866:                            ;   in Loop: Header=BB4_12924 Depth=3
	v_clz_i32_u32_e32 v4, v5
	s_delay_alu instid0(VALU_DEP_1) | instskip(NEXT) | instid1(VALU_DEP_1)
	v_min_u32_e32 v4, 32, v4
	v_subrev_nc_u32_e32 v5, 29, v4
	v_sub_nc_u32_e32 v4, 30, v4
	s_delay_alu instid0(VALU_DEP_2) | instskip(NEXT) | instid1(VALU_DEP_1)
	v_lshlrev_b64_e32 v[8:9], v5, v[2:3]
	v_and_b32_e32 v5, 3, v8
; %bb.13867:                            ;   in Loop: Header=BB4_12924 Depth=3
	s_or_b32 exec_lo, exec_lo, s76
	v_and_b32_e32 v2, 0x80000000, v11
                                        ; implicit-def: $vgpr10_vgpr11
	s_delay_alu instid0(VALU_DEP_1) | instskip(NEXT) | instid1(VALU_DEP_1)
	v_lshl_add_u32 v2, v4, 23, v2
	v_lshl_or_b32 v2, v5, 21, v2
                                        ; implicit-def: $vgpr5
	s_delay_alu instid0(VALU_DEP_1)
	v_add_nc_u32_e32 v4, 0x38000000, v2
.LBB4_13868:                            ;   in Loop: Header=BB4_12924 Depth=3
	s_and_not1_saveexec_b32 s75, s75
; %bb.13869:                            ;   in Loop: Header=BB4_12924 Depth=3
	v_cmp_lt_i64_e32 vcc_lo, -1, v[10:11]
	v_cndmask_b32_e32 v2, 0xff800000, v48, vcc_lo
	v_cmp_eq_u32_e32 vcc_lo, 0, v5
	s_delay_alu instid0(VALU_DEP_2)
	v_cndmask_b32_e32 v4, 0x7f800001, v2, vcc_lo
; %bb.13870:                            ;   in Loop: Header=BB4_12924 Depth=3
	s_or_b32 exec_lo, exec_lo, s75
.LBB4_13871:                            ;   in Loop: Header=BB4_12924 Depth=3
	s_delay_alu instid0(SALU_CYCLE_1)
	s_or_b32 exec_lo, exec_lo, s74
.LBB4_13872:                            ;   in Loop: Header=BB4_12924 Depth=3
	s_delay_alu instid0(SALU_CYCLE_1) | instskip(NEXT) | instid1(VALU_DEP_1)
	s_or_b32 exec_lo, exec_lo, s13
	v_dual_mul_f32 v8, s73, v4 :: v_dual_mov_b32 v11, v3
	v_mov_b32_e32 v5, v3
                                        ; implicit-def: $vgpr103
	s_mov_b32 s13, exec_lo
	s_delay_alu instid0(VALU_DEP_2) | instskip(SKIP_2) | instid1(VALU_DEP_3)
	v_and_b32_e32 v10, 0x7f800000, v8
	v_and_b32_e32 v4, 0x7fffff, v8
	v_lshrrev_b32_e32 v2, 24, v8
	v_cmpx_ne_u64_e32 0x7f800000, v[10:11]
	s_xor_b32 s73, exec_lo, s13
	s_cbranch_execz .LBB4_13886
; %bb.13873:                            ;   in Loop: Header=BB4_12924 Depth=3
	v_and_b32_e32 v10, 0x7fffffff, v8
	v_mov_b32_e32 v11, v3
	v_and_b32_e32 v2, 0x80, v2
                                        ; implicit-def: $vgpr103
	s_mov_b32 s13, exec_lo
	s_delay_alu instid0(VALU_DEP_2)
	v_cmpx_gt_u64_e32 0x47600001, v[10:11]
	s_xor_b32 s74, exec_lo, s13
	s_cbranch_execz .LBB4_13883
; %bb.13874:                            ;   in Loop: Header=BB4_12924 Depth=3
	v_mov_b32_e32 v103, 0
	s_mov_b32 s75, exec_lo
	v_cmpx_ne_u32_e32 0, v8
	s_cbranch_execz .LBB4_13882
; %bb.13875:                            ;   in Loop: Header=BB4_12924 Depth=3
	v_bfe_u32 v10, v8, 23, 8
	v_or_b32_e32 v9, 0x800000, v4
	s_delay_alu instid0(VALU_DEP_2) | instskip(SKIP_2) | instid1(VALU_DEP_2)
	v_cmp_gt_u32_e64 s13, 0x72, v10
	v_sub_nc_u32_e32 v8, 0x71, v10
	v_cmp_eq_u32_e32 vcc_lo, 0, v10
	v_cndmask_b32_e64 v8, 0, v8, s13
	s_delay_alu instid0(VALU_DEP_1) | instskip(NEXT) | instid1(VALU_DEP_1)
	v_cndmask_b32_e64 v11, v8, 0x70, vcc_lo
	v_dual_cndmask_b32 v4, v9, v4, vcc_lo :: v_dual_add_nc_u32 v8, 21, v11
	v_add_nc_u32_e32 v12, 20, v11
	s_delay_alu instid0(VALU_DEP_2) | instskip(NEXT) | instid1(VALU_DEP_2)
	v_lshlrev_b64_e64 v[8:9], v8, -1
	v_lshlrev_b64_e64 v[12:13], v12, 1
	s_delay_alu instid0(VALU_DEP_2) | instskip(SKIP_1) | instid1(VALU_DEP_4)
	v_bfi_b32 v8, v8, 0, v4
	v_lshrrev_b64 v[4:5], v11, v[4:5]
	v_bfi_b32 v9, v9, 0, 0
	s_delay_alu instid0(VALU_DEP_1) | instskip(NEXT) | instid1(VALU_DEP_3)
	v_cmp_eq_u64_e64 s13, v[8:9], v[12:13]
	v_mov_b64_e32 v[8:9], v[4:5]
	s_and_saveexec_b32 s76, s13
; %bb.13876:                            ;   in Loop: Header=BB4_12924 Depth=3
	v_bfe_u32 v8, v4, 21, 1
	v_mov_b32_e32 v9, v3
	s_delay_alu instid0(VALU_DEP_1) | instskip(NEXT) | instid1(VALU_DEP_1)
	v_add_nc_u64_e32 v[8:9], v[4:5], v[8:9]
	v_add_nc_u64_e32 v[8:9], -1, v[8:9]
; %bb.13877:                            ;   in Loop: Header=BB4_12924 Depth=3
	s_or_b32 exec_lo, exec_lo, s76
	v_add_nc_u32_e32 v5, 0xffffff81, v10
	v_lshrrev_b32_e32 v9, 23, v4
	s_mov_b32 s13, exec_lo
	s_delay_alu instid0(VALU_DEP_2) | instskip(NEXT) | instid1(VALU_DEP_1)
	v_cndmask_b32_e64 v5, v5, 0xffffff82, vcc_lo
	v_add3_u32 v9, v11, v5, v9
	v_and_b32_e32 v5, 0x1fffff, v8
                                        ; implicit-def: $vgpr8
	s_delay_alu instid0(VALU_DEP_1) | instskip(SKIP_1) | instid1(VALU_DEP_2)
	v_dual_add_nc_u32 v10, 14, v9 :: v_dual_add_nc_u32 v4, v5, v4
	v_mov_b32_e32 v5, v3
	v_cmpx_ne_u32_e32 0, v10
	s_xor_b32 s13, exec_lo, s13
; %bb.13878:                            ;   in Loop: Header=BB4_12924 Depth=3
	s_delay_alu instid0(VALU_DEP_2) | instskip(SKIP_2) | instid1(VALU_DEP_2)
	v_cmp_lt_u64_e32 vcc_lo, 0xffffff, v[4:5]
	v_add_nc_u32_e32 v8, 15, v9
	v_cndmask_b32_e64 v9, 0, 1, vcc_lo
	v_cndmask_b32_e32 v8, v10, v8, vcc_lo
	s_delay_alu instid0(VALU_DEP_2)
	v_lshrrev_b64 v[4:5], v9, v[4:5]
; %bb.13879:                            ;   in Loop: Header=BB4_12924 Depth=3
	s_and_not1_saveexec_b32 s13, s13
; %bb.13880:                            ;   in Loop: Header=BB4_12924 Depth=3
	s_delay_alu instid0(VALU_DEP_1)
	v_bfe_u32 v8, v4, 23, 1
; %bb.13881:                            ;   in Loop: Header=BB4_12924 Depth=3
	s_or_b32 exec_lo, exec_lo, s13
	s_delay_alu instid0(VALU_DEP_2) | instskip(NEXT) | instid1(VALU_DEP_2)
	v_lshrrev_b64 v[4:5], 21, v[4:5]
	v_cmp_gt_i32_e32 vcc_lo, 32, v8
	v_min_i32_e32 v9, 31, v8
	v_cmp_eq_u32_e64 s13, 0, v8
	s_delay_alu instid0(VALU_DEP_4) | instskip(NEXT) | instid1(VALU_DEP_3)
	v_cndmask_b32_e32 v5, 0, v5, vcc_lo
	v_dual_cndmask_b32 v4, 3, v4 :: v_dual_lshlrev_b32 v9, 2, v9
	s_delay_alu instid0(VALU_DEP_1) | instskip(NEXT) | instid1(VALU_DEP_2)
	v_and_b32_e32 v9, 0xfc, v9
	v_cmp_eq_u64_e32 vcc_lo, 0, v[4:5]
	s_delay_alu instid0(VALU_DEP_2)
	v_and_or_b32 v4, v4, 3, v9
	s_and_b32 s13, s13, vcc_lo
	s_delay_alu instid0(VALU_DEP_1) | instid1(SALU_CYCLE_1)
	v_cndmask_b32_e64 v4, v4, 0, s13
	s_delay_alu instid0(VALU_DEP_1)
	v_or_b32_e32 v103, v4, v2
.LBB4_13882:                            ;   in Loop: Header=BB4_12924 Depth=3
	s_or_b32 exec_lo, exec_lo, s75
                                        ; implicit-def: $vgpr2
.LBB4_13883:                            ;   in Loop: Header=BB4_12924 Depth=3
	s_and_not1_saveexec_b32 s13, s74
; %bb.13884:                            ;   in Loop: Header=BB4_12924 Depth=3
	v_or_b32_e32 v103, 0x7b, v2
; %bb.13885:                            ;   in Loop: Header=BB4_12924 Depth=3
	s_or_b32 exec_lo, exec_lo, s13
                                        ; implicit-def: $vgpr8
                                        ; implicit-def: $vgpr4_vgpr5
                                        ; implicit-def: $vgpr2
.LBB4_13886:                            ;   in Loop: Header=BB4_12924 Depth=3
	s_and_not1_saveexec_b32 s13, s73
	s_cbranch_execz .LBB4_13892
; %bb.13887:                            ;   in Loop: Header=BB4_12924 Depth=3
	s_mov_b32 s73, exec_lo
                                        ; implicit-def: $vgpr103
	v_cmpx_ne_u64_e32 0, v[4:5]
	s_xor_b32 s73, exec_lo, s73
; %bb.13888:                            ;   in Loop: Header=BB4_12924 Depth=3
	v_or_b32_e32 v103, 0x7f, v2
                                        ; implicit-def: $vgpr8
; %bb.13889:                            ;   in Loop: Header=BB4_12924 Depth=3
	s_and_not1_saveexec_b32 s73, s73
; %bb.13890:                            ;   in Loop: Header=BB4_12924 Depth=3
	v_cmp_lt_i32_e32 vcc_lo, -1, v8
	v_cndmask_b32_e32 v103, 0xfc, v49, vcc_lo
; %bb.13891:                            ;   in Loop: Header=BB4_12924 Depth=3
	s_or_b32 exec_lo, exec_lo, s73
.LBB4_13892:                            ;   in Loop: Header=BB4_12924 Depth=3
	s_delay_alu instid0(SALU_CYCLE_1)
	s_or_b32 exec_lo, exec_lo, s13
	s_clause 0x1
	global_load_b128 v[12:15], v[46:47], off th:TH_LOAD_NT
	global_load_b128 v[8:11], v[46:47], off offset:512 th:TH_LOAD_NT
	v_lshl_or_b32 v2, v17, 8, v16
	v_dual_lshlrev_b32 v4, 16, v18 :: v_dual_lshlrev_b32 v5, 24, v19
	v_dual_mov_b32 v18, 0 :: v_dual_mov_b32 v17, 0
	s_mov_b32 s73, exec_lo
	s_delay_alu instid0(VALU_DEP_2)
	v_or3_b32 v4, v4, v5, v2
	v_mov_b32_e32 v5, v3
	s_wait_xcnt 0x0
	v_cmpx_ne_u32_e32 0, v16
	s_cbranch_execz .LBB4_13902
; %bb.13893:                            ;   in Loop: Header=BB4_12924 Depth=3
	v_bfrev_b32_e32 v18, 1
	s_mov_b32 s74, exec_lo
	v_cmpx_ne_u32_e32 0x80, v16
	s_cbranch_execz .LBB4_13901
; %bb.13894:                            ;   in Loop: Header=BB4_12924 Depth=3
	v_and_b32_e32 v18, 0x7c, v16
	v_and_b32_e32 v19, 3, v16
	s_delay_alu instid0(VALU_DEP_2) | instskip(SKIP_1) | instid1(SALU_CYCLE_1)
	v_cmp_ne_u32_e32 vcc_lo, 0x7c, v18
                                        ; implicit-def: $vgpr18
	s_and_saveexec_b32 s13, vcc_lo
	s_xor_b32 s13, exec_lo, s13
	s_cbranch_execz .LBB4_13898
; %bb.13895:                            ;   in Loop: Header=BB4_12924 Depth=3
	v_bfe_u32 v18, v16, 2, 5
	s_mov_b32 s75, exec_lo
	s_delay_alu instid0(VALU_DEP_1)
	v_cmpx_eq_u32_e32 0, v18
; %bb.13896:                            ;   in Loop: Header=BB4_12924 Depth=3
	v_clz_i32_u32_e32 v18, v19
	s_delay_alu instid0(VALU_DEP_1) | instskip(NEXT) | instid1(VALU_DEP_1)
	v_min_u32_e32 v18, 32, v18
	v_subrev_nc_u32_e32 v19, 29, v18
	v_sub_nc_u32_e32 v18, 30, v18
	s_delay_alu instid0(VALU_DEP_2) | instskip(NEXT) | instid1(VALU_DEP_1)
	v_lshlrev_b64_e32 v[86:87], v19, v[4:5]
	v_and_b32_e32 v19, 3, v86
; %bb.13897:                            ;   in Loop: Header=BB4_12924 Depth=3
	s_or_b32 exec_lo, exec_lo, s75
	v_lshlrev_b32_e32 v5, 24, v16
                                        ; implicit-def: $vgpr16
	s_delay_alu instid0(VALU_DEP_1) | instskip(NEXT) | instid1(VALU_DEP_1)
	v_and_b32_e32 v5, 0x80000000, v5
	v_lshl_add_u32 v5, v18, 23, v5
	s_delay_alu instid0(VALU_DEP_1) | instskip(NEXT) | instid1(VALU_DEP_1)
	v_lshl_or_b32 v5, v19, 21, v5
                                        ; implicit-def: $vgpr19
	v_add_nc_u32_e32 v18, 0x38000000, v5
.LBB4_13898:                            ;   in Loop: Header=BB4_12924 Depth=3
	s_and_not1_saveexec_b32 s75, s13
; %bb.13899:                            ;   in Loop: Header=BB4_12924 Depth=3
	v_and_b32_e32 v5, 0x80, v16
	v_cmp_eq_u32_e32 vcc_lo, 0, v19
	s_delay_alu instid0(VALU_DEP_2) | instskip(NEXT) | instid1(VALU_DEP_1)
	v_cmp_eq_u32_e64 s13, 0, v5
	v_cndmask_b32_e64 v5, 0xff800000, v48, s13
	s_delay_alu instid0(VALU_DEP_1)
	v_cndmask_b32_e32 v18, 0x7f800001, v5, vcc_lo
; %bb.13900:                            ;   in Loop: Header=BB4_12924 Depth=3
	s_or_b32 exec_lo, exec_lo, s75
.LBB4_13901:                            ;   in Loop: Header=BB4_12924 Depth=3
	s_delay_alu instid0(SALU_CYCLE_1)
	s_or_b32 exec_lo, exec_lo, s74
.LBB4_13902:                            ;   in Loop: Header=BB4_12924 Depth=3
	s_delay_alu instid0(SALU_CYCLE_1) | instskip(SKIP_3) | instid1(VALU_DEP_1)
	s_or_b32 exec_lo, exec_lo, s73
	s_wait_loadcnt 0x1
	v_and_b32_e32 v5, 0xff, v12
	s_mov_b32 s73, exec_lo
	v_cmpx_ne_u16_e32 0, v5
	s_cbranch_execz .LBB4_13912
; %bb.13903:                            ;   in Loop: Header=BB4_12924 Depth=3
	v_bfe_i32 v16, v12, 0, 8
	v_bfrev_b32_e32 v17, 1
	s_mov_b32 s74, exec_lo
	s_delay_alu instid0(VALU_DEP_2)
	v_cmpx_ne_u16_e32 0xff80, v16
	s_cbranch_execz .LBB4_13911
; %bb.13904:                            ;   in Loop: Header=BB4_12924 Depth=3
	v_and_b32_e32 v17, 0x7c, v12
	v_and_b32_e32 v5, 3, v12
	s_delay_alu instid0(VALU_DEP_2) | instskip(SKIP_1) | instid1(SALU_CYCLE_1)
	v_cmp_ne_u32_e32 vcc_lo, 0x7c, v17
                                        ; implicit-def: $vgpr17
	s_and_saveexec_b32 s13, vcc_lo
	s_xor_b32 s13, exec_lo, s13
	s_cbranch_execz .LBB4_13908
; %bb.13905:                            ;   in Loop: Header=BB4_12924 Depth=3
	v_bfe_u32 v16, v12, 2, 5
	s_mov_b32 s75, exec_lo
	s_delay_alu instid0(VALU_DEP_1)
	v_cmpx_eq_u32_e32 0, v16
; %bb.13906:                            ;   in Loop: Header=BB4_12924 Depth=3
	v_clz_i32_u32_e32 v5, v5
	s_delay_alu instid0(VALU_DEP_1) | instskip(NEXT) | instid1(VALU_DEP_1)
	v_min_u32_e32 v5, 32, v5
	v_subrev_nc_u32_e32 v16, 29, v5
	s_delay_alu instid0(VALU_DEP_1) | instskip(NEXT) | instid1(VALU_DEP_1)
	v_lshlrev_b64_e32 v[86:87], v16, v[12:13]
	v_dual_sub_nc_u32 v16, 30, v5 :: v_dual_bitop2_b32 v5, 3, v86 bitop3:0x40
; %bb.13907:                            ;   in Loop: Header=BB4_12924 Depth=3
	s_or_b32 exec_lo, exec_lo, s75
	v_lshlrev_b32_e32 v17, 24, v12
	s_delay_alu instid0(VALU_DEP_1) | instskip(NEXT) | instid1(VALU_DEP_1)
	v_and_b32_e32 v17, 0x80000000, v17
	v_lshl_add_u32 v16, v16, 23, v17
	s_delay_alu instid0(VALU_DEP_1) | instskip(NEXT) | instid1(VALU_DEP_1)
	v_lshl_or_b32 v5, v5, 21, v16
                                        ; implicit-def: $vgpr16
	v_add_nc_u32_e32 v17, 0x38000000, v5
                                        ; implicit-def: $vgpr5
.LBB4_13908:                            ;   in Loop: Header=BB4_12924 Depth=3
	s_and_not1_saveexec_b32 s75, s13
; %bb.13909:                            ;   in Loop: Header=BB4_12924 Depth=3
	v_cmp_lt_i16_e64 s13, -1, v16
	v_cmp_eq_u32_e32 vcc_lo, 0, v5
	s_delay_alu instid0(VALU_DEP_2) | instskip(NEXT) | instid1(VALU_DEP_1)
	v_cndmask_b32_e64 v5, 0xff800000, v48, s13
	v_cndmask_b32_e32 v17, 0x7f800001, v5, vcc_lo
; %bb.13910:                            ;   in Loop: Header=BB4_12924 Depth=3
	s_or_b32 exec_lo, exec_lo, s75
.LBB4_13911:                            ;   in Loop: Header=BB4_12924 Depth=3
	s_delay_alu instid0(SALU_CYCLE_1)
	s_or_b32 exec_lo, exec_lo, s74
.LBB4_13912:                            ;   in Loop: Header=BB4_12924 Depth=3
	s_delay_alu instid0(SALU_CYCLE_1) | instskip(NEXT) | instid1(VALU_DEP_1)
	s_or_b32 exec_lo, exec_lo, s73
	v_dual_add_f32 v18, v18, v17 :: v_dual_mov_b32 v87, v3
	v_mov_b32_e32 v17, v3
                                        ; implicit-def: $vgpr30
	s_mov_b32 s13, exec_lo
	s_delay_alu instid0(VALU_DEP_2) | instskip(SKIP_2) | instid1(VALU_DEP_3)
	v_and_b32_e32 v86, 0x7f800000, v18
	v_and_b32_e32 v16, 0x7fffff, v18
	v_lshrrev_b32_e32 v5, 24, v18
	v_cmpx_ne_u64_e32 0x7f800000, v[86:87]
	s_xor_b32 s73, exec_lo, s13
	s_cbranch_execz .LBB4_13926
; %bb.13913:                            ;   in Loop: Header=BB4_12924 Depth=3
	v_and_b32_e32 v86, 0x7fffffff, v18
	v_mov_b32_e32 v87, v3
	v_and_b32_e32 v5, 0x80, v5
                                        ; implicit-def: $vgpr30
	s_mov_b32 s13, exec_lo
	s_delay_alu instid0(VALU_DEP_2)
	v_cmpx_gt_u64_e32 0x47600001, v[86:87]
	s_xor_b32 s74, exec_lo, s13
	s_cbranch_execz .LBB4_13923
; %bb.13914:                            ;   in Loop: Header=BB4_12924 Depth=3
	v_mov_b32_e32 v30, 0
	s_mov_b32 s75, exec_lo
	v_cmpx_ne_u32_e32 0, v18
	s_cbranch_execz .LBB4_13922
; %bb.13915:                            ;   in Loop: Header=BB4_12924 Depth=3
	v_bfe_u32 v30, v18, 23, 8
	v_or_b32_e32 v19, 0x800000, v16
	s_delay_alu instid0(VALU_DEP_2) | instskip(SKIP_2) | instid1(VALU_DEP_2)
	v_cmp_gt_u32_e64 s13, 0x72, v30
	v_sub_nc_u32_e32 v18, 0x71, v30
	v_cmp_eq_u32_e32 vcc_lo, 0, v30
	v_dual_cndmask_b32 v18, 0, v18, s13 :: v_dual_cndmask_b32 v16, v19, v16, vcc_lo
	s_delay_alu instid0(VALU_DEP_1) | instskip(NEXT) | instid1(VALU_DEP_1)
	v_cndmask_b32_e64 v50, v18, 0x70, vcc_lo
	v_dual_add_nc_u32 v18, 21, v50 :: v_dual_add_nc_u32 v65, 20, v50
	s_delay_alu instid0(VALU_DEP_1) | instskip(NEXT) | instid1(VALU_DEP_2)
	v_lshlrev_b64_e64 v[18:19], v18, -1
	v_lshlrev_b64_e64 v[86:87], v65, 1
	s_delay_alu instid0(VALU_DEP_2) | instskip(SKIP_1) | instid1(VALU_DEP_4)
	v_bfi_b32 v18, v18, 0, v16
	v_lshrrev_b64 v[16:17], v50, v[16:17]
	v_bfi_b32 v19, v19, 0, 0
	s_delay_alu instid0(VALU_DEP_1) | instskip(NEXT) | instid1(VALU_DEP_3)
	v_cmp_eq_u64_e64 s13, v[18:19], v[86:87]
	v_mov_b64_e32 v[18:19], v[16:17]
	s_and_saveexec_b32 s76, s13
; %bb.13916:                            ;   in Loop: Header=BB4_12924 Depth=3
	v_bfe_u32 v18, v16, 21, 1
	v_mov_b32_e32 v19, v3
	s_delay_alu instid0(VALU_DEP_1) | instskip(NEXT) | instid1(VALU_DEP_1)
	v_add_nc_u64_e32 v[18:19], v[16:17], v[18:19]
	v_add_nc_u64_e32 v[18:19], -1, v[18:19]
; %bb.13917:                            ;   in Loop: Header=BB4_12924 Depth=3
	s_or_b32 exec_lo, exec_lo, s76
	v_add_nc_u32_e32 v17, 0xffffff81, v30
	v_lshrrev_b32_e32 v19, 23, v16
	s_mov_b32 s13, exec_lo
	s_delay_alu instid0(VALU_DEP_2) | instskip(NEXT) | instid1(VALU_DEP_1)
	v_cndmask_b32_e64 v17, v17, 0xffffff82, vcc_lo
	v_add3_u32 v30, v50, v17, v19
	v_and_b32_e32 v17, 0x1fffff, v18
                                        ; implicit-def: $vgpr18
	s_delay_alu instid0(VALU_DEP_1) | instskip(SKIP_1) | instid1(VALU_DEP_2)
	v_dual_add_nc_u32 v19, 14, v30 :: v_dual_add_nc_u32 v16, v17, v16
	v_mov_b32_e32 v17, v3
	v_cmpx_ne_u32_e32 0, v19
	s_xor_b32 s13, exec_lo, s13
; %bb.13918:                            ;   in Loop: Header=BB4_12924 Depth=3
	s_delay_alu instid0(VALU_DEP_2) | instskip(SKIP_1) | instid1(VALU_DEP_1)
	v_cmp_lt_u64_e32 vcc_lo, 0xffffff, v[16:17]
	v_add_nc_u32_e32 v18, 15, v30
	v_cndmask_b32_e32 v18, v19, v18, vcc_lo
	v_cndmask_b32_e64 v19, 0, 1, vcc_lo
	s_delay_alu instid0(VALU_DEP_1)
	v_lshrrev_b64 v[16:17], v19, v[16:17]
; %bb.13919:                            ;   in Loop: Header=BB4_12924 Depth=3
	s_and_not1_saveexec_b32 s13, s13
; %bb.13920:                            ;   in Loop: Header=BB4_12924 Depth=3
	s_delay_alu instid0(VALU_DEP_1)
	v_bfe_u32 v18, v16, 23, 1
; %bb.13921:                            ;   in Loop: Header=BB4_12924 Depth=3
	s_or_b32 exec_lo, exec_lo, s13
	s_delay_alu instid0(VALU_DEP_2) | instskip(NEXT) | instid1(VALU_DEP_2)
	v_lshrrev_b64 v[16:17], 21, v[16:17]
	v_cmp_gt_i32_e32 vcc_lo, 32, v18
	v_min_i32_e32 v19, 31, v18
	v_cmp_eq_u32_e64 s13, 0, v18
	s_delay_alu instid0(VALU_DEP_2) | instskip(SKIP_1) | instid1(VALU_DEP_2)
	v_dual_cndmask_b32 v17, 0, v17, vcc_lo :: v_dual_lshlrev_b32 v19, 2, v19
	v_cndmask_b32_e32 v16, 3, v16, vcc_lo
	v_and_b32_e32 v19, 0xfc, v19
	s_delay_alu instid0(VALU_DEP_2) | instskip(NEXT) | instid1(VALU_DEP_2)
	v_cmp_eq_u64_e32 vcc_lo, 0, v[16:17]
	v_and_or_b32 v16, v16, 3, v19
	s_and_b32 s13, s13, vcc_lo
	s_delay_alu instid0(VALU_DEP_1) | instid1(SALU_CYCLE_1)
	v_cndmask_b32_e64 v16, v16, 0, s13
	s_delay_alu instid0(VALU_DEP_1)
	v_or_b32_e32 v30, v16, v5
.LBB4_13922:                            ;   in Loop: Header=BB4_12924 Depth=3
	s_or_b32 exec_lo, exec_lo, s75
                                        ; implicit-def: $vgpr5
.LBB4_13923:                            ;   in Loop: Header=BB4_12924 Depth=3
	s_and_not1_saveexec_b32 s13, s74
; %bb.13924:                            ;   in Loop: Header=BB4_12924 Depth=3
	v_or_b32_e32 v30, 0x7b, v5
; %bb.13925:                            ;   in Loop: Header=BB4_12924 Depth=3
	s_or_b32 exec_lo, exec_lo, s13
                                        ; implicit-def: $vgpr18
                                        ; implicit-def: $vgpr16_vgpr17
                                        ; implicit-def: $vgpr5
.LBB4_13926:                            ;   in Loop: Header=BB4_12924 Depth=3
	s_and_not1_saveexec_b32 s13, s73
	s_cbranch_execz .LBB4_13932
; %bb.13927:                            ;   in Loop: Header=BB4_12924 Depth=3
	s_mov_b32 s73, exec_lo
                                        ; implicit-def: $vgpr30
	v_cmpx_ne_u64_e32 0, v[16:17]
	s_xor_b32 s73, exec_lo, s73
; %bb.13928:                            ;   in Loop: Header=BB4_12924 Depth=3
	v_or_b32_e32 v30, 0x7f, v5
                                        ; implicit-def: $vgpr18
; %bb.13929:                            ;   in Loop: Header=BB4_12924 Depth=3
	s_and_not1_saveexec_b32 s73, s73
; %bb.13930:                            ;   in Loop: Header=BB4_12924 Depth=3
	v_cmp_lt_i32_e32 vcc_lo, -1, v18
	v_cndmask_b32_e32 v30, 0xfc, v49, vcc_lo
; %bb.13931:                            ;   in Loop: Header=BB4_12924 Depth=3
	s_or_b32 exec_lo, exec_lo, s73
.LBB4_13932:                            ;   in Loop: Header=BB4_12924 Depth=3
	s_delay_alu instid0(SALU_CYCLE_1) | instskip(SKIP_3) | instid1(VALU_DEP_2)
	s_or_b32 exec_lo, exec_lo, s13
	v_lshrrev_b16 v16, 8, v2
	v_dual_mov_b32 v5, 0 :: v_dual_mov_b32 v18, 0
	s_mov_b32 s73, exec_lo
	v_cmpx_ne_u16_e32 0, v16
	s_cbranch_execz .LBB4_13942
; %bb.13933:                            ;   in Loop: Header=BB4_12924 Depth=3
	v_bfrev_b32_e32 v18, 1
	s_mov_b32 s74, exec_lo
	v_cmpx_ne_u16_e32 0x80, v16
	s_cbranch_execz .LBB4_13941
; %bb.13934:                            ;   in Loop: Header=BB4_12924 Depth=3
	v_and_b32_e32 v19, 0xffff, v16
	s_delay_alu instid0(VALU_DEP_1) | instskip(SKIP_1) | instid1(VALU_DEP_2)
	v_and_b32_e32 v18, 0x7c, v19
	v_and_b32_e32 v17, 3, v19
	v_cmp_ne_u32_e32 vcc_lo, 0x7c, v18
                                        ; implicit-def: $vgpr18
	s_and_saveexec_b32 s13, vcc_lo
	s_delay_alu instid0(SALU_CYCLE_1)
	s_xor_b32 s13, exec_lo, s13
	s_cbranch_execz .LBB4_13938
; %bb.13935:                            ;   in Loop: Header=BB4_12924 Depth=3
	v_bfe_u32 v18, v19, 2, 5
	s_mov_b32 s75, exec_lo
	s_delay_alu instid0(VALU_DEP_1)
	v_cmpx_eq_u32_e32 0, v18
	s_cbranch_execz .LBB4_13937
; %bb.13936:                            ;   in Loop: Header=BB4_12924 Depth=3
	v_clz_i32_u32_e32 v17, v17
	s_delay_alu instid0(VALU_DEP_1) | instskip(SKIP_1) | instid1(VALU_DEP_2)
	v_min_u32_e32 v18, 32, v17
	v_mov_b32_e32 v17, v3
	v_subrev_nc_u32_e32 v19, 29, v18
	v_sub_nc_u32_e32 v18, 30, v18
	s_delay_alu instid0(VALU_DEP_2) | instskip(NEXT) | instid1(VALU_DEP_1)
	v_lshlrev_b64_e32 v[16:17], v19, v[16:17]
	v_and_b32_e32 v17, 3, v16
.LBB4_13937:                            ;   in Loop: Header=BB4_12924 Depth=3
	s_or_b32 exec_lo, exec_lo, s75
	v_lshlrev_b32_e32 v2, 16, v2
	s_delay_alu instid0(VALU_DEP_1) | instskip(NEXT) | instid1(VALU_DEP_1)
	v_and_b32_e32 v2, 0x80000000, v2
	v_lshl_add_u32 v2, v18, 23, v2
	s_delay_alu instid0(VALU_DEP_1) | instskip(NEXT) | instid1(VALU_DEP_1)
	v_lshl_or_b32 v2, v17, 21, v2
                                        ; implicit-def: $vgpr17
	v_add_nc_u32_e32 v18, 0x38000000, v2
                                        ; implicit-def: $vgpr2
.LBB4_13938:                            ;   in Loop: Header=BB4_12924 Depth=3
	s_and_not1_saveexec_b32 s75, s13
; %bb.13939:                            ;   in Loop: Header=BB4_12924 Depth=3
	v_cmp_lt_i16_e64 s13, -1, v2
	v_cmp_eq_u32_e32 vcc_lo, 0, v17
	s_delay_alu instid0(VALU_DEP_2) | instskip(NEXT) | instid1(VALU_DEP_1)
	v_cndmask_b32_e64 v2, 0xff800000, v48, s13
	v_cndmask_b32_e32 v18, 0x7f800001, v2, vcc_lo
; %bb.13940:                            ;   in Loop: Header=BB4_12924 Depth=3
	s_or_b32 exec_lo, exec_lo, s75
.LBB4_13941:                            ;   in Loop: Header=BB4_12924 Depth=3
	s_delay_alu instid0(SALU_CYCLE_1)
	s_or_b32 exec_lo, exec_lo, s74
.LBB4_13942:                            ;   in Loop: Header=BB4_12924 Depth=3
	s_delay_alu instid0(SALU_CYCLE_1) | instskip(SKIP_2) | instid1(VALU_DEP_1)
	s_or_b32 exec_lo, exec_lo, s73
	v_lshrrev_b16 v16, 8, v12
	s_mov_b32 s73, exec_lo
	v_cmpx_ne_u16_e32 0, v16
	s_cbranch_execz .LBB4_13952
; %bb.13943:                            ;   in Loop: Header=BB4_12924 Depth=3
	v_bfrev_b32_e32 v5, 1
	s_mov_b32 s74, exec_lo
	v_cmpx_ne_u16_e32 0x80, v16
	s_cbranch_execz .LBB4_13951
; %bb.13944:                            ;   in Loop: Header=BB4_12924 Depth=3
	v_and_b32_e32 v17, 0xffff, v16
	s_delay_alu instid0(VALU_DEP_1) | instskip(SKIP_1) | instid1(VALU_DEP_2)
	v_and_b32_e32 v5, 0x7c, v17
	v_and_b32_e32 v2, 3, v17
	v_cmp_ne_u32_e32 vcc_lo, 0x7c, v5
                                        ; implicit-def: $vgpr5
	s_and_saveexec_b32 s13, vcc_lo
	s_delay_alu instid0(SALU_CYCLE_1)
	s_xor_b32 s13, exec_lo, s13
	s_cbranch_execz .LBB4_13948
; %bb.13945:                            ;   in Loop: Header=BB4_12924 Depth=3
	v_bfe_u32 v5, v17, 2, 5
	s_mov_b32 s75, exec_lo
	s_delay_alu instid0(VALU_DEP_1)
	v_cmpx_eq_u32_e32 0, v5
; %bb.13946:                            ;   in Loop: Header=BB4_12924 Depth=3
	v_clz_i32_u32_e32 v2, v2
	s_delay_alu instid0(VALU_DEP_1) | instskip(SKIP_1) | instid1(VALU_DEP_2)
	v_min_u32_e32 v2, 32, v2
	v_mov_b32_e32 v17, v3
	v_subrev_nc_u32_e32 v5, 29, v2
	s_delay_alu instid0(VALU_DEP_1) | instskip(NEXT) | instid1(VALU_DEP_1)
	v_lshlrev_b64_e32 v[16:17], v5, v[16:17]
	v_dual_sub_nc_u32 v5, 30, v2 :: v_dual_bitop2_b32 v2, 3, v16 bitop3:0x40
; %bb.13947:                            ;   in Loop: Header=BB4_12924 Depth=3
	s_or_b32 exec_lo, exec_lo, s75
	v_lshlrev_b32_e32 v16, 16, v12
	s_delay_alu instid0(VALU_DEP_1) | instskip(NEXT) | instid1(VALU_DEP_1)
	v_and_b32_e32 v16, 0x80000000, v16
	v_lshl_add_u32 v5, v5, 23, v16
	s_delay_alu instid0(VALU_DEP_1) | instskip(NEXT) | instid1(VALU_DEP_1)
	v_lshl_or_b32 v2, v2, 21, v5
	v_add_nc_u32_e32 v5, 0x38000000, v2
                                        ; implicit-def: $vgpr2
.LBB4_13948:                            ;   in Loop: Header=BB4_12924 Depth=3
	s_and_not1_saveexec_b32 s75, s13
; %bb.13949:                            ;   in Loop: Header=BB4_12924 Depth=3
	v_cmp_lt_i16_e64 s13, -1, v12
	v_cmp_eq_u32_e32 vcc_lo, 0, v2
	s_delay_alu instid0(VALU_DEP_2) | instskip(NEXT) | instid1(VALU_DEP_1)
	v_cndmask_b32_e64 v2, 0xff800000, v48, s13
	v_cndmask_b32_e32 v5, 0x7f800001, v2, vcc_lo
; %bb.13950:                            ;   in Loop: Header=BB4_12924 Depth=3
	s_or_b32 exec_lo, exec_lo, s75
.LBB4_13951:                            ;   in Loop: Header=BB4_12924 Depth=3
	s_delay_alu instid0(SALU_CYCLE_1)
	s_or_b32 exec_lo, exec_lo, s74
.LBB4_13952:                            ;   in Loop: Header=BB4_12924 Depth=3
	s_delay_alu instid0(SALU_CYCLE_1) | instskip(NEXT) | instid1(VALU_DEP_1)
	s_or_b32 exec_lo, exec_lo, s73
	v_dual_add_f32 v5, v18, v5 :: v_dual_mov_b32 v19, v3
	v_mov_b32_e32 v17, v3
                                        ; implicit-def: $vgpr50
	s_mov_b32 s13, exec_lo
	s_delay_alu instid0(VALU_DEP_2) | instskip(SKIP_2) | instid1(VALU_DEP_3)
	v_and_b32_e32 v18, 0x7f800000, v5
	v_and_b32_e32 v16, 0x7fffff, v5
	v_lshrrev_b32_e32 v2, 24, v5
	v_cmpx_ne_u64_e32 0x7f800000, v[18:19]
	s_xor_b32 s73, exec_lo, s13
	s_cbranch_execz .LBB4_13966
; %bb.13953:                            ;   in Loop: Header=BB4_12924 Depth=3
	v_and_b32_e32 v18, 0x7fffffff, v5
	v_mov_b32_e32 v19, v3
	v_and_b32_e32 v2, 0x80, v2
                                        ; implicit-def: $vgpr50
	s_mov_b32 s13, exec_lo
	s_delay_alu instid0(VALU_DEP_2)
	v_cmpx_gt_u64_e32 0x47600001, v[18:19]
	s_xor_b32 s74, exec_lo, s13
	s_cbranch_execz .LBB4_13963
; %bb.13954:                            ;   in Loop: Header=BB4_12924 Depth=3
	v_mov_b32_e32 v50, 0
	s_mov_b32 s75, exec_lo
	v_cmpx_ne_u32_e32 0, v5
	s_cbranch_execz .LBB4_13962
; %bb.13955:                            ;   in Loop: Header=BB4_12924 Depth=3
	v_bfe_u32 v5, v5, 23, 8
	v_or_b32_e32 v19, 0x800000, v16
	s_delay_alu instid0(VALU_DEP_2) | instskip(SKIP_2) | instid1(VALU_DEP_2)
	v_cmp_gt_u32_e64 s13, 0x72, v5
	v_sub_nc_u32_e32 v18, 0x71, v5
	v_cmp_eq_u32_e32 vcc_lo, 0, v5
	v_dual_cndmask_b32 v18, 0, v18, s13 :: v_dual_cndmask_b32 v16, v19, v16, vcc_lo
	s_delay_alu instid0(VALU_DEP_1) | instskip(NEXT) | instid1(VALU_DEP_1)
	v_cndmask_b32_e64 v50, v18, 0x70, vcc_lo
	v_dual_add_nc_u32 v18, 21, v50 :: v_dual_add_nc_u32 v65, 20, v50
	s_delay_alu instid0(VALU_DEP_1) | instskip(NEXT) | instid1(VALU_DEP_2)
	v_lshlrev_b64_e64 v[18:19], v18, -1
	v_lshlrev_b64_e64 v[86:87], v65, 1
	s_delay_alu instid0(VALU_DEP_2) | instskip(SKIP_1) | instid1(VALU_DEP_4)
	v_bfi_b32 v18, v18, 0, v16
	v_lshrrev_b64 v[16:17], v50, v[16:17]
	v_bfi_b32 v19, v19, 0, 0
	s_delay_alu instid0(VALU_DEP_1) | instskip(NEXT) | instid1(VALU_DEP_3)
	v_cmp_eq_u64_e64 s13, v[18:19], v[86:87]
	v_mov_b64_e32 v[18:19], v[16:17]
	s_and_saveexec_b32 s76, s13
; %bb.13956:                            ;   in Loop: Header=BB4_12924 Depth=3
	v_bfe_u32 v18, v16, 21, 1
	v_mov_b32_e32 v19, v3
	s_delay_alu instid0(VALU_DEP_1) | instskip(NEXT) | instid1(VALU_DEP_1)
	v_add_nc_u64_e32 v[18:19], v[16:17], v[18:19]
	v_add_nc_u64_e32 v[18:19], -1, v[18:19]
; %bb.13957:                            ;   in Loop: Header=BB4_12924 Depth=3
	s_or_b32 exec_lo, exec_lo, s76
	v_add_nc_u32_e32 v5, 0xffffff81, v5
	v_lshrrev_b32_e32 v17, 23, v16
	s_mov_b32 s13, exec_lo
	s_delay_alu instid0(VALU_DEP_2) | instskip(NEXT) | instid1(VALU_DEP_1)
	v_cndmask_b32_e64 v5, v5, 0xffffff82, vcc_lo
	v_add3_u32 v19, v50, v5, v17
	v_and_b32_e32 v5, 0x1fffff, v18
	s_delay_alu instid0(VALU_DEP_2) | instskip(NEXT) | instid1(VALU_DEP_2)
	v_dual_mov_b32 v17, v3 :: v_dual_add_nc_u32 v18, 14, v19
	v_add_nc_u32_e32 v16, v5, v16
                                        ; implicit-def: $vgpr5
	s_delay_alu instid0(VALU_DEP_2)
	v_cmpx_ne_u32_e32 0, v18
	s_xor_b32 s13, exec_lo, s13
; %bb.13958:                            ;   in Loop: Header=BB4_12924 Depth=3
	s_delay_alu instid0(VALU_DEP_2) | instskip(SKIP_1) | instid1(VALU_DEP_1)
	v_cmp_lt_u64_e32 vcc_lo, 0xffffff, v[16:17]
	v_add_nc_u32_e32 v5, 15, v19
	v_cndmask_b32_e32 v5, v18, v5, vcc_lo
	v_cndmask_b32_e64 v18, 0, 1, vcc_lo
	s_delay_alu instid0(VALU_DEP_1)
	v_lshrrev_b64 v[16:17], v18, v[16:17]
; %bb.13959:                            ;   in Loop: Header=BB4_12924 Depth=3
	s_and_not1_saveexec_b32 s13, s13
; %bb.13960:                            ;   in Loop: Header=BB4_12924 Depth=3
	s_delay_alu instid0(VALU_DEP_1)
	v_bfe_u32 v5, v16, 23, 1
; %bb.13961:                            ;   in Loop: Header=BB4_12924 Depth=3
	s_or_b32 exec_lo, exec_lo, s13
	s_delay_alu instid0(VALU_DEP_2) | instskip(NEXT) | instid1(VALU_DEP_2)
	v_lshrrev_b64 v[16:17], 21, v[16:17]
	v_cmp_gt_i32_e32 vcc_lo, 32, v5
	v_min_i32_e32 v18, 31, v5
	v_cmp_eq_u32_e64 s13, 0, v5
	s_delay_alu instid0(VALU_DEP_2) | instskip(SKIP_1) | instid1(VALU_DEP_2)
	v_dual_cndmask_b32 v16, 3, v16, vcc_lo :: v_dual_lshlrev_b32 v18, 2, v18
	v_cndmask_b32_e32 v17, 0, v17, vcc_lo
	v_and_b32_e32 v18, 0xfc, v18
	s_delay_alu instid0(VALU_DEP_2) | instskip(NEXT) | instid1(VALU_DEP_2)
	v_cmp_eq_u64_e32 vcc_lo, 0, v[16:17]
	v_and_or_b32 v5, v16, 3, v18
	s_and_b32 s13, s13, vcc_lo
	s_delay_alu instid0(VALU_DEP_1) | instid1(SALU_CYCLE_1)
	v_cndmask_b32_e64 v5, v5, 0, s13
	s_delay_alu instid0(VALU_DEP_1)
	v_or_b32_e32 v50, v5, v2
.LBB4_13962:                            ;   in Loop: Header=BB4_12924 Depth=3
	s_or_b32 exec_lo, exec_lo, s75
                                        ; implicit-def: $vgpr2
.LBB4_13963:                            ;   in Loop: Header=BB4_12924 Depth=3
	s_and_not1_saveexec_b32 s13, s74
; %bb.13964:                            ;   in Loop: Header=BB4_12924 Depth=3
	v_or_b32_e32 v50, 0x7b, v2
; %bb.13965:                            ;   in Loop: Header=BB4_12924 Depth=3
	s_or_b32 exec_lo, exec_lo, s13
                                        ; implicit-def: $vgpr5
                                        ; implicit-def: $vgpr16_vgpr17
                                        ; implicit-def: $vgpr2
.LBB4_13966:                            ;   in Loop: Header=BB4_12924 Depth=3
	s_and_not1_saveexec_b32 s13, s73
	s_cbranch_execz .LBB4_13972
; %bb.13967:                            ;   in Loop: Header=BB4_12924 Depth=3
	s_mov_b32 s73, exec_lo
                                        ; implicit-def: $vgpr50
	v_cmpx_ne_u64_e32 0, v[16:17]
	s_xor_b32 s73, exec_lo, s73
; %bb.13968:                            ;   in Loop: Header=BB4_12924 Depth=3
	v_or_b32_e32 v50, 0x7f, v2
                                        ; implicit-def: $vgpr5
; %bb.13969:                            ;   in Loop: Header=BB4_12924 Depth=3
	s_and_not1_saveexec_b32 s73, s73
; %bb.13970:                            ;   in Loop: Header=BB4_12924 Depth=3
	v_cmp_lt_i32_e32 vcc_lo, -1, v5
	v_cndmask_b32_e32 v50, 0xfc, v49, vcc_lo
; %bb.13971:                            ;   in Loop: Header=BB4_12924 Depth=3
	s_or_b32 exec_lo, exec_lo, s73
.LBB4_13972:                            ;   in Loop: Header=BB4_12924 Depth=3
	s_delay_alu instid0(SALU_CYCLE_1) | instskip(SKIP_3) | instid1(VALU_DEP_2)
	s_or_b32 exec_lo, exec_lo, s13
	v_dual_mov_b32 v5, 0 :: v_dual_lshrrev_b32 v2, 16, v4
	v_mov_b32_e32 v16, 0
	s_mov_b32 s73, exec_lo
	v_and_b32_e32 v17, 0xff, v2
	s_delay_alu instid0(VALU_DEP_1)
	v_cmpx_ne_u16_e32 0, v17
	s_cbranch_execz .LBB4_13982
; %bb.13973:                            ;   in Loop: Header=BB4_12924 Depth=3
	v_bfrev_b32_e32 v16, 1
	s_mov_b32 s74, exec_lo
	v_cmpx_ne_u16_e32 0x80, v17
	s_cbranch_execz .LBB4_13981
; %bb.13974:                            ;   in Loop: Header=BB4_12924 Depth=3
	v_and_b32_e32 v16, 0x7c0000, v4
	v_bfe_u32 v17, v4, 16, 2
	s_delay_alu instid0(VALU_DEP_2) | instskip(SKIP_1) | instid1(SALU_CYCLE_1)
	v_cmp_ne_u32_e32 vcc_lo, 0x7c0000, v16
                                        ; implicit-def: $vgpr16
	s_and_saveexec_b32 s13, vcc_lo
	s_xor_b32 s13, exec_lo, s13
	s_cbranch_execz .LBB4_13978
; %bb.13975:                            ;   in Loop: Header=BB4_12924 Depth=3
	v_bfe_u32 v16, v4, 18, 5
	s_mov_b32 s75, exec_lo
	s_delay_alu instid0(VALU_DEP_1)
	v_cmpx_eq_u32_e32 0, v16
; %bb.13976:                            ;   in Loop: Header=BB4_12924 Depth=3
	v_clz_i32_u32_e32 v16, v17
	s_delay_alu instid0(VALU_DEP_1) | instskip(NEXT) | instid1(VALU_DEP_1)
	v_min_u32_e32 v16, 32, v16
	v_subrev_nc_u32_e32 v17, 29, v16
	s_delay_alu instid0(VALU_DEP_1) | instskip(NEXT) | instid1(VALU_DEP_1)
	v_lshlrev_b64_e32 v[18:19], v17, v[2:3]
	v_dual_sub_nc_u32 v16, 30, v16 :: v_dual_bitop2_b32 v17, 3, v18 bitop3:0x40
; %bb.13977:                            ;   in Loop: Header=BB4_12924 Depth=3
	s_or_b32 exec_lo, exec_lo, s75
	v_lshlrev_b32_e32 v2, 24, v2
	s_delay_alu instid0(VALU_DEP_1) | instskip(NEXT) | instid1(VALU_DEP_1)
	v_and_b32_e32 v2, 0x80000000, v2
	v_lshl_add_u32 v2, v16, 23, v2
	s_delay_alu instid0(VALU_DEP_1) | instskip(NEXT) | instid1(VALU_DEP_1)
	v_lshl_or_b32 v2, v17, 21, v2
                                        ; implicit-def: $vgpr17
	v_add_nc_u32_e32 v16, 0x38000000, v2
                                        ; implicit-def: $vgpr2
.LBB4_13978:                            ;   in Loop: Header=BB4_12924 Depth=3
	s_and_not1_saveexec_b32 s75, s13
; %bb.13979:                            ;   in Loop: Header=BB4_12924 Depth=3
	v_bfe_i32 v2, v2, 0, 8
	v_cmp_eq_u32_e32 vcc_lo, 0, v17
	s_delay_alu instid0(VALU_DEP_2) | instskip(NEXT) | instid1(VALU_DEP_1)
	v_cmp_lt_i16_e64 s13, -1, v2
	v_cndmask_b32_e64 v2, 0xff800000, v48, s13
	s_delay_alu instid0(VALU_DEP_1)
	v_cndmask_b32_e32 v16, 0x7f800001, v2, vcc_lo
; %bb.13980:                            ;   in Loop: Header=BB4_12924 Depth=3
	s_or_b32 exec_lo, exec_lo, s75
.LBB4_13981:                            ;   in Loop: Header=BB4_12924 Depth=3
	s_delay_alu instid0(SALU_CYCLE_1)
	s_or_b32 exec_lo, exec_lo, s74
.LBB4_13982:                            ;   in Loop: Header=BB4_12924 Depth=3
	s_delay_alu instid0(SALU_CYCLE_1) | instskip(SKIP_2) | instid1(VALU_DEP_1)
	s_or_b32 exec_lo, exec_lo, s73
	v_lshrrev_b32_e32 v2, 16, v12
	s_mov_b32 s73, exec_lo
	v_and_b32_e32 v17, 0xff, v2
	s_delay_alu instid0(VALU_DEP_1)
	v_cmpx_ne_u16_e32 0, v17
	s_cbranch_execz .LBB4_13992
; %bb.13983:                            ;   in Loop: Header=BB4_12924 Depth=3
	v_bfrev_b32_e32 v5, 1
	s_mov_b32 s74, exec_lo
	v_cmpx_ne_u16_e32 0x80, v17
	s_cbranch_execz .LBB4_13991
; %bb.13984:                            ;   in Loop: Header=BB4_12924 Depth=3
	v_and_b32_e32 v5, 0x7c0000, v12
	v_bfe_u32 v17, v12, 16, 2
	s_delay_alu instid0(VALU_DEP_2) | instskip(SKIP_1) | instid1(SALU_CYCLE_1)
	v_cmp_ne_u32_e32 vcc_lo, 0x7c0000, v5
                                        ; implicit-def: $vgpr5
	s_and_saveexec_b32 s13, vcc_lo
	s_xor_b32 s13, exec_lo, s13
	s_cbranch_execz .LBB4_13988
; %bb.13985:                            ;   in Loop: Header=BB4_12924 Depth=3
	v_bfe_u32 v5, v12, 18, 5
	s_mov_b32 s75, exec_lo
	s_delay_alu instid0(VALU_DEP_1)
	v_cmpx_eq_u32_e32 0, v5
; %bb.13986:                            ;   in Loop: Header=BB4_12924 Depth=3
	v_clz_i32_u32_e32 v5, v17
	s_delay_alu instid0(VALU_DEP_1) | instskip(NEXT) | instid1(VALU_DEP_1)
	v_min_u32_e32 v5, 32, v5
	v_subrev_nc_u32_e32 v17, 29, v5
	s_delay_alu instid0(VALU_DEP_1) | instskip(NEXT) | instid1(VALU_DEP_1)
	v_lshlrev_b64_e32 v[18:19], v17, v[2:3]
	v_dual_sub_nc_u32 v5, 30, v5 :: v_dual_bitop2_b32 v17, 3, v18 bitop3:0x40
; %bb.13987:                            ;   in Loop: Header=BB4_12924 Depth=3
	s_or_b32 exec_lo, exec_lo, s75
	v_lshlrev_b32_e32 v2, 24, v2
	s_delay_alu instid0(VALU_DEP_1) | instskip(NEXT) | instid1(VALU_DEP_1)
	v_and_b32_e32 v2, 0x80000000, v2
	v_lshl_add_u32 v2, v5, 23, v2
	s_delay_alu instid0(VALU_DEP_1) | instskip(NEXT) | instid1(VALU_DEP_1)
	v_lshl_or_b32 v2, v17, 21, v2
                                        ; implicit-def: $vgpr17
	v_add_nc_u32_e32 v5, 0x38000000, v2
                                        ; implicit-def: $vgpr2
.LBB4_13988:                            ;   in Loop: Header=BB4_12924 Depth=3
	s_and_not1_saveexec_b32 s75, s13
; %bb.13989:                            ;   in Loop: Header=BB4_12924 Depth=3
	v_bfe_i32 v2, v2, 0, 8
	v_cmp_eq_u32_e32 vcc_lo, 0, v17
	s_delay_alu instid0(VALU_DEP_2) | instskip(NEXT) | instid1(VALU_DEP_1)
	v_cmp_lt_i16_e64 s13, -1, v2
	v_cndmask_b32_e64 v2, 0xff800000, v48, s13
	s_delay_alu instid0(VALU_DEP_1)
	v_cndmask_b32_e32 v5, 0x7f800001, v2, vcc_lo
; %bb.13990:                            ;   in Loop: Header=BB4_12924 Depth=3
	s_or_b32 exec_lo, exec_lo, s75
.LBB4_13991:                            ;   in Loop: Header=BB4_12924 Depth=3
	s_delay_alu instid0(SALU_CYCLE_1)
	s_or_b32 exec_lo, exec_lo, s74
.LBB4_13992:                            ;   in Loop: Header=BB4_12924 Depth=3
	s_delay_alu instid0(SALU_CYCLE_1) | instskip(NEXT) | instid1(VALU_DEP_1)
	s_or_b32 exec_lo, exec_lo, s73
	v_dual_add_f32 v5, v16, v5 :: v_dual_mov_b32 v19, v3
	v_mov_b32_e32 v17, v3
                                        ; implicit-def: $vgpr65
	s_mov_b32 s13, exec_lo
	s_delay_alu instid0(VALU_DEP_2) | instskip(SKIP_2) | instid1(VALU_DEP_3)
	v_and_b32_e32 v18, 0x7f800000, v5
	v_and_b32_e32 v16, 0x7fffff, v5
	v_lshrrev_b32_e32 v2, 24, v5
	v_cmpx_ne_u64_e32 0x7f800000, v[18:19]
	s_xor_b32 s73, exec_lo, s13
	s_cbranch_execz .LBB4_14006
; %bb.13993:                            ;   in Loop: Header=BB4_12924 Depth=3
	v_and_b32_e32 v18, 0x7fffffff, v5
	v_mov_b32_e32 v19, v3
	v_and_b32_e32 v2, 0x80, v2
                                        ; implicit-def: $vgpr65
	s_mov_b32 s13, exec_lo
	s_delay_alu instid0(VALU_DEP_2)
	v_cmpx_gt_u64_e32 0x47600001, v[18:19]
	s_xor_b32 s74, exec_lo, s13
	s_cbranch_execz .LBB4_14003
; %bb.13994:                            ;   in Loop: Header=BB4_12924 Depth=3
	v_mov_b32_e32 v65, 0
	s_mov_b32 s75, exec_lo
	v_cmpx_ne_u32_e32 0, v5
	s_cbranch_execz .LBB4_14002
; %bb.13995:                            ;   in Loop: Header=BB4_12924 Depth=3
	v_bfe_u32 v5, v5, 23, 8
	v_or_b32_e32 v19, 0x800000, v16
	s_delay_alu instid0(VALU_DEP_2) | instskip(SKIP_2) | instid1(VALU_DEP_2)
	v_cmp_gt_u32_e64 s13, 0x72, v5
	v_sub_nc_u32_e32 v18, 0x71, v5
	v_cmp_eq_u32_e32 vcc_lo, 0, v5
	v_dual_cndmask_b32 v18, 0, v18, s13 :: v_dual_cndmask_b32 v16, v19, v16, vcc_lo
	s_delay_alu instid0(VALU_DEP_1) | instskip(NEXT) | instid1(VALU_DEP_1)
	v_cndmask_b32_e64 v65, v18, 0x70, vcc_lo
	v_dual_add_nc_u32 v18, 21, v65 :: v_dual_add_nc_u32 v86, 20, v65
	s_delay_alu instid0(VALU_DEP_1) | instskip(NEXT) | instid1(VALU_DEP_2)
	v_lshlrev_b64_e64 v[18:19], v18, -1
	v_lshlrev_b64_e64 v[86:87], v86, 1
	s_delay_alu instid0(VALU_DEP_2) | instskip(SKIP_1) | instid1(VALU_DEP_4)
	v_bfi_b32 v18, v18, 0, v16
	v_lshrrev_b64 v[16:17], v65, v[16:17]
	v_bfi_b32 v19, v19, 0, 0
	s_delay_alu instid0(VALU_DEP_1) | instskip(NEXT) | instid1(VALU_DEP_3)
	v_cmp_eq_u64_e64 s13, v[18:19], v[86:87]
	v_mov_b64_e32 v[18:19], v[16:17]
	s_and_saveexec_b32 s76, s13
; %bb.13996:                            ;   in Loop: Header=BB4_12924 Depth=3
	v_bfe_u32 v18, v16, 21, 1
	v_mov_b32_e32 v19, v3
	s_delay_alu instid0(VALU_DEP_1) | instskip(NEXT) | instid1(VALU_DEP_1)
	v_add_nc_u64_e32 v[18:19], v[16:17], v[18:19]
	v_add_nc_u64_e32 v[18:19], -1, v[18:19]
; %bb.13997:                            ;   in Loop: Header=BB4_12924 Depth=3
	s_or_b32 exec_lo, exec_lo, s76
	v_add_nc_u32_e32 v5, 0xffffff81, v5
	v_lshrrev_b32_e32 v17, 23, v16
	s_mov_b32 s13, exec_lo
	s_delay_alu instid0(VALU_DEP_2) | instskip(NEXT) | instid1(VALU_DEP_1)
	v_cndmask_b32_e64 v5, v5, 0xffffff82, vcc_lo
	v_add3_u32 v19, v65, v5, v17
	v_and_b32_e32 v5, 0x1fffff, v18
	s_delay_alu instid0(VALU_DEP_2) | instskip(NEXT) | instid1(VALU_DEP_2)
	v_dual_mov_b32 v17, v3 :: v_dual_add_nc_u32 v18, 14, v19
	v_add_nc_u32_e32 v16, v5, v16
                                        ; implicit-def: $vgpr5
	s_delay_alu instid0(VALU_DEP_2)
	v_cmpx_ne_u32_e32 0, v18
	s_xor_b32 s13, exec_lo, s13
; %bb.13998:                            ;   in Loop: Header=BB4_12924 Depth=3
	s_delay_alu instid0(VALU_DEP_2) | instskip(SKIP_1) | instid1(VALU_DEP_1)
	v_cmp_lt_u64_e32 vcc_lo, 0xffffff, v[16:17]
	v_add_nc_u32_e32 v5, 15, v19
	v_cndmask_b32_e32 v5, v18, v5, vcc_lo
	v_cndmask_b32_e64 v18, 0, 1, vcc_lo
	s_delay_alu instid0(VALU_DEP_1)
	v_lshrrev_b64 v[16:17], v18, v[16:17]
; %bb.13999:                            ;   in Loop: Header=BB4_12924 Depth=3
	s_and_not1_saveexec_b32 s13, s13
; %bb.14000:                            ;   in Loop: Header=BB4_12924 Depth=3
	s_delay_alu instid0(VALU_DEP_1)
	v_bfe_u32 v5, v16, 23, 1
; %bb.14001:                            ;   in Loop: Header=BB4_12924 Depth=3
	s_or_b32 exec_lo, exec_lo, s13
	s_delay_alu instid0(VALU_DEP_2) | instskip(NEXT) | instid1(VALU_DEP_2)
	v_lshrrev_b64 v[16:17], 21, v[16:17]
	v_cmp_gt_i32_e32 vcc_lo, 32, v5
	v_min_i32_e32 v18, 31, v5
	v_cmp_eq_u32_e64 s13, 0, v5
	s_delay_alu instid0(VALU_DEP_2) | instskip(SKIP_1) | instid1(VALU_DEP_2)
	v_dual_cndmask_b32 v16, 3, v16, vcc_lo :: v_dual_lshlrev_b32 v18, 2, v18
	v_cndmask_b32_e32 v17, 0, v17, vcc_lo
	v_and_b32_e32 v18, 0xfc, v18
	s_delay_alu instid0(VALU_DEP_2) | instskip(NEXT) | instid1(VALU_DEP_2)
	v_cmp_eq_u64_e32 vcc_lo, 0, v[16:17]
	v_and_or_b32 v5, v16, 3, v18
	s_and_b32 s13, s13, vcc_lo
	s_delay_alu instid0(VALU_DEP_1) | instid1(SALU_CYCLE_1)
	v_cndmask_b32_e64 v5, v5, 0, s13
	s_delay_alu instid0(VALU_DEP_1)
	v_or_b32_e32 v65, v5, v2
.LBB4_14002:                            ;   in Loop: Header=BB4_12924 Depth=3
	s_or_b32 exec_lo, exec_lo, s75
                                        ; implicit-def: $vgpr2
.LBB4_14003:                            ;   in Loop: Header=BB4_12924 Depth=3
	s_and_not1_saveexec_b32 s13, s74
; %bb.14004:                            ;   in Loop: Header=BB4_12924 Depth=3
	v_or_b32_e32 v65, 0x7b, v2
; %bb.14005:                            ;   in Loop: Header=BB4_12924 Depth=3
	s_or_b32 exec_lo, exec_lo, s13
                                        ; implicit-def: $vgpr5
                                        ; implicit-def: $vgpr16_vgpr17
                                        ; implicit-def: $vgpr2
.LBB4_14006:                            ;   in Loop: Header=BB4_12924 Depth=3
	s_and_not1_saveexec_b32 s13, s73
	s_cbranch_execz .LBB4_14012
; %bb.14007:                            ;   in Loop: Header=BB4_12924 Depth=3
	s_mov_b32 s73, exec_lo
                                        ; implicit-def: $vgpr65
	v_cmpx_ne_u64_e32 0, v[16:17]
	s_xor_b32 s73, exec_lo, s73
; %bb.14008:                            ;   in Loop: Header=BB4_12924 Depth=3
	v_or_b32_e32 v65, 0x7f, v2
                                        ; implicit-def: $vgpr5
; %bb.14009:                            ;   in Loop: Header=BB4_12924 Depth=3
	s_and_not1_saveexec_b32 s73, s73
; %bb.14010:                            ;   in Loop: Header=BB4_12924 Depth=3
	v_cmp_lt_i32_e32 vcc_lo, -1, v5
	v_cndmask_b32_e32 v65, 0xfc, v49, vcc_lo
; %bb.14011:                            ;   in Loop: Header=BB4_12924 Depth=3
	s_or_b32 exec_lo, exec_lo, s73
.LBB4_14012:                            ;   in Loop: Header=BB4_12924 Depth=3
	s_delay_alu instid0(SALU_CYCLE_1)
	s_or_b32 exec_lo, exec_lo, s13
	v_dual_mov_b32 v16, 0 :: v_dual_mov_b32 v17, 0
	s_mov_b32 s73, exec_lo
	v_cmpx_lt_u32_e32 0xffffff, v4
	s_cbranch_execz .LBB4_14022
; %bb.14013:                            ;   in Loop: Header=BB4_12924 Depth=3
	v_lshrrev_b32_e32 v2, 24, v4
	v_bfrev_b32_e32 v17, 1
	s_mov_b32 s74, exec_lo
	s_delay_alu instid0(VALU_DEP_2)
	v_cmpx_ne_u32_e32 0x80, v2
	s_cbranch_execz .LBB4_14021
; %bb.14014:                            ;   in Loop: Header=BB4_12924 Depth=3
	v_and_b32_e32 v5, 0x7c000000, v4
	v_bfe_u32 v18, v4, 24, 2
	s_mov_b32 s13, exec_lo
                                        ; implicit-def: $vgpr17
	s_delay_alu instid0(VALU_DEP_2)
	v_cmpx_ne_u32_e32 0x7c000000, v5
	s_xor_b32 s13, exec_lo, s13
	s_cbranch_execz .LBB4_14018
; %bb.14015:                            ;   in Loop: Header=BB4_12924 Depth=3
	v_bfe_u32 v5, v4, 26, 5
	s_mov_b32 s75, exec_lo
	s_delay_alu instid0(VALU_DEP_1)
	v_cmpx_eq_u32_e32 0, v5
; %bb.14016:                            ;   in Loop: Header=BB4_12924 Depth=3
	v_clz_i32_u32_e32 v5, v18
	s_delay_alu instid0(VALU_DEP_1) | instskip(NEXT) | instid1(VALU_DEP_1)
	v_min_u32_e32 v5, 32, v5
	v_subrev_nc_u32_e32 v17, 29, v5
	s_delay_alu instid0(VALU_DEP_1) | instskip(NEXT) | instid1(VALU_DEP_1)
	v_lshlrev_b64_e32 v[18:19], v17, v[2:3]
	v_dual_sub_nc_u32 v5, 30, v5 :: v_dual_bitop2_b32 v18, 3, v18 bitop3:0x40
; %bb.14017:                            ;   in Loop: Header=BB4_12924 Depth=3
	s_or_b32 exec_lo, exec_lo, s75
	v_and_b32_e32 v2, 0x80000000, v4
	s_delay_alu instid0(VALU_DEP_1) | instskip(NEXT) | instid1(VALU_DEP_1)
	v_lshl_add_u32 v2, v5, 23, v2
                                        ; implicit-def: $vgpr4_vgpr5
	v_lshl_or_b32 v2, v18, 21, v2
                                        ; implicit-def: $vgpr18
	s_delay_alu instid0(VALU_DEP_1)
	v_add_nc_u32_e32 v17, 0x38000000, v2
.LBB4_14018:                            ;   in Loop: Header=BB4_12924 Depth=3
	s_and_not1_saveexec_b32 s75, s13
; %bb.14019:                            ;   in Loop: Header=BB4_12924 Depth=3
	v_cmp_lt_i32_e64 s13, -1, v4
	v_cmp_eq_u32_e32 vcc_lo, 0, v18
	s_delay_alu instid0(VALU_DEP_2) | instskip(NEXT) | instid1(VALU_DEP_1)
	v_cndmask_b32_e64 v2, 0xff800000, v48, s13
	v_cndmask_b32_e32 v17, 0x7f800001, v2, vcc_lo
; %bb.14020:                            ;   in Loop: Header=BB4_12924 Depth=3
	s_or_b32 exec_lo, exec_lo, s75
.LBB4_14021:                            ;   in Loop: Header=BB4_12924 Depth=3
	s_delay_alu instid0(SALU_CYCLE_1)
	s_or_b32 exec_lo, exec_lo, s74
.LBB4_14022:                            ;   in Loop: Header=BB4_12924 Depth=3
	s_delay_alu instid0(SALU_CYCLE_1) | instskip(NEXT) | instid1(SALU_CYCLE_1)
	s_or_b32 exec_lo, exec_lo, s73
	s_mov_b32 s73, exec_lo
	v_cmpx_lt_u32_e32 0xffffff, v12
	s_cbranch_execz .LBB4_14032
; %bb.14023:                            ;   in Loop: Header=BB4_12924 Depth=3
	v_lshrrev_b32_e32 v2, 24, v12
	v_bfrev_b32_e32 v16, 1
	s_mov_b32 s74, exec_lo
	s_delay_alu instid0(VALU_DEP_2)
	v_cmpx_ne_u32_e32 0x80, v2
	s_cbranch_execz .LBB4_14031
; %bb.14024:                            ;   in Loop: Header=BB4_12924 Depth=3
	v_and_b32_e32 v5, 0x7c000000, v12
	v_bfe_u32 v4, v12, 24, 2
	s_mov_b32 s13, exec_lo
                                        ; implicit-def: $vgpr16
	s_delay_alu instid0(VALU_DEP_2)
	v_cmpx_ne_u32_e32 0x7c000000, v5
	s_xor_b32 s13, exec_lo, s13
	s_cbranch_execz .LBB4_14028
; %bb.14025:                            ;   in Loop: Header=BB4_12924 Depth=3
	v_bfe_u32 v5, v12, 26, 5
	s_mov_b32 s75, exec_lo
	s_delay_alu instid0(VALU_DEP_1)
	v_cmpx_eq_u32_e32 0, v5
; %bb.14026:                            ;   in Loop: Header=BB4_12924 Depth=3
	v_clz_i32_u32_e32 v4, v4
	s_delay_alu instid0(VALU_DEP_1) | instskip(NEXT) | instid1(VALU_DEP_1)
	v_min_u32_e32 v16, 32, v4
	v_subrev_nc_u32_e32 v4, 29, v16
	s_delay_alu instid0(VALU_DEP_1) | instskip(SKIP_1) | instid1(VALU_DEP_2)
	v_lshlrev_b64_e32 v[4:5], v4, v[2:3]
	v_sub_nc_u32_e32 v5, 30, v16
	v_and_b32_e32 v4, 3, v4
; %bb.14027:                            ;   in Loop: Header=BB4_12924 Depth=3
	s_or_b32 exec_lo, exec_lo, s75
	v_and_b32_e32 v2, 0x80000000, v12
	s_delay_alu instid0(VALU_DEP_1) | instskip(NEXT) | instid1(VALU_DEP_1)
	v_lshl_add_u32 v2, v5, 23, v2
	v_lshl_or_b32 v2, v4, 21, v2
                                        ; implicit-def: $vgpr4
	s_delay_alu instid0(VALU_DEP_1)
	v_add_nc_u32_e32 v16, 0x38000000, v2
.LBB4_14028:                            ;   in Loop: Header=BB4_12924 Depth=3
	s_and_not1_saveexec_b32 s75, s13
; %bb.14029:                            ;   in Loop: Header=BB4_12924 Depth=3
	v_cmp_lt_i32_e64 s13, -1, v12
	v_cmp_eq_u32_e32 vcc_lo, 0, v4
	s_delay_alu instid0(VALU_DEP_2) | instskip(NEXT) | instid1(VALU_DEP_1)
	v_cndmask_b32_e64 v2, 0xff800000, v48, s13
	v_cndmask_b32_e32 v16, 0x7f800001, v2, vcc_lo
; %bb.14030:                            ;   in Loop: Header=BB4_12924 Depth=3
	s_or_b32 exec_lo, exec_lo, s75
.LBB4_14031:                            ;   in Loop: Header=BB4_12924 Depth=3
	s_delay_alu instid0(SALU_CYCLE_1)
	s_or_b32 exec_lo, exec_lo, s74
.LBB4_14032:                            ;   in Loop: Header=BB4_12924 Depth=3
	s_delay_alu instid0(SALU_CYCLE_1) | instskip(NEXT) | instid1(VALU_DEP_1)
	s_or_b32 exec_lo, exec_lo, s73
	v_dual_add_f32 v16, v17, v16 :: v_dual_mov_b32 v19, v3
	v_mov_b32_e32 v5, v3
                                        ; implicit-def: $vgpr116
	s_mov_b32 s13, exec_lo
	s_delay_alu instid0(VALU_DEP_2) | instskip(SKIP_2) | instid1(VALU_DEP_3)
	v_and_b32_e32 v18, 0x7f800000, v16
	v_and_b32_e32 v4, 0x7fffff, v16
	v_lshrrev_b32_e32 v2, 24, v16
	v_cmpx_ne_u64_e32 0x7f800000, v[18:19]
	s_xor_b32 s73, exec_lo, s13
	s_cbranch_execz .LBB4_14046
; %bb.14033:                            ;   in Loop: Header=BB4_12924 Depth=3
	v_and_b32_e32 v18, 0x7fffffff, v16
	v_mov_b32_e32 v19, v3
	v_and_b32_e32 v2, 0x80, v2
                                        ; implicit-def: $vgpr116
	s_mov_b32 s13, exec_lo
	s_delay_alu instid0(VALU_DEP_2)
	v_cmpx_gt_u64_e32 0x47600001, v[18:19]
	s_xor_b32 s74, exec_lo, s13
	s_cbranch_execz .LBB4_14043
; %bb.14034:                            ;   in Loop: Header=BB4_12924 Depth=3
	v_mov_b32_e32 v116, 0
	s_mov_b32 s75, exec_lo
	v_cmpx_ne_u32_e32 0, v16
	s_cbranch_execz .LBB4_14042
; %bb.14035:                            ;   in Loop: Header=BB4_12924 Depth=3
	v_bfe_u32 v18, v16, 23, 8
	v_or_b32_e32 v17, 0x800000, v4
	s_delay_alu instid0(VALU_DEP_2) | instskip(SKIP_2) | instid1(VALU_DEP_2)
	v_cmp_gt_u32_e64 s13, 0x72, v18
	v_sub_nc_u32_e32 v16, 0x71, v18
	v_cmp_eq_u32_e32 vcc_lo, 0, v18
	v_cndmask_b32_e64 v16, 0, v16, s13
	s_delay_alu instid0(VALU_DEP_1) | instskip(NEXT) | instid1(VALU_DEP_1)
	v_cndmask_b32_e64 v19, v16, 0x70, vcc_lo
	v_dual_cndmask_b32 v4, v17, v4, vcc_lo :: v_dual_add_nc_u32 v16, 21, v19
	v_add_nc_u32_e32 v86, 20, v19
	s_delay_alu instid0(VALU_DEP_2) | instskip(NEXT) | instid1(VALU_DEP_2)
	v_lshlrev_b64_e64 v[16:17], v16, -1
	v_lshlrev_b64_e64 v[86:87], v86, 1
	s_delay_alu instid0(VALU_DEP_2) | instskip(SKIP_1) | instid1(VALU_DEP_4)
	v_bfi_b32 v16, v16, 0, v4
	v_lshrrev_b64 v[4:5], v19, v[4:5]
	v_bfi_b32 v17, v17, 0, 0
	s_delay_alu instid0(VALU_DEP_1) | instskip(NEXT) | instid1(VALU_DEP_3)
	v_cmp_eq_u64_e64 s13, v[16:17], v[86:87]
	v_mov_b64_e32 v[16:17], v[4:5]
	s_and_saveexec_b32 s76, s13
; %bb.14036:                            ;   in Loop: Header=BB4_12924 Depth=3
	v_bfe_u32 v16, v4, 21, 1
	v_mov_b32_e32 v17, v3
	s_delay_alu instid0(VALU_DEP_1) | instskip(NEXT) | instid1(VALU_DEP_1)
	v_add_nc_u64_e32 v[16:17], v[4:5], v[16:17]
	v_add_nc_u64_e32 v[16:17], -1, v[16:17]
; %bb.14037:                            ;   in Loop: Header=BB4_12924 Depth=3
	s_or_b32 exec_lo, exec_lo, s76
	v_add_nc_u32_e32 v5, 0xffffff81, v18
	v_lshrrev_b32_e32 v17, 23, v4
	s_mov_b32 s13, exec_lo
	s_delay_alu instid0(VALU_DEP_2) | instskip(NEXT) | instid1(VALU_DEP_1)
	v_cndmask_b32_e64 v5, v5, 0xffffff82, vcc_lo
	v_add3_u32 v18, v19, v5, v17
	v_and_b32_e32 v5, 0x1fffff, v16
                                        ; implicit-def: $vgpr16
	s_delay_alu instid0(VALU_DEP_1) | instskip(SKIP_1) | instid1(VALU_DEP_2)
	v_dual_add_nc_u32 v17, 14, v18 :: v_dual_add_nc_u32 v4, v5, v4
	v_mov_b32_e32 v5, v3
	v_cmpx_ne_u32_e32 0, v17
	s_xor_b32 s13, exec_lo, s13
; %bb.14038:                            ;   in Loop: Header=BB4_12924 Depth=3
	s_delay_alu instid0(VALU_DEP_2) | instskip(SKIP_1) | instid1(VALU_DEP_1)
	v_cmp_lt_u64_e32 vcc_lo, 0xffffff, v[4:5]
	v_add_nc_u32_e32 v16, 15, v18
	v_cndmask_b32_e32 v16, v17, v16, vcc_lo
	v_cndmask_b32_e64 v17, 0, 1, vcc_lo
	s_delay_alu instid0(VALU_DEP_1)
	v_lshrrev_b64 v[4:5], v17, v[4:5]
; %bb.14039:                            ;   in Loop: Header=BB4_12924 Depth=3
	s_and_not1_saveexec_b32 s13, s13
; %bb.14040:                            ;   in Loop: Header=BB4_12924 Depth=3
	s_delay_alu instid0(VALU_DEP_1)
	v_bfe_u32 v16, v4, 23, 1
; %bb.14041:                            ;   in Loop: Header=BB4_12924 Depth=3
	s_or_b32 exec_lo, exec_lo, s13
	s_delay_alu instid0(VALU_DEP_2) | instskip(NEXT) | instid1(VALU_DEP_2)
	v_lshrrev_b64 v[4:5], 21, v[4:5]
	v_cmp_gt_i32_e32 vcc_lo, 32, v16
	v_min_i32_e32 v17, 31, v16
	v_cmp_eq_u32_e64 s13, 0, v16
	s_delay_alu instid0(VALU_DEP_4) | instskip(NEXT) | instid1(VALU_DEP_3)
	v_cndmask_b32_e32 v5, 0, v5, vcc_lo
	v_dual_cndmask_b32 v4, 3, v4 :: v_dual_lshlrev_b32 v17, 2, v17
	s_delay_alu instid0(VALU_DEP_1) | instskip(NEXT) | instid1(VALU_DEP_2)
	v_and_b32_e32 v17, 0xfc, v17
	v_cmp_eq_u64_e32 vcc_lo, 0, v[4:5]
	s_delay_alu instid0(VALU_DEP_2)
	v_and_or_b32 v4, v4, 3, v17
	s_and_b32 s13, s13, vcc_lo
	s_delay_alu instid0(VALU_DEP_1) | instid1(SALU_CYCLE_1)
	v_cndmask_b32_e64 v4, v4, 0, s13
	s_delay_alu instid0(VALU_DEP_1)
	v_or_b32_e32 v116, v4, v2
.LBB4_14042:                            ;   in Loop: Header=BB4_12924 Depth=3
	s_or_b32 exec_lo, exec_lo, s75
                                        ; implicit-def: $vgpr2
.LBB4_14043:                            ;   in Loop: Header=BB4_12924 Depth=3
	s_and_not1_saveexec_b32 s13, s74
; %bb.14044:                            ;   in Loop: Header=BB4_12924 Depth=3
	v_or_b32_e32 v116, 0x7b, v2
; %bb.14045:                            ;   in Loop: Header=BB4_12924 Depth=3
	s_or_b32 exec_lo, exec_lo, s13
                                        ; implicit-def: $vgpr16
                                        ; implicit-def: $vgpr4_vgpr5
                                        ; implicit-def: $vgpr2
.LBB4_14046:                            ;   in Loop: Header=BB4_12924 Depth=3
	s_and_not1_saveexec_b32 s13, s73
	s_cbranch_execz .LBB4_14052
; %bb.14047:                            ;   in Loop: Header=BB4_12924 Depth=3
	s_mov_b32 s73, exec_lo
                                        ; implicit-def: $vgpr116
	v_cmpx_ne_u64_e32 0, v[4:5]
	s_xor_b32 s73, exec_lo, s73
; %bb.14048:                            ;   in Loop: Header=BB4_12924 Depth=3
	v_or_b32_e32 v116, 0x7f, v2
                                        ; implicit-def: $vgpr16
; %bb.14049:                            ;   in Loop: Header=BB4_12924 Depth=3
	s_and_not1_saveexec_b32 s73, s73
; %bb.14050:                            ;   in Loop: Header=BB4_12924 Depth=3
	v_cmp_lt_i32_e32 vcc_lo, -1, v16
	v_cndmask_b32_e32 v116, 0xfc, v49, vcc_lo
; %bb.14051:                            ;   in Loop: Header=BB4_12924 Depth=3
	s_or_b32 exec_lo, exec_lo, s73
.LBB4_14052:                            ;   in Loop: Header=BB4_12924 Depth=3
	s_delay_alu instid0(SALU_CYCLE_1) | instskip(SKIP_4) | instid1(VALU_DEP_2)
	s_or_b32 exec_lo, exec_lo, s13
	v_lshl_or_b32 v2, v57, 8, v119
	v_dual_lshlrev_b32 v4, 16, v75 :: v_dual_lshlrev_b32 v16, 24, v76
	v_dual_mov_b32 v5, v3 :: v_dual_mov_b32 v17, 0
	s_mov_b32 s73, exec_lo
	v_or3_b32 v4, v4, v16, v2
	v_mov_b32_e32 v16, 0
	v_cmpx_ne_u32_e32 0, v119
	s_cbranch_execz .LBB4_14062
; %bb.14053:                            ;   in Loop: Header=BB4_12924 Depth=3
	v_bfrev_b32_e32 v16, 1
	s_mov_b32 s74, exec_lo
	v_cmpx_ne_u32_e32 0x80, v119
	s_cbranch_execz .LBB4_14061
; %bb.14054:                            ;   in Loop: Header=BB4_12924 Depth=3
	v_and_b32_e32 v16, 0x7c, v119
	v_and_b32_e32 v18, 3, v119
	s_delay_alu instid0(VALU_DEP_2) | instskip(SKIP_1) | instid1(SALU_CYCLE_1)
	v_cmp_ne_u32_e32 vcc_lo, 0x7c, v16
                                        ; implicit-def: $vgpr16
	s_and_saveexec_b32 s13, vcc_lo
	s_xor_b32 s13, exec_lo, s13
	s_cbranch_execz .LBB4_14058
; %bb.14055:                            ;   in Loop: Header=BB4_12924 Depth=3
	v_bfe_u32 v16, v119, 2, 5
	s_mov_b32 s75, exec_lo
	s_delay_alu instid0(VALU_DEP_1)
	v_cmpx_eq_u32_e32 0, v16
; %bb.14056:                            ;   in Loop: Header=BB4_12924 Depth=3
	v_clz_i32_u32_e32 v16, v18
	s_delay_alu instid0(VALU_DEP_1) | instskip(NEXT) | instid1(VALU_DEP_1)
	v_min_u32_e32 v16, 32, v16
	v_subrev_nc_u32_e32 v18, 29, v16
	s_delay_alu instid0(VALU_DEP_1) | instskip(NEXT) | instid1(VALU_DEP_1)
	v_lshlrev_b64_e32 v[18:19], v18, v[4:5]
	v_dual_sub_nc_u32 v16, 30, v16 :: v_dual_bitop2_b32 v18, 3, v18 bitop3:0x40
; %bb.14057:                            ;   in Loop: Header=BB4_12924 Depth=3
	s_or_b32 exec_lo, exec_lo, s75
	v_lshlrev_b32_e32 v5, 24, v119
                                        ; implicit-def: $vgpr119
	s_delay_alu instid0(VALU_DEP_1) | instskip(NEXT) | instid1(VALU_DEP_1)
	v_and_b32_e32 v5, 0x80000000, v5
	v_lshl_add_u32 v5, v16, 23, v5
	s_delay_alu instid0(VALU_DEP_1) | instskip(NEXT) | instid1(VALU_DEP_1)
	v_lshl_or_b32 v5, v18, 21, v5
                                        ; implicit-def: $vgpr18
	v_add_nc_u32_e32 v16, 0x38000000, v5
.LBB4_14058:                            ;   in Loop: Header=BB4_12924 Depth=3
	s_and_not1_saveexec_b32 s75, s13
; %bb.14059:                            ;   in Loop: Header=BB4_12924 Depth=3
	v_and_b32_e32 v5, 0x80, v119
	v_cmp_eq_u32_e32 vcc_lo, 0, v18
	s_delay_alu instid0(VALU_DEP_2) | instskip(NEXT) | instid1(VALU_DEP_1)
	v_cmp_eq_u32_e64 s13, 0, v5
	v_cndmask_b32_e64 v5, 0xff800000, v48, s13
	s_delay_alu instid0(VALU_DEP_1)
	v_cndmask_b32_e32 v16, 0x7f800001, v5, vcc_lo
; %bb.14060:                            ;   in Loop: Header=BB4_12924 Depth=3
	s_or_b32 exec_lo, exec_lo, s75
.LBB4_14061:                            ;   in Loop: Header=BB4_12924 Depth=3
	s_delay_alu instid0(SALU_CYCLE_1)
	s_or_b32 exec_lo, exec_lo, s74
.LBB4_14062:                            ;   in Loop: Header=BB4_12924 Depth=3
	s_delay_alu instid0(SALU_CYCLE_1) | instskip(SKIP_2) | instid1(VALU_DEP_1)
	s_or_b32 exec_lo, exec_lo, s73
	v_and_b32_e32 v5, 0xff, v13
	s_mov_b32 s73, exec_lo
	v_cmpx_ne_u16_e32 0, v5
	s_cbranch_execz .LBB4_14072
; %bb.14063:                            ;   in Loop: Header=BB4_12924 Depth=3
	v_bfrev_b32_e32 v17, 1
	s_mov_b32 s74, exec_lo
	v_cmpx_ne_u16_e32 0x80, v5
	s_cbranch_execz .LBB4_14071
; %bb.14064:                            ;   in Loop: Header=BB4_12924 Depth=3
	v_and_b32_e32 v17, 0x7c, v13
	v_and_b32_e32 v5, 3, v13
	s_delay_alu instid0(VALU_DEP_2) | instskip(SKIP_1) | instid1(SALU_CYCLE_1)
	v_cmp_ne_u32_e32 vcc_lo, 0x7c, v17
                                        ; implicit-def: $vgpr17
	s_and_saveexec_b32 s13, vcc_lo
	s_xor_b32 s13, exec_lo, s13
	s_cbranch_execz .LBB4_14068
; %bb.14065:                            ;   in Loop: Header=BB4_12924 Depth=3
	v_bfe_u32 v17, v13, 2, 5
	s_mov_b32 s75, exec_lo
	s_delay_alu instid0(VALU_DEP_1)
	v_cmpx_eq_u32_e32 0, v17
; %bb.14066:                            ;   in Loop: Header=BB4_12924 Depth=3
	v_clz_i32_u32_e32 v5, v5
	v_dual_mov_b32 v18, v13 :: v_dual_mov_b32 v19, v3
	s_delay_alu instid0(VALU_DEP_2) | instskip(NEXT) | instid1(VALU_DEP_1)
	v_min_u32_e32 v5, 32, v5
	v_subrev_nc_u32_e32 v17, 29, v5
	s_delay_alu instid0(VALU_DEP_1) | instskip(NEXT) | instid1(VALU_DEP_1)
	v_lshlrev_b64_e32 v[18:19], v17, v[18:19]
	v_dual_sub_nc_u32 v17, 30, v5 :: v_dual_bitop2_b32 v5, 3, v18 bitop3:0x40
; %bb.14067:                            ;   in Loop: Header=BB4_12924 Depth=3
	s_or_b32 exec_lo, exec_lo, s75
	v_lshlrev_b32_e32 v18, 24, v13
	s_delay_alu instid0(VALU_DEP_1) | instskip(NEXT) | instid1(VALU_DEP_1)
	v_and_b32_e32 v18, 0x80000000, v18
	v_lshl_add_u32 v17, v17, 23, v18
	s_delay_alu instid0(VALU_DEP_1) | instskip(NEXT) | instid1(VALU_DEP_1)
	v_lshl_or_b32 v5, v5, 21, v17
	v_add_nc_u32_e32 v17, 0x38000000, v5
                                        ; implicit-def: $vgpr5
.LBB4_14068:                            ;   in Loop: Header=BB4_12924 Depth=3
	s_and_not1_saveexec_b32 s75, s13
; %bb.14069:                            ;   in Loop: Header=BB4_12924 Depth=3
	v_bfe_i32 v17, v13, 0, 8
	v_cmp_eq_u32_e32 vcc_lo, 0, v5
	s_delay_alu instid0(VALU_DEP_2) | instskip(NEXT) | instid1(VALU_DEP_1)
	v_cmp_lt_i16_e64 s13, -1, v17
	v_cndmask_b32_e64 v5, 0xff800000, v48, s13
	s_delay_alu instid0(VALU_DEP_1)
	v_cndmask_b32_e32 v17, 0x7f800001, v5, vcc_lo
; %bb.14070:                            ;   in Loop: Header=BB4_12924 Depth=3
	s_or_b32 exec_lo, exec_lo, s75
.LBB4_14071:                            ;   in Loop: Header=BB4_12924 Depth=3
	s_delay_alu instid0(SALU_CYCLE_1)
	s_or_b32 exec_lo, exec_lo, s74
.LBB4_14072:                            ;   in Loop: Header=BB4_12924 Depth=3
	s_delay_alu instid0(SALU_CYCLE_1) | instskip(NEXT) | instid1(VALU_DEP_1)
	s_or_b32 exec_lo, exec_lo, s73
	v_dual_add_f32 v18, v16, v17 :: v_dual_mov_b32 v87, v3
	v_mov_b32_e32 v17, v3
                                        ; implicit-def: $vgpr119
	s_mov_b32 s13, exec_lo
	s_delay_alu instid0(VALU_DEP_2) | instskip(SKIP_2) | instid1(VALU_DEP_3)
	v_and_b32_e32 v86, 0x7f800000, v18
	v_and_b32_e32 v16, 0x7fffff, v18
	v_lshrrev_b32_e32 v5, 24, v18
	v_cmpx_ne_u64_e32 0x7f800000, v[86:87]
	s_xor_b32 s73, exec_lo, s13
	s_cbranch_execz .LBB4_14086
; %bb.14073:                            ;   in Loop: Header=BB4_12924 Depth=3
	v_and_b32_e32 v86, 0x7fffffff, v18
	v_mov_b32_e32 v87, v3
	v_and_b32_e32 v5, 0x80, v5
                                        ; implicit-def: $vgpr119
	s_mov_b32 s13, exec_lo
	s_delay_alu instid0(VALU_DEP_2)
	v_cmpx_gt_u64_e32 0x47600001, v[86:87]
	s_xor_b32 s74, exec_lo, s13
	s_cbranch_execz .LBB4_14083
; %bb.14074:                            ;   in Loop: Header=BB4_12924 Depth=3
	v_mov_b32_e32 v119, 0
	s_mov_b32 s75, exec_lo
	v_cmpx_ne_u32_e32 0, v18
	s_cbranch_execz .LBB4_14082
; %bb.14075:                            ;   in Loop: Header=BB4_12924 Depth=3
	v_bfe_u32 v119, v18, 23, 8
	v_or_b32_e32 v19, 0x800000, v16
	s_delay_alu instid0(VALU_DEP_2) | instskip(SKIP_2) | instid1(VALU_DEP_2)
	v_cmp_gt_u32_e64 s13, 0x72, v119
	v_sub_nc_u32_e32 v18, 0x71, v119
	v_cmp_eq_u32_e32 vcc_lo, 0, v119
	v_dual_cndmask_b32 v18, 0, v18, s13 :: v_dual_cndmask_b32 v16, v19, v16, vcc_lo
	s_delay_alu instid0(VALU_DEP_1) | instskip(NEXT) | instid1(VALU_DEP_1)
	v_cndmask_b32_e64 v86, v18, 0x70, vcc_lo
	v_dual_add_nc_u32 v18, 21, v86 :: v_dual_add_nc_u32 v87, 20, v86
	s_delay_alu instid0(VALU_DEP_1) | instskip(NEXT) | instid1(VALU_DEP_2)
	v_lshlrev_b64_e64 v[18:19], v18, -1
	v_lshlrev_b64_e64 v[96:97], v87, 1
	s_delay_alu instid0(VALU_DEP_2) | instskip(SKIP_1) | instid1(VALU_DEP_4)
	v_bfi_b32 v18, v18, 0, v16
	v_lshrrev_b64 v[16:17], v86, v[16:17]
	v_bfi_b32 v19, v19, 0, 0
	s_delay_alu instid0(VALU_DEP_1) | instskip(NEXT) | instid1(VALU_DEP_3)
	v_cmp_eq_u64_e64 s13, v[18:19], v[96:97]
	v_mov_b64_e32 v[18:19], v[16:17]
	s_and_saveexec_b32 s76, s13
; %bb.14076:                            ;   in Loop: Header=BB4_12924 Depth=3
	v_bfe_u32 v18, v16, 21, 1
	v_mov_b32_e32 v19, v3
	s_delay_alu instid0(VALU_DEP_1) | instskip(NEXT) | instid1(VALU_DEP_1)
	v_add_nc_u64_e32 v[18:19], v[16:17], v[18:19]
	v_add_nc_u64_e32 v[18:19], -1, v[18:19]
; %bb.14077:                            ;   in Loop: Header=BB4_12924 Depth=3
	s_or_b32 exec_lo, exec_lo, s76
	v_add_nc_u32_e32 v17, 0xffffff81, v119
	v_lshrrev_b32_e32 v19, 23, v16
	s_mov_b32 s13, exec_lo
	s_delay_alu instid0(VALU_DEP_2) | instskip(NEXT) | instid1(VALU_DEP_1)
	v_cndmask_b32_e64 v17, v17, 0xffffff82, vcc_lo
	v_add3_u32 v86, v86, v17, v19
	v_and_b32_e32 v17, 0x1fffff, v18
                                        ; implicit-def: $vgpr18
	s_delay_alu instid0(VALU_DEP_1) | instskip(SKIP_1) | instid1(VALU_DEP_2)
	v_dual_add_nc_u32 v19, 14, v86 :: v_dual_add_nc_u32 v16, v17, v16
	v_mov_b32_e32 v17, v3
	v_cmpx_ne_u32_e32 0, v19
	s_xor_b32 s13, exec_lo, s13
; %bb.14078:                            ;   in Loop: Header=BB4_12924 Depth=3
	s_delay_alu instid0(VALU_DEP_2) | instskip(SKIP_1) | instid1(VALU_DEP_1)
	v_cmp_lt_u64_e32 vcc_lo, 0xffffff, v[16:17]
	v_add_nc_u32_e32 v18, 15, v86
	v_cndmask_b32_e32 v18, v19, v18, vcc_lo
	v_cndmask_b32_e64 v19, 0, 1, vcc_lo
	s_delay_alu instid0(VALU_DEP_1)
	v_lshrrev_b64 v[16:17], v19, v[16:17]
; %bb.14079:                            ;   in Loop: Header=BB4_12924 Depth=3
	s_and_not1_saveexec_b32 s13, s13
; %bb.14080:                            ;   in Loop: Header=BB4_12924 Depth=3
	s_delay_alu instid0(VALU_DEP_1)
	v_bfe_u32 v18, v16, 23, 1
; %bb.14081:                            ;   in Loop: Header=BB4_12924 Depth=3
	s_or_b32 exec_lo, exec_lo, s13
	s_delay_alu instid0(VALU_DEP_2) | instskip(NEXT) | instid1(VALU_DEP_2)
	v_lshrrev_b64 v[16:17], 21, v[16:17]
	v_cmp_gt_i32_e32 vcc_lo, 32, v18
	v_min_i32_e32 v19, 31, v18
	v_cmp_eq_u32_e64 s13, 0, v18
	s_delay_alu instid0(VALU_DEP_2) | instskip(SKIP_1) | instid1(VALU_DEP_2)
	v_dual_cndmask_b32 v17, 0, v17, vcc_lo :: v_dual_lshlrev_b32 v19, 2, v19
	v_cndmask_b32_e32 v16, 3, v16, vcc_lo
	v_and_b32_e32 v19, 0xfc, v19
	s_delay_alu instid0(VALU_DEP_2) | instskip(NEXT) | instid1(VALU_DEP_2)
	v_cmp_eq_u64_e32 vcc_lo, 0, v[16:17]
	v_and_or_b32 v16, v16, 3, v19
	s_and_b32 s13, s13, vcc_lo
	s_delay_alu instid0(VALU_DEP_1) | instid1(SALU_CYCLE_1)
	v_cndmask_b32_e64 v16, v16, 0, s13
	s_delay_alu instid0(VALU_DEP_1)
	v_or_b32_e32 v119, v16, v5
.LBB4_14082:                            ;   in Loop: Header=BB4_12924 Depth=3
	s_or_b32 exec_lo, exec_lo, s75
                                        ; implicit-def: $vgpr5
.LBB4_14083:                            ;   in Loop: Header=BB4_12924 Depth=3
	s_and_not1_saveexec_b32 s13, s74
; %bb.14084:                            ;   in Loop: Header=BB4_12924 Depth=3
	v_or_b32_e32 v119, 0x7b, v5
; %bb.14085:                            ;   in Loop: Header=BB4_12924 Depth=3
	s_or_b32 exec_lo, exec_lo, s13
                                        ; implicit-def: $vgpr18
                                        ; implicit-def: $vgpr16_vgpr17
                                        ; implicit-def: $vgpr5
.LBB4_14086:                            ;   in Loop: Header=BB4_12924 Depth=3
	s_and_not1_saveexec_b32 s13, s73
	s_cbranch_execz .LBB4_14092
; %bb.14087:                            ;   in Loop: Header=BB4_12924 Depth=3
	s_mov_b32 s73, exec_lo
                                        ; implicit-def: $vgpr119
	v_cmpx_ne_u64_e32 0, v[16:17]
	s_xor_b32 s73, exec_lo, s73
; %bb.14088:                            ;   in Loop: Header=BB4_12924 Depth=3
	v_or_b32_e32 v119, 0x7f, v5
                                        ; implicit-def: $vgpr18
; %bb.14089:                            ;   in Loop: Header=BB4_12924 Depth=3
	s_and_not1_saveexec_b32 s73, s73
; %bb.14090:                            ;   in Loop: Header=BB4_12924 Depth=3
	v_cmp_lt_i32_e32 vcc_lo, -1, v18
	v_cndmask_b32_e32 v119, 0xfc, v49, vcc_lo
; %bb.14091:                            ;   in Loop: Header=BB4_12924 Depth=3
	s_or_b32 exec_lo, exec_lo, s73
.LBB4_14092:                            ;   in Loop: Header=BB4_12924 Depth=3
	s_delay_alu instid0(SALU_CYCLE_1) | instskip(SKIP_3) | instid1(VALU_DEP_2)
	s_or_b32 exec_lo, exec_lo, s13
	v_lshrrev_b16 v16, 8, v2
	v_dual_mov_b32 v5, 0 :: v_dual_mov_b32 v18, 0
	s_mov_b32 s73, exec_lo
	v_cmpx_ne_u16_e32 0, v16
	s_cbranch_execz .LBB4_14102
; %bb.14093:                            ;   in Loop: Header=BB4_12924 Depth=3
	v_bfrev_b32_e32 v18, 1
	s_mov_b32 s74, exec_lo
	v_cmpx_ne_u16_e32 0x80, v16
	s_cbranch_execz .LBB4_14101
; %bb.14094:                            ;   in Loop: Header=BB4_12924 Depth=3
	v_and_b32_e32 v19, 0xffff, v16
	s_delay_alu instid0(VALU_DEP_1) | instskip(SKIP_1) | instid1(VALU_DEP_2)
	v_and_b32_e32 v18, 0x7c, v19
	v_and_b32_e32 v17, 3, v19
	v_cmp_ne_u32_e32 vcc_lo, 0x7c, v18
                                        ; implicit-def: $vgpr18
	s_and_saveexec_b32 s13, vcc_lo
	s_delay_alu instid0(SALU_CYCLE_1)
	s_xor_b32 s13, exec_lo, s13
	s_cbranch_execz .LBB4_14098
; %bb.14095:                            ;   in Loop: Header=BB4_12924 Depth=3
	v_bfe_u32 v18, v19, 2, 5
	s_mov_b32 s75, exec_lo
	s_delay_alu instid0(VALU_DEP_1)
	v_cmpx_eq_u32_e32 0, v18
	s_cbranch_execz .LBB4_14097
; %bb.14096:                            ;   in Loop: Header=BB4_12924 Depth=3
	v_clz_i32_u32_e32 v17, v17
	s_delay_alu instid0(VALU_DEP_1) | instskip(SKIP_1) | instid1(VALU_DEP_2)
	v_min_u32_e32 v18, 32, v17
	v_mov_b32_e32 v17, v3
	v_subrev_nc_u32_e32 v19, 29, v18
	v_sub_nc_u32_e32 v18, 30, v18
	s_delay_alu instid0(VALU_DEP_2) | instskip(NEXT) | instid1(VALU_DEP_1)
	v_lshlrev_b64_e32 v[16:17], v19, v[16:17]
	v_and_b32_e32 v17, 3, v16
.LBB4_14097:                            ;   in Loop: Header=BB4_12924 Depth=3
	s_or_b32 exec_lo, exec_lo, s75
	v_lshlrev_b32_e32 v2, 16, v2
	s_delay_alu instid0(VALU_DEP_1) | instskip(NEXT) | instid1(VALU_DEP_1)
	v_and_b32_e32 v2, 0x80000000, v2
	v_lshl_add_u32 v2, v18, 23, v2
	s_delay_alu instid0(VALU_DEP_1) | instskip(NEXT) | instid1(VALU_DEP_1)
	v_lshl_or_b32 v2, v17, 21, v2
                                        ; implicit-def: $vgpr17
	v_add_nc_u32_e32 v18, 0x38000000, v2
                                        ; implicit-def: $vgpr2
.LBB4_14098:                            ;   in Loop: Header=BB4_12924 Depth=3
	s_and_not1_saveexec_b32 s75, s13
; %bb.14099:                            ;   in Loop: Header=BB4_12924 Depth=3
	v_cmp_lt_i16_e64 s13, -1, v2
	v_cmp_eq_u32_e32 vcc_lo, 0, v17
	s_delay_alu instid0(VALU_DEP_2) | instskip(NEXT) | instid1(VALU_DEP_1)
	v_cndmask_b32_e64 v2, 0xff800000, v48, s13
	v_cndmask_b32_e32 v18, 0x7f800001, v2, vcc_lo
; %bb.14100:                            ;   in Loop: Header=BB4_12924 Depth=3
	s_or_b32 exec_lo, exec_lo, s75
.LBB4_14101:                            ;   in Loop: Header=BB4_12924 Depth=3
	s_delay_alu instid0(SALU_CYCLE_1)
	s_or_b32 exec_lo, exec_lo, s74
.LBB4_14102:                            ;   in Loop: Header=BB4_12924 Depth=3
	s_delay_alu instid0(SALU_CYCLE_1) | instskip(SKIP_2) | instid1(VALU_DEP_1)
	s_or_b32 exec_lo, exec_lo, s73
	v_lshrrev_b16 v16, 8, v13
	s_mov_b32 s73, exec_lo
	v_cmpx_ne_u16_e32 0, v16
	s_cbranch_execz .LBB4_14112
; %bb.14103:                            ;   in Loop: Header=BB4_12924 Depth=3
	v_bfrev_b32_e32 v5, 1
	s_mov_b32 s74, exec_lo
	v_cmpx_ne_u16_e32 0x80, v16
	s_cbranch_execz .LBB4_14111
; %bb.14104:                            ;   in Loop: Header=BB4_12924 Depth=3
	v_and_b32_e32 v17, 0xffff, v16
	s_delay_alu instid0(VALU_DEP_1) | instskip(SKIP_1) | instid1(VALU_DEP_2)
	v_and_b32_e32 v5, 0x7c, v17
	v_and_b32_e32 v2, 3, v17
	v_cmp_ne_u32_e32 vcc_lo, 0x7c, v5
                                        ; implicit-def: $vgpr5
	s_and_saveexec_b32 s13, vcc_lo
	s_delay_alu instid0(SALU_CYCLE_1)
	s_xor_b32 s13, exec_lo, s13
	s_cbranch_execz .LBB4_14108
; %bb.14105:                            ;   in Loop: Header=BB4_12924 Depth=3
	v_bfe_u32 v5, v17, 2, 5
	s_mov_b32 s75, exec_lo
	s_delay_alu instid0(VALU_DEP_1)
	v_cmpx_eq_u32_e32 0, v5
; %bb.14106:                            ;   in Loop: Header=BB4_12924 Depth=3
	v_clz_i32_u32_e32 v2, v2
	s_delay_alu instid0(VALU_DEP_1) | instskip(SKIP_1) | instid1(VALU_DEP_2)
	v_min_u32_e32 v2, 32, v2
	v_mov_b32_e32 v17, v3
	v_subrev_nc_u32_e32 v5, 29, v2
	s_delay_alu instid0(VALU_DEP_1) | instskip(NEXT) | instid1(VALU_DEP_1)
	v_lshlrev_b64_e32 v[16:17], v5, v[16:17]
	v_dual_sub_nc_u32 v5, 30, v2 :: v_dual_bitop2_b32 v2, 3, v16 bitop3:0x40
; %bb.14107:                            ;   in Loop: Header=BB4_12924 Depth=3
	s_or_b32 exec_lo, exec_lo, s75
	v_lshlrev_b32_e32 v16, 16, v13
	s_delay_alu instid0(VALU_DEP_1) | instskip(NEXT) | instid1(VALU_DEP_1)
	v_and_b32_e32 v16, 0x80000000, v16
	v_lshl_add_u32 v5, v5, 23, v16
	s_delay_alu instid0(VALU_DEP_1) | instskip(NEXT) | instid1(VALU_DEP_1)
	v_lshl_or_b32 v2, v2, 21, v5
	v_add_nc_u32_e32 v5, 0x38000000, v2
                                        ; implicit-def: $vgpr2
.LBB4_14108:                            ;   in Loop: Header=BB4_12924 Depth=3
	s_and_not1_saveexec_b32 s75, s13
; %bb.14109:                            ;   in Loop: Header=BB4_12924 Depth=3
	v_cmp_lt_i16_e64 s13, -1, v13
	v_cmp_eq_u32_e32 vcc_lo, 0, v2
	s_delay_alu instid0(VALU_DEP_2) | instskip(NEXT) | instid1(VALU_DEP_1)
	v_cndmask_b32_e64 v2, 0xff800000, v48, s13
	v_cndmask_b32_e32 v5, 0x7f800001, v2, vcc_lo
; %bb.14110:                            ;   in Loop: Header=BB4_12924 Depth=3
	s_or_b32 exec_lo, exec_lo, s75
.LBB4_14111:                            ;   in Loop: Header=BB4_12924 Depth=3
	s_delay_alu instid0(SALU_CYCLE_1)
	s_or_b32 exec_lo, exec_lo, s74
.LBB4_14112:                            ;   in Loop: Header=BB4_12924 Depth=3
	s_delay_alu instid0(SALU_CYCLE_1) | instskip(NEXT) | instid1(VALU_DEP_1)
	s_or_b32 exec_lo, exec_lo, s73
	v_dual_add_f32 v5, v18, v5 :: v_dual_mov_b32 v19, v3
	v_mov_b32_e32 v17, v3
                                        ; implicit-def: $vgpr57
	s_mov_b32 s13, exec_lo
	s_delay_alu instid0(VALU_DEP_2) | instskip(SKIP_2) | instid1(VALU_DEP_3)
	v_and_b32_e32 v18, 0x7f800000, v5
	v_and_b32_e32 v16, 0x7fffff, v5
	v_lshrrev_b32_e32 v2, 24, v5
	v_cmpx_ne_u64_e32 0x7f800000, v[18:19]
	s_xor_b32 s73, exec_lo, s13
	s_cbranch_execz .LBB4_14126
; %bb.14113:                            ;   in Loop: Header=BB4_12924 Depth=3
	v_and_b32_e32 v18, 0x7fffffff, v5
	v_mov_b32_e32 v19, v3
	v_and_b32_e32 v2, 0x80, v2
                                        ; implicit-def: $vgpr57
	s_mov_b32 s13, exec_lo
	s_delay_alu instid0(VALU_DEP_2)
	v_cmpx_gt_u64_e32 0x47600001, v[18:19]
	s_xor_b32 s74, exec_lo, s13
	s_cbranch_execz .LBB4_14123
; %bb.14114:                            ;   in Loop: Header=BB4_12924 Depth=3
	v_mov_b32_e32 v57, 0
	s_mov_b32 s75, exec_lo
	v_cmpx_ne_u32_e32 0, v5
	s_cbranch_execz .LBB4_14122
; %bb.14115:                            ;   in Loop: Header=BB4_12924 Depth=3
	v_bfe_u32 v5, v5, 23, 8
	v_or_b32_e32 v19, 0x800000, v16
	s_delay_alu instid0(VALU_DEP_2) | instskip(SKIP_2) | instid1(VALU_DEP_2)
	v_cmp_gt_u32_e64 s13, 0x72, v5
	v_sub_nc_u32_e32 v18, 0x71, v5
	v_cmp_eq_u32_e32 vcc_lo, 0, v5
	v_dual_cndmask_b32 v18, 0, v18, s13 :: v_dual_cndmask_b32 v16, v19, v16, vcc_lo
	s_delay_alu instid0(VALU_DEP_1) | instskip(NEXT) | instid1(VALU_DEP_1)
	v_cndmask_b32_e64 v86, v18, 0x70, vcc_lo
	v_dual_add_nc_u32 v18, 21, v86 :: v_dual_add_nc_u32 v87, 20, v86
	s_delay_alu instid0(VALU_DEP_1) | instskip(NEXT) | instid1(VALU_DEP_2)
	v_lshlrev_b64_e64 v[18:19], v18, -1
	v_lshlrev_b64_e64 v[96:97], v87, 1
	s_delay_alu instid0(VALU_DEP_2) | instskip(SKIP_1) | instid1(VALU_DEP_4)
	v_bfi_b32 v18, v18, 0, v16
	v_lshrrev_b64 v[16:17], v86, v[16:17]
	v_bfi_b32 v19, v19, 0, 0
	s_delay_alu instid0(VALU_DEP_1) | instskip(NEXT) | instid1(VALU_DEP_3)
	v_cmp_eq_u64_e64 s13, v[18:19], v[96:97]
	v_mov_b64_e32 v[18:19], v[16:17]
	s_and_saveexec_b32 s76, s13
; %bb.14116:                            ;   in Loop: Header=BB4_12924 Depth=3
	v_bfe_u32 v18, v16, 21, 1
	v_mov_b32_e32 v19, v3
	s_delay_alu instid0(VALU_DEP_1) | instskip(NEXT) | instid1(VALU_DEP_1)
	v_add_nc_u64_e32 v[18:19], v[16:17], v[18:19]
	v_add_nc_u64_e32 v[18:19], -1, v[18:19]
; %bb.14117:                            ;   in Loop: Header=BB4_12924 Depth=3
	s_or_b32 exec_lo, exec_lo, s76
	v_add_nc_u32_e32 v5, 0xffffff81, v5
	v_lshrrev_b32_e32 v17, 23, v16
	s_mov_b32 s13, exec_lo
	s_delay_alu instid0(VALU_DEP_2) | instskip(NEXT) | instid1(VALU_DEP_1)
	v_cndmask_b32_e64 v5, v5, 0xffffff82, vcc_lo
	v_add3_u32 v19, v86, v5, v17
	v_and_b32_e32 v5, 0x1fffff, v18
	s_delay_alu instid0(VALU_DEP_2) | instskip(NEXT) | instid1(VALU_DEP_2)
	v_dual_mov_b32 v17, v3 :: v_dual_add_nc_u32 v18, 14, v19
	v_add_nc_u32_e32 v16, v5, v16
                                        ; implicit-def: $vgpr5
	s_delay_alu instid0(VALU_DEP_2)
	v_cmpx_ne_u32_e32 0, v18
	s_xor_b32 s13, exec_lo, s13
; %bb.14118:                            ;   in Loop: Header=BB4_12924 Depth=3
	s_delay_alu instid0(VALU_DEP_2) | instskip(SKIP_1) | instid1(VALU_DEP_1)
	v_cmp_lt_u64_e32 vcc_lo, 0xffffff, v[16:17]
	v_add_nc_u32_e32 v5, 15, v19
	v_cndmask_b32_e32 v5, v18, v5, vcc_lo
	v_cndmask_b32_e64 v18, 0, 1, vcc_lo
	s_delay_alu instid0(VALU_DEP_1)
	v_lshrrev_b64 v[16:17], v18, v[16:17]
; %bb.14119:                            ;   in Loop: Header=BB4_12924 Depth=3
	s_and_not1_saveexec_b32 s13, s13
; %bb.14120:                            ;   in Loop: Header=BB4_12924 Depth=3
	s_delay_alu instid0(VALU_DEP_1)
	v_bfe_u32 v5, v16, 23, 1
; %bb.14121:                            ;   in Loop: Header=BB4_12924 Depth=3
	s_or_b32 exec_lo, exec_lo, s13
	s_delay_alu instid0(VALU_DEP_2) | instskip(NEXT) | instid1(VALU_DEP_2)
	v_lshrrev_b64 v[16:17], 21, v[16:17]
	v_cmp_gt_i32_e32 vcc_lo, 32, v5
	v_min_i32_e32 v18, 31, v5
	v_cmp_eq_u32_e64 s13, 0, v5
	s_delay_alu instid0(VALU_DEP_2) | instskip(SKIP_1) | instid1(VALU_DEP_2)
	v_dual_cndmask_b32 v16, 3, v16, vcc_lo :: v_dual_lshlrev_b32 v18, 2, v18
	v_cndmask_b32_e32 v17, 0, v17, vcc_lo
	v_and_b32_e32 v18, 0xfc, v18
	s_delay_alu instid0(VALU_DEP_2) | instskip(NEXT) | instid1(VALU_DEP_2)
	v_cmp_eq_u64_e32 vcc_lo, 0, v[16:17]
	v_and_or_b32 v5, v16, 3, v18
	s_and_b32 s13, s13, vcc_lo
	s_delay_alu instid0(VALU_DEP_1) | instid1(SALU_CYCLE_1)
	v_cndmask_b32_e64 v5, v5, 0, s13
	s_delay_alu instid0(VALU_DEP_1)
	v_or_b32_e32 v57, v5, v2
.LBB4_14122:                            ;   in Loop: Header=BB4_12924 Depth=3
	s_or_b32 exec_lo, exec_lo, s75
                                        ; implicit-def: $vgpr2
.LBB4_14123:                            ;   in Loop: Header=BB4_12924 Depth=3
	s_and_not1_saveexec_b32 s13, s74
; %bb.14124:                            ;   in Loop: Header=BB4_12924 Depth=3
	v_or_b32_e32 v57, 0x7b, v2
; %bb.14125:                            ;   in Loop: Header=BB4_12924 Depth=3
	s_or_b32 exec_lo, exec_lo, s13
                                        ; implicit-def: $vgpr5
                                        ; implicit-def: $vgpr16_vgpr17
                                        ; implicit-def: $vgpr2
.LBB4_14126:                            ;   in Loop: Header=BB4_12924 Depth=3
	s_and_not1_saveexec_b32 s13, s73
	s_cbranch_execz .LBB4_14132
; %bb.14127:                            ;   in Loop: Header=BB4_12924 Depth=3
	s_mov_b32 s73, exec_lo
                                        ; implicit-def: $vgpr57
	v_cmpx_ne_u64_e32 0, v[16:17]
	s_xor_b32 s73, exec_lo, s73
; %bb.14128:                            ;   in Loop: Header=BB4_12924 Depth=3
	v_or_b32_e32 v57, 0x7f, v2
                                        ; implicit-def: $vgpr5
; %bb.14129:                            ;   in Loop: Header=BB4_12924 Depth=3
	s_and_not1_saveexec_b32 s73, s73
; %bb.14130:                            ;   in Loop: Header=BB4_12924 Depth=3
	v_cmp_lt_i32_e32 vcc_lo, -1, v5
	v_cndmask_b32_e32 v57, 0xfc, v49, vcc_lo
; %bb.14131:                            ;   in Loop: Header=BB4_12924 Depth=3
	s_or_b32 exec_lo, exec_lo, s73
.LBB4_14132:                            ;   in Loop: Header=BB4_12924 Depth=3
	s_delay_alu instid0(SALU_CYCLE_1) | instskip(SKIP_3) | instid1(VALU_DEP_2)
	s_or_b32 exec_lo, exec_lo, s13
	v_dual_mov_b32 v5, 0 :: v_dual_lshrrev_b32 v2, 16, v4
	v_mov_b32_e32 v16, 0
	s_mov_b32 s73, exec_lo
	v_and_b32_e32 v17, 0xff, v2
	s_delay_alu instid0(VALU_DEP_1)
	v_cmpx_ne_u16_e32 0, v17
	s_cbranch_execz .LBB4_14142
; %bb.14133:                            ;   in Loop: Header=BB4_12924 Depth=3
	v_bfrev_b32_e32 v16, 1
	s_mov_b32 s74, exec_lo
	v_cmpx_ne_u16_e32 0x80, v17
	s_cbranch_execz .LBB4_14141
; %bb.14134:                            ;   in Loop: Header=BB4_12924 Depth=3
	v_and_b32_e32 v16, 0x7c0000, v4
	v_bfe_u32 v17, v4, 16, 2
	s_delay_alu instid0(VALU_DEP_2) | instskip(SKIP_1) | instid1(SALU_CYCLE_1)
	v_cmp_ne_u32_e32 vcc_lo, 0x7c0000, v16
                                        ; implicit-def: $vgpr16
	s_and_saveexec_b32 s13, vcc_lo
	s_xor_b32 s13, exec_lo, s13
	s_cbranch_execz .LBB4_14138
; %bb.14135:                            ;   in Loop: Header=BB4_12924 Depth=3
	v_bfe_u32 v16, v4, 18, 5
	s_mov_b32 s75, exec_lo
	s_delay_alu instid0(VALU_DEP_1)
	v_cmpx_eq_u32_e32 0, v16
; %bb.14136:                            ;   in Loop: Header=BB4_12924 Depth=3
	v_clz_i32_u32_e32 v16, v17
	s_delay_alu instid0(VALU_DEP_1) | instskip(NEXT) | instid1(VALU_DEP_1)
	v_min_u32_e32 v16, 32, v16
	v_subrev_nc_u32_e32 v17, 29, v16
	s_delay_alu instid0(VALU_DEP_1) | instskip(NEXT) | instid1(VALU_DEP_1)
	v_lshlrev_b64_e32 v[18:19], v17, v[2:3]
	v_dual_sub_nc_u32 v16, 30, v16 :: v_dual_bitop2_b32 v17, 3, v18 bitop3:0x40
; %bb.14137:                            ;   in Loop: Header=BB4_12924 Depth=3
	s_or_b32 exec_lo, exec_lo, s75
	v_lshlrev_b32_e32 v2, 24, v2
	s_delay_alu instid0(VALU_DEP_1) | instskip(NEXT) | instid1(VALU_DEP_1)
	v_and_b32_e32 v2, 0x80000000, v2
	v_lshl_add_u32 v2, v16, 23, v2
	s_delay_alu instid0(VALU_DEP_1) | instskip(NEXT) | instid1(VALU_DEP_1)
	v_lshl_or_b32 v2, v17, 21, v2
                                        ; implicit-def: $vgpr17
	v_add_nc_u32_e32 v16, 0x38000000, v2
                                        ; implicit-def: $vgpr2
.LBB4_14138:                            ;   in Loop: Header=BB4_12924 Depth=3
	s_and_not1_saveexec_b32 s75, s13
; %bb.14139:                            ;   in Loop: Header=BB4_12924 Depth=3
	v_bfe_i32 v2, v2, 0, 8
	v_cmp_eq_u32_e32 vcc_lo, 0, v17
	s_delay_alu instid0(VALU_DEP_2) | instskip(NEXT) | instid1(VALU_DEP_1)
	v_cmp_lt_i16_e64 s13, -1, v2
	v_cndmask_b32_e64 v2, 0xff800000, v48, s13
	s_delay_alu instid0(VALU_DEP_1)
	v_cndmask_b32_e32 v16, 0x7f800001, v2, vcc_lo
; %bb.14140:                            ;   in Loop: Header=BB4_12924 Depth=3
	s_or_b32 exec_lo, exec_lo, s75
.LBB4_14141:                            ;   in Loop: Header=BB4_12924 Depth=3
	s_delay_alu instid0(SALU_CYCLE_1)
	s_or_b32 exec_lo, exec_lo, s74
.LBB4_14142:                            ;   in Loop: Header=BB4_12924 Depth=3
	s_delay_alu instid0(SALU_CYCLE_1) | instskip(SKIP_2) | instid1(VALU_DEP_1)
	s_or_b32 exec_lo, exec_lo, s73
	v_lshrrev_b32_e32 v2, 16, v13
	s_mov_b32 s73, exec_lo
	v_and_b32_e32 v17, 0xff, v2
	s_delay_alu instid0(VALU_DEP_1)
	v_cmpx_ne_u16_e32 0, v17
	s_cbranch_execz .LBB4_14152
; %bb.14143:                            ;   in Loop: Header=BB4_12924 Depth=3
	v_bfrev_b32_e32 v5, 1
	s_mov_b32 s74, exec_lo
	v_cmpx_ne_u16_e32 0x80, v17
	s_cbranch_execz .LBB4_14151
; %bb.14144:                            ;   in Loop: Header=BB4_12924 Depth=3
	v_and_b32_e32 v5, 0x7c0000, v13
	v_bfe_u32 v17, v13, 16, 2
	s_delay_alu instid0(VALU_DEP_2) | instskip(SKIP_1) | instid1(SALU_CYCLE_1)
	v_cmp_ne_u32_e32 vcc_lo, 0x7c0000, v5
                                        ; implicit-def: $vgpr5
	s_and_saveexec_b32 s13, vcc_lo
	s_xor_b32 s13, exec_lo, s13
	s_cbranch_execz .LBB4_14148
; %bb.14145:                            ;   in Loop: Header=BB4_12924 Depth=3
	v_bfe_u32 v5, v13, 18, 5
	s_mov_b32 s75, exec_lo
	s_delay_alu instid0(VALU_DEP_1)
	v_cmpx_eq_u32_e32 0, v5
; %bb.14146:                            ;   in Loop: Header=BB4_12924 Depth=3
	v_clz_i32_u32_e32 v5, v17
	s_delay_alu instid0(VALU_DEP_1) | instskip(NEXT) | instid1(VALU_DEP_1)
	v_min_u32_e32 v5, 32, v5
	v_subrev_nc_u32_e32 v17, 29, v5
	s_delay_alu instid0(VALU_DEP_1) | instskip(NEXT) | instid1(VALU_DEP_1)
	v_lshlrev_b64_e32 v[18:19], v17, v[2:3]
	v_dual_sub_nc_u32 v5, 30, v5 :: v_dual_bitop2_b32 v17, 3, v18 bitop3:0x40
; %bb.14147:                            ;   in Loop: Header=BB4_12924 Depth=3
	s_or_b32 exec_lo, exec_lo, s75
	v_lshlrev_b32_e32 v2, 24, v2
	s_delay_alu instid0(VALU_DEP_1) | instskip(NEXT) | instid1(VALU_DEP_1)
	v_and_b32_e32 v2, 0x80000000, v2
	v_lshl_add_u32 v2, v5, 23, v2
	s_delay_alu instid0(VALU_DEP_1) | instskip(NEXT) | instid1(VALU_DEP_1)
	v_lshl_or_b32 v2, v17, 21, v2
                                        ; implicit-def: $vgpr17
	v_add_nc_u32_e32 v5, 0x38000000, v2
                                        ; implicit-def: $vgpr2
.LBB4_14148:                            ;   in Loop: Header=BB4_12924 Depth=3
	s_and_not1_saveexec_b32 s75, s13
; %bb.14149:                            ;   in Loop: Header=BB4_12924 Depth=3
	v_bfe_i32 v2, v2, 0, 8
	v_cmp_eq_u32_e32 vcc_lo, 0, v17
	s_delay_alu instid0(VALU_DEP_2) | instskip(NEXT) | instid1(VALU_DEP_1)
	v_cmp_lt_i16_e64 s13, -1, v2
	v_cndmask_b32_e64 v2, 0xff800000, v48, s13
	s_delay_alu instid0(VALU_DEP_1)
	v_cndmask_b32_e32 v5, 0x7f800001, v2, vcc_lo
; %bb.14150:                            ;   in Loop: Header=BB4_12924 Depth=3
	s_or_b32 exec_lo, exec_lo, s75
.LBB4_14151:                            ;   in Loop: Header=BB4_12924 Depth=3
	s_delay_alu instid0(SALU_CYCLE_1)
	s_or_b32 exec_lo, exec_lo, s74
.LBB4_14152:                            ;   in Loop: Header=BB4_12924 Depth=3
	s_delay_alu instid0(SALU_CYCLE_1) | instskip(NEXT) | instid1(VALU_DEP_1)
	s_or_b32 exec_lo, exec_lo, s73
	v_dual_add_f32 v5, v16, v5 :: v_dual_mov_b32 v19, v3
	s_delay_alu instid0(VALU_DEP_1) | instskip(SKIP_2) | instid1(VALU_DEP_2)
	v_dual_mov_b32 v17, v3 :: v_dual_lshrrev_b32 v2, 24, v5
	v_and_b32_e32 v18, 0x7f800000, v5
	v_and_b32_e32 v16, 0x7fffff, v5
	v_cmp_ne_u64_e32 vcc_lo, 0x7f800000, v[18:19]
                                        ; implicit-def: $vgpr18
	s_and_saveexec_b32 s13, vcc_lo
	s_delay_alu instid0(SALU_CYCLE_1)
	s_xor_b32 s73, exec_lo, s13
	s_cbranch_execz .LBB4_14166
; %bb.14153:                            ;   in Loop: Header=BB4_12924 Depth=3
	v_and_b32_e32 v18, 0x7fffffff, v5
	v_mov_b32_e32 v19, v3
	v_and_b32_e32 v2, 0x80, v2
	s_delay_alu instid0(VALU_DEP_2) | instskip(SKIP_1) | instid1(SALU_CYCLE_1)
	v_cmp_gt_u64_e32 vcc_lo, 0x47600001, v[18:19]
                                        ; implicit-def: $vgpr18
	s_and_saveexec_b32 s13, vcc_lo
	s_xor_b32 s74, exec_lo, s13
	s_cbranch_execz .LBB4_14163
; %bb.14154:                            ;   in Loop: Header=BB4_12924 Depth=3
	v_mov_b32_e32 v18, 0
	s_mov_b32 s75, exec_lo
	v_cmpx_ne_u32_e32 0, v5
	s_cbranch_execz .LBB4_14162
; %bb.14155:                            ;   in Loop: Header=BB4_12924 Depth=3
	v_bfe_u32 v5, v5, 23, 8
	v_or_b32_e32 v19, 0x800000, v16
	s_delay_alu instid0(VALU_DEP_2) | instskip(SKIP_2) | instid1(VALU_DEP_2)
	v_cmp_gt_u32_e64 s13, 0x72, v5
	v_sub_nc_u32_e32 v18, 0x71, v5
	v_cmp_eq_u32_e32 vcc_lo, 0, v5
	v_dual_cndmask_b32 v18, 0, v18, s13 :: v_dual_cndmask_b32 v16, v19, v16, vcc_lo
	s_delay_alu instid0(VALU_DEP_1) | instskip(NEXT) | instid1(VALU_DEP_1)
	v_cndmask_b32_e64 v86, v18, 0x70, vcc_lo
	v_dual_add_nc_u32 v18, 21, v86 :: v_dual_add_nc_u32 v87, 20, v86
	s_delay_alu instid0(VALU_DEP_1) | instskip(NEXT) | instid1(VALU_DEP_2)
	v_lshlrev_b64_e64 v[18:19], v18, -1
	v_lshlrev_b64_e64 v[96:97], v87, 1
	s_delay_alu instid0(VALU_DEP_2) | instskip(SKIP_1) | instid1(VALU_DEP_4)
	v_bfi_b32 v18, v18, 0, v16
	v_lshrrev_b64 v[16:17], v86, v[16:17]
	v_bfi_b32 v19, v19, 0, 0
	s_delay_alu instid0(VALU_DEP_1) | instskip(NEXT) | instid1(VALU_DEP_3)
	v_cmp_eq_u64_e64 s13, v[18:19], v[96:97]
	v_mov_b64_e32 v[18:19], v[16:17]
	s_and_saveexec_b32 s76, s13
; %bb.14156:                            ;   in Loop: Header=BB4_12924 Depth=3
	v_bfe_u32 v18, v16, 21, 1
	v_mov_b32_e32 v19, v3
	s_delay_alu instid0(VALU_DEP_1) | instskip(NEXT) | instid1(VALU_DEP_1)
	v_add_nc_u64_e32 v[18:19], v[16:17], v[18:19]
	v_add_nc_u64_e32 v[18:19], -1, v[18:19]
; %bb.14157:                            ;   in Loop: Header=BB4_12924 Depth=3
	s_or_b32 exec_lo, exec_lo, s76
	v_add_nc_u32_e32 v5, 0xffffff81, v5
	v_lshrrev_b32_e32 v17, 23, v16
	s_mov_b32 s13, exec_lo
	s_delay_alu instid0(VALU_DEP_2) | instskip(NEXT) | instid1(VALU_DEP_1)
	v_cndmask_b32_e64 v5, v5, 0xffffff82, vcc_lo
	v_add3_u32 v19, v86, v5, v17
	v_and_b32_e32 v5, 0x1fffff, v18
	s_delay_alu instid0(VALU_DEP_2) | instskip(NEXT) | instid1(VALU_DEP_2)
	v_dual_mov_b32 v17, v3 :: v_dual_add_nc_u32 v18, 14, v19
	v_add_nc_u32_e32 v16, v5, v16
                                        ; implicit-def: $vgpr5
	s_delay_alu instid0(VALU_DEP_2)
	v_cmpx_ne_u32_e32 0, v18
	s_xor_b32 s13, exec_lo, s13
; %bb.14158:                            ;   in Loop: Header=BB4_12924 Depth=3
	s_delay_alu instid0(VALU_DEP_2) | instskip(SKIP_1) | instid1(VALU_DEP_1)
	v_cmp_lt_u64_e32 vcc_lo, 0xffffff, v[16:17]
	v_add_nc_u32_e32 v5, 15, v19
	v_cndmask_b32_e32 v5, v18, v5, vcc_lo
	v_cndmask_b32_e64 v18, 0, 1, vcc_lo
	s_delay_alu instid0(VALU_DEP_1)
	v_lshrrev_b64 v[16:17], v18, v[16:17]
; %bb.14159:                            ;   in Loop: Header=BB4_12924 Depth=3
	s_and_not1_saveexec_b32 s13, s13
; %bb.14160:                            ;   in Loop: Header=BB4_12924 Depth=3
	s_delay_alu instid0(VALU_DEP_1)
	v_bfe_u32 v5, v16, 23, 1
; %bb.14161:                            ;   in Loop: Header=BB4_12924 Depth=3
	s_or_b32 exec_lo, exec_lo, s13
	s_delay_alu instid0(VALU_DEP_2) | instskip(NEXT) | instid1(VALU_DEP_2)
	v_lshrrev_b64 v[16:17], 21, v[16:17]
	v_cmp_gt_i32_e32 vcc_lo, 32, v5
	v_min_i32_e32 v18, 31, v5
	v_cmp_eq_u32_e64 s13, 0, v5
	s_delay_alu instid0(VALU_DEP_2) | instskip(SKIP_1) | instid1(VALU_DEP_2)
	v_dual_cndmask_b32 v16, 3, v16, vcc_lo :: v_dual_lshlrev_b32 v18, 2, v18
	v_cndmask_b32_e32 v17, 0, v17, vcc_lo
	v_and_b32_e32 v18, 0xfc, v18
	s_delay_alu instid0(VALU_DEP_2) | instskip(NEXT) | instid1(VALU_DEP_2)
	v_cmp_eq_u64_e32 vcc_lo, 0, v[16:17]
	v_and_or_b32 v5, v16, 3, v18
	s_and_b32 s13, s13, vcc_lo
	s_delay_alu instid0(VALU_DEP_1) | instid1(SALU_CYCLE_1)
	v_cndmask_b32_e64 v5, v5, 0, s13
	s_delay_alu instid0(VALU_DEP_1)
	v_or_b32_e32 v18, v5, v2
.LBB4_14162:                            ;   in Loop: Header=BB4_12924 Depth=3
	s_or_b32 exec_lo, exec_lo, s75
                                        ; implicit-def: $vgpr2
.LBB4_14163:                            ;   in Loop: Header=BB4_12924 Depth=3
	s_and_not1_saveexec_b32 s13, s74
; %bb.14164:                            ;   in Loop: Header=BB4_12924 Depth=3
	v_or_b32_e32 v18, 0x7b, v2
; %bb.14165:                            ;   in Loop: Header=BB4_12924 Depth=3
	s_or_b32 exec_lo, exec_lo, s13
                                        ; implicit-def: $vgpr5
                                        ; implicit-def: $vgpr16_vgpr17
                                        ; implicit-def: $vgpr2
.LBB4_14166:                            ;   in Loop: Header=BB4_12924 Depth=3
	s_and_not1_saveexec_b32 s13, s73
	s_cbranch_execz .LBB4_14172
; %bb.14167:                            ;   in Loop: Header=BB4_12924 Depth=3
	s_mov_b32 s73, exec_lo
                                        ; implicit-def: $vgpr18
	v_cmpx_ne_u64_e32 0, v[16:17]
	s_xor_b32 s73, exec_lo, s73
; %bb.14168:                            ;   in Loop: Header=BB4_12924 Depth=3
	v_or_b32_e32 v18, 0x7f, v2
                                        ; implicit-def: $vgpr5
; %bb.14169:                            ;   in Loop: Header=BB4_12924 Depth=3
	s_and_not1_saveexec_b32 s73, s73
; %bb.14170:                            ;   in Loop: Header=BB4_12924 Depth=3
	v_cmp_lt_i32_e32 vcc_lo, -1, v5
	v_cndmask_b32_e32 v18, 0xfc, v49, vcc_lo
; %bb.14171:                            ;   in Loop: Header=BB4_12924 Depth=3
	s_or_b32 exec_lo, exec_lo, s73
.LBB4_14172:                            ;   in Loop: Header=BB4_12924 Depth=3
	s_delay_alu instid0(SALU_CYCLE_1)
	s_or_b32 exec_lo, exec_lo, s13
	v_dual_mov_b32 v16, 0 :: v_dual_mov_b32 v17, 0
	s_mov_b32 s73, exec_lo
	v_cmpx_lt_u32_e32 0xffffff, v4
	s_cbranch_execz .LBB4_14182
; %bb.14173:                            ;   in Loop: Header=BB4_12924 Depth=3
	v_lshrrev_b32_e32 v2, 24, v4
	v_bfrev_b32_e32 v17, 1
	s_mov_b32 s74, exec_lo
	s_delay_alu instid0(VALU_DEP_2)
	v_cmpx_ne_u32_e32 0x80, v2
	s_cbranch_execz .LBB4_14181
; %bb.14174:                            ;   in Loop: Header=BB4_12924 Depth=3
	v_and_b32_e32 v5, 0x7c000000, v4
	v_bfe_u32 v19, v4, 24, 2
	s_mov_b32 s13, exec_lo
                                        ; implicit-def: $vgpr17
	s_delay_alu instid0(VALU_DEP_2)
	v_cmpx_ne_u32_e32 0x7c000000, v5
	s_xor_b32 s13, exec_lo, s13
	s_cbranch_execz .LBB4_14178
; %bb.14175:                            ;   in Loop: Header=BB4_12924 Depth=3
	v_bfe_u32 v5, v4, 26, 5
	s_mov_b32 s75, exec_lo
	s_delay_alu instid0(VALU_DEP_1)
	v_cmpx_eq_u32_e32 0, v5
; %bb.14176:                            ;   in Loop: Header=BB4_12924 Depth=3
	v_clz_i32_u32_e32 v5, v19
	s_delay_alu instid0(VALU_DEP_1) | instskip(NEXT) | instid1(VALU_DEP_1)
	v_min_u32_e32 v5, 32, v5
	v_subrev_nc_u32_e32 v17, 29, v5
	s_delay_alu instid0(VALU_DEP_1) | instskip(NEXT) | instid1(VALU_DEP_1)
	v_lshlrev_b64_e32 v[86:87], v17, v[2:3]
	v_dual_sub_nc_u32 v5, 30, v5 :: v_dual_bitop2_b32 v19, 3, v86 bitop3:0x40
; %bb.14177:                            ;   in Loop: Header=BB4_12924 Depth=3
	s_or_b32 exec_lo, exec_lo, s75
	v_and_b32_e32 v2, 0x80000000, v4
	s_delay_alu instid0(VALU_DEP_1) | instskip(NEXT) | instid1(VALU_DEP_1)
	v_lshl_add_u32 v2, v5, 23, v2
                                        ; implicit-def: $vgpr4_vgpr5
	v_lshl_or_b32 v2, v19, 21, v2
                                        ; implicit-def: $vgpr19
	s_delay_alu instid0(VALU_DEP_1)
	v_add_nc_u32_e32 v17, 0x38000000, v2
.LBB4_14178:                            ;   in Loop: Header=BB4_12924 Depth=3
	s_and_not1_saveexec_b32 s75, s13
; %bb.14179:                            ;   in Loop: Header=BB4_12924 Depth=3
	v_cmp_lt_i32_e64 s13, -1, v4
	v_cmp_eq_u32_e32 vcc_lo, 0, v19
	s_delay_alu instid0(VALU_DEP_2) | instskip(NEXT) | instid1(VALU_DEP_1)
	v_cndmask_b32_e64 v2, 0xff800000, v48, s13
	v_cndmask_b32_e32 v17, 0x7f800001, v2, vcc_lo
; %bb.14180:                            ;   in Loop: Header=BB4_12924 Depth=3
	s_or_b32 exec_lo, exec_lo, s75
.LBB4_14181:                            ;   in Loop: Header=BB4_12924 Depth=3
	s_delay_alu instid0(SALU_CYCLE_1)
	s_or_b32 exec_lo, exec_lo, s74
.LBB4_14182:                            ;   in Loop: Header=BB4_12924 Depth=3
	s_delay_alu instid0(SALU_CYCLE_1) | instskip(NEXT) | instid1(SALU_CYCLE_1)
	s_or_b32 exec_lo, exec_lo, s73
	s_mov_b32 s73, exec_lo
	v_cmpx_lt_u64_e64 s[22:23], v[12:13]
	s_cbranch_execz .LBB4_14192
; %bb.14183:                            ;   in Loop: Header=BB4_12924 Depth=3
	v_lshrrev_b32_e32 v2, 24, v13
	v_bfrev_b32_e32 v16, 1
	s_mov_b32 s74, exec_lo
	s_delay_alu instid0(VALU_DEP_2)
	v_cmpx_ne_u32_e32 0x80, v2
	s_cbranch_execz .LBB4_14191
; %bb.14184:                            ;   in Loop: Header=BB4_12924 Depth=3
	v_and_b32_e32 v5, 0x7c000000, v13
	v_bfe_u32 v4, v13, 24, 2
	s_mov_b32 s13, exec_lo
                                        ; implicit-def: $vgpr16
	s_delay_alu instid0(VALU_DEP_2)
	v_cmpx_ne_u32_e32 0x7c000000, v5
	s_xor_b32 s13, exec_lo, s13
	s_cbranch_execz .LBB4_14188
; %bb.14185:                            ;   in Loop: Header=BB4_12924 Depth=3
	v_bfe_u32 v5, v13, 26, 5
	s_mov_b32 s75, exec_lo
	s_delay_alu instid0(VALU_DEP_1)
	v_cmpx_eq_u32_e32 0, v5
; %bb.14186:                            ;   in Loop: Header=BB4_12924 Depth=3
	v_clz_i32_u32_e32 v4, v4
	s_delay_alu instid0(VALU_DEP_1) | instskip(NEXT) | instid1(VALU_DEP_1)
	v_min_u32_e32 v16, 32, v4
	v_subrev_nc_u32_e32 v4, 29, v16
	s_delay_alu instid0(VALU_DEP_1) | instskip(SKIP_1) | instid1(VALU_DEP_2)
	v_lshlrev_b64_e32 v[4:5], v4, v[2:3]
	v_sub_nc_u32_e32 v5, 30, v16
	v_and_b32_e32 v4, 3, v4
; %bb.14187:                            ;   in Loop: Header=BB4_12924 Depth=3
	s_or_b32 exec_lo, exec_lo, s75
	v_and_b32_e32 v2, 0x80000000, v13
	s_delay_alu instid0(VALU_DEP_1) | instskip(NEXT) | instid1(VALU_DEP_1)
	v_lshl_add_u32 v2, v5, 23, v2
	v_lshl_or_b32 v2, v4, 21, v2
                                        ; implicit-def: $vgpr4
	s_delay_alu instid0(VALU_DEP_1)
	v_add_nc_u32_e32 v16, 0x38000000, v2
.LBB4_14188:                            ;   in Loop: Header=BB4_12924 Depth=3
	s_and_not1_saveexec_b32 s75, s13
; %bb.14189:                            ;   in Loop: Header=BB4_12924 Depth=3
	v_cmp_lt_i64_e64 s13, -1, v[12:13]
	v_cmp_eq_u32_e32 vcc_lo, 0, v4
	s_delay_alu instid0(VALU_DEP_2) | instskip(NEXT) | instid1(VALU_DEP_1)
	v_cndmask_b32_e64 v2, 0xff800000, v48, s13
	v_cndmask_b32_e32 v16, 0x7f800001, v2, vcc_lo
; %bb.14190:                            ;   in Loop: Header=BB4_12924 Depth=3
	s_or_b32 exec_lo, exec_lo, s75
.LBB4_14191:                            ;   in Loop: Header=BB4_12924 Depth=3
	s_delay_alu instid0(SALU_CYCLE_1)
	s_or_b32 exec_lo, exec_lo, s74
.LBB4_14192:                            ;   in Loop: Header=BB4_12924 Depth=3
	s_delay_alu instid0(SALU_CYCLE_1) | instskip(NEXT) | instid1(VALU_DEP_1)
	s_or_b32 exec_lo, exec_lo, s73
	v_dual_add_f32 v12, v17, v16 :: v_dual_mov_b32 v17, v3
	v_mov_b32_e32 v5, v3
                                        ; implicit-def: $vgpr19
	s_mov_b32 s13, exec_lo
	s_delay_alu instid0(VALU_DEP_2) | instskip(SKIP_2) | instid1(VALU_DEP_3)
	v_and_b32_e32 v16, 0x7f800000, v12
	v_and_b32_e32 v4, 0x7fffff, v12
	v_lshrrev_b32_e32 v2, 24, v12
	v_cmpx_ne_u64_e32 0x7f800000, v[16:17]
	s_xor_b32 s73, exec_lo, s13
	s_cbranch_execz .LBB4_14206
; %bb.14193:                            ;   in Loop: Header=BB4_12924 Depth=3
	v_and_b32_e32 v16, 0x7fffffff, v12
	v_mov_b32_e32 v17, v3
	v_and_b32_e32 v2, 0x80, v2
                                        ; implicit-def: $vgpr19
	s_mov_b32 s13, exec_lo
	s_delay_alu instid0(VALU_DEP_2)
	v_cmpx_gt_u64_e32 0x47600001, v[16:17]
	s_xor_b32 s74, exec_lo, s13
	s_cbranch_execz .LBB4_14203
; %bb.14194:                            ;   in Loop: Header=BB4_12924 Depth=3
	v_mov_b32_e32 v19, 0
	s_mov_b32 s75, exec_lo
	v_cmpx_ne_u32_e32 0, v12
	s_cbranch_execz .LBB4_14202
; %bb.14195:                            ;   in Loop: Header=BB4_12924 Depth=3
	v_bfe_u32 v16, v12, 23, 8
	v_or_b32_e32 v13, 0x800000, v4
	s_delay_alu instid0(VALU_DEP_2) | instskip(SKIP_2) | instid1(VALU_DEP_2)
	v_cmp_gt_u32_e64 s13, 0x72, v16
	v_sub_nc_u32_e32 v12, 0x71, v16
	v_cmp_eq_u32_e32 vcc_lo, 0, v16
	v_cndmask_b32_e64 v12, 0, v12, s13
	s_delay_alu instid0(VALU_DEP_1) | instskip(NEXT) | instid1(VALU_DEP_1)
	v_cndmask_b32_e64 v17, v12, 0x70, vcc_lo
	v_dual_cndmask_b32 v4, v13, v4, vcc_lo :: v_dual_add_nc_u32 v12, 21, v17
	v_add_nc_u32_e32 v19, 20, v17
	s_delay_alu instid0(VALU_DEP_2) | instskip(NEXT) | instid1(VALU_DEP_2)
	v_lshlrev_b64_e64 v[12:13], v12, -1
	v_lshlrev_b64_e64 v[86:87], v19, 1
	s_delay_alu instid0(VALU_DEP_2) | instskip(SKIP_1) | instid1(VALU_DEP_4)
	v_bfi_b32 v12, v12, 0, v4
	v_lshrrev_b64 v[4:5], v17, v[4:5]
	v_bfi_b32 v13, v13, 0, 0
	s_delay_alu instid0(VALU_DEP_1) | instskip(NEXT) | instid1(VALU_DEP_3)
	v_cmp_eq_u64_e64 s13, v[12:13], v[86:87]
	v_mov_b64_e32 v[12:13], v[4:5]
	s_and_saveexec_b32 s76, s13
; %bb.14196:                            ;   in Loop: Header=BB4_12924 Depth=3
	v_bfe_u32 v12, v4, 21, 1
	v_mov_b32_e32 v13, v3
	s_delay_alu instid0(VALU_DEP_1) | instskip(NEXT) | instid1(VALU_DEP_1)
	v_add_nc_u64_e32 v[12:13], v[4:5], v[12:13]
	v_add_nc_u64_e32 v[12:13], -1, v[12:13]
; %bb.14197:                            ;   in Loop: Header=BB4_12924 Depth=3
	s_or_b32 exec_lo, exec_lo, s76
	v_add_nc_u32_e32 v5, 0xffffff81, v16
	v_lshrrev_b32_e32 v13, 23, v4
	s_mov_b32 s13, exec_lo
	s_delay_alu instid0(VALU_DEP_2) | instskip(NEXT) | instid1(VALU_DEP_1)
	v_cndmask_b32_e64 v5, v5, 0xffffff82, vcc_lo
	v_add3_u32 v16, v17, v5, v13
	v_and_b32_e32 v5, 0x1fffff, v12
                                        ; implicit-def: $vgpr12
	s_delay_alu instid0(VALU_DEP_2) | instskip(NEXT) | instid1(VALU_DEP_2)
	v_add_nc_u32_e32 v13, 14, v16
	v_dual_mov_b32 v5, v3 :: v_dual_add_nc_u32 v4, v5, v4
	s_delay_alu instid0(VALU_DEP_2)
	v_cmpx_ne_u32_e32 0, v13
	s_xor_b32 s13, exec_lo, s13
; %bb.14198:                            ;   in Loop: Header=BB4_12924 Depth=3
	s_delay_alu instid0(VALU_DEP_2) | instskip(SKIP_1) | instid1(VALU_DEP_1)
	v_cmp_lt_u64_e32 vcc_lo, 0xffffff, v[4:5]
	v_add_nc_u32_e32 v12, 15, v16
	v_cndmask_b32_e32 v12, v13, v12, vcc_lo
	v_cndmask_b32_e64 v13, 0, 1, vcc_lo
	s_delay_alu instid0(VALU_DEP_1)
	v_lshrrev_b64 v[4:5], v13, v[4:5]
; %bb.14199:                            ;   in Loop: Header=BB4_12924 Depth=3
	s_and_not1_saveexec_b32 s13, s13
; %bb.14200:                            ;   in Loop: Header=BB4_12924 Depth=3
	s_delay_alu instid0(VALU_DEP_1)
	v_bfe_u32 v12, v4, 23, 1
; %bb.14201:                            ;   in Loop: Header=BB4_12924 Depth=3
	s_or_b32 exec_lo, exec_lo, s13
	s_delay_alu instid0(VALU_DEP_2) | instskip(NEXT) | instid1(VALU_DEP_2)
	v_lshrrev_b64 v[4:5], 21, v[4:5]
	v_cmp_gt_i32_e32 vcc_lo, 32, v12
	v_min_i32_e32 v13, 31, v12
	v_cmp_eq_u32_e64 s13, 0, v12
	s_delay_alu instid0(VALU_DEP_4) | instskip(NEXT) | instid1(VALU_DEP_3)
	v_cndmask_b32_e32 v5, 0, v5, vcc_lo
	v_dual_cndmask_b32 v4, 3, v4 :: v_dual_lshlrev_b32 v13, 2, v13
	s_delay_alu instid0(VALU_DEP_1) | instskip(NEXT) | instid1(VALU_DEP_2)
	v_and_b32_e32 v13, 0xfc, v13
	v_cmp_eq_u64_e32 vcc_lo, 0, v[4:5]
	s_delay_alu instid0(VALU_DEP_2)
	v_and_or_b32 v4, v4, 3, v13
	s_and_b32 s13, s13, vcc_lo
	s_delay_alu instid0(VALU_DEP_1) | instid1(SALU_CYCLE_1)
	v_cndmask_b32_e64 v4, v4, 0, s13
	s_delay_alu instid0(VALU_DEP_1)
	v_or_b32_e32 v19, v4, v2
.LBB4_14202:                            ;   in Loop: Header=BB4_12924 Depth=3
	s_or_b32 exec_lo, exec_lo, s75
                                        ; implicit-def: $vgpr2
.LBB4_14203:                            ;   in Loop: Header=BB4_12924 Depth=3
	s_and_not1_saveexec_b32 s13, s74
; %bb.14204:                            ;   in Loop: Header=BB4_12924 Depth=3
	v_or_b32_e32 v19, 0x7b, v2
; %bb.14205:                            ;   in Loop: Header=BB4_12924 Depth=3
	s_or_b32 exec_lo, exec_lo, s13
                                        ; implicit-def: $vgpr12
                                        ; implicit-def: $vgpr4_vgpr5
                                        ; implicit-def: $vgpr2
.LBB4_14206:                            ;   in Loop: Header=BB4_12924 Depth=3
	s_and_not1_saveexec_b32 s13, s73
	s_cbranch_execz .LBB4_14212
; %bb.14207:                            ;   in Loop: Header=BB4_12924 Depth=3
	s_mov_b32 s73, exec_lo
                                        ; implicit-def: $vgpr19
	v_cmpx_ne_u64_e32 0, v[4:5]
	s_xor_b32 s73, exec_lo, s73
; %bb.14208:                            ;   in Loop: Header=BB4_12924 Depth=3
	v_or_b32_e32 v19, 0x7f, v2
                                        ; implicit-def: $vgpr12
; %bb.14209:                            ;   in Loop: Header=BB4_12924 Depth=3
	s_and_not1_saveexec_b32 s73, s73
; %bb.14210:                            ;   in Loop: Header=BB4_12924 Depth=3
	v_cmp_lt_i32_e32 vcc_lo, -1, v12
	v_cndmask_b32_e32 v19, 0xfc, v49, vcc_lo
; %bb.14211:                            ;   in Loop: Header=BB4_12924 Depth=3
	s_or_b32 exec_lo, exec_lo, s73
.LBB4_14212:                            ;   in Loop: Header=BB4_12924 Depth=3
	s_delay_alu instid0(SALU_CYCLE_1) | instskip(SKIP_4) | instid1(VALU_DEP_2)
	s_or_b32 exec_lo, exec_lo, s13
	v_lshl_or_b32 v2, v63, 8, v61
	v_dual_lshlrev_b32 v4, 16, v73 :: v_dual_lshlrev_b32 v12, 24, v74
	v_dual_mov_b32 v5, v3 :: v_dual_mov_b32 v13, 0
	s_mov_b32 s73, exec_lo
	v_or3_b32 v4, v4, v12, v2
	v_mov_b32_e32 v12, 0
	v_cmpx_ne_u32_e32 0, v61
	s_cbranch_execz .LBB4_14222
; %bb.14213:                            ;   in Loop: Header=BB4_12924 Depth=3
	v_bfrev_b32_e32 v13, 1
	s_mov_b32 s74, exec_lo
	v_cmpx_ne_u32_e32 0x80, v61
	s_cbranch_execz .LBB4_14221
; %bb.14214:                            ;   in Loop: Header=BB4_12924 Depth=3
	v_and_b32_e32 v13, 0x7c, v61
	v_and_b32_e32 v16, 3, v61
	s_delay_alu instid0(VALU_DEP_2) | instskip(SKIP_1) | instid1(SALU_CYCLE_1)
	v_cmp_ne_u32_e32 vcc_lo, 0x7c, v13
                                        ; implicit-def: $vgpr13
	s_and_saveexec_b32 s13, vcc_lo
	s_xor_b32 s13, exec_lo, s13
	s_cbranch_execz .LBB4_14218
; %bb.14215:                            ;   in Loop: Header=BB4_12924 Depth=3
	v_bfe_u32 v13, v61, 2, 5
	s_mov_b32 s75, exec_lo
	s_delay_alu instid0(VALU_DEP_1)
	v_cmpx_eq_u32_e32 0, v13
; %bb.14216:                            ;   in Loop: Header=BB4_12924 Depth=3
	v_clz_i32_u32_e32 v13, v16
	s_delay_alu instid0(VALU_DEP_1) | instskip(NEXT) | instid1(VALU_DEP_1)
	v_min_u32_e32 v13, 32, v13
	v_subrev_nc_u32_e32 v16, 29, v13
	s_delay_alu instid0(VALU_DEP_1) | instskip(NEXT) | instid1(VALU_DEP_1)
	v_lshlrev_b64_e32 v[16:17], v16, v[4:5]
	v_dual_sub_nc_u32 v13, 30, v13 :: v_dual_bitop2_b32 v16, 3, v16 bitop3:0x40
; %bb.14217:                            ;   in Loop: Header=BB4_12924 Depth=3
	s_or_b32 exec_lo, exec_lo, s75
	v_lshlrev_b32_e32 v5, 24, v61
                                        ; implicit-def: $vgpr61
	s_delay_alu instid0(VALU_DEP_1) | instskip(NEXT) | instid1(VALU_DEP_1)
	v_and_b32_e32 v5, 0x80000000, v5
	v_lshl_add_u32 v5, v13, 23, v5
	s_delay_alu instid0(VALU_DEP_1) | instskip(NEXT) | instid1(VALU_DEP_1)
	v_lshl_or_b32 v5, v16, 21, v5
                                        ; implicit-def: $vgpr16
	v_add_nc_u32_e32 v13, 0x38000000, v5
.LBB4_14218:                            ;   in Loop: Header=BB4_12924 Depth=3
	s_and_not1_saveexec_b32 s75, s13
; %bb.14219:                            ;   in Loop: Header=BB4_12924 Depth=3
	v_and_b32_e32 v5, 0x80, v61
	v_cmp_eq_u32_e32 vcc_lo, 0, v16
	s_delay_alu instid0(VALU_DEP_2) | instskip(NEXT) | instid1(VALU_DEP_1)
	v_cmp_eq_u32_e64 s13, 0, v5
	v_cndmask_b32_e64 v5, 0xff800000, v48, s13
	s_delay_alu instid0(VALU_DEP_1)
	v_cndmask_b32_e32 v13, 0x7f800001, v5, vcc_lo
; %bb.14220:                            ;   in Loop: Header=BB4_12924 Depth=3
	s_or_b32 exec_lo, exec_lo, s75
.LBB4_14221:                            ;   in Loop: Header=BB4_12924 Depth=3
	s_delay_alu instid0(SALU_CYCLE_1)
	s_or_b32 exec_lo, exec_lo, s74
.LBB4_14222:                            ;   in Loop: Header=BB4_12924 Depth=3
	s_delay_alu instid0(SALU_CYCLE_1) | instskip(SKIP_2) | instid1(VALU_DEP_1)
	s_or_b32 exec_lo, exec_lo, s73
	v_and_b32_e32 v5, 0xff, v14
	s_mov_b32 s73, exec_lo
	v_cmpx_ne_u16_e32 0, v5
	s_cbranch_execz .LBB4_14232
; %bb.14223:                            ;   in Loop: Header=BB4_12924 Depth=3
	v_bfe_i32 v16, v14, 0, 8
	v_bfrev_b32_e32 v12, 1
	s_mov_b32 s74, exec_lo
	s_delay_alu instid0(VALU_DEP_2)
	v_cmpx_ne_u16_e32 0xff80, v16
	s_cbranch_execz .LBB4_14231
; %bb.14224:                            ;   in Loop: Header=BB4_12924 Depth=3
	v_and_b32_e32 v12, 0x7c, v14
	v_and_b32_e32 v5, 3, v14
	s_delay_alu instid0(VALU_DEP_2) | instskip(SKIP_1) | instid1(SALU_CYCLE_1)
	v_cmp_ne_u32_e32 vcc_lo, 0x7c, v12
                                        ; implicit-def: $vgpr12
	s_and_saveexec_b32 s13, vcc_lo
	s_xor_b32 s13, exec_lo, s13
	s_cbranch_execz .LBB4_14228
; %bb.14225:                            ;   in Loop: Header=BB4_12924 Depth=3
	v_bfe_u32 v12, v14, 2, 5
	s_mov_b32 s75, exec_lo
	s_delay_alu instid0(VALU_DEP_1)
	v_cmpx_eq_u32_e32 0, v12
; %bb.14226:                            ;   in Loop: Header=BB4_12924 Depth=3
	v_clz_i32_u32_e32 v5, v5
	s_delay_alu instid0(VALU_DEP_1) | instskip(NEXT) | instid1(VALU_DEP_1)
	v_min_u32_e32 v5, 32, v5
	v_subrev_nc_u32_e32 v12, 29, v5
	s_delay_alu instid0(VALU_DEP_1) | instskip(NEXT) | instid1(VALU_DEP_1)
	v_lshlrev_b64_e32 v[16:17], v12, v[14:15]
	v_dual_sub_nc_u32 v12, 30, v5 :: v_dual_bitop2_b32 v5, 3, v16 bitop3:0x40
; %bb.14227:                            ;   in Loop: Header=BB4_12924 Depth=3
	s_or_b32 exec_lo, exec_lo, s75
	v_lshlrev_b32_e32 v16, 24, v14
	s_delay_alu instid0(VALU_DEP_1) | instskip(NEXT) | instid1(VALU_DEP_1)
	v_and_b32_e32 v16, 0x80000000, v16
	v_lshl_add_u32 v12, v12, 23, v16
                                        ; implicit-def: $vgpr16
	s_delay_alu instid0(VALU_DEP_1) | instskip(NEXT) | instid1(VALU_DEP_1)
	v_lshl_or_b32 v5, v5, 21, v12
	v_add_nc_u32_e32 v12, 0x38000000, v5
                                        ; implicit-def: $vgpr5
.LBB4_14228:                            ;   in Loop: Header=BB4_12924 Depth=3
	s_and_not1_saveexec_b32 s75, s13
; %bb.14229:                            ;   in Loop: Header=BB4_12924 Depth=3
	v_cmp_lt_i16_e64 s13, -1, v16
	v_cmp_eq_u32_e32 vcc_lo, 0, v5
	s_delay_alu instid0(VALU_DEP_2) | instskip(NEXT) | instid1(VALU_DEP_1)
	v_cndmask_b32_e64 v5, 0xff800000, v48, s13
	v_cndmask_b32_e32 v12, 0x7f800001, v5, vcc_lo
; %bb.14230:                            ;   in Loop: Header=BB4_12924 Depth=3
	s_or_b32 exec_lo, exec_lo, s75
.LBB4_14231:                            ;   in Loop: Header=BB4_12924 Depth=3
	s_delay_alu instid0(SALU_CYCLE_1)
	s_or_b32 exec_lo, exec_lo, s74
.LBB4_14232:                            ;   in Loop: Header=BB4_12924 Depth=3
	s_delay_alu instid0(SALU_CYCLE_1) | instskip(NEXT) | instid1(VALU_DEP_1)
	s_or_b32 exec_lo, exec_lo, s73
	v_dual_add_f32 v16, v13, v12 :: v_dual_mov_b32 v87, v3
	v_mov_b32_e32 v13, v3
                                        ; implicit-def: $vgpr61
	s_mov_b32 s13, exec_lo
	s_delay_alu instid0(VALU_DEP_2) | instskip(SKIP_2) | instid1(VALU_DEP_3)
	v_and_b32_e32 v86, 0x7f800000, v16
	v_and_b32_e32 v12, 0x7fffff, v16
	v_lshrrev_b32_e32 v5, 24, v16
	v_cmpx_ne_u64_e32 0x7f800000, v[86:87]
	s_xor_b32 s73, exec_lo, s13
	s_cbranch_execz .LBB4_14246
; %bb.14233:                            ;   in Loop: Header=BB4_12924 Depth=3
	v_and_b32_e32 v86, 0x7fffffff, v16
	v_mov_b32_e32 v87, v3
	v_and_b32_e32 v5, 0x80, v5
                                        ; implicit-def: $vgpr61
	s_mov_b32 s13, exec_lo
	s_delay_alu instid0(VALU_DEP_2)
	v_cmpx_gt_u64_e32 0x47600001, v[86:87]
	s_xor_b32 s74, exec_lo, s13
	s_cbranch_execz .LBB4_14243
; %bb.14234:                            ;   in Loop: Header=BB4_12924 Depth=3
	v_mov_b32_e32 v61, 0
	s_mov_b32 s75, exec_lo
	v_cmpx_ne_u32_e32 0, v16
	s_cbranch_execz .LBB4_14242
; %bb.14235:                            ;   in Loop: Header=BB4_12924 Depth=3
	v_bfe_u32 v61, v16, 23, 8
	v_or_b32_e32 v17, 0x800000, v12
	s_delay_alu instid0(VALU_DEP_2) | instskip(SKIP_2) | instid1(VALU_DEP_2)
	v_cmp_gt_u32_e64 s13, 0x72, v61
	v_sub_nc_u32_e32 v16, 0x71, v61
	v_cmp_eq_u32_e32 vcc_lo, 0, v61
	v_cndmask_b32_e64 v16, 0, v16, s13
	s_delay_alu instid0(VALU_DEP_1) | instskip(NEXT) | instid1(VALU_DEP_1)
	v_cndmask_b32_e64 v86, v16, 0x70, vcc_lo
	v_dual_cndmask_b32 v12, v17, v12, vcc_lo :: v_dual_add_nc_u32 v16, 21, v86
	v_add_nc_u32_e32 v87, 20, v86
	s_delay_alu instid0(VALU_DEP_2) | instskip(NEXT) | instid1(VALU_DEP_2)
	v_lshlrev_b64_e64 v[16:17], v16, -1
	v_lshlrev_b64_e64 v[96:97], v87, 1
	s_delay_alu instid0(VALU_DEP_2) | instskip(SKIP_1) | instid1(VALU_DEP_4)
	v_bfi_b32 v16, v16, 0, v12
	v_lshrrev_b64 v[12:13], v86, v[12:13]
	v_bfi_b32 v17, v17, 0, 0
	s_delay_alu instid0(VALU_DEP_1) | instskip(NEXT) | instid1(VALU_DEP_3)
	v_cmp_eq_u64_e64 s13, v[16:17], v[96:97]
	v_mov_b64_e32 v[16:17], v[12:13]
	s_and_saveexec_b32 s76, s13
; %bb.14236:                            ;   in Loop: Header=BB4_12924 Depth=3
	v_bfe_u32 v16, v12, 21, 1
	v_mov_b32_e32 v17, v3
	s_delay_alu instid0(VALU_DEP_1) | instskip(NEXT) | instid1(VALU_DEP_1)
	v_add_nc_u64_e32 v[16:17], v[12:13], v[16:17]
	v_add_nc_u64_e32 v[16:17], -1, v[16:17]
; %bb.14237:                            ;   in Loop: Header=BB4_12924 Depth=3
	s_or_b32 exec_lo, exec_lo, s76
	v_add_nc_u32_e32 v13, 0xffffff81, v61
	v_lshrrev_b32_e32 v17, 23, v12
	s_mov_b32 s13, exec_lo
	s_delay_alu instid0(VALU_DEP_2) | instskip(NEXT) | instid1(VALU_DEP_1)
	v_cndmask_b32_e64 v13, v13, 0xffffff82, vcc_lo
	v_add3_u32 v86, v86, v13, v17
	v_and_b32_e32 v13, 0x1fffff, v16
                                        ; implicit-def: $vgpr16
	s_delay_alu instid0(VALU_DEP_1) | instskip(SKIP_1) | instid1(VALU_DEP_2)
	v_dual_add_nc_u32 v17, 14, v86 :: v_dual_add_nc_u32 v12, v13, v12
	v_mov_b32_e32 v13, v3
	v_cmpx_ne_u32_e32 0, v17
	s_xor_b32 s13, exec_lo, s13
; %bb.14238:                            ;   in Loop: Header=BB4_12924 Depth=3
	s_delay_alu instid0(VALU_DEP_2) | instskip(SKIP_1) | instid1(VALU_DEP_1)
	v_cmp_lt_u64_e32 vcc_lo, 0xffffff, v[12:13]
	v_add_nc_u32_e32 v16, 15, v86
	v_cndmask_b32_e32 v16, v17, v16, vcc_lo
	v_cndmask_b32_e64 v17, 0, 1, vcc_lo
	s_delay_alu instid0(VALU_DEP_1)
	v_lshrrev_b64 v[12:13], v17, v[12:13]
; %bb.14239:                            ;   in Loop: Header=BB4_12924 Depth=3
	s_and_not1_saveexec_b32 s13, s13
; %bb.14240:                            ;   in Loop: Header=BB4_12924 Depth=3
	s_delay_alu instid0(VALU_DEP_1)
	v_bfe_u32 v16, v12, 23, 1
; %bb.14241:                            ;   in Loop: Header=BB4_12924 Depth=3
	s_or_b32 exec_lo, exec_lo, s13
	s_delay_alu instid0(VALU_DEP_2) | instskip(NEXT) | instid1(VALU_DEP_2)
	v_lshrrev_b64 v[12:13], 21, v[12:13]
	v_cmp_gt_i32_e32 vcc_lo, 32, v16
	v_min_i32_e32 v17, 31, v16
	v_cmp_eq_u32_e64 s13, 0, v16
	s_delay_alu instid0(VALU_DEP_4) | instskip(NEXT) | instid1(VALU_DEP_3)
	v_cndmask_b32_e32 v13, 0, v13, vcc_lo
	v_dual_cndmask_b32 v12, 3, v12 :: v_dual_lshlrev_b32 v17, 2, v17
	s_delay_alu instid0(VALU_DEP_1) | instskip(NEXT) | instid1(VALU_DEP_2)
	v_and_b32_e32 v17, 0xfc, v17
	v_cmp_eq_u64_e32 vcc_lo, 0, v[12:13]
	s_delay_alu instid0(VALU_DEP_2)
	v_and_or_b32 v12, v12, 3, v17
	s_and_b32 s13, s13, vcc_lo
	s_delay_alu instid0(VALU_DEP_1) | instid1(SALU_CYCLE_1)
	v_cndmask_b32_e64 v12, v12, 0, s13
	s_delay_alu instid0(VALU_DEP_1)
	v_or_b32_e32 v61, v12, v5
.LBB4_14242:                            ;   in Loop: Header=BB4_12924 Depth=3
	s_or_b32 exec_lo, exec_lo, s75
                                        ; implicit-def: $vgpr5
.LBB4_14243:                            ;   in Loop: Header=BB4_12924 Depth=3
	s_and_not1_saveexec_b32 s13, s74
; %bb.14244:                            ;   in Loop: Header=BB4_12924 Depth=3
	v_or_b32_e32 v61, 0x7b, v5
; %bb.14245:                            ;   in Loop: Header=BB4_12924 Depth=3
	s_or_b32 exec_lo, exec_lo, s13
                                        ; implicit-def: $vgpr16
                                        ; implicit-def: $vgpr12_vgpr13
                                        ; implicit-def: $vgpr5
.LBB4_14246:                            ;   in Loop: Header=BB4_12924 Depth=3
	s_and_not1_saveexec_b32 s13, s73
	s_cbranch_execz .LBB4_14252
; %bb.14247:                            ;   in Loop: Header=BB4_12924 Depth=3
	s_mov_b32 s73, exec_lo
                                        ; implicit-def: $vgpr61
	v_cmpx_ne_u64_e32 0, v[12:13]
	s_xor_b32 s73, exec_lo, s73
; %bb.14248:                            ;   in Loop: Header=BB4_12924 Depth=3
	v_or_b32_e32 v61, 0x7f, v5
                                        ; implicit-def: $vgpr16
; %bb.14249:                            ;   in Loop: Header=BB4_12924 Depth=3
	s_and_not1_saveexec_b32 s73, s73
; %bb.14250:                            ;   in Loop: Header=BB4_12924 Depth=3
	v_cmp_lt_i32_e32 vcc_lo, -1, v16
	v_cndmask_b32_e32 v61, 0xfc, v49, vcc_lo
; %bb.14251:                            ;   in Loop: Header=BB4_12924 Depth=3
	s_or_b32 exec_lo, exec_lo, s73
.LBB4_14252:                            ;   in Loop: Header=BB4_12924 Depth=3
	s_delay_alu instid0(SALU_CYCLE_1) | instskip(SKIP_3) | instid1(VALU_DEP_2)
	s_or_b32 exec_lo, exec_lo, s13
	v_lshrrev_b16 v12, 8, v2
	v_dual_mov_b32 v5, 0 :: v_dual_mov_b32 v16, 0
	s_mov_b32 s73, exec_lo
	v_cmpx_ne_u16_e32 0, v12
	s_cbranch_execz .LBB4_14262
; %bb.14253:                            ;   in Loop: Header=BB4_12924 Depth=3
	v_bfrev_b32_e32 v16, 1
	s_mov_b32 s74, exec_lo
	v_cmpx_ne_u16_e32 0x80, v12
	s_cbranch_execz .LBB4_14261
; %bb.14254:                            ;   in Loop: Header=BB4_12924 Depth=3
	v_and_b32_e32 v17, 0xffff, v12
	s_delay_alu instid0(VALU_DEP_1) | instskip(SKIP_1) | instid1(VALU_DEP_2)
	v_and_b32_e32 v16, 0x7c, v17
	v_and_b32_e32 v13, 3, v17
	v_cmp_ne_u32_e32 vcc_lo, 0x7c, v16
                                        ; implicit-def: $vgpr16
	s_and_saveexec_b32 s13, vcc_lo
	s_delay_alu instid0(SALU_CYCLE_1)
	s_xor_b32 s13, exec_lo, s13
	s_cbranch_execz .LBB4_14258
; %bb.14255:                            ;   in Loop: Header=BB4_12924 Depth=3
	v_bfe_u32 v16, v17, 2, 5
	s_mov_b32 s75, exec_lo
	s_delay_alu instid0(VALU_DEP_1)
	v_cmpx_eq_u32_e32 0, v16
	s_cbranch_execz .LBB4_14257
; %bb.14256:                            ;   in Loop: Header=BB4_12924 Depth=3
	v_clz_i32_u32_e32 v13, v13
	s_delay_alu instid0(VALU_DEP_1) | instskip(SKIP_1) | instid1(VALU_DEP_2)
	v_min_u32_e32 v16, 32, v13
	v_mov_b32_e32 v13, v3
	v_subrev_nc_u32_e32 v17, 29, v16
	v_sub_nc_u32_e32 v16, 30, v16
	s_delay_alu instid0(VALU_DEP_2) | instskip(NEXT) | instid1(VALU_DEP_1)
	v_lshlrev_b64_e32 v[12:13], v17, v[12:13]
	v_and_b32_e32 v13, 3, v12
.LBB4_14257:                            ;   in Loop: Header=BB4_12924 Depth=3
	s_or_b32 exec_lo, exec_lo, s75
	v_lshlrev_b32_e32 v2, 16, v2
	s_delay_alu instid0(VALU_DEP_1) | instskip(NEXT) | instid1(VALU_DEP_1)
	v_and_b32_e32 v2, 0x80000000, v2
	v_lshl_add_u32 v2, v16, 23, v2
	s_delay_alu instid0(VALU_DEP_1) | instskip(NEXT) | instid1(VALU_DEP_1)
	v_lshl_or_b32 v2, v13, 21, v2
                                        ; implicit-def: $vgpr13
	v_add_nc_u32_e32 v16, 0x38000000, v2
                                        ; implicit-def: $vgpr2
.LBB4_14258:                            ;   in Loop: Header=BB4_12924 Depth=3
	s_and_not1_saveexec_b32 s75, s13
; %bb.14259:                            ;   in Loop: Header=BB4_12924 Depth=3
	v_cmp_lt_i16_e64 s13, -1, v2
	v_cmp_eq_u32_e32 vcc_lo, 0, v13
	s_delay_alu instid0(VALU_DEP_2) | instskip(NEXT) | instid1(VALU_DEP_1)
	v_cndmask_b32_e64 v2, 0xff800000, v48, s13
	v_cndmask_b32_e32 v16, 0x7f800001, v2, vcc_lo
; %bb.14260:                            ;   in Loop: Header=BB4_12924 Depth=3
	s_or_b32 exec_lo, exec_lo, s75
.LBB4_14261:                            ;   in Loop: Header=BB4_12924 Depth=3
	s_delay_alu instid0(SALU_CYCLE_1)
	s_or_b32 exec_lo, exec_lo, s74
.LBB4_14262:                            ;   in Loop: Header=BB4_12924 Depth=3
	s_delay_alu instid0(SALU_CYCLE_1) | instskip(SKIP_2) | instid1(VALU_DEP_1)
	s_or_b32 exec_lo, exec_lo, s73
	v_lshrrev_b16 v12, 8, v14
	s_mov_b32 s73, exec_lo
	v_cmpx_ne_u16_e32 0, v12
	s_cbranch_execz .LBB4_14272
; %bb.14263:                            ;   in Loop: Header=BB4_12924 Depth=3
	v_bfrev_b32_e32 v5, 1
	s_mov_b32 s74, exec_lo
	v_cmpx_ne_u16_e32 0x80, v12
	s_cbranch_execz .LBB4_14271
; %bb.14264:                            ;   in Loop: Header=BB4_12924 Depth=3
	v_and_b32_e32 v13, 0xffff, v12
	s_delay_alu instid0(VALU_DEP_1) | instskip(SKIP_1) | instid1(VALU_DEP_2)
	v_and_b32_e32 v5, 0x7c, v13
	v_and_b32_e32 v2, 3, v13
	v_cmp_ne_u32_e32 vcc_lo, 0x7c, v5
                                        ; implicit-def: $vgpr5
	s_and_saveexec_b32 s13, vcc_lo
	s_delay_alu instid0(SALU_CYCLE_1)
	s_xor_b32 s13, exec_lo, s13
	s_cbranch_execz .LBB4_14268
; %bb.14265:                            ;   in Loop: Header=BB4_12924 Depth=3
	v_bfe_u32 v5, v13, 2, 5
	s_mov_b32 s75, exec_lo
	s_delay_alu instid0(VALU_DEP_1)
	v_cmpx_eq_u32_e32 0, v5
; %bb.14266:                            ;   in Loop: Header=BB4_12924 Depth=3
	v_clz_i32_u32_e32 v2, v2
	s_delay_alu instid0(VALU_DEP_1) | instskip(SKIP_1) | instid1(VALU_DEP_2)
	v_min_u32_e32 v2, 32, v2
	v_mov_b32_e32 v13, v3
	v_subrev_nc_u32_e32 v5, 29, v2
	s_delay_alu instid0(VALU_DEP_1) | instskip(NEXT) | instid1(VALU_DEP_1)
	v_lshlrev_b64_e32 v[12:13], v5, v[12:13]
	v_dual_sub_nc_u32 v5, 30, v2 :: v_dual_bitop2_b32 v2, 3, v12 bitop3:0x40
; %bb.14267:                            ;   in Loop: Header=BB4_12924 Depth=3
	s_or_b32 exec_lo, exec_lo, s75
	v_lshlrev_b32_e32 v12, 16, v14
	s_delay_alu instid0(VALU_DEP_1) | instskip(NEXT) | instid1(VALU_DEP_1)
	v_and_b32_e32 v12, 0x80000000, v12
	v_lshl_add_u32 v5, v5, 23, v12
	s_delay_alu instid0(VALU_DEP_1) | instskip(NEXT) | instid1(VALU_DEP_1)
	v_lshl_or_b32 v2, v2, 21, v5
	v_add_nc_u32_e32 v5, 0x38000000, v2
                                        ; implicit-def: $vgpr2
.LBB4_14268:                            ;   in Loop: Header=BB4_12924 Depth=3
	s_and_not1_saveexec_b32 s75, s13
; %bb.14269:                            ;   in Loop: Header=BB4_12924 Depth=3
	v_cmp_lt_i16_e64 s13, -1, v14
	v_cmp_eq_u32_e32 vcc_lo, 0, v2
	s_delay_alu instid0(VALU_DEP_2) | instskip(NEXT) | instid1(VALU_DEP_1)
	v_cndmask_b32_e64 v2, 0xff800000, v48, s13
	v_cndmask_b32_e32 v5, 0x7f800001, v2, vcc_lo
; %bb.14270:                            ;   in Loop: Header=BB4_12924 Depth=3
	s_or_b32 exec_lo, exec_lo, s75
.LBB4_14271:                            ;   in Loop: Header=BB4_12924 Depth=3
	s_delay_alu instid0(SALU_CYCLE_1)
	s_or_b32 exec_lo, exec_lo, s74
.LBB4_14272:                            ;   in Loop: Header=BB4_12924 Depth=3
	s_delay_alu instid0(SALU_CYCLE_1) | instskip(NEXT) | instid1(VALU_DEP_1)
	s_or_b32 exec_lo, exec_lo, s73
	v_dual_add_f32 v5, v16, v5 :: v_dual_mov_b32 v17, v3
	v_mov_b32_e32 v13, v3
                                        ; implicit-def: $vgpr63
	s_mov_b32 s13, exec_lo
	s_delay_alu instid0(VALU_DEP_2) | instskip(SKIP_2) | instid1(VALU_DEP_3)
	v_and_b32_e32 v16, 0x7f800000, v5
	v_and_b32_e32 v12, 0x7fffff, v5
	v_lshrrev_b32_e32 v2, 24, v5
	v_cmpx_ne_u64_e32 0x7f800000, v[16:17]
	s_xor_b32 s73, exec_lo, s13
	s_cbranch_execz .LBB4_14286
; %bb.14273:                            ;   in Loop: Header=BB4_12924 Depth=3
	v_and_b32_e32 v16, 0x7fffffff, v5
	v_mov_b32_e32 v17, v3
	v_and_b32_e32 v2, 0x80, v2
                                        ; implicit-def: $vgpr63
	s_mov_b32 s13, exec_lo
	s_delay_alu instid0(VALU_DEP_2)
	v_cmpx_gt_u64_e32 0x47600001, v[16:17]
	s_xor_b32 s74, exec_lo, s13
	s_cbranch_execz .LBB4_14283
; %bb.14274:                            ;   in Loop: Header=BB4_12924 Depth=3
	v_mov_b32_e32 v63, 0
	s_mov_b32 s75, exec_lo
	v_cmpx_ne_u32_e32 0, v5
	s_cbranch_execz .LBB4_14282
; %bb.14275:                            ;   in Loop: Header=BB4_12924 Depth=3
	v_bfe_u32 v5, v5, 23, 8
	v_or_b32_e32 v17, 0x800000, v12
	s_delay_alu instid0(VALU_DEP_2) | instskip(SKIP_2) | instid1(VALU_DEP_2)
	v_cmp_gt_u32_e64 s13, 0x72, v5
	v_sub_nc_u32_e32 v16, 0x71, v5
	v_cmp_eq_u32_e32 vcc_lo, 0, v5
	v_cndmask_b32_e64 v16, 0, v16, s13
	s_delay_alu instid0(VALU_DEP_1) | instskip(NEXT) | instid1(VALU_DEP_1)
	v_cndmask_b32_e64 v86, v16, 0x70, vcc_lo
	v_dual_cndmask_b32 v12, v17, v12, vcc_lo :: v_dual_add_nc_u32 v16, 21, v86
	v_add_nc_u32_e32 v87, 20, v86
	s_delay_alu instid0(VALU_DEP_2) | instskip(NEXT) | instid1(VALU_DEP_2)
	v_lshlrev_b64_e64 v[16:17], v16, -1
	v_lshlrev_b64_e64 v[96:97], v87, 1
	s_delay_alu instid0(VALU_DEP_2) | instskip(SKIP_1) | instid1(VALU_DEP_4)
	v_bfi_b32 v16, v16, 0, v12
	v_lshrrev_b64 v[12:13], v86, v[12:13]
	v_bfi_b32 v17, v17, 0, 0
	s_delay_alu instid0(VALU_DEP_1) | instskip(NEXT) | instid1(VALU_DEP_3)
	v_cmp_eq_u64_e64 s13, v[16:17], v[96:97]
	v_mov_b64_e32 v[16:17], v[12:13]
	s_and_saveexec_b32 s76, s13
; %bb.14276:                            ;   in Loop: Header=BB4_12924 Depth=3
	v_bfe_u32 v16, v12, 21, 1
	v_mov_b32_e32 v17, v3
	s_delay_alu instid0(VALU_DEP_1) | instskip(NEXT) | instid1(VALU_DEP_1)
	v_add_nc_u64_e32 v[16:17], v[12:13], v[16:17]
	v_add_nc_u64_e32 v[16:17], -1, v[16:17]
; %bb.14277:                            ;   in Loop: Header=BB4_12924 Depth=3
	s_or_b32 exec_lo, exec_lo, s76
	v_add_nc_u32_e32 v5, 0xffffff81, v5
	v_lshrrev_b32_e32 v13, 23, v12
	s_mov_b32 s13, exec_lo
	s_delay_alu instid0(VALU_DEP_2) | instskip(NEXT) | instid1(VALU_DEP_1)
	v_cndmask_b32_e64 v5, v5, 0xffffff82, vcc_lo
	v_add3_u32 v17, v86, v5, v13
	v_and_b32_e32 v5, 0x1fffff, v16
	s_delay_alu instid0(VALU_DEP_2) | instskip(NEXT) | instid1(VALU_DEP_2)
	v_dual_mov_b32 v13, v3 :: v_dual_add_nc_u32 v16, 14, v17
	v_add_nc_u32_e32 v12, v5, v12
                                        ; implicit-def: $vgpr5
	s_delay_alu instid0(VALU_DEP_2)
	v_cmpx_ne_u32_e32 0, v16
	s_xor_b32 s13, exec_lo, s13
; %bb.14278:                            ;   in Loop: Header=BB4_12924 Depth=3
	s_delay_alu instid0(VALU_DEP_2) | instskip(SKIP_1) | instid1(VALU_DEP_1)
	v_cmp_lt_u64_e32 vcc_lo, 0xffffff, v[12:13]
	v_add_nc_u32_e32 v5, 15, v17
	v_cndmask_b32_e32 v5, v16, v5, vcc_lo
	v_cndmask_b32_e64 v16, 0, 1, vcc_lo
	s_delay_alu instid0(VALU_DEP_1)
	v_lshrrev_b64 v[12:13], v16, v[12:13]
; %bb.14279:                            ;   in Loop: Header=BB4_12924 Depth=3
	s_and_not1_saveexec_b32 s13, s13
; %bb.14280:                            ;   in Loop: Header=BB4_12924 Depth=3
	s_delay_alu instid0(VALU_DEP_1)
	v_bfe_u32 v5, v12, 23, 1
; %bb.14281:                            ;   in Loop: Header=BB4_12924 Depth=3
	s_or_b32 exec_lo, exec_lo, s13
	s_delay_alu instid0(VALU_DEP_2) | instskip(NEXT) | instid1(VALU_DEP_2)
	v_lshrrev_b64 v[12:13], 21, v[12:13]
	v_cmp_gt_i32_e32 vcc_lo, 32, v5
	v_min_i32_e32 v16, 31, v5
	v_cmp_eq_u32_e64 s13, 0, v5
	s_delay_alu instid0(VALU_DEP_4) | instskip(NEXT) | instid1(VALU_DEP_3)
	v_cndmask_b32_e32 v12, 3, v12, vcc_lo
	v_dual_cndmask_b32 v13, 0, v13 :: v_dual_lshlrev_b32 v16, 2, v16
	s_delay_alu instid0(VALU_DEP_1) | instskip(NEXT) | instid1(VALU_DEP_2)
	v_and_b32_e32 v16, 0xfc, v16
	v_cmp_eq_u64_e32 vcc_lo, 0, v[12:13]
	s_delay_alu instid0(VALU_DEP_2)
	v_and_or_b32 v5, v12, 3, v16
	s_and_b32 s13, s13, vcc_lo
	s_delay_alu instid0(VALU_DEP_1) | instid1(SALU_CYCLE_1)
	v_cndmask_b32_e64 v5, v5, 0, s13
	s_delay_alu instid0(VALU_DEP_1)
	v_or_b32_e32 v63, v5, v2
.LBB4_14282:                            ;   in Loop: Header=BB4_12924 Depth=3
	s_or_b32 exec_lo, exec_lo, s75
                                        ; implicit-def: $vgpr2
.LBB4_14283:                            ;   in Loop: Header=BB4_12924 Depth=3
	s_and_not1_saveexec_b32 s13, s74
; %bb.14284:                            ;   in Loop: Header=BB4_12924 Depth=3
	v_or_b32_e32 v63, 0x7b, v2
; %bb.14285:                            ;   in Loop: Header=BB4_12924 Depth=3
	s_or_b32 exec_lo, exec_lo, s13
                                        ; implicit-def: $vgpr5
                                        ; implicit-def: $vgpr12_vgpr13
                                        ; implicit-def: $vgpr2
.LBB4_14286:                            ;   in Loop: Header=BB4_12924 Depth=3
	s_and_not1_saveexec_b32 s13, s73
	s_cbranch_execz .LBB4_14292
; %bb.14287:                            ;   in Loop: Header=BB4_12924 Depth=3
	s_mov_b32 s73, exec_lo
                                        ; implicit-def: $vgpr63
	v_cmpx_ne_u64_e32 0, v[12:13]
	s_xor_b32 s73, exec_lo, s73
; %bb.14288:                            ;   in Loop: Header=BB4_12924 Depth=3
	v_or_b32_e32 v63, 0x7f, v2
                                        ; implicit-def: $vgpr5
; %bb.14289:                            ;   in Loop: Header=BB4_12924 Depth=3
	s_and_not1_saveexec_b32 s73, s73
; %bb.14290:                            ;   in Loop: Header=BB4_12924 Depth=3
	v_cmp_lt_i32_e32 vcc_lo, -1, v5
	v_cndmask_b32_e32 v63, 0xfc, v49, vcc_lo
; %bb.14291:                            ;   in Loop: Header=BB4_12924 Depth=3
	s_or_b32 exec_lo, exec_lo, s73
.LBB4_14292:                            ;   in Loop: Header=BB4_12924 Depth=3
	s_delay_alu instid0(SALU_CYCLE_1) | instskip(SKIP_3) | instid1(VALU_DEP_2)
	s_or_b32 exec_lo, exec_lo, s13
	v_dual_mov_b32 v5, 0 :: v_dual_lshrrev_b32 v2, 16, v4
	v_mov_b32_e32 v12, 0
	s_mov_b32 s73, exec_lo
	v_and_b32_e32 v13, 0xff, v2
	s_delay_alu instid0(VALU_DEP_1)
	v_cmpx_ne_u16_e32 0, v13
	s_cbranch_execz .LBB4_14302
; %bb.14293:                            ;   in Loop: Header=BB4_12924 Depth=3
	v_bfrev_b32_e32 v12, 1
	s_mov_b32 s74, exec_lo
	v_cmpx_ne_u16_e32 0x80, v13
	s_cbranch_execz .LBB4_14301
; %bb.14294:                            ;   in Loop: Header=BB4_12924 Depth=3
	v_and_b32_e32 v12, 0x7c0000, v4
	v_bfe_u32 v13, v4, 16, 2
	s_delay_alu instid0(VALU_DEP_2) | instskip(SKIP_1) | instid1(SALU_CYCLE_1)
	v_cmp_ne_u32_e32 vcc_lo, 0x7c0000, v12
                                        ; implicit-def: $vgpr12
	s_and_saveexec_b32 s13, vcc_lo
	s_xor_b32 s13, exec_lo, s13
	s_cbranch_execz .LBB4_14298
; %bb.14295:                            ;   in Loop: Header=BB4_12924 Depth=3
	v_bfe_u32 v12, v4, 18, 5
	s_mov_b32 s75, exec_lo
	s_delay_alu instid0(VALU_DEP_1)
	v_cmpx_eq_u32_e32 0, v12
; %bb.14296:                            ;   in Loop: Header=BB4_12924 Depth=3
	v_clz_i32_u32_e32 v12, v13
	s_delay_alu instid0(VALU_DEP_1) | instskip(NEXT) | instid1(VALU_DEP_1)
	v_min_u32_e32 v12, 32, v12
	v_subrev_nc_u32_e32 v13, 29, v12
	v_sub_nc_u32_e32 v12, 30, v12
	s_delay_alu instid0(VALU_DEP_2) | instskip(NEXT) | instid1(VALU_DEP_1)
	v_lshlrev_b64_e32 v[16:17], v13, v[2:3]
	v_and_b32_e32 v13, 3, v16
; %bb.14297:                            ;   in Loop: Header=BB4_12924 Depth=3
	s_or_b32 exec_lo, exec_lo, s75
	v_lshlrev_b32_e32 v2, 24, v2
	s_delay_alu instid0(VALU_DEP_1) | instskip(NEXT) | instid1(VALU_DEP_1)
	v_and_b32_e32 v2, 0x80000000, v2
	v_lshl_add_u32 v2, v12, 23, v2
	s_delay_alu instid0(VALU_DEP_1) | instskip(NEXT) | instid1(VALU_DEP_1)
	v_lshl_or_b32 v2, v13, 21, v2
                                        ; implicit-def: $vgpr13
	v_add_nc_u32_e32 v12, 0x38000000, v2
                                        ; implicit-def: $vgpr2
.LBB4_14298:                            ;   in Loop: Header=BB4_12924 Depth=3
	s_and_not1_saveexec_b32 s75, s13
; %bb.14299:                            ;   in Loop: Header=BB4_12924 Depth=3
	v_bfe_i32 v2, v2, 0, 8
	v_cmp_eq_u32_e32 vcc_lo, 0, v13
	s_delay_alu instid0(VALU_DEP_2) | instskip(NEXT) | instid1(VALU_DEP_1)
	v_cmp_lt_i16_e64 s13, -1, v2
	v_cndmask_b32_e64 v2, 0xff800000, v48, s13
	s_delay_alu instid0(VALU_DEP_1)
	v_cndmask_b32_e32 v12, 0x7f800001, v2, vcc_lo
; %bb.14300:                            ;   in Loop: Header=BB4_12924 Depth=3
	s_or_b32 exec_lo, exec_lo, s75
.LBB4_14301:                            ;   in Loop: Header=BB4_12924 Depth=3
	s_delay_alu instid0(SALU_CYCLE_1)
	s_or_b32 exec_lo, exec_lo, s74
.LBB4_14302:                            ;   in Loop: Header=BB4_12924 Depth=3
	s_delay_alu instid0(SALU_CYCLE_1) | instskip(SKIP_2) | instid1(VALU_DEP_1)
	s_or_b32 exec_lo, exec_lo, s73
	v_lshrrev_b32_e32 v2, 16, v14
	s_mov_b32 s73, exec_lo
	v_and_b32_e32 v13, 0xff, v2
	s_delay_alu instid0(VALU_DEP_1)
	v_cmpx_ne_u16_e32 0, v13
	s_cbranch_execz .LBB4_14312
; %bb.14303:                            ;   in Loop: Header=BB4_12924 Depth=3
	v_bfrev_b32_e32 v5, 1
	s_mov_b32 s74, exec_lo
	v_cmpx_ne_u16_e32 0x80, v13
	s_cbranch_execz .LBB4_14311
; %bb.14304:                            ;   in Loop: Header=BB4_12924 Depth=3
	v_and_b32_e32 v5, 0x7c0000, v14
	v_bfe_u32 v13, v14, 16, 2
	s_delay_alu instid0(VALU_DEP_2) | instskip(SKIP_1) | instid1(SALU_CYCLE_1)
	v_cmp_ne_u32_e32 vcc_lo, 0x7c0000, v5
                                        ; implicit-def: $vgpr5
	s_and_saveexec_b32 s13, vcc_lo
	s_xor_b32 s13, exec_lo, s13
	s_cbranch_execz .LBB4_14308
; %bb.14305:                            ;   in Loop: Header=BB4_12924 Depth=3
	v_bfe_u32 v5, v14, 18, 5
	s_mov_b32 s75, exec_lo
	s_delay_alu instid0(VALU_DEP_1)
	v_cmpx_eq_u32_e32 0, v5
; %bb.14306:                            ;   in Loop: Header=BB4_12924 Depth=3
	v_clz_i32_u32_e32 v5, v13
	s_delay_alu instid0(VALU_DEP_1) | instskip(NEXT) | instid1(VALU_DEP_1)
	v_min_u32_e32 v5, 32, v5
	v_subrev_nc_u32_e32 v13, 29, v5
	s_delay_alu instid0(VALU_DEP_1) | instskip(NEXT) | instid1(VALU_DEP_1)
	v_lshlrev_b64_e32 v[16:17], v13, v[2:3]
	v_dual_sub_nc_u32 v5, 30, v5 :: v_dual_bitop2_b32 v13, 3, v16 bitop3:0x40
; %bb.14307:                            ;   in Loop: Header=BB4_12924 Depth=3
	s_or_b32 exec_lo, exec_lo, s75
	v_lshlrev_b32_e32 v2, 24, v2
	s_delay_alu instid0(VALU_DEP_1) | instskip(NEXT) | instid1(VALU_DEP_1)
	v_and_b32_e32 v2, 0x80000000, v2
	v_lshl_add_u32 v2, v5, 23, v2
	s_delay_alu instid0(VALU_DEP_1) | instskip(NEXT) | instid1(VALU_DEP_1)
	v_lshl_or_b32 v2, v13, 21, v2
                                        ; implicit-def: $vgpr13
	v_add_nc_u32_e32 v5, 0x38000000, v2
                                        ; implicit-def: $vgpr2
.LBB4_14308:                            ;   in Loop: Header=BB4_12924 Depth=3
	s_and_not1_saveexec_b32 s75, s13
; %bb.14309:                            ;   in Loop: Header=BB4_12924 Depth=3
	v_bfe_i32 v2, v2, 0, 8
	v_cmp_eq_u32_e32 vcc_lo, 0, v13
	s_delay_alu instid0(VALU_DEP_2) | instskip(NEXT) | instid1(VALU_DEP_1)
	v_cmp_lt_i16_e64 s13, -1, v2
	v_cndmask_b32_e64 v2, 0xff800000, v48, s13
	s_delay_alu instid0(VALU_DEP_1)
	v_cndmask_b32_e32 v5, 0x7f800001, v2, vcc_lo
; %bb.14310:                            ;   in Loop: Header=BB4_12924 Depth=3
	s_or_b32 exec_lo, exec_lo, s75
.LBB4_14311:                            ;   in Loop: Header=BB4_12924 Depth=3
	s_delay_alu instid0(SALU_CYCLE_1)
	s_or_b32 exec_lo, exec_lo, s74
.LBB4_14312:                            ;   in Loop: Header=BB4_12924 Depth=3
	s_delay_alu instid0(SALU_CYCLE_1) | instskip(NEXT) | instid1(VALU_DEP_1)
	s_or_b32 exec_lo, exec_lo, s73
	v_dual_add_f32 v5, v12, v5 :: v_dual_mov_b32 v17, v3
	v_mov_b32_e32 v13, v3
                                        ; implicit-def: $vgpr73
	s_mov_b32 s13, exec_lo
	s_delay_alu instid0(VALU_DEP_2) | instskip(SKIP_2) | instid1(VALU_DEP_3)
	v_and_b32_e32 v16, 0x7f800000, v5
	v_and_b32_e32 v12, 0x7fffff, v5
	v_lshrrev_b32_e32 v2, 24, v5
	v_cmpx_ne_u64_e32 0x7f800000, v[16:17]
	s_xor_b32 s73, exec_lo, s13
	s_cbranch_execz .LBB4_14326
; %bb.14313:                            ;   in Loop: Header=BB4_12924 Depth=3
	v_and_b32_e32 v16, 0x7fffffff, v5
	v_mov_b32_e32 v17, v3
	v_and_b32_e32 v2, 0x80, v2
                                        ; implicit-def: $vgpr73
	s_mov_b32 s13, exec_lo
	s_delay_alu instid0(VALU_DEP_2)
	v_cmpx_gt_u64_e32 0x47600001, v[16:17]
	s_xor_b32 s74, exec_lo, s13
	s_cbranch_execz .LBB4_14323
; %bb.14314:                            ;   in Loop: Header=BB4_12924 Depth=3
	v_mov_b32_e32 v73, 0
	s_mov_b32 s75, exec_lo
	v_cmpx_ne_u32_e32 0, v5
	s_cbranch_execz .LBB4_14322
; %bb.14315:                            ;   in Loop: Header=BB4_12924 Depth=3
	v_bfe_u32 v5, v5, 23, 8
	v_or_b32_e32 v17, 0x800000, v12
	s_delay_alu instid0(VALU_DEP_2) | instskip(SKIP_2) | instid1(VALU_DEP_2)
	v_cmp_gt_u32_e64 s13, 0x72, v5
	v_sub_nc_u32_e32 v16, 0x71, v5
	v_cmp_eq_u32_e32 vcc_lo, 0, v5
	v_cndmask_b32_e64 v16, 0, v16, s13
	s_delay_alu instid0(VALU_DEP_1) | instskip(NEXT) | instid1(VALU_DEP_1)
	v_cndmask_b32_e64 v86, v16, 0x70, vcc_lo
	v_dual_cndmask_b32 v12, v17, v12, vcc_lo :: v_dual_add_nc_u32 v16, 21, v86
	v_add_nc_u32_e32 v87, 20, v86
	s_delay_alu instid0(VALU_DEP_2) | instskip(NEXT) | instid1(VALU_DEP_2)
	v_lshlrev_b64_e64 v[16:17], v16, -1
	v_lshlrev_b64_e64 v[96:97], v87, 1
	s_delay_alu instid0(VALU_DEP_2) | instskip(SKIP_1) | instid1(VALU_DEP_4)
	v_bfi_b32 v16, v16, 0, v12
	v_lshrrev_b64 v[12:13], v86, v[12:13]
	v_bfi_b32 v17, v17, 0, 0
	s_delay_alu instid0(VALU_DEP_1) | instskip(NEXT) | instid1(VALU_DEP_3)
	v_cmp_eq_u64_e64 s13, v[16:17], v[96:97]
	v_mov_b64_e32 v[16:17], v[12:13]
	s_and_saveexec_b32 s76, s13
; %bb.14316:                            ;   in Loop: Header=BB4_12924 Depth=3
	v_bfe_u32 v16, v12, 21, 1
	v_mov_b32_e32 v17, v3
	s_delay_alu instid0(VALU_DEP_1) | instskip(NEXT) | instid1(VALU_DEP_1)
	v_add_nc_u64_e32 v[16:17], v[12:13], v[16:17]
	v_add_nc_u64_e32 v[16:17], -1, v[16:17]
; %bb.14317:                            ;   in Loop: Header=BB4_12924 Depth=3
	s_or_b32 exec_lo, exec_lo, s76
	v_add_nc_u32_e32 v5, 0xffffff81, v5
	v_lshrrev_b32_e32 v13, 23, v12
	s_mov_b32 s13, exec_lo
	s_delay_alu instid0(VALU_DEP_2) | instskip(NEXT) | instid1(VALU_DEP_1)
	v_cndmask_b32_e64 v5, v5, 0xffffff82, vcc_lo
	v_add3_u32 v17, v86, v5, v13
	v_and_b32_e32 v5, 0x1fffff, v16
	s_delay_alu instid0(VALU_DEP_2) | instskip(NEXT) | instid1(VALU_DEP_2)
	v_dual_mov_b32 v13, v3 :: v_dual_add_nc_u32 v16, 14, v17
	v_add_nc_u32_e32 v12, v5, v12
                                        ; implicit-def: $vgpr5
	s_delay_alu instid0(VALU_DEP_2)
	v_cmpx_ne_u32_e32 0, v16
	s_xor_b32 s13, exec_lo, s13
; %bb.14318:                            ;   in Loop: Header=BB4_12924 Depth=3
	s_delay_alu instid0(VALU_DEP_2) | instskip(SKIP_1) | instid1(VALU_DEP_1)
	v_cmp_lt_u64_e32 vcc_lo, 0xffffff, v[12:13]
	v_add_nc_u32_e32 v5, 15, v17
	v_cndmask_b32_e32 v5, v16, v5, vcc_lo
	v_cndmask_b32_e64 v16, 0, 1, vcc_lo
	s_delay_alu instid0(VALU_DEP_1)
	v_lshrrev_b64 v[12:13], v16, v[12:13]
; %bb.14319:                            ;   in Loop: Header=BB4_12924 Depth=3
	s_and_not1_saveexec_b32 s13, s13
; %bb.14320:                            ;   in Loop: Header=BB4_12924 Depth=3
	s_delay_alu instid0(VALU_DEP_1)
	v_bfe_u32 v5, v12, 23, 1
; %bb.14321:                            ;   in Loop: Header=BB4_12924 Depth=3
	s_or_b32 exec_lo, exec_lo, s13
	s_delay_alu instid0(VALU_DEP_2) | instskip(NEXT) | instid1(VALU_DEP_2)
	v_lshrrev_b64 v[12:13], 21, v[12:13]
	v_cmp_gt_i32_e32 vcc_lo, 32, v5
	v_min_i32_e32 v16, 31, v5
	v_cmp_eq_u32_e64 s13, 0, v5
	s_delay_alu instid0(VALU_DEP_4) | instskip(NEXT) | instid1(VALU_DEP_3)
	v_cndmask_b32_e32 v12, 3, v12, vcc_lo
	v_dual_cndmask_b32 v13, 0, v13 :: v_dual_lshlrev_b32 v16, 2, v16
	s_delay_alu instid0(VALU_DEP_1) | instskip(NEXT) | instid1(VALU_DEP_2)
	v_and_b32_e32 v16, 0xfc, v16
	v_cmp_eq_u64_e32 vcc_lo, 0, v[12:13]
	s_delay_alu instid0(VALU_DEP_2)
	v_and_or_b32 v5, v12, 3, v16
	s_and_b32 s13, s13, vcc_lo
	s_delay_alu instid0(VALU_DEP_1) | instid1(SALU_CYCLE_1)
	v_cndmask_b32_e64 v5, v5, 0, s13
	s_delay_alu instid0(VALU_DEP_1)
	v_or_b32_e32 v73, v5, v2
.LBB4_14322:                            ;   in Loop: Header=BB4_12924 Depth=3
	s_or_b32 exec_lo, exec_lo, s75
                                        ; implicit-def: $vgpr2
.LBB4_14323:                            ;   in Loop: Header=BB4_12924 Depth=3
	s_and_not1_saveexec_b32 s13, s74
; %bb.14324:                            ;   in Loop: Header=BB4_12924 Depth=3
	v_or_b32_e32 v73, 0x7b, v2
; %bb.14325:                            ;   in Loop: Header=BB4_12924 Depth=3
	s_or_b32 exec_lo, exec_lo, s13
                                        ; implicit-def: $vgpr5
                                        ; implicit-def: $vgpr12_vgpr13
                                        ; implicit-def: $vgpr2
.LBB4_14326:                            ;   in Loop: Header=BB4_12924 Depth=3
	s_and_not1_saveexec_b32 s13, s73
	s_cbranch_execz .LBB4_14332
; %bb.14327:                            ;   in Loop: Header=BB4_12924 Depth=3
	s_mov_b32 s73, exec_lo
                                        ; implicit-def: $vgpr73
	v_cmpx_ne_u64_e32 0, v[12:13]
	s_xor_b32 s73, exec_lo, s73
; %bb.14328:                            ;   in Loop: Header=BB4_12924 Depth=3
	v_or_b32_e32 v73, 0x7f, v2
                                        ; implicit-def: $vgpr5
; %bb.14329:                            ;   in Loop: Header=BB4_12924 Depth=3
	s_and_not1_saveexec_b32 s73, s73
; %bb.14330:                            ;   in Loop: Header=BB4_12924 Depth=3
	v_cmp_lt_i32_e32 vcc_lo, -1, v5
	v_cndmask_b32_e32 v73, 0xfc, v49, vcc_lo
; %bb.14331:                            ;   in Loop: Header=BB4_12924 Depth=3
	s_or_b32 exec_lo, exec_lo, s73
.LBB4_14332:                            ;   in Loop: Header=BB4_12924 Depth=3
	s_delay_alu instid0(SALU_CYCLE_1)
	s_or_b32 exec_lo, exec_lo, s13
	v_dual_mov_b32 v12, 0 :: v_dual_mov_b32 v13, 0
	s_mov_b32 s73, exec_lo
	v_cmpx_lt_u32_e32 0xffffff, v4
	s_cbranch_execz .LBB4_14342
; %bb.14333:                            ;   in Loop: Header=BB4_12924 Depth=3
	v_lshrrev_b32_e32 v2, 24, v4
	v_bfrev_b32_e32 v13, 1
	s_mov_b32 s74, exec_lo
	s_delay_alu instid0(VALU_DEP_2)
	v_cmpx_ne_u32_e32 0x80, v2
	s_cbranch_execz .LBB4_14341
; %bb.14334:                            ;   in Loop: Header=BB4_12924 Depth=3
	v_and_b32_e32 v5, 0x7c000000, v4
	v_bfe_u32 v16, v4, 24, 2
	s_mov_b32 s13, exec_lo
                                        ; implicit-def: $vgpr13
	s_delay_alu instid0(VALU_DEP_2)
	v_cmpx_ne_u32_e32 0x7c000000, v5
	s_xor_b32 s13, exec_lo, s13
	s_cbranch_execz .LBB4_14338
; %bb.14335:                            ;   in Loop: Header=BB4_12924 Depth=3
	v_bfe_u32 v5, v4, 26, 5
	s_mov_b32 s75, exec_lo
	s_delay_alu instid0(VALU_DEP_1)
	v_cmpx_eq_u32_e32 0, v5
; %bb.14336:                            ;   in Loop: Header=BB4_12924 Depth=3
	v_clz_i32_u32_e32 v5, v16
	s_delay_alu instid0(VALU_DEP_1) | instskip(NEXT) | instid1(VALU_DEP_1)
	v_min_u32_e32 v5, 32, v5
	v_subrev_nc_u32_e32 v13, 29, v5
	s_delay_alu instid0(VALU_DEP_1) | instskip(NEXT) | instid1(VALU_DEP_1)
	v_lshlrev_b64_e32 v[16:17], v13, v[2:3]
	v_dual_sub_nc_u32 v5, 30, v5 :: v_dual_bitop2_b32 v16, 3, v16 bitop3:0x40
; %bb.14337:                            ;   in Loop: Header=BB4_12924 Depth=3
	s_or_b32 exec_lo, exec_lo, s75
	v_and_b32_e32 v2, 0x80000000, v4
	s_delay_alu instid0(VALU_DEP_1) | instskip(NEXT) | instid1(VALU_DEP_1)
	v_lshl_add_u32 v2, v5, 23, v2
                                        ; implicit-def: $vgpr4_vgpr5
	v_lshl_or_b32 v2, v16, 21, v2
                                        ; implicit-def: $vgpr16
	s_delay_alu instid0(VALU_DEP_1)
	v_add_nc_u32_e32 v13, 0x38000000, v2
.LBB4_14338:                            ;   in Loop: Header=BB4_12924 Depth=3
	s_and_not1_saveexec_b32 s75, s13
; %bb.14339:                            ;   in Loop: Header=BB4_12924 Depth=3
	v_cmp_lt_i32_e64 s13, -1, v4
	v_cmp_eq_u32_e32 vcc_lo, 0, v16
	s_delay_alu instid0(VALU_DEP_2) | instskip(NEXT) | instid1(VALU_DEP_1)
	v_cndmask_b32_e64 v2, 0xff800000, v48, s13
	v_cndmask_b32_e32 v13, 0x7f800001, v2, vcc_lo
; %bb.14340:                            ;   in Loop: Header=BB4_12924 Depth=3
	s_or_b32 exec_lo, exec_lo, s75
.LBB4_14341:                            ;   in Loop: Header=BB4_12924 Depth=3
	s_delay_alu instid0(SALU_CYCLE_1)
	s_or_b32 exec_lo, exec_lo, s74
.LBB4_14342:                            ;   in Loop: Header=BB4_12924 Depth=3
	s_delay_alu instid0(SALU_CYCLE_1) | instskip(NEXT) | instid1(SALU_CYCLE_1)
	s_or_b32 exec_lo, exec_lo, s73
	s_mov_b32 s73, exec_lo
	v_cmpx_lt_u32_e32 0xffffff, v14
	s_cbranch_execz .LBB4_14352
; %bb.14343:                            ;   in Loop: Header=BB4_12924 Depth=3
	v_lshrrev_b32_e32 v2, 24, v14
	v_bfrev_b32_e32 v12, 1
	s_mov_b32 s74, exec_lo
	s_delay_alu instid0(VALU_DEP_2)
	v_cmpx_ne_u32_e32 0x80, v2
	s_cbranch_execz .LBB4_14351
; %bb.14344:                            ;   in Loop: Header=BB4_12924 Depth=3
	v_and_b32_e32 v5, 0x7c000000, v14
	v_bfe_u32 v4, v14, 24, 2
	s_mov_b32 s13, exec_lo
                                        ; implicit-def: $vgpr12
	s_delay_alu instid0(VALU_DEP_2)
	v_cmpx_ne_u32_e32 0x7c000000, v5
	s_xor_b32 s13, exec_lo, s13
	s_cbranch_execz .LBB4_14348
; %bb.14345:                            ;   in Loop: Header=BB4_12924 Depth=3
	v_bfe_u32 v5, v14, 26, 5
	s_mov_b32 s75, exec_lo
	s_delay_alu instid0(VALU_DEP_1)
	v_cmpx_eq_u32_e32 0, v5
; %bb.14346:                            ;   in Loop: Header=BB4_12924 Depth=3
	v_clz_i32_u32_e32 v4, v4
	s_delay_alu instid0(VALU_DEP_1) | instskip(NEXT) | instid1(VALU_DEP_1)
	v_min_u32_e32 v12, 32, v4
	v_subrev_nc_u32_e32 v4, 29, v12
	s_delay_alu instid0(VALU_DEP_1) | instskip(SKIP_1) | instid1(VALU_DEP_2)
	v_lshlrev_b64_e32 v[4:5], v4, v[2:3]
	v_sub_nc_u32_e32 v5, 30, v12
	v_and_b32_e32 v4, 3, v4
; %bb.14347:                            ;   in Loop: Header=BB4_12924 Depth=3
	s_or_b32 exec_lo, exec_lo, s75
	v_and_b32_e32 v2, 0x80000000, v14
	s_delay_alu instid0(VALU_DEP_1) | instskip(NEXT) | instid1(VALU_DEP_1)
	v_lshl_add_u32 v2, v5, 23, v2
	v_lshl_or_b32 v2, v4, 21, v2
                                        ; implicit-def: $vgpr4
	s_delay_alu instid0(VALU_DEP_1)
	v_add_nc_u32_e32 v12, 0x38000000, v2
.LBB4_14348:                            ;   in Loop: Header=BB4_12924 Depth=3
	s_and_not1_saveexec_b32 s75, s13
; %bb.14349:                            ;   in Loop: Header=BB4_12924 Depth=3
	v_cmp_lt_i32_e64 s13, -1, v14
	v_cmp_eq_u32_e32 vcc_lo, 0, v4
	s_delay_alu instid0(VALU_DEP_2) | instskip(NEXT) | instid1(VALU_DEP_1)
	v_cndmask_b32_e64 v2, 0xff800000, v48, s13
	v_cndmask_b32_e32 v12, 0x7f800001, v2, vcc_lo
; %bb.14350:                            ;   in Loop: Header=BB4_12924 Depth=3
	s_or_b32 exec_lo, exec_lo, s75
.LBB4_14351:                            ;   in Loop: Header=BB4_12924 Depth=3
	s_delay_alu instid0(SALU_CYCLE_1)
	s_or_b32 exec_lo, exec_lo, s74
.LBB4_14352:                            ;   in Loop: Header=BB4_12924 Depth=3
	s_delay_alu instid0(SALU_CYCLE_1) | instskip(NEXT) | instid1(VALU_DEP_1)
	s_or_b32 exec_lo, exec_lo, s73
	v_dual_add_f32 v12, v13, v12 :: v_dual_mov_b32 v17, v3
	v_mov_b32_e32 v5, v3
                                        ; implicit-def: $vgpr74
	s_mov_b32 s13, exec_lo
	s_delay_alu instid0(VALU_DEP_2) | instskip(SKIP_2) | instid1(VALU_DEP_3)
	v_and_b32_e32 v16, 0x7f800000, v12
	v_and_b32_e32 v4, 0x7fffff, v12
	v_lshrrev_b32_e32 v2, 24, v12
	v_cmpx_ne_u64_e32 0x7f800000, v[16:17]
	s_xor_b32 s73, exec_lo, s13
	s_cbranch_execz .LBB4_14366
; %bb.14353:                            ;   in Loop: Header=BB4_12924 Depth=3
	v_and_b32_e32 v16, 0x7fffffff, v12
	v_mov_b32_e32 v17, v3
	v_and_b32_e32 v2, 0x80, v2
                                        ; implicit-def: $vgpr74
	s_mov_b32 s13, exec_lo
	s_delay_alu instid0(VALU_DEP_2)
	v_cmpx_gt_u64_e32 0x47600001, v[16:17]
	s_xor_b32 s74, exec_lo, s13
	s_cbranch_execz .LBB4_14363
; %bb.14354:                            ;   in Loop: Header=BB4_12924 Depth=3
	v_mov_b32_e32 v74, 0
	s_mov_b32 s75, exec_lo
	v_cmpx_ne_u32_e32 0, v12
	s_cbranch_execz .LBB4_14362
; %bb.14355:                            ;   in Loop: Header=BB4_12924 Depth=3
	v_bfe_u32 v16, v12, 23, 8
	v_or_b32_e32 v13, 0x800000, v4
	s_delay_alu instid0(VALU_DEP_2) | instskip(SKIP_2) | instid1(VALU_DEP_2)
	v_cmp_gt_u32_e64 s13, 0x72, v16
	v_sub_nc_u32_e32 v12, 0x71, v16
	v_cmp_eq_u32_e32 vcc_lo, 0, v16
	v_cndmask_b32_e64 v12, 0, v12, s13
	s_delay_alu instid0(VALU_DEP_1) | instskip(NEXT) | instid1(VALU_DEP_1)
	v_cndmask_b32_e64 v17, v12, 0x70, vcc_lo
	v_dual_cndmask_b32 v4, v13, v4, vcc_lo :: v_dual_add_nc_u32 v12, 21, v17
	v_add_nc_u32_e32 v86, 20, v17
	s_delay_alu instid0(VALU_DEP_2) | instskip(NEXT) | instid1(VALU_DEP_2)
	v_lshlrev_b64_e64 v[12:13], v12, -1
	v_lshlrev_b64_e64 v[86:87], v86, 1
	s_delay_alu instid0(VALU_DEP_2) | instskip(SKIP_1) | instid1(VALU_DEP_4)
	v_bfi_b32 v12, v12, 0, v4
	v_lshrrev_b64 v[4:5], v17, v[4:5]
	v_bfi_b32 v13, v13, 0, 0
	s_delay_alu instid0(VALU_DEP_1) | instskip(NEXT) | instid1(VALU_DEP_3)
	v_cmp_eq_u64_e64 s13, v[12:13], v[86:87]
	v_mov_b64_e32 v[12:13], v[4:5]
	s_and_saveexec_b32 s76, s13
; %bb.14356:                            ;   in Loop: Header=BB4_12924 Depth=3
	v_bfe_u32 v12, v4, 21, 1
	v_mov_b32_e32 v13, v3
	s_delay_alu instid0(VALU_DEP_1) | instskip(NEXT) | instid1(VALU_DEP_1)
	v_add_nc_u64_e32 v[12:13], v[4:5], v[12:13]
	v_add_nc_u64_e32 v[12:13], -1, v[12:13]
; %bb.14357:                            ;   in Loop: Header=BB4_12924 Depth=3
	s_or_b32 exec_lo, exec_lo, s76
	v_add_nc_u32_e32 v5, 0xffffff81, v16
	v_lshrrev_b32_e32 v13, 23, v4
	s_mov_b32 s13, exec_lo
	s_delay_alu instid0(VALU_DEP_2) | instskip(NEXT) | instid1(VALU_DEP_1)
	v_cndmask_b32_e64 v5, v5, 0xffffff82, vcc_lo
	v_add3_u32 v16, v17, v5, v13
	v_and_b32_e32 v5, 0x1fffff, v12
                                        ; implicit-def: $vgpr12
	s_delay_alu instid0(VALU_DEP_2) | instskip(NEXT) | instid1(VALU_DEP_2)
	v_add_nc_u32_e32 v13, 14, v16
	v_dual_mov_b32 v5, v3 :: v_dual_add_nc_u32 v4, v5, v4
	s_delay_alu instid0(VALU_DEP_2)
	v_cmpx_ne_u32_e32 0, v13
	s_xor_b32 s13, exec_lo, s13
; %bb.14358:                            ;   in Loop: Header=BB4_12924 Depth=3
	s_delay_alu instid0(VALU_DEP_2) | instskip(SKIP_1) | instid1(VALU_DEP_1)
	v_cmp_lt_u64_e32 vcc_lo, 0xffffff, v[4:5]
	v_add_nc_u32_e32 v12, 15, v16
	v_cndmask_b32_e32 v12, v13, v12, vcc_lo
	v_cndmask_b32_e64 v13, 0, 1, vcc_lo
	s_delay_alu instid0(VALU_DEP_1)
	v_lshrrev_b64 v[4:5], v13, v[4:5]
; %bb.14359:                            ;   in Loop: Header=BB4_12924 Depth=3
	s_and_not1_saveexec_b32 s13, s13
; %bb.14360:                            ;   in Loop: Header=BB4_12924 Depth=3
	s_delay_alu instid0(VALU_DEP_1)
	v_bfe_u32 v12, v4, 23, 1
; %bb.14361:                            ;   in Loop: Header=BB4_12924 Depth=3
	s_or_b32 exec_lo, exec_lo, s13
	s_delay_alu instid0(VALU_DEP_2) | instskip(NEXT) | instid1(VALU_DEP_2)
	v_lshrrev_b64 v[4:5], 21, v[4:5]
	v_cmp_gt_i32_e32 vcc_lo, 32, v12
	v_min_i32_e32 v13, 31, v12
	v_cmp_eq_u32_e64 s13, 0, v12
	s_delay_alu instid0(VALU_DEP_4) | instskip(NEXT) | instid1(VALU_DEP_3)
	v_cndmask_b32_e32 v5, 0, v5, vcc_lo
	v_dual_cndmask_b32 v4, 3, v4 :: v_dual_lshlrev_b32 v13, 2, v13
	s_delay_alu instid0(VALU_DEP_1) | instskip(NEXT) | instid1(VALU_DEP_2)
	v_and_b32_e32 v13, 0xfc, v13
	v_cmp_eq_u64_e32 vcc_lo, 0, v[4:5]
	s_delay_alu instid0(VALU_DEP_2)
	v_and_or_b32 v4, v4, 3, v13
	s_and_b32 s13, s13, vcc_lo
	s_delay_alu instid0(VALU_DEP_1) | instid1(SALU_CYCLE_1)
	v_cndmask_b32_e64 v4, v4, 0, s13
	s_delay_alu instid0(VALU_DEP_1)
	v_or_b32_e32 v74, v4, v2
.LBB4_14362:                            ;   in Loop: Header=BB4_12924 Depth=3
	s_or_b32 exec_lo, exec_lo, s75
                                        ; implicit-def: $vgpr2
.LBB4_14363:                            ;   in Loop: Header=BB4_12924 Depth=3
	s_and_not1_saveexec_b32 s13, s74
; %bb.14364:                            ;   in Loop: Header=BB4_12924 Depth=3
	v_or_b32_e32 v74, 0x7b, v2
; %bb.14365:                            ;   in Loop: Header=BB4_12924 Depth=3
	s_or_b32 exec_lo, exec_lo, s13
                                        ; implicit-def: $vgpr12
                                        ; implicit-def: $vgpr4_vgpr5
                                        ; implicit-def: $vgpr2
.LBB4_14366:                            ;   in Loop: Header=BB4_12924 Depth=3
	s_and_not1_saveexec_b32 s13, s73
	s_cbranch_execz .LBB4_14372
; %bb.14367:                            ;   in Loop: Header=BB4_12924 Depth=3
	s_mov_b32 s73, exec_lo
                                        ; implicit-def: $vgpr74
	v_cmpx_ne_u64_e32 0, v[4:5]
	s_xor_b32 s73, exec_lo, s73
; %bb.14368:                            ;   in Loop: Header=BB4_12924 Depth=3
	v_or_b32_e32 v74, 0x7f, v2
                                        ; implicit-def: $vgpr12
; %bb.14369:                            ;   in Loop: Header=BB4_12924 Depth=3
	s_and_not1_saveexec_b32 s73, s73
; %bb.14370:                            ;   in Loop: Header=BB4_12924 Depth=3
	v_cmp_lt_i32_e32 vcc_lo, -1, v12
	v_cndmask_b32_e32 v74, 0xfc, v49, vcc_lo
; %bb.14371:                            ;   in Loop: Header=BB4_12924 Depth=3
	s_or_b32 exec_lo, exec_lo, s73
.LBB4_14372:                            ;   in Loop: Header=BB4_12924 Depth=3
	s_delay_alu instid0(SALU_CYCLE_1) | instskip(SKIP_4) | instid1(VALU_DEP_2)
	s_or_b32 exec_lo, exec_lo, s13
	v_dual_lshlrev_b32 v4, 24, v72 :: v_dual_lshlrev_b32 v12, 16, v62
	v_lshl_or_b32 v2, v59, 8, v56
	v_dual_mov_b32 v5, v3 :: v_dual_mov_b32 v13, 0
	s_mov_b32 s73, exec_lo
	v_or3_b32 v4, v12, v4, v2
	v_mov_b32_e32 v12, 0
	v_cmpx_ne_u32_e32 0, v56
	s_cbranch_execz .LBB4_14382
; %bb.14373:                            ;   in Loop: Header=BB4_12924 Depth=3
	v_bfrev_b32_e32 v12, 1
	s_mov_b32 s74, exec_lo
	v_cmpx_ne_u32_e32 0x80, v56
	s_cbranch_execz .LBB4_14381
; %bb.14374:                            ;   in Loop: Header=BB4_12924 Depth=3
	v_and_b32_e32 v12, 0x7c, v56
	v_and_b32_e32 v16, 3, v56
	s_delay_alu instid0(VALU_DEP_2) | instskip(SKIP_1) | instid1(SALU_CYCLE_1)
	v_cmp_ne_u32_e32 vcc_lo, 0x7c, v12
                                        ; implicit-def: $vgpr12
	s_and_saveexec_b32 s13, vcc_lo
	s_xor_b32 s13, exec_lo, s13
	s_cbranch_execz .LBB4_14378
; %bb.14375:                            ;   in Loop: Header=BB4_12924 Depth=3
	v_bfe_u32 v12, v56, 2, 5
	s_mov_b32 s75, exec_lo
	s_delay_alu instid0(VALU_DEP_1)
	v_cmpx_eq_u32_e32 0, v12
; %bb.14376:                            ;   in Loop: Header=BB4_12924 Depth=3
	v_clz_i32_u32_e32 v12, v16
	s_delay_alu instid0(VALU_DEP_1) | instskip(NEXT) | instid1(VALU_DEP_1)
	v_min_u32_e32 v12, 32, v12
	v_subrev_nc_u32_e32 v16, 29, v12
	v_sub_nc_u32_e32 v12, 30, v12
	s_delay_alu instid0(VALU_DEP_2) | instskip(NEXT) | instid1(VALU_DEP_1)
	v_lshlrev_b64_e32 v[16:17], v16, v[4:5]
	v_and_b32_e32 v16, 3, v16
; %bb.14377:                            ;   in Loop: Header=BB4_12924 Depth=3
	s_or_b32 exec_lo, exec_lo, s75
	v_lshlrev_b32_e32 v5, 24, v56
                                        ; implicit-def: $vgpr56
	s_delay_alu instid0(VALU_DEP_1) | instskip(NEXT) | instid1(VALU_DEP_1)
	v_and_b32_e32 v5, 0x80000000, v5
	v_lshl_add_u32 v5, v12, 23, v5
	s_delay_alu instid0(VALU_DEP_1) | instskip(NEXT) | instid1(VALU_DEP_1)
	v_lshl_or_b32 v5, v16, 21, v5
                                        ; implicit-def: $vgpr16
	v_add_nc_u32_e32 v12, 0x38000000, v5
.LBB4_14378:                            ;   in Loop: Header=BB4_12924 Depth=3
	s_and_not1_saveexec_b32 s75, s13
; %bb.14379:                            ;   in Loop: Header=BB4_12924 Depth=3
	v_and_b32_e32 v5, 0x80, v56
	v_cmp_eq_u32_e32 vcc_lo, 0, v16
	s_delay_alu instid0(VALU_DEP_2) | instskip(NEXT) | instid1(VALU_DEP_1)
	v_cmp_eq_u32_e64 s13, 0, v5
	v_cndmask_b32_e64 v5, 0xff800000, v48, s13
	s_delay_alu instid0(VALU_DEP_1)
	v_cndmask_b32_e32 v12, 0x7f800001, v5, vcc_lo
; %bb.14380:                            ;   in Loop: Header=BB4_12924 Depth=3
	s_or_b32 exec_lo, exec_lo, s75
.LBB4_14381:                            ;   in Loop: Header=BB4_12924 Depth=3
	s_delay_alu instid0(SALU_CYCLE_1)
	s_or_b32 exec_lo, exec_lo, s74
.LBB4_14382:                            ;   in Loop: Header=BB4_12924 Depth=3
	s_delay_alu instid0(SALU_CYCLE_1) | instskip(SKIP_2) | instid1(VALU_DEP_1)
	s_or_b32 exec_lo, exec_lo, s73
	v_and_b32_e32 v5, 0xff, v15
	s_mov_b32 s73, exec_lo
	v_cmpx_ne_u16_e32 0, v5
	s_cbranch_execz .LBB4_14392
; %bb.14383:                            ;   in Loop: Header=BB4_12924 Depth=3
	v_bfrev_b32_e32 v13, 1
	s_mov_b32 s74, exec_lo
	v_cmpx_ne_u16_e32 0x80, v5
	s_cbranch_execz .LBB4_14391
; %bb.14384:                            ;   in Loop: Header=BB4_12924 Depth=3
	v_and_b32_e32 v13, 0x7c, v15
	v_and_b32_e32 v5, 3, v15
	s_delay_alu instid0(VALU_DEP_2) | instskip(SKIP_1) | instid1(SALU_CYCLE_1)
	v_cmp_ne_u32_e32 vcc_lo, 0x7c, v13
                                        ; implicit-def: $vgpr13
	s_and_saveexec_b32 s13, vcc_lo
	s_xor_b32 s13, exec_lo, s13
	s_cbranch_execz .LBB4_14388
; %bb.14385:                            ;   in Loop: Header=BB4_12924 Depth=3
	v_bfe_u32 v13, v15, 2, 5
	s_mov_b32 s75, exec_lo
	s_delay_alu instid0(VALU_DEP_1)
	v_cmpx_eq_u32_e32 0, v13
; %bb.14386:                            ;   in Loop: Header=BB4_12924 Depth=3
	v_clz_i32_u32_e32 v5, v5
	v_dual_mov_b32 v16, v15 :: v_dual_mov_b32 v17, v3
	s_delay_alu instid0(VALU_DEP_2) | instskip(NEXT) | instid1(VALU_DEP_1)
	v_min_u32_e32 v5, 32, v5
	v_subrev_nc_u32_e32 v13, 29, v5
	s_delay_alu instid0(VALU_DEP_1) | instskip(NEXT) | instid1(VALU_DEP_1)
	v_lshlrev_b64_e32 v[16:17], v13, v[16:17]
	v_dual_sub_nc_u32 v13, 30, v5 :: v_dual_bitop2_b32 v5, 3, v16 bitop3:0x40
; %bb.14387:                            ;   in Loop: Header=BB4_12924 Depth=3
	s_or_b32 exec_lo, exec_lo, s75
	v_lshlrev_b32_e32 v16, 24, v15
	s_delay_alu instid0(VALU_DEP_1) | instskip(NEXT) | instid1(VALU_DEP_1)
	v_and_b32_e32 v16, 0x80000000, v16
	v_lshl_add_u32 v13, v13, 23, v16
	s_delay_alu instid0(VALU_DEP_1) | instskip(NEXT) | instid1(VALU_DEP_1)
	v_lshl_or_b32 v5, v5, 21, v13
	v_add_nc_u32_e32 v13, 0x38000000, v5
                                        ; implicit-def: $vgpr5
.LBB4_14388:                            ;   in Loop: Header=BB4_12924 Depth=3
	s_and_not1_saveexec_b32 s75, s13
; %bb.14389:                            ;   in Loop: Header=BB4_12924 Depth=3
	v_bfe_i32 v13, v15, 0, 8
	v_cmp_eq_u32_e32 vcc_lo, 0, v5
	s_delay_alu instid0(VALU_DEP_2) | instskip(NEXT) | instid1(VALU_DEP_1)
	v_cmp_lt_i16_e64 s13, -1, v13
	v_cndmask_b32_e64 v5, 0xff800000, v48, s13
	s_delay_alu instid0(VALU_DEP_1)
	v_cndmask_b32_e32 v13, 0x7f800001, v5, vcc_lo
; %bb.14390:                            ;   in Loop: Header=BB4_12924 Depth=3
	s_or_b32 exec_lo, exec_lo, s75
.LBB4_14391:                            ;   in Loop: Header=BB4_12924 Depth=3
	s_delay_alu instid0(SALU_CYCLE_1)
	s_or_b32 exec_lo, exec_lo, s74
.LBB4_14392:                            ;   in Loop: Header=BB4_12924 Depth=3
	s_delay_alu instid0(SALU_CYCLE_1) | instskip(NEXT) | instid1(VALU_DEP_1)
	s_or_b32 exec_lo, exec_lo, s73
	v_dual_add_f32 v16, v12, v13 :: v_dual_mov_b32 v87, v3
	v_mov_b32_e32 v13, v3
                                        ; implicit-def: $vgpr56
	s_mov_b32 s13, exec_lo
	s_delay_alu instid0(VALU_DEP_2) | instskip(SKIP_2) | instid1(VALU_DEP_3)
	v_and_b32_e32 v86, 0x7f800000, v16
	v_and_b32_e32 v12, 0x7fffff, v16
	v_lshrrev_b32_e32 v5, 24, v16
	v_cmpx_ne_u64_e32 0x7f800000, v[86:87]
	s_xor_b32 s73, exec_lo, s13
	s_cbranch_execz .LBB4_14406
; %bb.14393:                            ;   in Loop: Header=BB4_12924 Depth=3
	v_and_b32_e32 v86, 0x7fffffff, v16
	v_mov_b32_e32 v87, v3
	v_and_b32_e32 v5, 0x80, v5
                                        ; implicit-def: $vgpr56
	s_mov_b32 s13, exec_lo
	s_delay_alu instid0(VALU_DEP_2)
	v_cmpx_gt_u64_e32 0x47600001, v[86:87]
	s_xor_b32 s74, exec_lo, s13
	s_cbranch_execz .LBB4_14403
; %bb.14394:                            ;   in Loop: Header=BB4_12924 Depth=3
	v_mov_b32_e32 v56, 0
	s_mov_b32 s75, exec_lo
	v_cmpx_ne_u32_e32 0, v16
	s_cbranch_execz .LBB4_14402
; %bb.14395:                            ;   in Loop: Header=BB4_12924 Depth=3
	v_bfe_u32 v56, v16, 23, 8
	v_or_b32_e32 v17, 0x800000, v12
	s_delay_alu instid0(VALU_DEP_2) | instskip(SKIP_2) | instid1(VALU_DEP_2)
	v_cmp_gt_u32_e64 s13, 0x72, v56
	v_sub_nc_u32_e32 v16, 0x71, v56
	v_cmp_eq_u32_e32 vcc_lo, 0, v56
	v_cndmask_b32_e64 v16, 0, v16, s13
	s_delay_alu instid0(VALU_DEP_1) | instskip(NEXT) | instid1(VALU_DEP_1)
	v_cndmask_b32_e64 v86, v16, 0x70, vcc_lo
	v_dual_cndmask_b32 v12, v17, v12, vcc_lo :: v_dual_add_nc_u32 v16, 21, v86
	v_add_nc_u32_e32 v87, 20, v86
	s_delay_alu instid0(VALU_DEP_2) | instskip(NEXT) | instid1(VALU_DEP_2)
	v_lshlrev_b64_e64 v[16:17], v16, -1
	v_lshlrev_b64_e64 v[96:97], v87, 1
	s_delay_alu instid0(VALU_DEP_2) | instskip(SKIP_1) | instid1(VALU_DEP_4)
	v_bfi_b32 v16, v16, 0, v12
	v_lshrrev_b64 v[12:13], v86, v[12:13]
	v_bfi_b32 v17, v17, 0, 0
	s_delay_alu instid0(VALU_DEP_1) | instskip(NEXT) | instid1(VALU_DEP_3)
	v_cmp_eq_u64_e64 s13, v[16:17], v[96:97]
	v_mov_b64_e32 v[16:17], v[12:13]
	s_and_saveexec_b32 s76, s13
; %bb.14396:                            ;   in Loop: Header=BB4_12924 Depth=3
	v_bfe_u32 v16, v12, 21, 1
	v_mov_b32_e32 v17, v3
	s_delay_alu instid0(VALU_DEP_1) | instskip(NEXT) | instid1(VALU_DEP_1)
	v_add_nc_u64_e32 v[16:17], v[12:13], v[16:17]
	v_add_nc_u64_e32 v[16:17], -1, v[16:17]
; %bb.14397:                            ;   in Loop: Header=BB4_12924 Depth=3
	s_or_b32 exec_lo, exec_lo, s76
	v_add_nc_u32_e32 v13, 0xffffff81, v56
	v_lshrrev_b32_e32 v17, 23, v12
	s_mov_b32 s13, exec_lo
	s_delay_alu instid0(VALU_DEP_2) | instskip(NEXT) | instid1(VALU_DEP_1)
	v_cndmask_b32_e64 v13, v13, 0xffffff82, vcc_lo
	v_add3_u32 v86, v86, v13, v17
	v_and_b32_e32 v13, 0x1fffff, v16
                                        ; implicit-def: $vgpr16
	s_delay_alu instid0(VALU_DEP_1) | instskip(SKIP_1) | instid1(VALU_DEP_2)
	v_dual_add_nc_u32 v17, 14, v86 :: v_dual_add_nc_u32 v12, v13, v12
	v_mov_b32_e32 v13, v3
	v_cmpx_ne_u32_e32 0, v17
	s_xor_b32 s13, exec_lo, s13
; %bb.14398:                            ;   in Loop: Header=BB4_12924 Depth=3
	s_delay_alu instid0(VALU_DEP_2) | instskip(SKIP_1) | instid1(VALU_DEP_1)
	v_cmp_lt_u64_e32 vcc_lo, 0xffffff, v[12:13]
	v_add_nc_u32_e32 v16, 15, v86
	v_cndmask_b32_e32 v16, v17, v16, vcc_lo
	v_cndmask_b32_e64 v17, 0, 1, vcc_lo
	s_delay_alu instid0(VALU_DEP_1)
	v_lshrrev_b64 v[12:13], v17, v[12:13]
; %bb.14399:                            ;   in Loop: Header=BB4_12924 Depth=3
	s_and_not1_saveexec_b32 s13, s13
; %bb.14400:                            ;   in Loop: Header=BB4_12924 Depth=3
	s_delay_alu instid0(VALU_DEP_1)
	v_bfe_u32 v16, v12, 23, 1
; %bb.14401:                            ;   in Loop: Header=BB4_12924 Depth=3
	s_or_b32 exec_lo, exec_lo, s13
	s_delay_alu instid0(VALU_DEP_2) | instskip(NEXT) | instid1(VALU_DEP_2)
	v_lshrrev_b64 v[12:13], 21, v[12:13]
	v_cmp_gt_i32_e32 vcc_lo, 32, v16
	v_min_i32_e32 v17, 31, v16
	v_cmp_eq_u32_e64 s13, 0, v16
	s_delay_alu instid0(VALU_DEP_4) | instskip(NEXT) | instid1(VALU_DEP_3)
	v_cndmask_b32_e32 v13, 0, v13, vcc_lo
	v_dual_cndmask_b32 v12, 3, v12 :: v_dual_lshlrev_b32 v17, 2, v17
	s_delay_alu instid0(VALU_DEP_1) | instskip(NEXT) | instid1(VALU_DEP_2)
	v_and_b32_e32 v17, 0xfc, v17
	v_cmp_eq_u64_e32 vcc_lo, 0, v[12:13]
	s_delay_alu instid0(VALU_DEP_2)
	v_and_or_b32 v12, v12, 3, v17
	s_and_b32 s13, s13, vcc_lo
	s_delay_alu instid0(VALU_DEP_1) | instid1(SALU_CYCLE_1)
	v_cndmask_b32_e64 v12, v12, 0, s13
	s_delay_alu instid0(VALU_DEP_1)
	v_or_b32_e32 v56, v12, v5
.LBB4_14402:                            ;   in Loop: Header=BB4_12924 Depth=3
	s_or_b32 exec_lo, exec_lo, s75
                                        ; implicit-def: $vgpr5
.LBB4_14403:                            ;   in Loop: Header=BB4_12924 Depth=3
	s_and_not1_saveexec_b32 s13, s74
; %bb.14404:                            ;   in Loop: Header=BB4_12924 Depth=3
	v_or_b32_e32 v56, 0x7b, v5
; %bb.14405:                            ;   in Loop: Header=BB4_12924 Depth=3
	s_or_b32 exec_lo, exec_lo, s13
                                        ; implicit-def: $vgpr16
                                        ; implicit-def: $vgpr12_vgpr13
                                        ; implicit-def: $vgpr5
.LBB4_14406:                            ;   in Loop: Header=BB4_12924 Depth=3
	s_and_not1_saveexec_b32 s13, s73
	s_cbranch_execz .LBB4_14412
; %bb.14407:                            ;   in Loop: Header=BB4_12924 Depth=3
	s_mov_b32 s73, exec_lo
                                        ; implicit-def: $vgpr56
	v_cmpx_ne_u64_e32 0, v[12:13]
	s_xor_b32 s73, exec_lo, s73
; %bb.14408:                            ;   in Loop: Header=BB4_12924 Depth=3
	v_or_b32_e32 v56, 0x7f, v5
                                        ; implicit-def: $vgpr16
; %bb.14409:                            ;   in Loop: Header=BB4_12924 Depth=3
	s_and_not1_saveexec_b32 s73, s73
; %bb.14410:                            ;   in Loop: Header=BB4_12924 Depth=3
	v_cmp_lt_i32_e32 vcc_lo, -1, v16
	v_cndmask_b32_e32 v56, 0xfc, v49, vcc_lo
; %bb.14411:                            ;   in Loop: Header=BB4_12924 Depth=3
	s_or_b32 exec_lo, exec_lo, s73
.LBB4_14412:                            ;   in Loop: Header=BB4_12924 Depth=3
	s_delay_alu instid0(SALU_CYCLE_1) | instskip(SKIP_3) | instid1(VALU_DEP_2)
	s_or_b32 exec_lo, exec_lo, s13
	v_lshrrev_b16 v12, 8, v2
	v_dual_mov_b32 v5, 0 :: v_dual_mov_b32 v16, 0
	s_mov_b32 s73, exec_lo
	v_cmpx_ne_u16_e32 0, v12
	s_cbranch_execz .LBB4_14422
; %bb.14413:                            ;   in Loop: Header=BB4_12924 Depth=3
	v_bfrev_b32_e32 v16, 1
	s_mov_b32 s74, exec_lo
	v_cmpx_ne_u16_e32 0x80, v12
	s_cbranch_execz .LBB4_14421
; %bb.14414:                            ;   in Loop: Header=BB4_12924 Depth=3
	v_and_b32_e32 v17, 0xffff, v12
	s_delay_alu instid0(VALU_DEP_1) | instskip(SKIP_1) | instid1(VALU_DEP_2)
	v_and_b32_e32 v16, 0x7c, v17
	v_and_b32_e32 v13, 3, v17
	v_cmp_ne_u32_e32 vcc_lo, 0x7c, v16
                                        ; implicit-def: $vgpr16
	s_and_saveexec_b32 s13, vcc_lo
	s_delay_alu instid0(SALU_CYCLE_1)
	s_xor_b32 s13, exec_lo, s13
	s_cbranch_execz .LBB4_14418
; %bb.14415:                            ;   in Loop: Header=BB4_12924 Depth=3
	v_bfe_u32 v16, v17, 2, 5
	s_mov_b32 s75, exec_lo
	s_delay_alu instid0(VALU_DEP_1)
	v_cmpx_eq_u32_e32 0, v16
	s_cbranch_execz .LBB4_14417
; %bb.14416:                            ;   in Loop: Header=BB4_12924 Depth=3
	v_clz_i32_u32_e32 v13, v13
	s_delay_alu instid0(VALU_DEP_1) | instskip(SKIP_1) | instid1(VALU_DEP_2)
	v_min_u32_e32 v16, 32, v13
	v_mov_b32_e32 v13, v3
	v_subrev_nc_u32_e32 v17, 29, v16
	v_sub_nc_u32_e32 v16, 30, v16
	s_delay_alu instid0(VALU_DEP_2) | instskip(NEXT) | instid1(VALU_DEP_1)
	v_lshlrev_b64_e32 v[12:13], v17, v[12:13]
	v_and_b32_e32 v13, 3, v12
.LBB4_14417:                            ;   in Loop: Header=BB4_12924 Depth=3
	s_or_b32 exec_lo, exec_lo, s75
	v_lshlrev_b32_e32 v2, 16, v2
	s_delay_alu instid0(VALU_DEP_1) | instskip(NEXT) | instid1(VALU_DEP_1)
	v_and_b32_e32 v2, 0x80000000, v2
	v_lshl_add_u32 v2, v16, 23, v2
	s_delay_alu instid0(VALU_DEP_1) | instskip(NEXT) | instid1(VALU_DEP_1)
	v_lshl_or_b32 v2, v13, 21, v2
                                        ; implicit-def: $vgpr13
	v_add_nc_u32_e32 v16, 0x38000000, v2
                                        ; implicit-def: $vgpr2
.LBB4_14418:                            ;   in Loop: Header=BB4_12924 Depth=3
	s_and_not1_saveexec_b32 s75, s13
; %bb.14419:                            ;   in Loop: Header=BB4_12924 Depth=3
	v_cmp_lt_i16_e64 s13, -1, v2
	v_cmp_eq_u32_e32 vcc_lo, 0, v13
	s_delay_alu instid0(VALU_DEP_2) | instskip(NEXT) | instid1(VALU_DEP_1)
	v_cndmask_b32_e64 v2, 0xff800000, v48, s13
	v_cndmask_b32_e32 v16, 0x7f800001, v2, vcc_lo
; %bb.14420:                            ;   in Loop: Header=BB4_12924 Depth=3
	s_or_b32 exec_lo, exec_lo, s75
.LBB4_14421:                            ;   in Loop: Header=BB4_12924 Depth=3
	s_delay_alu instid0(SALU_CYCLE_1)
	s_or_b32 exec_lo, exec_lo, s74
.LBB4_14422:                            ;   in Loop: Header=BB4_12924 Depth=3
	s_delay_alu instid0(SALU_CYCLE_1) | instskip(SKIP_2) | instid1(VALU_DEP_1)
	s_or_b32 exec_lo, exec_lo, s73
	v_lshrrev_b16 v12, 8, v15
	s_mov_b32 s73, exec_lo
	v_cmpx_ne_u16_e32 0, v12
	s_cbranch_execz .LBB4_14432
; %bb.14423:                            ;   in Loop: Header=BB4_12924 Depth=3
	v_bfrev_b32_e32 v5, 1
	s_mov_b32 s74, exec_lo
	v_cmpx_ne_u16_e32 0x80, v12
	s_cbranch_execz .LBB4_14431
; %bb.14424:                            ;   in Loop: Header=BB4_12924 Depth=3
	v_and_b32_e32 v13, 0xffff, v12
	s_delay_alu instid0(VALU_DEP_1) | instskip(SKIP_1) | instid1(VALU_DEP_2)
	v_and_b32_e32 v5, 0x7c, v13
	v_and_b32_e32 v2, 3, v13
	v_cmp_ne_u32_e32 vcc_lo, 0x7c, v5
                                        ; implicit-def: $vgpr5
	s_and_saveexec_b32 s13, vcc_lo
	s_delay_alu instid0(SALU_CYCLE_1)
	s_xor_b32 s13, exec_lo, s13
	s_cbranch_execz .LBB4_14428
; %bb.14425:                            ;   in Loop: Header=BB4_12924 Depth=3
	v_bfe_u32 v5, v13, 2, 5
	s_mov_b32 s75, exec_lo
	s_delay_alu instid0(VALU_DEP_1)
	v_cmpx_eq_u32_e32 0, v5
; %bb.14426:                            ;   in Loop: Header=BB4_12924 Depth=3
	v_clz_i32_u32_e32 v2, v2
	s_delay_alu instid0(VALU_DEP_1) | instskip(SKIP_1) | instid1(VALU_DEP_2)
	v_min_u32_e32 v2, 32, v2
	v_mov_b32_e32 v13, v3
	v_subrev_nc_u32_e32 v5, 29, v2
	s_delay_alu instid0(VALU_DEP_1) | instskip(NEXT) | instid1(VALU_DEP_1)
	v_lshlrev_b64_e32 v[12:13], v5, v[12:13]
	v_dual_sub_nc_u32 v5, 30, v2 :: v_dual_bitop2_b32 v2, 3, v12 bitop3:0x40
; %bb.14427:                            ;   in Loop: Header=BB4_12924 Depth=3
	s_or_b32 exec_lo, exec_lo, s75
	v_lshlrev_b32_e32 v12, 16, v15
	s_delay_alu instid0(VALU_DEP_1) | instskip(NEXT) | instid1(VALU_DEP_1)
	v_and_b32_e32 v12, 0x80000000, v12
	v_lshl_add_u32 v5, v5, 23, v12
	s_delay_alu instid0(VALU_DEP_1) | instskip(NEXT) | instid1(VALU_DEP_1)
	v_lshl_or_b32 v2, v2, 21, v5
	v_add_nc_u32_e32 v5, 0x38000000, v2
                                        ; implicit-def: $vgpr2
.LBB4_14428:                            ;   in Loop: Header=BB4_12924 Depth=3
	s_and_not1_saveexec_b32 s75, s13
; %bb.14429:                            ;   in Loop: Header=BB4_12924 Depth=3
	v_cmp_lt_i16_e64 s13, -1, v15
	v_cmp_eq_u32_e32 vcc_lo, 0, v2
	s_delay_alu instid0(VALU_DEP_2) | instskip(NEXT) | instid1(VALU_DEP_1)
	v_cndmask_b32_e64 v2, 0xff800000, v48, s13
	v_cndmask_b32_e32 v5, 0x7f800001, v2, vcc_lo
; %bb.14430:                            ;   in Loop: Header=BB4_12924 Depth=3
	s_or_b32 exec_lo, exec_lo, s75
.LBB4_14431:                            ;   in Loop: Header=BB4_12924 Depth=3
	s_delay_alu instid0(SALU_CYCLE_1)
	s_or_b32 exec_lo, exec_lo, s74
.LBB4_14432:                            ;   in Loop: Header=BB4_12924 Depth=3
	s_delay_alu instid0(SALU_CYCLE_1) | instskip(NEXT) | instid1(VALU_DEP_1)
	s_or_b32 exec_lo, exec_lo, s73
	v_dual_add_f32 v5, v16, v5 :: v_dual_mov_b32 v17, v3
	v_mov_b32_e32 v13, v3
                                        ; implicit-def: $vgpr59
	s_mov_b32 s13, exec_lo
	s_delay_alu instid0(VALU_DEP_2) | instskip(SKIP_2) | instid1(VALU_DEP_3)
	v_and_b32_e32 v16, 0x7f800000, v5
	v_and_b32_e32 v12, 0x7fffff, v5
	v_lshrrev_b32_e32 v2, 24, v5
	v_cmpx_ne_u64_e32 0x7f800000, v[16:17]
	s_xor_b32 s73, exec_lo, s13
	s_cbranch_execz .LBB4_14446
; %bb.14433:                            ;   in Loop: Header=BB4_12924 Depth=3
	v_and_b32_e32 v16, 0x7fffffff, v5
	v_mov_b32_e32 v17, v3
	v_and_b32_e32 v2, 0x80, v2
                                        ; implicit-def: $vgpr59
	s_mov_b32 s13, exec_lo
	s_delay_alu instid0(VALU_DEP_2)
	v_cmpx_gt_u64_e32 0x47600001, v[16:17]
	s_xor_b32 s74, exec_lo, s13
	s_cbranch_execz .LBB4_14443
; %bb.14434:                            ;   in Loop: Header=BB4_12924 Depth=3
	v_mov_b32_e32 v59, 0
	s_mov_b32 s75, exec_lo
	v_cmpx_ne_u32_e32 0, v5
	s_cbranch_execz .LBB4_14442
; %bb.14435:                            ;   in Loop: Header=BB4_12924 Depth=3
	v_bfe_u32 v5, v5, 23, 8
	v_or_b32_e32 v17, 0x800000, v12
	s_delay_alu instid0(VALU_DEP_2) | instskip(SKIP_2) | instid1(VALU_DEP_2)
	v_cmp_gt_u32_e64 s13, 0x72, v5
	v_sub_nc_u32_e32 v16, 0x71, v5
	v_cmp_eq_u32_e32 vcc_lo, 0, v5
	v_cndmask_b32_e64 v16, 0, v16, s13
	s_delay_alu instid0(VALU_DEP_1) | instskip(NEXT) | instid1(VALU_DEP_1)
	v_cndmask_b32_e64 v86, v16, 0x70, vcc_lo
	v_dual_cndmask_b32 v12, v17, v12, vcc_lo :: v_dual_add_nc_u32 v16, 21, v86
	v_add_nc_u32_e32 v87, 20, v86
	s_delay_alu instid0(VALU_DEP_2) | instskip(NEXT) | instid1(VALU_DEP_2)
	v_lshlrev_b64_e64 v[16:17], v16, -1
	v_lshlrev_b64_e64 v[96:97], v87, 1
	s_delay_alu instid0(VALU_DEP_2) | instskip(SKIP_1) | instid1(VALU_DEP_4)
	v_bfi_b32 v16, v16, 0, v12
	v_lshrrev_b64 v[12:13], v86, v[12:13]
	v_bfi_b32 v17, v17, 0, 0
	s_delay_alu instid0(VALU_DEP_1) | instskip(NEXT) | instid1(VALU_DEP_3)
	v_cmp_eq_u64_e64 s13, v[16:17], v[96:97]
	v_mov_b64_e32 v[16:17], v[12:13]
	s_and_saveexec_b32 s76, s13
; %bb.14436:                            ;   in Loop: Header=BB4_12924 Depth=3
	v_bfe_u32 v16, v12, 21, 1
	v_mov_b32_e32 v17, v3
	s_delay_alu instid0(VALU_DEP_1) | instskip(NEXT) | instid1(VALU_DEP_1)
	v_add_nc_u64_e32 v[16:17], v[12:13], v[16:17]
	v_add_nc_u64_e32 v[16:17], -1, v[16:17]
; %bb.14437:                            ;   in Loop: Header=BB4_12924 Depth=3
	s_or_b32 exec_lo, exec_lo, s76
	v_add_nc_u32_e32 v5, 0xffffff81, v5
	v_lshrrev_b32_e32 v13, 23, v12
	s_mov_b32 s13, exec_lo
	s_delay_alu instid0(VALU_DEP_2) | instskip(NEXT) | instid1(VALU_DEP_1)
	v_cndmask_b32_e64 v5, v5, 0xffffff82, vcc_lo
	v_add3_u32 v17, v86, v5, v13
	v_and_b32_e32 v5, 0x1fffff, v16
	s_delay_alu instid0(VALU_DEP_2) | instskip(NEXT) | instid1(VALU_DEP_2)
	v_dual_mov_b32 v13, v3 :: v_dual_add_nc_u32 v16, 14, v17
	v_add_nc_u32_e32 v12, v5, v12
                                        ; implicit-def: $vgpr5
	s_delay_alu instid0(VALU_DEP_2)
	v_cmpx_ne_u32_e32 0, v16
	s_xor_b32 s13, exec_lo, s13
; %bb.14438:                            ;   in Loop: Header=BB4_12924 Depth=3
	s_delay_alu instid0(VALU_DEP_2) | instskip(SKIP_1) | instid1(VALU_DEP_1)
	v_cmp_lt_u64_e32 vcc_lo, 0xffffff, v[12:13]
	v_add_nc_u32_e32 v5, 15, v17
	v_cndmask_b32_e32 v5, v16, v5, vcc_lo
	v_cndmask_b32_e64 v16, 0, 1, vcc_lo
	s_delay_alu instid0(VALU_DEP_1)
	v_lshrrev_b64 v[12:13], v16, v[12:13]
; %bb.14439:                            ;   in Loop: Header=BB4_12924 Depth=3
	s_and_not1_saveexec_b32 s13, s13
; %bb.14440:                            ;   in Loop: Header=BB4_12924 Depth=3
	s_delay_alu instid0(VALU_DEP_1)
	v_bfe_u32 v5, v12, 23, 1
; %bb.14441:                            ;   in Loop: Header=BB4_12924 Depth=3
	s_or_b32 exec_lo, exec_lo, s13
	s_delay_alu instid0(VALU_DEP_2) | instskip(NEXT) | instid1(VALU_DEP_2)
	v_lshrrev_b64 v[12:13], 21, v[12:13]
	v_cmp_gt_i32_e32 vcc_lo, 32, v5
	v_min_i32_e32 v16, 31, v5
	v_cmp_eq_u32_e64 s13, 0, v5
	s_delay_alu instid0(VALU_DEP_4) | instskip(NEXT) | instid1(VALU_DEP_3)
	v_cndmask_b32_e32 v12, 3, v12, vcc_lo
	v_dual_cndmask_b32 v13, 0, v13 :: v_dual_lshlrev_b32 v16, 2, v16
	s_delay_alu instid0(VALU_DEP_1) | instskip(NEXT) | instid1(VALU_DEP_2)
	v_and_b32_e32 v16, 0xfc, v16
	v_cmp_eq_u64_e32 vcc_lo, 0, v[12:13]
	s_delay_alu instid0(VALU_DEP_2)
	v_and_or_b32 v5, v12, 3, v16
	s_and_b32 s13, s13, vcc_lo
	s_delay_alu instid0(VALU_DEP_1) | instid1(SALU_CYCLE_1)
	v_cndmask_b32_e64 v5, v5, 0, s13
	s_delay_alu instid0(VALU_DEP_1)
	v_or_b32_e32 v59, v5, v2
.LBB4_14442:                            ;   in Loop: Header=BB4_12924 Depth=3
	s_or_b32 exec_lo, exec_lo, s75
                                        ; implicit-def: $vgpr2
.LBB4_14443:                            ;   in Loop: Header=BB4_12924 Depth=3
	s_and_not1_saveexec_b32 s13, s74
; %bb.14444:                            ;   in Loop: Header=BB4_12924 Depth=3
	v_or_b32_e32 v59, 0x7b, v2
; %bb.14445:                            ;   in Loop: Header=BB4_12924 Depth=3
	s_or_b32 exec_lo, exec_lo, s13
                                        ; implicit-def: $vgpr5
                                        ; implicit-def: $vgpr12_vgpr13
                                        ; implicit-def: $vgpr2
.LBB4_14446:                            ;   in Loop: Header=BB4_12924 Depth=3
	s_and_not1_saveexec_b32 s13, s73
	s_cbranch_execz .LBB4_14452
; %bb.14447:                            ;   in Loop: Header=BB4_12924 Depth=3
	s_mov_b32 s73, exec_lo
                                        ; implicit-def: $vgpr59
	v_cmpx_ne_u64_e32 0, v[12:13]
	s_xor_b32 s73, exec_lo, s73
; %bb.14448:                            ;   in Loop: Header=BB4_12924 Depth=3
	v_or_b32_e32 v59, 0x7f, v2
                                        ; implicit-def: $vgpr5
; %bb.14449:                            ;   in Loop: Header=BB4_12924 Depth=3
	s_and_not1_saveexec_b32 s73, s73
; %bb.14450:                            ;   in Loop: Header=BB4_12924 Depth=3
	v_cmp_lt_i32_e32 vcc_lo, -1, v5
	v_cndmask_b32_e32 v59, 0xfc, v49, vcc_lo
; %bb.14451:                            ;   in Loop: Header=BB4_12924 Depth=3
	s_or_b32 exec_lo, exec_lo, s73
.LBB4_14452:                            ;   in Loop: Header=BB4_12924 Depth=3
	s_delay_alu instid0(SALU_CYCLE_1) | instskip(SKIP_3) | instid1(VALU_DEP_2)
	s_or_b32 exec_lo, exec_lo, s13
	v_dual_mov_b32 v5, 0 :: v_dual_lshrrev_b32 v2, 16, v4
	v_mov_b32_e32 v12, 0
	s_mov_b32 s73, exec_lo
	v_and_b32_e32 v13, 0xff, v2
	s_delay_alu instid0(VALU_DEP_1)
	v_cmpx_ne_u16_e32 0, v13
	s_cbranch_execz .LBB4_14462
; %bb.14453:                            ;   in Loop: Header=BB4_12924 Depth=3
	v_bfrev_b32_e32 v12, 1
	s_mov_b32 s74, exec_lo
	v_cmpx_ne_u16_e32 0x80, v13
	s_cbranch_execz .LBB4_14461
; %bb.14454:                            ;   in Loop: Header=BB4_12924 Depth=3
	v_and_b32_e32 v12, 0x7c0000, v4
	v_bfe_u32 v13, v4, 16, 2
	s_delay_alu instid0(VALU_DEP_2) | instskip(SKIP_1) | instid1(SALU_CYCLE_1)
	v_cmp_ne_u32_e32 vcc_lo, 0x7c0000, v12
                                        ; implicit-def: $vgpr12
	s_and_saveexec_b32 s13, vcc_lo
	s_xor_b32 s13, exec_lo, s13
	s_cbranch_execz .LBB4_14458
; %bb.14455:                            ;   in Loop: Header=BB4_12924 Depth=3
	v_bfe_u32 v12, v4, 18, 5
	s_mov_b32 s75, exec_lo
	s_delay_alu instid0(VALU_DEP_1)
	v_cmpx_eq_u32_e32 0, v12
; %bb.14456:                            ;   in Loop: Header=BB4_12924 Depth=3
	v_clz_i32_u32_e32 v12, v13
	s_delay_alu instid0(VALU_DEP_1) | instskip(NEXT) | instid1(VALU_DEP_1)
	v_min_u32_e32 v12, 32, v12
	v_subrev_nc_u32_e32 v13, 29, v12
	v_sub_nc_u32_e32 v12, 30, v12
	s_delay_alu instid0(VALU_DEP_2) | instskip(NEXT) | instid1(VALU_DEP_1)
	v_lshlrev_b64_e32 v[16:17], v13, v[2:3]
	v_and_b32_e32 v13, 3, v16
; %bb.14457:                            ;   in Loop: Header=BB4_12924 Depth=3
	s_or_b32 exec_lo, exec_lo, s75
	v_lshlrev_b32_e32 v2, 24, v2
	s_delay_alu instid0(VALU_DEP_1) | instskip(NEXT) | instid1(VALU_DEP_1)
	v_and_b32_e32 v2, 0x80000000, v2
	v_lshl_add_u32 v2, v12, 23, v2
	s_delay_alu instid0(VALU_DEP_1) | instskip(NEXT) | instid1(VALU_DEP_1)
	v_lshl_or_b32 v2, v13, 21, v2
                                        ; implicit-def: $vgpr13
	v_add_nc_u32_e32 v12, 0x38000000, v2
                                        ; implicit-def: $vgpr2
.LBB4_14458:                            ;   in Loop: Header=BB4_12924 Depth=3
	s_and_not1_saveexec_b32 s75, s13
; %bb.14459:                            ;   in Loop: Header=BB4_12924 Depth=3
	v_bfe_i32 v2, v2, 0, 8
	v_cmp_eq_u32_e32 vcc_lo, 0, v13
	s_delay_alu instid0(VALU_DEP_2) | instskip(NEXT) | instid1(VALU_DEP_1)
	v_cmp_lt_i16_e64 s13, -1, v2
	v_cndmask_b32_e64 v2, 0xff800000, v48, s13
	s_delay_alu instid0(VALU_DEP_1)
	v_cndmask_b32_e32 v12, 0x7f800001, v2, vcc_lo
; %bb.14460:                            ;   in Loop: Header=BB4_12924 Depth=3
	s_or_b32 exec_lo, exec_lo, s75
.LBB4_14461:                            ;   in Loop: Header=BB4_12924 Depth=3
	s_delay_alu instid0(SALU_CYCLE_1)
	s_or_b32 exec_lo, exec_lo, s74
.LBB4_14462:                            ;   in Loop: Header=BB4_12924 Depth=3
	s_delay_alu instid0(SALU_CYCLE_1) | instskip(SKIP_2) | instid1(VALU_DEP_1)
	s_or_b32 exec_lo, exec_lo, s73
	v_lshrrev_b32_e32 v2, 16, v15
	s_mov_b32 s73, exec_lo
	v_and_b32_e32 v13, 0xff, v2
	s_delay_alu instid0(VALU_DEP_1)
	v_cmpx_ne_u16_e32 0, v13
	s_cbranch_execz .LBB4_14472
; %bb.14463:                            ;   in Loop: Header=BB4_12924 Depth=3
	v_bfrev_b32_e32 v5, 1
	s_mov_b32 s74, exec_lo
	v_cmpx_ne_u16_e32 0x80, v13
	s_cbranch_execz .LBB4_14471
; %bb.14464:                            ;   in Loop: Header=BB4_12924 Depth=3
	v_and_b32_e32 v5, 0x7c0000, v15
	v_bfe_u32 v13, v15, 16, 2
	s_delay_alu instid0(VALU_DEP_2) | instskip(SKIP_1) | instid1(SALU_CYCLE_1)
	v_cmp_ne_u32_e32 vcc_lo, 0x7c0000, v5
                                        ; implicit-def: $vgpr5
	s_and_saveexec_b32 s13, vcc_lo
	s_xor_b32 s13, exec_lo, s13
	s_cbranch_execz .LBB4_14468
; %bb.14465:                            ;   in Loop: Header=BB4_12924 Depth=3
	v_bfe_u32 v5, v15, 18, 5
	s_mov_b32 s75, exec_lo
	s_delay_alu instid0(VALU_DEP_1)
	v_cmpx_eq_u32_e32 0, v5
; %bb.14466:                            ;   in Loop: Header=BB4_12924 Depth=3
	v_clz_i32_u32_e32 v5, v13
	s_delay_alu instid0(VALU_DEP_1) | instskip(NEXT) | instid1(VALU_DEP_1)
	v_min_u32_e32 v5, 32, v5
	v_subrev_nc_u32_e32 v13, 29, v5
	s_delay_alu instid0(VALU_DEP_1) | instskip(NEXT) | instid1(VALU_DEP_1)
	v_lshlrev_b64_e32 v[16:17], v13, v[2:3]
	v_dual_sub_nc_u32 v5, 30, v5 :: v_dual_bitop2_b32 v13, 3, v16 bitop3:0x40
; %bb.14467:                            ;   in Loop: Header=BB4_12924 Depth=3
	s_or_b32 exec_lo, exec_lo, s75
	v_lshlrev_b32_e32 v2, 24, v2
	s_delay_alu instid0(VALU_DEP_1) | instskip(NEXT) | instid1(VALU_DEP_1)
	v_and_b32_e32 v2, 0x80000000, v2
	v_lshl_add_u32 v2, v5, 23, v2
	s_delay_alu instid0(VALU_DEP_1) | instskip(NEXT) | instid1(VALU_DEP_1)
	v_lshl_or_b32 v2, v13, 21, v2
                                        ; implicit-def: $vgpr13
	v_add_nc_u32_e32 v5, 0x38000000, v2
                                        ; implicit-def: $vgpr2
.LBB4_14468:                            ;   in Loop: Header=BB4_12924 Depth=3
	s_and_not1_saveexec_b32 s75, s13
; %bb.14469:                            ;   in Loop: Header=BB4_12924 Depth=3
	v_bfe_i32 v2, v2, 0, 8
	v_cmp_eq_u32_e32 vcc_lo, 0, v13
	s_delay_alu instid0(VALU_DEP_2) | instskip(NEXT) | instid1(VALU_DEP_1)
	v_cmp_lt_i16_e64 s13, -1, v2
	v_cndmask_b32_e64 v2, 0xff800000, v48, s13
	s_delay_alu instid0(VALU_DEP_1)
	v_cndmask_b32_e32 v5, 0x7f800001, v2, vcc_lo
; %bb.14470:                            ;   in Loop: Header=BB4_12924 Depth=3
	s_or_b32 exec_lo, exec_lo, s75
.LBB4_14471:                            ;   in Loop: Header=BB4_12924 Depth=3
	s_delay_alu instid0(SALU_CYCLE_1)
	s_or_b32 exec_lo, exec_lo, s74
.LBB4_14472:                            ;   in Loop: Header=BB4_12924 Depth=3
	s_delay_alu instid0(SALU_CYCLE_1) | instskip(NEXT) | instid1(VALU_DEP_1)
	s_or_b32 exec_lo, exec_lo, s73
	v_dual_add_f32 v5, v12, v5 :: v_dual_mov_b32 v17, v3
	s_delay_alu instid0(VALU_DEP_1) | instskip(SKIP_2) | instid1(VALU_DEP_2)
	v_dual_mov_b32 v13, v3 :: v_dual_lshrrev_b32 v2, 24, v5
	v_and_b32_e32 v16, 0x7f800000, v5
	v_and_b32_e32 v12, 0x7fffff, v5
	v_cmp_ne_u64_e32 vcc_lo, 0x7f800000, v[16:17]
                                        ; implicit-def: $vgpr16
	s_and_saveexec_b32 s13, vcc_lo
	s_delay_alu instid0(SALU_CYCLE_1)
	s_xor_b32 s73, exec_lo, s13
	s_cbranch_execz .LBB4_14486
; %bb.14473:                            ;   in Loop: Header=BB4_12924 Depth=3
	v_and_b32_e32 v16, 0x7fffffff, v5
	v_mov_b32_e32 v17, v3
	v_and_b32_e32 v2, 0x80, v2
	s_delay_alu instid0(VALU_DEP_2) | instskip(SKIP_1) | instid1(SALU_CYCLE_1)
	v_cmp_gt_u64_e32 vcc_lo, 0x47600001, v[16:17]
                                        ; implicit-def: $vgpr16
	s_and_saveexec_b32 s13, vcc_lo
	s_xor_b32 s74, exec_lo, s13
	s_cbranch_execz .LBB4_14483
; %bb.14474:                            ;   in Loop: Header=BB4_12924 Depth=3
	v_mov_b32_e32 v16, 0
	s_mov_b32 s75, exec_lo
	v_cmpx_ne_u32_e32 0, v5
	s_cbranch_execz .LBB4_14482
; %bb.14475:                            ;   in Loop: Header=BB4_12924 Depth=3
	v_bfe_u32 v5, v5, 23, 8
	v_or_b32_e32 v17, 0x800000, v12
	s_delay_alu instid0(VALU_DEP_2) | instskip(SKIP_2) | instid1(VALU_DEP_2)
	v_cmp_gt_u32_e64 s13, 0x72, v5
	v_sub_nc_u32_e32 v16, 0x71, v5
	v_cmp_eq_u32_e32 vcc_lo, 0, v5
	v_cndmask_b32_e64 v16, 0, v16, s13
	s_delay_alu instid0(VALU_DEP_1) | instskip(NEXT) | instid1(VALU_DEP_1)
	v_cndmask_b32_e64 v86, v16, 0x70, vcc_lo
	v_dual_cndmask_b32 v12, v17, v12, vcc_lo :: v_dual_add_nc_u32 v16, 21, v86
	v_add_nc_u32_e32 v87, 20, v86
	s_delay_alu instid0(VALU_DEP_2) | instskip(NEXT) | instid1(VALU_DEP_2)
	v_lshlrev_b64_e64 v[16:17], v16, -1
	v_lshlrev_b64_e64 v[96:97], v87, 1
	s_delay_alu instid0(VALU_DEP_2) | instskip(SKIP_1) | instid1(VALU_DEP_4)
	v_bfi_b32 v16, v16, 0, v12
	v_lshrrev_b64 v[12:13], v86, v[12:13]
	v_bfi_b32 v17, v17, 0, 0
	s_delay_alu instid0(VALU_DEP_1) | instskip(NEXT) | instid1(VALU_DEP_3)
	v_cmp_eq_u64_e64 s13, v[16:17], v[96:97]
	v_mov_b64_e32 v[16:17], v[12:13]
	s_and_saveexec_b32 s76, s13
; %bb.14476:                            ;   in Loop: Header=BB4_12924 Depth=3
	v_bfe_u32 v16, v12, 21, 1
	v_mov_b32_e32 v17, v3
	s_delay_alu instid0(VALU_DEP_1) | instskip(NEXT) | instid1(VALU_DEP_1)
	v_add_nc_u64_e32 v[16:17], v[12:13], v[16:17]
	v_add_nc_u64_e32 v[16:17], -1, v[16:17]
; %bb.14477:                            ;   in Loop: Header=BB4_12924 Depth=3
	s_or_b32 exec_lo, exec_lo, s76
	v_add_nc_u32_e32 v5, 0xffffff81, v5
	v_lshrrev_b32_e32 v13, 23, v12
	s_mov_b32 s13, exec_lo
	s_delay_alu instid0(VALU_DEP_2) | instskip(NEXT) | instid1(VALU_DEP_1)
	v_cndmask_b32_e64 v5, v5, 0xffffff82, vcc_lo
	v_add3_u32 v17, v86, v5, v13
	v_and_b32_e32 v5, 0x1fffff, v16
	s_delay_alu instid0(VALU_DEP_2) | instskip(NEXT) | instid1(VALU_DEP_2)
	v_dual_mov_b32 v13, v3 :: v_dual_add_nc_u32 v16, 14, v17
	v_add_nc_u32_e32 v12, v5, v12
                                        ; implicit-def: $vgpr5
	s_delay_alu instid0(VALU_DEP_2)
	v_cmpx_ne_u32_e32 0, v16
	s_xor_b32 s13, exec_lo, s13
; %bb.14478:                            ;   in Loop: Header=BB4_12924 Depth=3
	s_delay_alu instid0(VALU_DEP_2) | instskip(SKIP_1) | instid1(VALU_DEP_1)
	v_cmp_lt_u64_e32 vcc_lo, 0xffffff, v[12:13]
	v_add_nc_u32_e32 v5, 15, v17
	v_cndmask_b32_e32 v5, v16, v5, vcc_lo
	v_cndmask_b32_e64 v16, 0, 1, vcc_lo
	s_delay_alu instid0(VALU_DEP_1)
	v_lshrrev_b64 v[12:13], v16, v[12:13]
; %bb.14479:                            ;   in Loop: Header=BB4_12924 Depth=3
	s_and_not1_saveexec_b32 s13, s13
; %bb.14480:                            ;   in Loop: Header=BB4_12924 Depth=3
	s_delay_alu instid0(VALU_DEP_1)
	v_bfe_u32 v5, v12, 23, 1
; %bb.14481:                            ;   in Loop: Header=BB4_12924 Depth=3
	s_or_b32 exec_lo, exec_lo, s13
	s_delay_alu instid0(VALU_DEP_2) | instskip(NEXT) | instid1(VALU_DEP_2)
	v_lshrrev_b64 v[12:13], 21, v[12:13]
	v_cmp_gt_i32_e32 vcc_lo, 32, v5
	v_min_i32_e32 v16, 31, v5
	v_cmp_eq_u32_e64 s13, 0, v5
	s_delay_alu instid0(VALU_DEP_4) | instskip(NEXT) | instid1(VALU_DEP_3)
	v_cndmask_b32_e32 v12, 3, v12, vcc_lo
	v_dual_cndmask_b32 v13, 0, v13 :: v_dual_lshlrev_b32 v16, 2, v16
	s_delay_alu instid0(VALU_DEP_1) | instskip(NEXT) | instid1(VALU_DEP_2)
	v_and_b32_e32 v16, 0xfc, v16
	v_cmp_eq_u64_e32 vcc_lo, 0, v[12:13]
	s_delay_alu instid0(VALU_DEP_2)
	v_and_or_b32 v5, v12, 3, v16
	s_and_b32 s13, s13, vcc_lo
	s_delay_alu instid0(VALU_DEP_1) | instid1(SALU_CYCLE_1)
	v_cndmask_b32_e64 v5, v5, 0, s13
	s_delay_alu instid0(VALU_DEP_1)
	v_or_b32_e32 v16, v5, v2
.LBB4_14482:                            ;   in Loop: Header=BB4_12924 Depth=3
	s_or_b32 exec_lo, exec_lo, s75
                                        ; implicit-def: $vgpr2
.LBB4_14483:                            ;   in Loop: Header=BB4_12924 Depth=3
	s_and_not1_saveexec_b32 s13, s74
; %bb.14484:                            ;   in Loop: Header=BB4_12924 Depth=3
	v_or_b32_e32 v16, 0x7b, v2
; %bb.14485:                            ;   in Loop: Header=BB4_12924 Depth=3
	s_or_b32 exec_lo, exec_lo, s13
                                        ; implicit-def: $vgpr5
                                        ; implicit-def: $vgpr12_vgpr13
                                        ; implicit-def: $vgpr2
.LBB4_14486:                            ;   in Loop: Header=BB4_12924 Depth=3
	s_and_not1_saveexec_b32 s13, s73
	s_cbranch_execz .LBB4_14492
; %bb.14487:                            ;   in Loop: Header=BB4_12924 Depth=3
	s_mov_b32 s73, exec_lo
                                        ; implicit-def: $vgpr16
	v_cmpx_ne_u64_e32 0, v[12:13]
	s_xor_b32 s73, exec_lo, s73
; %bb.14488:                            ;   in Loop: Header=BB4_12924 Depth=3
	v_or_b32_e32 v16, 0x7f, v2
                                        ; implicit-def: $vgpr5
; %bb.14489:                            ;   in Loop: Header=BB4_12924 Depth=3
	s_and_not1_saveexec_b32 s73, s73
; %bb.14490:                            ;   in Loop: Header=BB4_12924 Depth=3
	v_cmp_lt_i32_e32 vcc_lo, -1, v5
	v_cndmask_b32_e32 v16, 0xfc, v49, vcc_lo
; %bb.14491:                            ;   in Loop: Header=BB4_12924 Depth=3
	s_or_b32 exec_lo, exec_lo, s73
.LBB4_14492:                            ;   in Loop: Header=BB4_12924 Depth=3
	s_delay_alu instid0(SALU_CYCLE_1)
	s_or_b32 exec_lo, exec_lo, s13
	v_dual_mov_b32 v12, 0 :: v_dual_mov_b32 v13, 0
	s_mov_b32 s73, exec_lo
	v_cmpx_lt_u32_e32 0xffffff, v4
	s_cbranch_execz .LBB4_14502
; %bb.14493:                            ;   in Loop: Header=BB4_12924 Depth=3
	v_lshrrev_b32_e32 v2, 24, v4
	v_bfrev_b32_e32 v13, 1
	s_mov_b32 s74, exec_lo
	s_delay_alu instid0(VALU_DEP_2)
	v_cmpx_ne_u32_e32 0x80, v2
	s_cbranch_execz .LBB4_14501
; %bb.14494:                            ;   in Loop: Header=BB4_12924 Depth=3
	v_and_b32_e32 v5, 0x7c000000, v4
	v_bfe_u32 v17, v4, 24, 2
	s_mov_b32 s13, exec_lo
                                        ; implicit-def: $vgpr13
	s_delay_alu instid0(VALU_DEP_2)
	v_cmpx_ne_u32_e32 0x7c000000, v5
	s_xor_b32 s13, exec_lo, s13
	s_cbranch_execz .LBB4_14498
; %bb.14495:                            ;   in Loop: Header=BB4_12924 Depth=3
	v_bfe_u32 v5, v4, 26, 5
	s_mov_b32 s75, exec_lo
	s_delay_alu instid0(VALU_DEP_1)
	v_cmpx_eq_u32_e32 0, v5
; %bb.14496:                            ;   in Loop: Header=BB4_12924 Depth=3
	v_clz_i32_u32_e32 v5, v17
	s_delay_alu instid0(VALU_DEP_1) | instskip(NEXT) | instid1(VALU_DEP_1)
	v_min_u32_e32 v5, 32, v5
	v_subrev_nc_u32_e32 v13, 29, v5
	s_delay_alu instid0(VALU_DEP_1) | instskip(NEXT) | instid1(VALU_DEP_1)
	v_lshlrev_b64_e32 v[86:87], v13, v[2:3]
	v_dual_sub_nc_u32 v5, 30, v5 :: v_dual_bitop2_b32 v17, 3, v86 bitop3:0x40
; %bb.14497:                            ;   in Loop: Header=BB4_12924 Depth=3
	s_or_b32 exec_lo, exec_lo, s75
	v_and_b32_e32 v2, 0x80000000, v4
	s_delay_alu instid0(VALU_DEP_1) | instskip(NEXT) | instid1(VALU_DEP_1)
	v_lshl_add_u32 v2, v5, 23, v2
                                        ; implicit-def: $vgpr4_vgpr5
	v_lshl_or_b32 v2, v17, 21, v2
                                        ; implicit-def: $vgpr17
	s_delay_alu instid0(VALU_DEP_1)
	v_add_nc_u32_e32 v13, 0x38000000, v2
.LBB4_14498:                            ;   in Loop: Header=BB4_12924 Depth=3
	s_and_not1_saveexec_b32 s75, s13
; %bb.14499:                            ;   in Loop: Header=BB4_12924 Depth=3
	v_cmp_lt_i32_e64 s13, -1, v4
	v_cmp_eq_u32_e32 vcc_lo, 0, v17
	s_delay_alu instid0(VALU_DEP_2) | instskip(NEXT) | instid1(VALU_DEP_1)
	v_cndmask_b32_e64 v2, 0xff800000, v48, s13
	v_cndmask_b32_e32 v13, 0x7f800001, v2, vcc_lo
; %bb.14500:                            ;   in Loop: Header=BB4_12924 Depth=3
	s_or_b32 exec_lo, exec_lo, s75
.LBB4_14501:                            ;   in Loop: Header=BB4_12924 Depth=3
	s_delay_alu instid0(SALU_CYCLE_1)
	s_or_b32 exec_lo, exec_lo, s74
.LBB4_14502:                            ;   in Loop: Header=BB4_12924 Depth=3
	s_delay_alu instid0(SALU_CYCLE_1) | instskip(NEXT) | instid1(SALU_CYCLE_1)
	s_or_b32 exec_lo, exec_lo, s73
	s_mov_b32 s73, exec_lo
	v_cmpx_lt_u64_e64 s[22:23], v[14:15]
	s_cbranch_execz .LBB4_14512
; %bb.14503:                            ;   in Loop: Header=BB4_12924 Depth=3
	v_lshrrev_b32_e32 v2, 24, v15
	v_bfrev_b32_e32 v12, 1
	s_mov_b32 s74, exec_lo
	s_delay_alu instid0(VALU_DEP_2)
	v_cmpx_ne_u32_e32 0x80, v2
	s_cbranch_execz .LBB4_14511
; %bb.14504:                            ;   in Loop: Header=BB4_12924 Depth=3
	v_and_b32_e32 v5, 0x7c000000, v15
	v_bfe_u32 v4, v15, 24, 2
	s_mov_b32 s13, exec_lo
                                        ; implicit-def: $vgpr12
	s_delay_alu instid0(VALU_DEP_2)
	v_cmpx_ne_u32_e32 0x7c000000, v5
	s_xor_b32 s13, exec_lo, s13
	s_cbranch_execz .LBB4_14508
; %bb.14505:                            ;   in Loop: Header=BB4_12924 Depth=3
	v_bfe_u32 v5, v15, 26, 5
	s_mov_b32 s75, exec_lo
	s_delay_alu instid0(VALU_DEP_1)
	v_cmpx_eq_u32_e32 0, v5
; %bb.14506:                            ;   in Loop: Header=BB4_12924 Depth=3
	v_clz_i32_u32_e32 v4, v4
	s_delay_alu instid0(VALU_DEP_1) | instskip(NEXT) | instid1(VALU_DEP_1)
	v_min_u32_e32 v12, 32, v4
	v_subrev_nc_u32_e32 v4, 29, v12
	s_delay_alu instid0(VALU_DEP_1) | instskip(SKIP_1) | instid1(VALU_DEP_2)
	v_lshlrev_b64_e32 v[4:5], v4, v[2:3]
	v_sub_nc_u32_e32 v5, 30, v12
	v_and_b32_e32 v4, 3, v4
; %bb.14507:                            ;   in Loop: Header=BB4_12924 Depth=3
	s_or_b32 exec_lo, exec_lo, s75
	v_and_b32_e32 v2, 0x80000000, v15
                                        ; implicit-def: $vgpr14_vgpr15
	s_delay_alu instid0(VALU_DEP_1) | instskip(NEXT) | instid1(VALU_DEP_1)
	v_lshl_add_u32 v2, v5, 23, v2
	v_lshl_or_b32 v2, v4, 21, v2
                                        ; implicit-def: $vgpr4
	s_delay_alu instid0(VALU_DEP_1)
	v_add_nc_u32_e32 v12, 0x38000000, v2
.LBB4_14508:                            ;   in Loop: Header=BB4_12924 Depth=3
	s_and_not1_saveexec_b32 s75, s13
; %bb.14509:                            ;   in Loop: Header=BB4_12924 Depth=3
	v_cmp_lt_i64_e64 s13, -1, v[14:15]
	v_cmp_eq_u32_e32 vcc_lo, 0, v4
	s_delay_alu instid0(VALU_DEP_2) | instskip(NEXT) | instid1(VALU_DEP_1)
	v_cndmask_b32_e64 v2, 0xff800000, v48, s13
	v_cndmask_b32_e32 v12, 0x7f800001, v2, vcc_lo
; %bb.14510:                            ;   in Loop: Header=BB4_12924 Depth=3
	s_or_b32 exec_lo, exec_lo, s75
.LBB4_14511:                            ;   in Loop: Header=BB4_12924 Depth=3
	s_delay_alu instid0(SALU_CYCLE_1)
	s_or_b32 exec_lo, exec_lo, s74
.LBB4_14512:                            ;   in Loop: Header=BB4_12924 Depth=3
	s_delay_alu instid0(SALU_CYCLE_1) | instskip(NEXT) | instid1(VALU_DEP_1)
	s_or_b32 exec_lo, exec_lo, s73
	v_dual_add_f32 v12, v13, v12 :: v_dual_mov_b32 v15, v3
	v_mov_b32_e32 v5, v3
                                        ; implicit-def: $vgpr17
	s_mov_b32 s13, exec_lo
	s_delay_alu instid0(VALU_DEP_2) | instskip(SKIP_2) | instid1(VALU_DEP_3)
	v_and_b32_e32 v14, 0x7f800000, v12
	v_and_b32_e32 v4, 0x7fffff, v12
	v_lshrrev_b32_e32 v2, 24, v12
	v_cmpx_ne_u64_e32 0x7f800000, v[14:15]
	s_xor_b32 s73, exec_lo, s13
	s_cbranch_execz .LBB4_14526
; %bb.14513:                            ;   in Loop: Header=BB4_12924 Depth=3
	v_and_b32_e32 v14, 0x7fffffff, v12
	v_mov_b32_e32 v15, v3
	v_and_b32_e32 v2, 0x80, v2
                                        ; implicit-def: $vgpr17
	s_mov_b32 s13, exec_lo
	s_delay_alu instid0(VALU_DEP_2)
	v_cmpx_gt_u64_e32 0x47600001, v[14:15]
	s_xor_b32 s74, exec_lo, s13
	s_cbranch_execz .LBB4_14523
; %bb.14514:                            ;   in Loop: Header=BB4_12924 Depth=3
	v_mov_b32_e32 v17, 0
	s_mov_b32 s75, exec_lo
	v_cmpx_ne_u32_e32 0, v12
	s_cbranch_execz .LBB4_14522
; %bb.14515:                            ;   in Loop: Header=BB4_12924 Depth=3
	v_bfe_u32 v14, v12, 23, 8
	v_or_b32_e32 v13, 0x800000, v4
	s_delay_alu instid0(VALU_DEP_2) | instskip(SKIP_2) | instid1(VALU_DEP_2)
	v_cmp_gt_u32_e64 s13, 0x72, v14
	v_sub_nc_u32_e32 v12, 0x71, v14
	v_cmp_eq_u32_e32 vcc_lo, 0, v14
	v_cndmask_b32_e64 v12, 0, v12, s13
	s_delay_alu instid0(VALU_DEP_1) | instskip(NEXT) | instid1(VALU_DEP_1)
	v_cndmask_b32_e64 v15, v12, 0x70, vcc_lo
	v_dual_cndmask_b32 v4, v13, v4, vcc_lo :: v_dual_add_nc_u32 v12, 21, v15
	v_add_nc_u32_e32 v17, 20, v15
	s_delay_alu instid0(VALU_DEP_2) | instskip(NEXT) | instid1(VALU_DEP_2)
	v_lshlrev_b64_e64 v[12:13], v12, -1
	v_lshlrev_b64_e64 v[86:87], v17, 1
	s_delay_alu instid0(VALU_DEP_2) | instskip(SKIP_1) | instid1(VALU_DEP_4)
	v_bfi_b32 v12, v12, 0, v4
	v_lshrrev_b64 v[4:5], v15, v[4:5]
	v_bfi_b32 v13, v13, 0, 0
	s_delay_alu instid0(VALU_DEP_1) | instskip(NEXT) | instid1(VALU_DEP_3)
	v_cmp_eq_u64_e64 s13, v[12:13], v[86:87]
	v_mov_b64_e32 v[12:13], v[4:5]
	s_and_saveexec_b32 s76, s13
; %bb.14516:                            ;   in Loop: Header=BB4_12924 Depth=3
	v_bfe_u32 v12, v4, 21, 1
	v_mov_b32_e32 v13, v3
	s_delay_alu instid0(VALU_DEP_1) | instskip(NEXT) | instid1(VALU_DEP_1)
	v_add_nc_u64_e32 v[12:13], v[4:5], v[12:13]
	v_add_nc_u64_e32 v[12:13], -1, v[12:13]
; %bb.14517:                            ;   in Loop: Header=BB4_12924 Depth=3
	s_or_b32 exec_lo, exec_lo, s76
	v_add_nc_u32_e32 v5, 0xffffff81, v14
	v_lshrrev_b32_e32 v13, 23, v4
	s_mov_b32 s13, exec_lo
	s_delay_alu instid0(VALU_DEP_2) | instskip(NEXT) | instid1(VALU_DEP_1)
	v_cndmask_b32_e64 v5, v5, 0xffffff82, vcc_lo
	v_add3_u32 v14, v15, v5, v13
	v_and_b32_e32 v5, 0x1fffff, v12
                                        ; implicit-def: $vgpr12
	s_delay_alu instid0(VALU_DEP_1) | instskip(SKIP_1) | instid1(VALU_DEP_2)
	v_dual_add_nc_u32 v13, 14, v14 :: v_dual_add_nc_u32 v4, v5, v4
	v_mov_b32_e32 v5, v3
	v_cmpx_ne_u32_e32 0, v13
	s_xor_b32 s13, exec_lo, s13
; %bb.14518:                            ;   in Loop: Header=BB4_12924 Depth=3
	s_delay_alu instid0(VALU_DEP_2) | instskip(SKIP_1) | instid1(VALU_DEP_1)
	v_cmp_lt_u64_e32 vcc_lo, 0xffffff, v[4:5]
	v_add_nc_u32_e32 v12, 15, v14
	v_cndmask_b32_e32 v12, v13, v12, vcc_lo
	v_cndmask_b32_e64 v13, 0, 1, vcc_lo
	s_delay_alu instid0(VALU_DEP_1)
	v_lshrrev_b64 v[4:5], v13, v[4:5]
; %bb.14519:                            ;   in Loop: Header=BB4_12924 Depth=3
	s_and_not1_saveexec_b32 s13, s13
; %bb.14520:                            ;   in Loop: Header=BB4_12924 Depth=3
	s_delay_alu instid0(VALU_DEP_1)
	v_bfe_u32 v12, v4, 23, 1
; %bb.14521:                            ;   in Loop: Header=BB4_12924 Depth=3
	s_or_b32 exec_lo, exec_lo, s13
	s_delay_alu instid0(VALU_DEP_2) | instskip(NEXT) | instid1(VALU_DEP_2)
	v_lshrrev_b64 v[4:5], 21, v[4:5]
	v_cmp_gt_i32_e32 vcc_lo, 32, v12
	v_min_i32_e32 v13, 31, v12
	v_cmp_eq_u32_e64 s13, 0, v12
	s_delay_alu instid0(VALU_DEP_4) | instskip(NEXT) | instid1(VALU_DEP_3)
	v_cndmask_b32_e32 v5, 0, v5, vcc_lo
	v_dual_cndmask_b32 v4, 3, v4 :: v_dual_lshlrev_b32 v13, 2, v13
	s_delay_alu instid0(VALU_DEP_1) | instskip(NEXT) | instid1(VALU_DEP_2)
	v_and_b32_e32 v13, 0xfc, v13
	v_cmp_eq_u64_e32 vcc_lo, 0, v[4:5]
	s_delay_alu instid0(VALU_DEP_2)
	v_and_or_b32 v4, v4, 3, v13
	s_and_b32 s13, s13, vcc_lo
	s_delay_alu instid0(VALU_DEP_1) | instid1(SALU_CYCLE_1)
	v_cndmask_b32_e64 v4, v4, 0, s13
	s_delay_alu instid0(VALU_DEP_1)
	v_or_b32_e32 v17, v4, v2
.LBB4_14522:                            ;   in Loop: Header=BB4_12924 Depth=3
	s_or_b32 exec_lo, exec_lo, s75
                                        ; implicit-def: $vgpr2
.LBB4_14523:                            ;   in Loop: Header=BB4_12924 Depth=3
	s_and_not1_saveexec_b32 s13, s74
; %bb.14524:                            ;   in Loop: Header=BB4_12924 Depth=3
	v_or_b32_e32 v17, 0x7b, v2
; %bb.14525:                            ;   in Loop: Header=BB4_12924 Depth=3
	s_or_b32 exec_lo, exec_lo, s13
                                        ; implicit-def: $vgpr12
                                        ; implicit-def: $vgpr4_vgpr5
                                        ; implicit-def: $vgpr2
.LBB4_14526:                            ;   in Loop: Header=BB4_12924 Depth=3
	s_and_not1_saveexec_b32 s13, s73
	s_cbranch_execz .LBB4_14532
; %bb.14527:                            ;   in Loop: Header=BB4_12924 Depth=3
	s_mov_b32 s73, exec_lo
                                        ; implicit-def: $vgpr17
	v_cmpx_ne_u64_e32 0, v[4:5]
	s_xor_b32 s73, exec_lo, s73
; %bb.14528:                            ;   in Loop: Header=BB4_12924 Depth=3
	v_or_b32_e32 v17, 0x7f, v2
                                        ; implicit-def: $vgpr12
; %bb.14529:                            ;   in Loop: Header=BB4_12924 Depth=3
	s_and_not1_saveexec_b32 s73, s73
; %bb.14530:                            ;   in Loop: Header=BB4_12924 Depth=3
	v_cmp_lt_i32_e32 vcc_lo, -1, v12
	v_cndmask_b32_e32 v17, 0xfc, v49, vcc_lo
; %bb.14531:                            ;   in Loop: Header=BB4_12924 Depth=3
	s_or_b32 exec_lo, exec_lo, s73
.LBB4_14532:                            ;   in Loop: Header=BB4_12924 Depth=3
	s_delay_alu instid0(SALU_CYCLE_1) | instskip(SKIP_4) | instid1(VALU_DEP_2)
	s_or_b32 exec_lo, exec_lo, s13
	v_lshl_or_b32 v2, v40, 8, v67
	v_dual_lshlrev_b32 v4, 16, v58 :: v_dual_lshlrev_b32 v12, 24, v60
	v_dual_mov_b32 v5, v3 :: v_dual_mov_b32 v13, 0
	s_mov_b32 s13, exec_lo
	v_or3_b32 v4, v4, v12, v2
	v_mov_b32_e32 v12, 0
	v_cmpx_ne_u32_e32 0, v67
	s_cbranch_execz .LBB4_14542
; %bb.14533:                            ;   in Loop: Header=BB4_12924 Depth=3
	v_bfrev_b32_e32 v13, 1
	s_mov_b32 s73, exec_lo
	v_cmpx_ne_u32_e32 0x80, v67
	s_cbranch_execz .LBB4_14541
; %bb.14534:                            ;   in Loop: Header=BB4_12924 Depth=3
	v_and_b32_e32 v13, 0x7c, v67
	v_and_b32_e32 v14, 3, v67
	s_delay_alu instid0(VALU_DEP_2) | instskip(SKIP_1) | instid1(SALU_CYCLE_1)
	v_cmp_ne_u32_e32 vcc_lo, 0x7c, v13
                                        ; implicit-def: $vgpr13
	s_and_saveexec_b32 s74, vcc_lo
	s_xor_b32 s74, exec_lo, s74
	s_cbranch_execz .LBB4_14538
; %bb.14535:                            ;   in Loop: Header=BB4_12924 Depth=3
	v_bfe_u32 v13, v67, 2, 5
	s_mov_b32 s75, exec_lo
	s_delay_alu instid0(VALU_DEP_1)
	v_cmpx_eq_u32_e32 0, v13
; %bb.14536:                            ;   in Loop: Header=BB4_12924 Depth=3
	v_clz_i32_u32_e32 v13, v14
	s_delay_alu instid0(VALU_DEP_1) | instskip(NEXT) | instid1(VALU_DEP_1)
	v_min_u32_e32 v13, 32, v13
	v_subrev_nc_u32_e32 v14, 29, v13
	s_delay_alu instid0(VALU_DEP_1) | instskip(NEXT) | instid1(VALU_DEP_1)
	v_lshlrev_b64_e32 v[14:15], v14, v[4:5]
	v_dual_sub_nc_u32 v13, 30, v13 :: v_dual_bitop2_b32 v14, 3, v14 bitop3:0x40
; %bb.14537:                            ;   in Loop: Header=BB4_12924 Depth=3
	s_or_b32 exec_lo, exec_lo, s75
	v_lshlrev_b32_e32 v5, 24, v67
                                        ; implicit-def: $vgpr67
	s_delay_alu instid0(VALU_DEP_1) | instskip(NEXT) | instid1(VALU_DEP_1)
	v_and_b32_e32 v5, 0x80000000, v5
	v_lshl_add_u32 v5, v13, 23, v5
	s_delay_alu instid0(VALU_DEP_1) | instskip(NEXT) | instid1(VALU_DEP_1)
	v_lshl_or_b32 v5, v14, 21, v5
                                        ; implicit-def: $vgpr14
	v_add_nc_u32_e32 v13, 0x38000000, v5
.LBB4_14538:                            ;   in Loop: Header=BB4_12924 Depth=3
	s_and_not1_saveexec_b32 s74, s74
; %bb.14539:                            ;   in Loop: Header=BB4_12924 Depth=3
	v_and_b32_e32 v5, 0x80, v67
	s_delay_alu instid0(VALU_DEP_1) | instskip(SKIP_2) | instid1(VALU_DEP_2)
	v_cmp_eq_u32_e32 vcc_lo, 0, v5
	v_cndmask_b32_e32 v5, 0xff800000, v48, vcc_lo
	v_cmp_eq_u32_e32 vcc_lo, 0, v14
	v_cndmask_b32_e32 v13, 0x7f800001, v5, vcc_lo
; %bb.14540:                            ;   in Loop: Header=BB4_12924 Depth=3
	s_or_b32 exec_lo, exec_lo, s74
.LBB4_14541:                            ;   in Loop: Header=BB4_12924 Depth=3
	s_delay_alu instid0(SALU_CYCLE_1)
	s_or_b32 exec_lo, exec_lo, s73
.LBB4_14542:                            ;   in Loop: Header=BB4_12924 Depth=3
	s_delay_alu instid0(SALU_CYCLE_1) | instskip(SKIP_3) | instid1(VALU_DEP_1)
	s_or_b32 exec_lo, exec_lo, s13
	s_wait_loadcnt 0x0
	v_and_b32_e32 v5, 0xff, v8
	s_mov_b32 s13, exec_lo
	v_cmpx_ne_u16_e32 0, v5
	s_cbranch_execz .LBB4_14552
; %bb.14543:                            ;   in Loop: Header=BB4_12924 Depth=3
	v_bfe_i32 v14, v8, 0, 8
	v_bfrev_b32_e32 v12, 1
	s_mov_b32 s73, exec_lo
	s_delay_alu instid0(VALU_DEP_2)
	v_cmpx_ne_u16_e32 0xff80, v14
	s_cbranch_execz .LBB4_14551
; %bb.14544:                            ;   in Loop: Header=BB4_12924 Depth=3
	v_and_b32_e32 v12, 0x7c, v8
	v_and_b32_e32 v5, 3, v8
	s_delay_alu instid0(VALU_DEP_2) | instskip(SKIP_1) | instid1(SALU_CYCLE_1)
	v_cmp_ne_u32_e32 vcc_lo, 0x7c, v12
                                        ; implicit-def: $vgpr12
	s_and_saveexec_b32 s74, vcc_lo
	s_xor_b32 s74, exec_lo, s74
	s_cbranch_execz .LBB4_14548
; %bb.14545:                            ;   in Loop: Header=BB4_12924 Depth=3
	v_bfe_u32 v12, v8, 2, 5
	s_mov_b32 s75, exec_lo
	s_delay_alu instid0(VALU_DEP_1)
	v_cmpx_eq_u32_e32 0, v12
; %bb.14546:                            ;   in Loop: Header=BB4_12924 Depth=3
	v_clz_i32_u32_e32 v5, v5
	s_delay_alu instid0(VALU_DEP_1) | instskip(NEXT) | instid1(VALU_DEP_1)
	v_min_u32_e32 v5, 32, v5
	v_subrev_nc_u32_e32 v12, 29, v5
	s_delay_alu instid0(VALU_DEP_1) | instskip(NEXT) | instid1(VALU_DEP_1)
	v_lshlrev_b64_e32 v[14:15], v12, v[8:9]
	v_dual_sub_nc_u32 v12, 30, v5 :: v_dual_bitop2_b32 v5, 3, v14 bitop3:0x40
; %bb.14547:                            ;   in Loop: Header=BB4_12924 Depth=3
	s_or_b32 exec_lo, exec_lo, s75
	v_lshlrev_b32_e32 v14, 24, v8
	s_delay_alu instid0(VALU_DEP_1) | instskip(NEXT) | instid1(VALU_DEP_1)
	v_and_b32_e32 v14, 0x80000000, v14
	v_lshl_add_u32 v12, v12, 23, v14
                                        ; implicit-def: $vgpr14
	s_delay_alu instid0(VALU_DEP_1) | instskip(NEXT) | instid1(VALU_DEP_1)
	v_lshl_or_b32 v5, v5, 21, v12
	v_add_nc_u32_e32 v12, 0x38000000, v5
                                        ; implicit-def: $vgpr5
.LBB4_14548:                            ;   in Loop: Header=BB4_12924 Depth=3
	s_and_not1_saveexec_b32 s74, s74
; %bb.14549:                            ;   in Loop: Header=BB4_12924 Depth=3
	v_cmp_lt_i16_e32 vcc_lo, -1, v14
	v_cndmask_b32_e32 v12, 0xff800000, v48, vcc_lo
	v_cmp_eq_u32_e32 vcc_lo, 0, v5
	s_delay_alu instid0(VALU_DEP_2)
	v_cndmask_b32_e32 v12, 0x7f800001, v12, vcc_lo
; %bb.14550:                            ;   in Loop: Header=BB4_12924 Depth=3
	s_or_b32 exec_lo, exec_lo, s74
.LBB4_14551:                            ;   in Loop: Header=BB4_12924 Depth=3
	s_delay_alu instid0(SALU_CYCLE_1)
	s_or_b32 exec_lo, exec_lo, s73
.LBB4_14552:                            ;   in Loop: Header=BB4_12924 Depth=3
	s_delay_alu instid0(SALU_CYCLE_1) | instskip(NEXT) | instid1(VALU_DEP_1)
	s_or_b32 exec_lo, exec_lo, s13
	v_dual_add_f32 v14, v13, v12 :: v_dual_mov_b32 v87, v3
	v_mov_b32_e32 v13, v3
                                        ; implicit-def: $vgpr67
	s_mov_b32 s13, exec_lo
	s_delay_alu instid0(VALU_DEP_2) | instskip(SKIP_2) | instid1(VALU_DEP_3)
	v_and_b32_e32 v86, 0x7f800000, v14
	v_and_b32_e32 v12, 0x7fffff, v14
	v_lshrrev_b32_e32 v5, 24, v14
	v_cmpx_ne_u64_e32 0x7f800000, v[86:87]
	s_xor_b32 s73, exec_lo, s13
	s_cbranch_execz .LBB4_14566
; %bb.14553:                            ;   in Loop: Header=BB4_12924 Depth=3
	v_and_b32_e32 v86, 0x7fffffff, v14
	v_mov_b32_e32 v87, v3
	v_and_b32_e32 v5, 0x80, v5
                                        ; implicit-def: $vgpr67
	s_mov_b32 s13, exec_lo
	s_delay_alu instid0(VALU_DEP_2)
	v_cmpx_gt_u64_e32 0x47600001, v[86:87]
	s_xor_b32 s74, exec_lo, s13
	s_cbranch_execz .LBB4_14563
; %bb.14554:                            ;   in Loop: Header=BB4_12924 Depth=3
	v_mov_b32_e32 v67, 0
	s_mov_b32 s75, exec_lo
	v_cmpx_ne_u32_e32 0, v14
	s_cbranch_execz .LBB4_14562
; %bb.14555:                            ;   in Loop: Header=BB4_12924 Depth=3
	v_bfe_u32 v67, v14, 23, 8
	v_or_b32_e32 v15, 0x800000, v12
	s_delay_alu instid0(VALU_DEP_2) | instskip(SKIP_2) | instid1(VALU_DEP_2)
	v_cmp_gt_u32_e64 s13, 0x72, v67
	v_sub_nc_u32_e32 v14, 0x71, v67
	v_cmp_eq_u32_e32 vcc_lo, 0, v67
	v_dual_cndmask_b32 v14, 0, v14, s13 :: v_dual_cndmask_b32 v12, v15, v12, vcc_lo
	s_delay_alu instid0(VALU_DEP_1) | instskip(NEXT) | instid1(VALU_DEP_1)
	v_cndmask_b32_e64 v86, v14, 0x70, vcc_lo
	v_dual_add_nc_u32 v14, 21, v86 :: v_dual_add_nc_u32 v87, 20, v86
	s_delay_alu instid0(VALU_DEP_1) | instskip(NEXT) | instid1(VALU_DEP_2)
	v_lshlrev_b64_e64 v[14:15], v14, -1
	v_lshlrev_b64_e64 v[96:97], v87, 1
	s_delay_alu instid0(VALU_DEP_2) | instskip(SKIP_1) | instid1(VALU_DEP_4)
	v_bfi_b32 v14, v14, 0, v12
	v_lshrrev_b64 v[12:13], v86, v[12:13]
	v_bfi_b32 v15, v15, 0, 0
	s_delay_alu instid0(VALU_DEP_1) | instskip(NEXT) | instid1(VALU_DEP_3)
	v_cmp_eq_u64_e64 s13, v[14:15], v[96:97]
	v_mov_b64_e32 v[14:15], v[12:13]
	s_and_saveexec_b32 s76, s13
; %bb.14556:                            ;   in Loop: Header=BB4_12924 Depth=3
	v_bfe_u32 v14, v12, 21, 1
	v_mov_b32_e32 v15, v3
	s_delay_alu instid0(VALU_DEP_1) | instskip(NEXT) | instid1(VALU_DEP_1)
	v_add_nc_u64_e32 v[14:15], v[12:13], v[14:15]
	v_add_nc_u64_e32 v[14:15], -1, v[14:15]
; %bb.14557:                            ;   in Loop: Header=BB4_12924 Depth=3
	s_or_b32 exec_lo, exec_lo, s76
	v_add_nc_u32_e32 v13, 0xffffff81, v67
	v_lshrrev_b32_e32 v15, 23, v12
	s_mov_b32 s13, exec_lo
	s_delay_alu instid0(VALU_DEP_2) | instskip(NEXT) | instid1(VALU_DEP_1)
	v_cndmask_b32_e64 v13, v13, 0xffffff82, vcc_lo
	v_add3_u32 v67, v86, v13, v15
	v_and_b32_e32 v13, 0x1fffff, v14
                                        ; implicit-def: $vgpr14
	s_delay_alu instid0(VALU_DEP_1) | instskip(SKIP_1) | instid1(VALU_DEP_2)
	v_dual_add_nc_u32 v15, 14, v67 :: v_dual_add_nc_u32 v12, v13, v12
	v_mov_b32_e32 v13, v3
	v_cmpx_ne_u32_e32 0, v15
	s_xor_b32 s13, exec_lo, s13
; %bb.14558:                            ;   in Loop: Header=BB4_12924 Depth=3
	s_delay_alu instid0(VALU_DEP_2) | instskip(SKIP_1) | instid1(VALU_DEP_1)
	v_cmp_lt_u64_e32 vcc_lo, 0xffffff, v[12:13]
	v_add_nc_u32_e32 v14, 15, v67
	v_cndmask_b32_e32 v14, v15, v14, vcc_lo
	v_cndmask_b32_e64 v15, 0, 1, vcc_lo
	s_delay_alu instid0(VALU_DEP_1)
	v_lshrrev_b64 v[12:13], v15, v[12:13]
; %bb.14559:                            ;   in Loop: Header=BB4_12924 Depth=3
	s_and_not1_saveexec_b32 s13, s13
; %bb.14560:                            ;   in Loop: Header=BB4_12924 Depth=3
	s_delay_alu instid0(VALU_DEP_1)
	v_bfe_u32 v14, v12, 23, 1
; %bb.14561:                            ;   in Loop: Header=BB4_12924 Depth=3
	s_or_b32 exec_lo, exec_lo, s13
	s_delay_alu instid0(VALU_DEP_2) | instskip(NEXT) | instid1(VALU_DEP_2)
	v_lshrrev_b64 v[12:13], 21, v[12:13]
	v_cmp_gt_i32_e32 vcc_lo, 32, v14
	v_min_i32_e32 v15, 31, v14
	v_cmp_eq_u32_e64 s13, 0, v14
	s_delay_alu instid0(VALU_DEP_2) | instskip(SKIP_1) | instid1(VALU_DEP_2)
	v_dual_cndmask_b32 v13, 0, v13, vcc_lo :: v_dual_lshlrev_b32 v15, 2, v15
	v_cndmask_b32_e32 v12, 3, v12, vcc_lo
	v_and_b32_e32 v15, 0xfc, v15
	s_delay_alu instid0(VALU_DEP_2) | instskip(NEXT) | instid1(VALU_DEP_2)
	v_cmp_eq_u64_e32 vcc_lo, 0, v[12:13]
	v_and_or_b32 v12, v12, 3, v15
	s_and_b32 s13, s13, vcc_lo
	s_delay_alu instid0(VALU_DEP_1) | instid1(SALU_CYCLE_1)
	v_cndmask_b32_e64 v12, v12, 0, s13
	s_delay_alu instid0(VALU_DEP_1)
	v_or_b32_e32 v67, v12, v5
.LBB4_14562:                            ;   in Loop: Header=BB4_12924 Depth=3
	s_or_b32 exec_lo, exec_lo, s75
                                        ; implicit-def: $vgpr5
.LBB4_14563:                            ;   in Loop: Header=BB4_12924 Depth=3
	s_and_not1_saveexec_b32 s13, s74
; %bb.14564:                            ;   in Loop: Header=BB4_12924 Depth=3
	v_or_b32_e32 v67, 0x7b, v5
; %bb.14565:                            ;   in Loop: Header=BB4_12924 Depth=3
	s_or_b32 exec_lo, exec_lo, s13
                                        ; implicit-def: $vgpr14
                                        ; implicit-def: $vgpr12_vgpr13
                                        ; implicit-def: $vgpr5
.LBB4_14566:                            ;   in Loop: Header=BB4_12924 Depth=3
	s_and_not1_saveexec_b32 s13, s73
	s_cbranch_execz .LBB4_14572
; %bb.14567:                            ;   in Loop: Header=BB4_12924 Depth=3
	s_mov_b32 s73, exec_lo
                                        ; implicit-def: $vgpr67
	v_cmpx_ne_u64_e32 0, v[12:13]
	s_xor_b32 s73, exec_lo, s73
; %bb.14568:                            ;   in Loop: Header=BB4_12924 Depth=3
	v_or_b32_e32 v67, 0x7f, v5
                                        ; implicit-def: $vgpr14
; %bb.14569:                            ;   in Loop: Header=BB4_12924 Depth=3
	s_and_not1_saveexec_b32 s73, s73
; %bb.14570:                            ;   in Loop: Header=BB4_12924 Depth=3
	v_cmp_lt_i32_e32 vcc_lo, -1, v14
	v_cndmask_b32_e32 v67, 0xfc, v49, vcc_lo
; %bb.14571:                            ;   in Loop: Header=BB4_12924 Depth=3
	s_or_b32 exec_lo, exec_lo, s73
.LBB4_14572:                            ;   in Loop: Header=BB4_12924 Depth=3
	s_delay_alu instid0(SALU_CYCLE_1) | instskip(SKIP_3) | instid1(VALU_DEP_2)
	s_or_b32 exec_lo, exec_lo, s13
	v_lshrrev_b16 v12, 8, v2
	v_dual_mov_b32 v5, 0 :: v_dual_mov_b32 v14, 0
	s_mov_b32 s13, exec_lo
	v_cmpx_ne_u16_e32 0, v12
	s_cbranch_execz .LBB4_14582
; %bb.14573:                            ;   in Loop: Header=BB4_12924 Depth=3
	v_bfrev_b32_e32 v14, 1
	s_mov_b32 s73, exec_lo
	v_cmpx_ne_u16_e32 0x80, v12
	s_cbranch_execz .LBB4_14581
; %bb.14574:                            ;   in Loop: Header=BB4_12924 Depth=3
	v_and_b32_e32 v15, 0xffff, v12
	s_delay_alu instid0(VALU_DEP_1) | instskip(SKIP_1) | instid1(VALU_DEP_2)
	v_and_b32_e32 v14, 0x7c, v15
	v_and_b32_e32 v13, 3, v15
	v_cmp_ne_u32_e32 vcc_lo, 0x7c, v14
                                        ; implicit-def: $vgpr14
	s_and_saveexec_b32 s74, vcc_lo
	s_delay_alu instid0(SALU_CYCLE_1)
	s_xor_b32 s74, exec_lo, s74
	s_cbranch_execz .LBB4_14578
; %bb.14575:                            ;   in Loop: Header=BB4_12924 Depth=3
	v_bfe_u32 v14, v15, 2, 5
	s_mov_b32 s75, exec_lo
	s_delay_alu instid0(VALU_DEP_1)
	v_cmpx_eq_u32_e32 0, v14
	s_cbranch_execz .LBB4_14577
; %bb.14576:                            ;   in Loop: Header=BB4_12924 Depth=3
	v_clz_i32_u32_e32 v13, v13
	s_delay_alu instid0(VALU_DEP_1) | instskip(SKIP_1) | instid1(VALU_DEP_2)
	v_min_u32_e32 v14, 32, v13
	v_mov_b32_e32 v13, v3
	v_subrev_nc_u32_e32 v15, 29, v14
	v_sub_nc_u32_e32 v14, 30, v14
	s_delay_alu instid0(VALU_DEP_2) | instskip(NEXT) | instid1(VALU_DEP_1)
	v_lshlrev_b64_e32 v[12:13], v15, v[12:13]
	v_and_b32_e32 v13, 3, v12
.LBB4_14577:                            ;   in Loop: Header=BB4_12924 Depth=3
	s_or_b32 exec_lo, exec_lo, s75
	v_lshlrev_b32_e32 v2, 16, v2
	s_delay_alu instid0(VALU_DEP_1) | instskip(NEXT) | instid1(VALU_DEP_1)
	v_and_b32_e32 v2, 0x80000000, v2
	v_lshl_add_u32 v2, v14, 23, v2
	s_delay_alu instid0(VALU_DEP_1) | instskip(NEXT) | instid1(VALU_DEP_1)
	v_lshl_or_b32 v2, v13, 21, v2
                                        ; implicit-def: $vgpr13
	v_add_nc_u32_e32 v14, 0x38000000, v2
                                        ; implicit-def: $vgpr2
.LBB4_14578:                            ;   in Loop: Header=BB4_12924 Depth=3
	s_and_not1_saveexec_b32 s74, s74
; %bb.14579:                            ;   in Loop: Header=BB4_12924 Depth=3
	v_cmp_lt_i16_e32 vcc_lo, -1, v2
	v_cndmask_b32_e32 v2, 0xff800000, v48, vcc_lo
	v_cmp_eq_u32_e32 vcc_lo, 0, v13
	s_delay_alu instid0(VALU_DEP_2)
	v_cndmask_b32_e32 v14, 0x7f800001, v2, vcc_lo
; %bb.14580:                            ;   in Loop: Header=BB4_12924 Depth=3
	s_or_b32 exec_lo, exec_lo, s74
.LBB4_14581:                            ;   in Loop: Header=BB4_12924 Depth=3
	s_delay_alu instid0(SALU_CYCLE_1)
	s_or_b32 exec_lo, exec_lo, s73
.LBB4_14582:                            ;   in Loop: Header=BB4_12924 Depth=3
	s_delay_alu instid0(SALU_CYCLE_1) | instskip(SKIP_2) | instid1(VALU_DEP_1)
	s_or_b32 exec_lo, exec_lo, s13
	v_lshrrev_b16 v12, 8, v8
	s_mov_b32 s13, exec_lo
	v_cmpx_ne_u16_e32 0, v12
	s_cbranch_execz .LBB4_14592
; %bb.14583:                            ;   in Loop: Header=BB4_12924 Depth=3
	v_bfrev_b32_e32 v5, 1
	s_mov_b32 s73, exec_lo
	v_cmpx_ne_u16_e32 0x80, v12
	s_cbranch_execz .LBB4_14591
; %bb.14584:                            ;   in Loop: Header=BB4_12924 Depth=3
	v_and_b32_e32 v13, 0xffff, v12
	s_delay_alu instid0(VALU_DEP_1) | instskip(SKIP_1) | instid1(VALU_DEP_2)
	v_and_b32_e32 v5, 0x7c, v13
	v_and_b32_e32 v2, 3, v13
	v_cmp_ne_u32_e32 vcc_lo, 0x7c, v5
                                        ; implicit-def: $vgpr5
	s_and_saveexec_b32 s74, vcc_lo
	s_delay_alu instid0(SALU_CYCLE_1)
	s_xor_b32 s74, exec_lo, s74
	s_cbranch_execz .LBB4_14588
; %bb.14585:                            ;   in Loop: Header=BB4_12924 Depth=3
	v_bfe_u32 v5, v13, 2, 5
	s_mov_b32 s75, exec_lo
	s_delay_alu instid0(VALU_DEP_1)
	v_cmpx_eq_u32_e32 0, v5
; %bb.14586:                            ;   in Loop: Header=BB4_12924 Depth=3
	v_clz_i32_u32_e32 v2, v2
	s_delay_alu instid0(VALU_DEP_1) | instskip(SKIP_1) | instid1(VALU_DEP_2)
	v_min_u32_e32 v2, 32, v2
	v_mov_b32_e32 v13, v3
	v_subrev_nc_u32_e32 v5, 29, v2
	s_delay_alu instid0(VALU_DEP_1) | instskip(NEXT) | instid1(VALU_DEP_1)
	v_lshlrev_b64_e32 v[12:13], v5, v[12:13]
	v_dual_sub_nc_u32 v5, 30, v2 :: v_dual_bitop2_b32 v2, 3, v12 bitop3:0x40
; %bb.14587:                            ;   in Loop: Header=BB4_12924 Depth=3
	s_or_b32 exec_lo, exec_lo, s75
	v_lshlrev_b32_e32 v12, 16, v8
	s_delay_alu instid0(VALU_DEP_1) | instskip(NEXT) | instid1(VALU_DEP_1)
	v_and_b32_e32 v12, 0x80000000, v12
	v_lshl_add_u32 v5, v5, 23, v12
	s_delay_alu instid0(VALU_DEP_1) | instskip(NEXT) | instid1(VALU_DEP_1)
	v_lshl_or_b32 v2, v2, 21, v5
	v_add_nc_u32_e32 v5, 0x38000000, v2
                                        ; implicit-def: $vgpr2
.LBB4_14588:                            ;   in Loop: Header=BB4_12924 Depth=3
	s_and_not1_saveexec_b32 s74, s74
; %bb.14589:                            ;   in Loop: Header=BB4_12924 Depth=3
	v_cmp_lt_i16_e32 vcc_lo, -1, v8
	v_cndmask_b32_e32 v5, 0xff800000, v48, vcc_lo
	v_cmp_eq_u32_e32 vcc_lo, 0, v2
	s_delay_alu instid0(VALU_DEP_2)
	v_cndmask_b32_e32 v5, 0x7f800001, v5, vcc_lo
; %bb.14590:                            ;   in Loop: Header=BB4_12924 Depth=3
	s_or_b32 exec_lo, exec_lo, s74
.LBB4_14591:                            ;   in Loop: Header=BB4_12924 Depth=3
	s_delay_alu instid0(SALU_CYCLE_1)
	s_or_b32 exec_lo, exec_lo, s73
.LBB4_14592:                            ;   in Loop: Header=BB4_12924 Depth=3
	s_delay_alu instid0(SALU_CYCLE_1) | instskip(NEXT) | instid1(VALU_DEP_1)
	s_or_b32 exec_lo, exec_lo, s13
	v_dual_add_f32 v5, v14, v5 :: v_dual_mov_b32 v15, v3
	v_mov_b32_e32 v13, v3
                                        ; implicit-def: $vgpr40
	s_mov_b32 s13, exec_lo
	s_delay_alu instid0(VALU_DEP_2) | instskip(SKIP_2) | instid1(VALU_DEP_3)
	v_and_b32_e32 v14, 0x7f800000, v5
	v_and_b32_e32 v12, 0x7fffff, v5
	v_lshrrev_b32_e32 v2, 24, v5
	v_cmpx_ne_u64_e32 0x7f800000, v[14:15]
	s_xor_b32 s73, exec_lo, s13
	s_cbranch_execz .LBB4_14606
; %bb.14593:                            ;   in Loop: Header=BB4_12924 Depth=3
	v_and_b32_e32 v14, 0x7fffffff, v5
	v_mov_b32_e32 v15, v3
	v_and_b32_e32 v2, 0x80, v2
                                        ; implicit-def: $vgpr40
	s_mov_b32 s13, exec_lo
	s_delay_alu instid0(VALU_DEP_2)
	v_cmpx_gt_u64_e32 0x47600001, v[14:15]
	s_xor_b32 s74, exec_lo, s13
	s_cbranch_execz .LBB4_14603
; %bb.14594:                            ;   in Loop: Header=BB4_12924 Depth=3
	v_mov_b32_e32 v40, 0
	s_mov_b32 s75, exec_lo
	v_cmpx_ne_u32_e32 0, v5
	s_cbranch_execz .LBB4_14602
; %bb.14595:                            ;   in Loop: Header=BB4_12924 Depth=3
	v_bfe_u32 v5, v5, 23, 8
	v_or_b32_e32 v15, 0x800000, v12
	s_delay_alu instid0(VALU_DEP_2) | instskip(SKIP_2) | instid1(VALU_DEP_2)
	v_cmp_gt_u32_e64 s13, 0x72, v5
	v_sub_nc_u32_e32 v14, 0x71, v5
	v_cmp_eq_u32_e32 vcc_lo, 0, v5
	v_dual_cndmask_b32 v14, 0, v14, s13 :: v_dual_cndmask_b32 v12, v15, v12, vcc_lo
	s_delay_alu instid0(VALU_DEP_1) | instskip(NEXT) | instid1(VALU_DEP_1)
	v_cndmask_b32_e64 v86, v14, 0x70, vcc_lo
	v_dual_add_nc_u32 v14, 21, v86 :: v_dual_add_nc_u32 v87, 20, v86
	s_delay_alu instid0(VALU_DEP_1) | instskip(NEXT) | instid1(VALU_DEP_2)
	v_lshlrev_b64_e64 v[14:15], v14, -1
	v_lshlrev_b64_e64 v[96:97], v87, 1
	s_delay_alu instid0(VALU_DEP_2) | instskip(SKIP_1) | instid1(VALU_DEP_4)
	v_bfi_b32 v14, v14, 0, v12
	v_lshrrev_b64 v[12:13], v86, v[12:13]
	v_bfi_b32 v15, v15, 0, 0
	s_delay_alu instid0(VALU_DEP_1) | instskip(NEXT) | instid1(VALU_DEP_3)
	v_cmp_eq_u64_e64 s13, v[14:15], v[96:97]
	v_mov_b64_e32 v[14:15], v[12:13]
	s_and_saveexec_b32 s76, s13
; %bb.14596:                            ;   in Loop: Header=BB4_12924 Depth=3
	v_bfe_u32 v14, v12, 21, 1
	v_mov_b32_e32 v15, v3
	s_delay_alu instid0(VALU_DEP_1) | instskip(NEXT) | instid1(VALU_DEP_1)
	v_add_nc_u64_e32 v[14:15], v[12:13], v[14:15]
	v_add_nc_u64_e32 v[14:15], -1, v[14:15]
; %bb.14597:                            ;   in Loop: Header=BB4_12924 Depth=3
	s_or_b32 exec_lo, exec_lo, s76
	v_add_nc_u32_e32 v5, 0xffffff81, v5
	v_lshrrev_b32_e32 v13, 23, v12
	s_mov_b32 s13, exec_lo
	s_delay_alu instid0(VALU_DEP_2) | instskip(NEXT) | instid1(VALU_DEP_1)
	v_cndmask_b32_e64 v5, v5, 0xffffff82, vcc_lo
	v_add3_u32 v15, v86, v5, v13
	v_and_b32_e32 v5, 0x1fffff, v14
	s_delay_alu instid0(VALU_DEP_2) | instskip(NEXT) | instid1(VALU_DEP_2)
	v_dual_mov_b32 v13, v3 :: v_dual_add_nc_u32 v14, 14, v15
	v_add_nc_u32_e32 v12, v5, v12
                                        ; implicit-def: $vgpr5
	s_delay_alu instid0(VALU_DEP_2)
	v_cmpx_ne_u32_e32 0, v14
	s_xor_b32 s13, exec_lo, s13
; %bb.14598:                            ;   in Loop: Header=BB4_12924 Depth=3
	s_delay_alu instid0(VALU_DEP_2) | instskip(SKIP_1) | instid1(VALU_DEP_1)
	v_cmp_lt_u64_e32 vcc_lo, 0xffffff, v[12:13]
	v_add_nc_u32_e32 v5, 15, v15
	v_cndmask_b32_e32 v5, v14, v5, vcc_lo
	v_cndmask_b32_e64 v14, 0, 1, vcc_lo
	s_delay_alu instid0(VALU_DEP_1)
	v_lshrrev_b64 v[12:13], v14, v[12:13]
; %bb.14599:                            ;   in Loop: Header=BB4_12924 Depth=3
	s_and_not1_saveexec_b32 s13, s13
; %bb.14600:                            ;   in Loop: Header=BB4_12924 Depth=3
	s_delay_alu instid0(VALU_DEP_1)
	v_bfe_u32 v5, v12, 23, 1
; %bb.14601:                            ;   in Loop: Header=BB4_12924 Depth=3
	s_or_b32 exec_lo, exec_lo, s13
	s_delay_alu instid0(VALU_DEP_2) | instskip(NEXT) | instid1(VALU_DEP_2)
	v_lshrrev_b64 v[12:13], 21, v[12:13]
	v_cmp_gt_i32_e32 vcc_lo, 32, v5
	v_min_i32_e32 v14, 31, v5
	v_cmp_eq_u32_e64 s13, 0, v5
	s_delay_alu instid0(VALU_DEP_2) | instskip(SKIP_1) | instid1(VALU_DEP_2)
	v_dual_cndmask_b32 v12, 3, v12, vcc_lo :: v_dual_lshlrev_b32 v14, 2, v14
	v_cndmask_b32_e32 v13, 0, v13, vcc_lo
	v_and_b32_e32 v14, 0xfc, v14
	s_delay_alu instid0(VALU_DEP_2) | instskip(NEXT) | instid1(VALU_DEP_2)
	v_cmp_eq_u64_e32 vcc_lo, 0, v[12:13]
	v_and_or_b32 v5, v12, 3, v14
	s_and_b32 s13, s13, vcc_lo
	s_delay_alu instid0(VALU_DEP_1) | instid1(SALU_CYCLE_1)
	v_cndmask_b32_e64 v5, v5, 0, s13
	s_delay_alu instid0(VALU_DEP_1)
	v_or_b32_e32 v40, v5, v2
.LBB4_14602:                            ;   in Loop: Header=BB4_12924 Depth=3
	s_or_b32 exec_lo, exec_lo, s75
                                        ; implicit-def: $vgpr2
.LBB4_14603:                            ;   in Loop: Header=BB4_12924 Depth=3
	s_and_not1_saveexec_b32 s13, s74
; %bb.14604:                            ;   in Loop: Header=BB4_12924 Depth=3
	v_or_b32_e32 v40, 0x7b, v2
; %bb.14605:                            ;   in Loop: Header=BB4_12924 Depth=3
	s_or_b32 exec_lo, exec_lo, s13
                                        ; implicit-def: $vgpr5
                                        ; implicit-def: $vgpr12_vgpr13
                                        ; implicit-def: $vgpr2
.LBB4_14606:                            ;   in Loop: Header=BB4_12924 Depth=3
	s_and_not1_saveexec_b32 s13, s73
	s_cbranch_execz .LBB4_14612
; %bb.14607:                            ;   in Loop: Header=BB4_12924 Depth=3
	s_mov_b32 s73, exec_lo
                                        ; implicit-def: $vgpr40
	v_cmpx_ne_u64_e32 0, v[12:13]
	s_xor_b32 s73, exec_lo, s73
; %bb.14608:                            ;   in Loop: Header=BB4_12924 Depth=3
	v_or_b32_e32 v40, 0x7f, v2
                                        ; implicit-def: $vgpr5
; %bb.14609:                            ;   in Loop: Header=BB4_12924 Depth=3
	s_and_not1_saveexec_b32 s73, s73
; %bb.14610:                            ;   in Loop: Header=BB4_12924 Depth=3
	v_cmp_lt_i32_e32 vcc_lo, -1, v5
	v_cndmask_b32_e32 v40, 0xfc, v49, vcc_lo
; %bb.14611:                            ;   in Loop: Header=BB4_12924 Depth=3
	s_or_b32 exec_lo, exec_lo, s73
.LBB4_14612:                            ;   in Loop: Header=BB4_12924 Depth=3
	s_delay_alu instid0(SALU_CYCLE_1) | instskip(SKIP_3) | instid1(VALU_DEP_2)
	s_or_b32 exec_lo, exec_lo, s13
	v_dual_mov_b32 v5, 0 :: v_dual_lshrrev_b32 v2, 16, v4
	v_mov_b32_e32 v12, 0
	s_mov_b32 s73, exec_lo
	v_and_b32_e32 v13, 0xff, v2
	s_delay_alu instid0(VALU_DEP_1)
	v_cmpx_ne_u16_e32 0, v13
	s_cbranch_execz .LBB4_14622
; %bb.14613:                            ;   in Loop: Header=BB4_12924 Depth=3
	v_bfrev_b32_e32 v12, 1
	s_mov_b32 s74, exec_lo
	v_cmpx_ne_u16_e32 0x80, v13
	s_cbranch_execz .LBB4_14621
; %bb.14614:                            ;   in Loop: Header=BB4_12924 Depth=3
	v_and_b32_e32 v12, 0x7c0000, v4
	v_bfe_u32 v13, v4, 16, 2
	s_delay_alu instid0(VALU_DEP_2) | instskip(SKIP_1) | instid1(SALU_CYCLE_1)
	v_cmp_ne_u32_e32 vcc_lo, 0x7c0000, v12
                                        ; implicit-def: $vgpr12
	s_and_saveexec_b32 s13, vcc_lo
	s_xor_b32 s13, exec_lo, s13
	s_cbranch_execz .LBB4_14618
; %bb.14615:                            ;   in Loop: Header=BB4_12924 Depth=3
	v_bfe_u32 v12, v4, 18, 5
	s_mov_b32 s75, exec_lo
	s_delay_alu instid0(VALU_DEP_1)
	v_cmpx_eq_u32_e32 0, v12
; %bb.14616:                            ;   in Loop: Header=BB4_12924 Depth=3
	v_clz_i32_u32_e32 v12, v13
	s_delay_alu instid0(VALU_DEP_1) | instskip(NEXT) | instid1(VALU_DEP_1)
	v_min_u32_e32 v12, 32, v12
	v_subrev_nc_u32_e32 v13, 29, v12
	s_delay_alu instid0(VALU_DEP_1) | instskip(NEXT) | instid1(VALU_DEP_1)
	v_lshlrev_b64_e32 v[14:15], v13, v[2:3]
	v_dual_sub_nc_u32 v12, 30, v12 :: v_dual_bitop2_b32 v13, 3, v14 bitop3:0x40
; %bb.14617:                            ;   in Loop: Header=BB4_12924 Depth=3
	s_or_b32 exec_lo, exec_lo, s75
	v_lshlrev_b32_e32 v2, 24, v2
	s_delay_alu instid0(VALU_DEP_1) | instskip(NEXT) | instid1(VALU_DEP_1)
	v_and_b32_e32 v2, 0x80000000, v2
	v_lshl_add_u32 v2, v12, 23, v2
	s_delay_alu instid0(VALU_DEP_1) | instskip(NEXT) | instid1(VALU_DEP_1)
	v_lshl_or_b32 v2, v13, 21, v2
                                        ; implicit-def: $vgpr13
	v_add_nc_u32_e32 v12, 0x38000000, v2
                                        ; implicit-def: $vgpr2
.LBB4_14618:                            ;   in Loop: Header=BB4_12924 Depth=3
	s_and_not1_saveexec_b32 s75, s13
; %bb.14619:                            ;   in Loop: Header=BB4_12924 Depth=3
	v_bfe_i32 v2, v2, 0, 8
	v_cmp_eq_u32_e32 vcc_lo, 0, v13
	s_delay_alu instid0(VALU_DEP_2) | instskip(NEXT) | instid1(VALU_DEP_1)
	v_cmp_lt_i16_e64 s13, -1, v2
	v_cndmask_b32_e64 v2, 0xff800000, v48, s13
	s_delay_alu instid0(VALU_DEP_1)
	v_cndmask_b32_e32 v12, 0x7f800001, v2, vcc_lo
; %bb.14620:                            ;   in Loop: Header=BB4_12924 Depth=3
	s_or_b32 exec_lo, exec_lo, s75
.LBB4_14621:                            ;   in Loop: Header=BB4_12924 Depth=3
	s_delay_alu instid0(SALU_CYCLE_1)
	s_or_b32 exec_lo, exec_lo, s74
.LBB4_14622:                            ;   in Loop: Header=BB4_12924 Depth=3
	s_delay_alu instid0(SALU_CYCLE_1) | instskip(SKIP_2) | instid1(VALU_DEP_1)
	s_or_b32 exec_lo, exec_lo, s73
	v_lshrrev_b32_e32 v2, 16, v8
	s_mov_b32 s73, exec_lo
	v_and_b32_e32 v13, 0xff, v2
	s_delay_alu instid0(VALU_DEP_1)
	v_cmpx_ne_u16_e32 0, v13
	s_cbranch_execz .LBB4_14632
; %bb.14623:                            ;   in Loop: Header=BB4_12924 Depth=3
	v_bfrev_b32_e32 v5, 1
	s_mov_b32 s74, exec_lo
	v_cmpx_ne_u16_e32 0x80, v13
	s_cbranch_execz .LBB4_14631
; %bb.14624:                            ;   in Loop: Header=BB4_12924 Depth=3
	v_and_b32_e32 v5, 0x7c0000, v8
	v_bfe_u32 v13, v8, 16, 2
	s_delay_alu instid0(VALU_DEP_2) | instskip(SKIP_1) | instid1(SALU_CYCLE_1)
	v_cmp_ne_u32_e32 vcc_lo, 0x7c0000, v5
                                        ; implicit-def: $vgpr5
	s_and_saveexec_b32 s13, vcc_lo
	s_xor_b32 s13, exec_lo, s13
	s_cbranch_execz .LBB4_14628
; %bb.14625:                            ;   in Loop: Header=BB4_12924 Depth=3
	v_bfe_u32 v5, v8, 18, 5
	s_mov_b32 s75, exec_lo
	s_delay_alu instid0(VALU_DEP_1)
	v_cmpx_eq_u32_e32 0, v5
; %bb.14626:                            ;   in Loop: Header=BB4_12924 Depth=3
	v_clz_i32_u32_e32 v5, v13
	s_delay_alu instid0(VALU_DEP_1) | instskip(NEXT) | instid1(VALU_DEP_1)
	v_min_u32_e32 v5, 32, v5
	v_subrev_nc_u32_e32 v13, 29, v5
	s_delay_alu instid0(VALU_DEP_1) | instskip(NEXT) | instid1(VALU_DEP_1)
	v_lshlrev_b64_e32 v[14:15], v13, v[2:3]
	v_dual_sub_nc_u32 v5, 30, v5 :: v_dual_bitop2_b32 v13, 3, v14 bitop3:0x40
; %bb.14627:                            ;   in Loop: Header=BB4_12924 Depth=3
	s_or_b32 exec_lo, exec_lo, s75
	v_lshlrev_b32_e32 v2, 24, v2
	s_delay_alu instid0(VALU_DEP_1) | instskip(NEXT) | instid1(VALU_DEP_1)
	v_and_b32_e32 v2, 0x80000000, v2
	v_lshl_add_u32 v2, v5, 23, v2
	s_delay_alu instid0(VALU_DEP_1) | instskip(NEXT) | instid1(VALU_DEP_1)
	v_lshl_or_b32 v2, v13, 21, v2
                                        ; implicit-def: $vgpr13
	v_add_nc_u32_e32 v5, 0x38000000, v2
                                        ; implicit-def: $vgpr2
.LBB4_14628:                            ;   in Loop: Header=BB4_12924 Depth=3
	s_and_not1_saveexec_b32 s75, s13
; %bb.14629:                            ;   in Loop: Header=BB4_12924 Depth=3
	v_bfe_i32 v2, v2, 0, 8
	v_cmp_eq_u32_e32 vcc_lo, 0, v13
	s_delay_alu instid0(VALU_DEP_2) | instskip(NEXT) | instid1(VALU_DEP_1)
	v_cmp_lt_i16_e64 s13, -1, v2
	v_cndmask_b32_e64 v2, 0xff800000, v48, s13
	s_delay_alu instid0(VALU_DEP_1)
	v_cndmask_b32_e32 v5, 0x7f800001, v2, vcc_lo
; %bb.14630:                            ;   in Loop: Header=BB4_12924 Depth=3
	s_or_b32 exec_lo, exec_lo, s75
.LBB4_14631:                            ;   in Loop: Header=BB4_12924 Depth=3
	s_delay_alu instid0(SALU_CYCLE_1)
	s_or_b32 exec_lo, exec_lo, s74
.LBB4_14632:                            ;   in Loop: Header=BB4_12924 Depth=3
	s_delay_alu instid0(SALU_CYCLE_1) | instskip(NEXT) | instid1(VALU_DEP_1)
	s_or_b32 exec_lo, exec_lo, s73
	v_dual_add_f32 v5, v12, v5 :: v_dual_mov_b32 v15, v3
	v_mov_b32_e32 v13, v3
                                        ; implicit-def: $vgpr58
	s_mov_b32 s13, exec_lo
	s_delay_alu instid0(VALU_DEP_2) | instskip(SKIP_2) | instid1(VALU_DEP_3)
	v_and_b32_e32 v14, 0x7f800000, v5
	v_and_b32_e32 v12, 0x7fffff, v5
	v_lshrrev_b32_e32 v2, 24, v5
	v_cmpx_ne_u64_e32 0x7f800000, v[14:15]
	s_xor_b32 s73, exec_lo, s13
	s_cbranch_execz .LBB4_14646
; %bb.14633:                            ;   in Loop: Header=BB4_12924 Depth=3
	v_and_b32_e32 v14, 0x7fffffff, v5
	v_mov_b32_e32 v15, v3
	v_and_b32_e32 v2, 0x80, v2
                                        ; implicit-def: $vgpr58
	s_mov_b32 s13, exec_lo
	s_delay_alu instid0(VALU_DEP_2)
	v_cmpx_gt_u64_e32 0x47600001, v[14:15]
	s_xor_b32 s74, exec_lo, s13
	s_cbranch_execz .LBB4_14643
; %bb.14634:                            ;   in Loop: Header=BB4_12924 Depth=3
	v_mov_b32_e32 v58, 0
	s_mov_b32 s75, exec_lo
	v_cmpx_ne_u32_e32 0, v5
	s_cbranch_execz .LBB4_14642
; %bb.14635:                            ;   in Loop: Header=BB4_12924 Depth=3
	v_bfe_u32 v5, v5, 23, 8
	v_or_b32_e32 v15, 0x800000, v12
	s_delay_alu instid0(VALU_DEP_2) | instskip(SKIP_2) | instid1(VALU_DEP_2)
	v_cmp_gt_u32_e64 s13, 0x72, v5
	v_sub_nc_u32_e32 v14, 0x71, v5
	v_cmp_eq_u32_e32 vcc_lo, 0, v5
	v_dual_cndmask_b32 v14, 0, v14, s13 :: v_dual_cndmask_b32 v12, v15, v12, vcc_lo
	s_delay_alu instid0(VALU_DEP_1) | instskip(NEXT) | instid1(VALU_DEP_1)
	v_cndmask_b32_e64 v86, v14, 0x70, vcc_lo
	v_dual_add_nc_u32 v14, 21, v86 :: v_dual_add_nc_u32 v87, 20, v86
	s_delay_alu instid0(VALU_DEP_1) | instskip(NEXT) | instid1(VALU_DEP_2)
	v_lshlrev_b64_e64 v[14:15], v14, -1
	v_lshlrev_b64_e64 v[96:97], v87, 1
	s_delay_alu instid0(VALU_DEP_2) | instskip(SKIP_1) | instid1(VALU_DEP_4)
	v_bfi_b32 v14, v14, 0, v12
	v_lshrrev_b64 v[12:13], v86, v[12:13]
	v_bfi_b32 v15, v15, 0, 0
	s_delay_alu instid0(VALU_DEP_1) | instskip(NEXT) | instid1(VALU_DEP_3)
	v_cmp_eq_u64_e64 s13, v[14:15], v[96:97]
	v_mov_b64_e32 v[14:15], v[12:13]
	s_and_saveexec_b32 s76, s13
; %bb.14636:                            ;   in Loop: Header=BB4_12924 Depth=3
	v_bfe_u32 v14, v12, 21, 1
	v_mov_b32_e32 v15, v3
	s_delay_alu instid0(VALU_DEP_1) | instskip(NEXT) | instid1(VALU_DEP_1)
	v_add_nc_u64_e32 v[14:15], v[12:13], v[14:15]
	v_add_nc_u64_e32 v[14:15], -1, v[14:15]
; %bb.14637:                            ;   in Loop: Header=BB4_12924 Depth=3
	s_or_b32 exec_lo, exec_lo, s76
	v_add_nc_u32_e32 v5, 0xffffff81, v5
	v_lshrrev_b32_e32 v13, 23, v12
	s_mov_b32 s13, exec_lo
	s_delay_alu instid0(VALU_DEP_2) | instskip(NEXT) | instid1(VALU_DEP_1)
	v_cndmask_b32_e64 v5, v5, 0xffffff82, vcc_lo
	v_add3_u32 v15, v86, v5, v13
	v_and_b32_e32 v5, 0x1fffff, v14
	s_delay_alu instid0(VALU_DEP_2) | instskip(NEXT) | instid1(VALU_DEP_2)
	v_dual_mov_b32 v13, v3 :: v_dual_add_nc_u32 v14, 14, v15
	v_add_nc_u32_e32 v12, v5, v12
                                        ; implicit-def: $vgpr5
	s_delay_alu instid0(VALU_DEP_2)
	v_cmpx_ne_u32_e32 0, v14
	s_xor_b32 s13, exec_lo, s13
; %bb.14638:                            ;   in Loop: Header=BB4_12924 Depth=3
	s_delay_alu instid0(VALU_DEP_2) | instskip(SKIP_1) | instid1(VALU_DEP_1)
	v_cmp_lt_u64_e32 vcc_lo, 0xffffff, v[12:13]
	v_add_nc_u32_e32 v5, 15, v15
	v_cndmask_b32_e32 v5, v14, v5, vcc_lo
	v_cndmask_b32_e64 v14, 0, 1, vcc_lo
	s_delay_alu instid0(VALU_DEP_1)
	v_lshrrev_b64 v[12:13], v14, v[12:13]
; %bb.14639:                            ;   in Loop: Header=BB4_12924 Depth=3
	s_and_not1_saveexec_b32 s13, s13
; %bb.14640:                            ;   in Loop: Header=BB4_12924 Depth=3
	s_delay_alu instid0(VALU_DEP_1)
	v_bfe_u32 v5, v12, 23, 1
; %bb.14641:                            ;   in Loop: Header=BB4_12924 Depth=3
	s_or_b32 exec_lo, exec_lo, s13
	s_delay_alu instid0(VALU_DEP_2) | instskip(NEXT) | instid1(VALU_DEP_2)
	v_lshrrev_b64 v[12:13], 21, v[12:13]
	v_cmp_gt_i32_e32 vcc_lo, 32, v5
	v_min_i32_e32 v14, 31, v5
	v_cmp_eq_u32_e64 s13, 0, v5
	s_delay_alu instid0(VALU_DEP_2) | instskip(SKIP_1) | instid1(VALU_DEP_2)
	v_dual_cndmask_b32 v12, 3, v12, vcc_lo :: v_dual_lshlrev_b32 v14, 2, v14
	v_cndmask_b32_e32 v13, 0, v13, vcc_lo
	v_and_b32_e32 v14, 0xfc, v14
	s_delay_alu instid0(VALU_DEP_2) | instskip(NEXT) | instid1(VALU_DEP_2)
	v_cmp_eq_u64_e32 vcc_lo, 0, v[12:13]
	v_and_or_b32 v5, v12, 3, v14
	s_and_b32 s13, s13, vcc_lo
	s_delay_alu instid0(VALU_DEP_1) | instid1(SALU_CYCLE_1)
	v_cndmask_b32_e64 v5, v5, 0, s13
	s_delay_alu instid0(VALU_DEP_1)
	v_or_b32_e32 v58, v5, v2
.LBB4_14642:                            ;   in Loop: Header=BB4_12924 Depth=3
	s_or_b32 exec_lo, exec_lo, s75
                                        ; implicit-def: $vgpr2
.LBB4_14643:                            ;   in Loop: Header=BB4_12924 Depth=3
	s_and_not1_saveexec_b32 s13, s74
; %bb.14644:                            ;   in Loop: Header=BB4_12924 Depth=3
	v_or_b32_e32 v58, 0x7b, v2
; %bb.14645:                            ;   in Loop: Header=BB4_12924 Depth=3
	s_or_b32 exec_lo, exec_lo, s13
                                        ; implicit-def: $vgpr5
                                        ; implicit-def: $vgpr12_vgpr13
                                        ; implicit-def: $vgpr2
.LBB4_14646:                            ;   in Loop: Header=BB4_12924 Depth=3
	s_and_not1_saveexec_b32 s13, s73
	s_cbranch_execz .LBB4_14652
; %bb.14647:                            ;   in Loop: Header=BB4_12924 Depth=3
	s_mov_b32 s73, exec_lo
                                        ; implicit-def: $vgpr58
	v_cmpx_ne_u64_e32 0, v[12:13]
	s_xor_b32 s73, exec_lo, s73
; %bb.14648:                            ;   in Loop: Header=BB4_12924 Depth=3
	v_or_b32_e32 v58, 0x7f, v2
                                        ; implicit-def: $vgpr5
; %bb.14649:                            ;   in Loop: Header=BB4_12924 Depth=3
	s_and_not1_saveexec_b32 s73, s73
; %bb.14650:                            ;   in Loop: Header=BB4_12924 Depth=3
	v_cmp_lt_i32_e32 vcc_lo, -1, v5
	v_cndmask_b32_e32 v58, 0xfc, v49, vcc_lo
; %bb.14651:                            ;   in Loop: Header=BB4_12924 Depth=3
	s_or_b32 exec_lo, exec_lo, s73
.LBB4_14652:                            ;   in Loop: Header=BB4_12924 Depth=3
	s_delay_alu instid0(SALU_CYCLE_1)
	s_or_b32 exec_lo, exec_lo, s13
	v_dual_mov_b32 v12, 0 :: v_dual_mov_b32 v13, 0
	s_mov_b32 s13, exec_lo
	v_cmpx_lt_u32_e32 0xffffff, v4
	s_cbranch_execz .LBB4_14662
; %bb.14653:                            ;   in Loop: Header=BB4_12924 Depth=3
	v_lshrrev_b32_e32 v2, 24, v4
	v_bfrev_b32_e32 v13, 1
	s_mov_b32 s73, exec_lo
	s_delay_alu instid0(VALU_DEP_2)
	v_cmpx_ne_u32_e32 0x80, v2
	s_cbranch_execz .LBB4_14661
; %bb.14654:                            ;   in Loop: Header=BB4_12924 Depth=3
	v_and_b32_e32 v5, 0x7c000000, v4
	v_bfe_u32 v14, v4, 24, 2
	s_mov_b32 s74, exec_lo
                                        ; implicit-def: $vgpr13
	s_delay_alu instid0(VALU_DEP_2)
	v_cmpx_ne_u32_e32 0x7c000000, v5
	s_xor_b32 s74, exec_lo, s74
	s_cbranch_execz .LBB4_14658
; %bb.14655:                            ;   in Loop: Header=BB4_12924 Depth=3
	v_bfe_u32 v5, v4, 26, 5
	s_mov_b32 s75, exec_lo
	s_delay_alu instid0(VALU_DEP_1)
	v_cmpx_eq_u32_e32 0, v5
; %bb.14656:                            ;   in Loop: Header=BB4_12924 Depth=3
	v_clz_i32_u32_e32 v5, v14
	s_delay_alu instid0(VALU_DEP_1) | instskip(NEXT) | instid1(VALU_DEP_1)
	v_min_u32_e32 v5, 32, v5
	v_subrev_nc_u32_e32 v13, 29, v5
	s_delay_alu instid0(VALU_DEP_1) | instskip(NEXT) | instid1(VALU_DEP_1)
	v_lshlrev_b64_e32 v[14:15], v13, v[2:3]
	v_dual_sub_nc_u32 v5, 30, v5 :: v_dual_bitop2_b32 v14, 3, v14 bitop3:0x40
; %bb.14657:                            ;   in Loop: Header=BB4_12924 Depth=3
	s_or_b32 exec_lo, exec_lo, s75
	v_and_b32_e32 v2, 0x80000000, v4
	s_delay_alu instid0(VALU_DEP_1) | instskip(NEXT) | instid1(VALU_DEP_1)
	v_lshl_add_u32 v2, v5, 23, v2
                                        ; implicit-def: $vgpr4_vgpr5
	v_lshl_or_b32 v2, v14, 21, v2
                                        ; implicit-def: $vgpr14
	s_delay_alu instid0(VALU_DEP_1)
	v_add_nc_u32_e32 v13, 0x38000000, v2
.LBB4_14658:                            ;   in Loop: Header=BB4_12924 Depth=3
	s_and_not1_saveexec_b32 s74, s74
; %bb.14659:                            ;   in Loop: Header=BB4_12924 Depth=3
	v_cmp_lt_i32_e32 vcc_lo, -1, v4
	v_cndmask_b32_e32 v2, 0xff800000, v48, vcc_lo
	v_cmp_eq_u32_e32 vcc_lo, 0, v14
	s_delay_alu instid0(VALU_DEP_2)
	v_cndmask_b32_e32 v13, 0x7f800001, v2, vcc_lo
; %bb.14660:                            ;   in Loop: Header=BB4_12924 Depth=3
	s_or_b32 exec_lo, exec_lo, s74
.LBB4_14661:                            ;   in Loop: Header=BB4_12924 Depth=3
	s_delay_alu instid0(SALU_CYCLE_1)
	s_or_b32 exec_lo, exec_lo, s73
.LBB4_14662:                            ;   in Loop: Header=BB4_12924 Depth=3
	s_delay_alu instid0(SALU_CYCLE_1) | instskip(NEXT) | instid1(SALU_CYCLE_1)
	s_or_b32 exec_lo, exec_lo, s13
	s_mov_b32 s13, exec_lo
	v_cmpx_lt_u32_e32 0xffffff, v8
	s_cbranch_execz .LBB4_14672
; %bb.14663:                            ;   in Loop: Header=BB4_12924 Depth=3
	v_lshrrev_b32_e32 v2, 24, v8
	v_bfrev_b32_e32 v12, 1
	s_mov_b32 s73, exec_lo
	s_delay_alu instid0(VALU_DEP_2)
	v_cmpx_ne_u32_e32 0x80, v2
	s_cbranch_execz .LBB4_14671
; %bb.14664:                            ;   in Loop: Header=BB4_12924 Depth=3
	v_and_b32_e32 v5, 0x7c000000, v8
	v_bfe_u32 v4, v8, 24, 2
	s_mov_b32 s74, exec_lo
                                        ; implicit-def: $vgpr12
	s_delay_alu instid0(VALU_DEP_2)
	v_cmpx_ne_u32_e32 0x7c000000, v5
	s_xor_b32 s74, exec_lo, s74
	s_cbranch_execz .LBB4_14668
; %bb.14665:                            ;   in Loop: Header=BB4_12924 Depth=3
	v_bfe_u32 v5, v8, 26, 5
	s_mov_b32 s75, exec_lo
	s_delay_alu instid0(VALU_DEP_1)
	v_cmpx_eq_u32_e32 0, v5
; %bb.14666:                            ;   in Loop: Header=BB4_12924 Depth=3
	v_clz_i32_u32_e32 v4, v4
	s_delay_alu instid0(VALU_DEP_1) | instskip(NEXT) | instid1(VALU_DEP_1)
	v_min_u32_e32 v12, 32, v4
	v_subrev_nc_u32_e32 v4, 29, v12
	s_delay_alu instid0(VALU_DEP_1) | instskip(SKIP_1) | instid1(VALU_DEP_2)
	v_lshlrev_b64_e32 v[4:5], v4, v[2:3]
	v_sub_nc_u32_e32 v5, 30, v12
	v_and_b32_e32 v4, 3, v4
; %bb.14667:                            ;   in Loop: Header=BB4_12924 Depth=3
	s_or_b32 exec_lo, exec_lo, s75
	v_and_b32_e32 v2, 0x80000000, v8
	s_delay_alu instid0(VALU_DEP_1) | instskip(NEXT) | instid1(VALU_DEP_1)
	v_lshl_add_u32 v2, v5, 23, v2
	v_lshl_or_b32 v2, v4, 21, v2
                                        ; implicit-def: $vgpr4
	s_delay_alu instid0(VALU_DEP_1)
	v_add_nc_u32_e32 v12, 0x38000000, v2
.LBB4_14668:                            ;   in Loop: Header=BB4_12924 Depth=3
	s_and_not1_saveexec_b32 s74, s74
; %bb.14669:                            ;   in Loop: Header=BB4_12924 Depth=3
	v_cmp_lt_i32_e32 vcc_lo, -1, v8
	v_cndmask_b32_e32 v2, 0xff800000, v48, vcc_lo
	v_cmp_eq_u32_e32 vcc_lo, 0, v4
	s_delay_alu instid0(VALU_DEP_2)
	v_cndmask_b32_e32 v12, 0x7f800001, v2, vcc_lo
; %bb.14670:                            ;   in Loop: Header=BB4_12924 Depth=3
	s_or_b32 exec_lo, exec_lo, s74
.LBB4_14671:                            ;   in Loop: Header=BB4_12924 Depth=3
	s_delay_alu instid0(SALU_CYCLE_1)
	s_or_b32 exec_lo, exec_lo, s73
.LBB4_14672:                            ;   in Loop: Header=BB4_12924 Depth=3
	s_delay_alu instid0(SALU_CYCLE_1) | instskip(NEXT) | instid1(VALU_DEP_1)
	s_or_b32 exec_lo, exec_lo, s13
	v_dual_add_f32 v12, v13, v12 :: v_dual_mov_b32 v15, v3
	v_mov_b32_e32 v5, v3
                                        ; implicit-def: $vgpr60
	s_mov_b32 s13, exec_lo
	s_delay_alu instid0(VALU_DEP_2) | instskip(SKIP_2) | instid1(VALU_DEP_3)
	v_and_b32_e32 v14, 0x7f800000, v12
	v_and_b32_e32 v4, 0x7fffff, v12
	v_lshrrev_b32_e32 v2, 24, v12
	v_cmpx_ne_u64_e32 0x7f800000, v[14:15]
	s_xor_b32 s73, exec_lo, s13
	s_cbranch_execz .LBB4_14686
; %bb.14673:                            ;   in Loop: Header=BB4_12924 Depth=3
	v_and_b32_e32 v14, 0x7fffffff, v12
	v_mov_b32_e32 v15, v3
	v_and_b32_e32 v2, 0x80, v2
                                        ; implicit-def: $vgpr60
	s_mov_b32 s13, exec_lo
	s_delay_alu instid0(VALU_DEP_2)
	v_cmpx_gt_u64_e32 0x47600001, v[14:15]
	s_xor_b32 s74, exec_lo, s13
	s_cbranch_execz .LBB4_14683
; %bb.14674:                            ;   in Loop: Header=BB4_12924 Depth=3
	v_mov_b32_e32 v60, 0
	s_mov_b32 s75, exec_lo
	v_cmpx_ne_u32_e32 0, v12
	s_cbranch_execz .LBB4_14682
; %bb.14675:                            ;   in Loop: Header=BB4_12924 Depth=3
	v_bfe_u32 v14, v12, 23, 8
	v_or_b32_e32 v13, 0x800000, v4
	s_delay_alu instid0(VALU_DEP_2) | instskip(SKIP_2) | instid1(VALU_DEP_2)
	v_cmp_gt_u32_e64 s13, 0x72, v14
	v_sub_nc_u32_e32 v12, 0x71, v14
	v_cmp_eq_u32_e32 vcc_lo, 0, v14
	v_cndmask_b32_e64 v12, 0, v12, s13
	s_delay_alu instid0(VALU_DEP_1) | instskip(NEXT) | instid1(VALU_DEP_1)
	v_cndmask_b32_e64 v15, v12, 0x70, vcc_lo
	v_dual_cndmask_b32 v4, v13, v4, vcc_lo :: v_dual_add_nc_u32 v12, 21, v15
	v_add_nc_u32_e32 v86, 20, v15
	s_delay_alu instid0(VALU_DEP_2) | instskip(NEXT) | instid1(VALU_DEP_2)
	v_lshlrev_b64_e64 v[12:13], v12, -1
	v_lshlrev_b64_e64 v[86:87], v86, 1
	s_delay_alu instid0(VALU_DEP_2) | instskip(SKIP_1) | instid1(VALU_DEP_4)
	v_bfi_b32 v12, v12, 0, v4
	v_lshrrev_b64 v[4:5], v15, v[4:5]
	v_bfi_b32 v13, v13, 0, 0
	s_delay_alu instid0(VALU_DEP_1) | instskip(NEXT) | instid1(VALU_DEP_3)
	v_cmp_eq_u64_e64 s13, v[12:13], v[86:87]
	v_mov_b64_e32 v[12:13], v[4:5]
	s_and_saveexec_b32 s76, s13
; %bb.14676:                            ;   in Loop: Header=BB4_12924 Depth=3
	v_bfe_u32 v12, v4, 21, 1
	v_mov_b32_e32 v13, v3
	s_delay_alu instid0(VALU_DEP_1) | instskip(NEXT) | instid1(VALU_DEP_1)
	v_add_nc_u64_e32 v[12:13], v[4:5], v[12:13]
	v_add_nc_u64_e32 v[12:13], -1, v[12:13]
; %bb.14677:                            ;   in Loop: Header=BB4_12924 Depth=3
	s_or_b32 exec_lo, exec_lo, s76
	v_add_nc_u32_e32 v5, 0xffffff81, v14
	v_lshrrev_b32_e32 v13, 23, v4
	s_mov_b32 s13, exec_lo
	s_delay_alu instid0(VALU_DEP_2) | instskip(NEXT) | instid1(VALU_DEP_1)
	v_cndmask_b32_e64 v5, v5, 0xffffff82, vcc_lo
	v_add3_u32 v14, v15, v5, v13
	v_and_b32_e32 v5, 0x1fffff, v12
                                        ; implicit-def: $vgpr12
	s_delay_alu instid0(VALU_DEP_1) | instskip(SKIP_1) | instid1(VALU_DEP_2)
	v_dual_add_nc_u32 v13, 14, v14 :: v_dual_add_nc_u32 v4, v5, v4
	v_mov_b32_e32 v5, v3
	v_cmpx_ne_u32_e32 0, v13
	s_xor_b32 s13, exec_lo, s13
; %bb.14678:                            ;   in Loop: Header=BB4_12924 Depth=3
	s_delay_alu instid0(VALU_DEP_2) | instskip(SKIP_1) | instid1(VALU_DEP_1)
	v_cmp_lt_u64_e32 vcc_lo, 0xffffff, v[4:5]
	v_add_nc_u32_e32 v12, 15, v14
	v_cndmask_b32_e32 v12, v13, v12, vcc_lo
	v_cndmask_b32_e64 v13, 0, 1, vcc_lo
	s_delay_alu instid0(VALU_DEP_1)
	v_lshrrev_b64 v[4:5], v13, v[4:5]
; %bb.14679:                            ;   in Loop: Header=BB4_12924 Depth=3
	s_and_not1_saveexec_b32 s13, s13
; %bb.14680:                            ;   in Loop: Header=BB4_12924 Depth=3
	s_delay_alu instid0(VALU_DEP_1)
	v_bfe_u32 v12, v4, 23, 1
; %bb.14681:                            ;   in Loop: Header=BB4_12924 Depth=3
	s_or_b32 exec_lo, exec_lo, s13
	s_delay_alu instid0(VALU_DEP_2) | instskip(NEXT) | instid1(VALU_DEP_2)
	v_lshrrev_b64 v[4:5], 21, v[4:5]
	v_cmp_gt_i32_e32 vcc_lo, 32, v12
	v_min_i32_e32 v13, 31, v12
	v_cmp_eq_u32_e64 s13, 0, v12
	s_delay_alu instid0(VALU_DEP_4) | instskip(NEXT) | instid1(VALU_DEP_3)
	v_cndmask_b32_e32 v5, 0, v5, vcc_lo
	v_dual_cndmask_b32 v4, 3, v4 :: v_dual_lshlrev_b32 v13, 2, v13
	s_delay_alu instid0(VALU_DEP_1) | instskip(NEXT) | instid1(VALU_DEP_2)
	v_and_b32_e32 v13, 0xfc, v13
	v_cmp_eq_u64_e32 vcc_lo, 0, v[4:5]
	s_delay_alu instid0(VALU_DEP_2)
	v_and_or_b32 v4, v4, 3, v13
	s_and_b32 s13, s13, vcc_lo
	s_delay_alu instid0(VALU_DEP_1) | instid1(SALU_CYCLE_1)
	v_cndmask_b32_e64 v4, v4, 0, s13
	s_delay_alu instid0(VALU_DEP_1)
	v_or_b32_e32 v60, v4, v2
.LBB4_14682:                            ;   in Loop: Header=BB4_12924 Depth=3
	s_or_b32 exec_lo, exec_lo, s75
                                        ; implicit-def: $vgpr2
.LBB4_14683:                            ;   in Loop: Header=BB4_12924 Depth=3
	s_and_not1_saveexec_b32 s13, s74
; %bb.14684:                            ;   in Loop: Header=BB4_12924 Depth=3
	v_or_b32_e32 v60, 0x7b, v2
; %bb.14685:                            ;   in Loop: Header=BB4_12924 Depth=3
	s_or_b32 exec_lo, exec_lo, s13
                                        ; implicit-def: $vgpr12
                                        ; implicit-def: $vgpr4_vgpr5
                                        ; implicit-def: $vgpr2
.LBB4_14686:                            ;   in Loop: Header=BB4_12924 Depth=3
	s_and_not1_saveexec_b32 s13, s73
	s_cbranch_execz .LBB4_14692
; %bb.14687:                            ;   in Loop: Header=BB4_12924 Depth=3
	s_mov_b32 s73, exec_lo
                                        ; implicit-def: $vgpr60
	v_cmpx_ne_u64_e32 0, v[4:5]
	s_xor_b32 s73, exec_lo, s73
; %bb.14688:                            ;   in Loop: Header=BB4_12924 Depth=3
	v_or_b32_e32 v60, 0x7f, v2
                                        ; implicit-def: $vgpr12
; %bb.14689:                            ;   in Loop: Header=BB4_12924 Depth=3
	s_and_not1_saveexec_b32 s73, s73
; %bb.14690:                            ;   in Loop: Header=BB4_12924 Depth=3
	v_cmp_lt_i32_e32 vcc_lo, -1, v12
	v_cndmask_b32_e32 v60, 0xfc, v49, vcc_lo
; %bb.14691:                            ;   in Loop: Header=BB4_12924 Depth=3
	s_or_b32 exec_lo, exec_lo, s73
.LBB4_14692:                            ;   in Loop: Header=BB4_12924 Depth=3
	s_delay_alu instid0(SALU_CYCLE_1) | instskip(SKIP_4) | instid1(VALU_DEP_2)
	s_or_b32 exec_lo, exec_lo, s13
	v_lshl_or_b32 v2, v66, 8, v113
	v_dual_lshlrev_b32 v4, 16, v118 :: v_dual_lshlrev_b32 v12, 24, v41
	v_dual_mov_b32 v5, v3 :: v_dual_mov_b32 v13, 0
	s_mov_b32 s13, exec_lo
	v_or3_b32 v4, v4, v12, v2
	v_mov_b32_e32 v12, 0
	v_cmpx_ne_u32_e32 0, v113
	s_cbranch_execz .LBB4_14702
; %bb.14693:                            ;   in Loop: Header=BB4_12924 Depth=3
	v_bfrev_b32_e32 v12, 1
	s_mov_b32 s73, exec_lo
	v_cmpx_ne_u32_e32 0x80, v113
	s_cbranch_execz .LBB4_14701
; %bb.14694:                            ;   in Loop: Header=BB4_12924 Depth=3
	v_and_b32_e32 v12, 0x7c, v113
	v_and_b32_e32 v14, 3, v113
	s_delay_alu instid0(VALU_DEP_2) | instskip(SKIP_1) | instid1(SALU_CYCLE_1)
	v_cmp_ne_u32_e32 vcc_lo, 0x7c, v12
                                        ; implicit-def: $vgpr12
	s_and_saveexec_b32 s74, vcc_lo
	s_xor_b32 s74, exec_lo, s74
	s_cbranch_execz .LBB4_14698
; %bb.14695:                            ;   in Loop: Header=BB4_12924 Depth=3
	v_bfe_u32 v12, v113, 2, 5
	s_mov_b32 s75, exec_lo
	s_delay_alu instid0(VALU_DEP_1)
	v_cmpx_eq_u32_e32 0, v12
; %bb.14696:                            ;   in Loop: Header=BB4_12924 Depth=3
	v_clz_i32_u32_e32 v12, v14
	s_delay_alu instid0(VALU_DEP_1) | instskip(NEXT) | instid1(VALU_DEP_1)
	v_min_u32_e32 v12, 32, v12
	v_subrev_nc_u32_e32 v14, 29, v12
	s_delay_alu instid0(VALU_DEP_1) | instskip(NEXT) | instid1(VALU_DEP_1)
	v_lshlrev_b64_e32 v[14:15], v14, v[4:5]
	v_dual_sub_nc_u32 v12, 30, v12 :: v_dual_bitop2_b32 v14, 3, v14 bitop3:0x40
; %bb.14697:                            ;   in Loop: Header=BB4_12924 Depth=3
	s_or_b32 exec_lo, exec_lo, s75
	v_lshlrev_b32_e32 v5, 24, v113
                                        ; implicit-def: $vgpr113
	s_delay_alu instid0(VALU_DEP_1) | instskip(NEXT) | instid1(VALU_DEP_1)
	v_and_b32_e32 v5, 0x80000000, v5
	v_lshl_add_u32 v5, v12, 23, v5
	s_delay_alu instid0(VALU_DEP_1) | instskip(NEXT) | instid1(VALU_DEP_1)
	v_lshl_or_b32 v5, v14, 21, v5
                                        ; implicit-def: $vgpr14
	v_add_nc_u32_e32 v12, 0x38000000, v5
.LBB4_14698:                            ;   in Loop: Header=BB4_12924 Depth=3
	s_and_not1_saveexec_b32 s74, s74
; %bb.14699:                            ;   in Loop: Header=BB4_12924 Depth=3
	v_and_b32_e32 v5, 0x80, v113
	s_delay_alu instid0(VALU_DEP_1) | instskip(SKIP_2) | instid1(VALU_DEP_2)
	v_cmp_eq_u32_e32 vcc_lo, 0, v5
	v_cndmask_b32_e32 v5, 0xff800000, v48, vcc_lo
	v_cmp_eq_u32_e32 vcc_lo, 0, v14
	v_cndmask_b32_e32 v12, 0x7f800001, v5, vcc_lo
; %bb.14700:                            ;   in Loop: Header=BB4_12924 Depth=3
	s_or_b32 exec_lo, exec_lo, s74
.LBB4_14701:                            ;   in Loop: Header=BB4_12924 Depth=3
	s_delay_alu instid0(SALU_CYCLE_1)
	s_or_b32 exec_lo, exec_lo, s73
.LBB4_14702:                            ;   in Loop: Header=BB4_12924 Depth=3
	s_delay_alu instid0(SALU_CYCLE_1) | instskip(SKIP_2) | instid1(VALU_DEP_1)
	s_or_b32 exec_lo, exec_lo, s13
	v_and_b32_e32 v5, 0xff, v9
	s_mov_b32 s13, exec_lo
	v_cmpx_ne_u16_e32 0, v5
	s_cbranch_execz .LBB4_14712
; %bb.14703:                            ;   in Loop: Header=BB4_12924 Depth=3
	v_bfrev_b32_e32 v13, 1
	s_mov_b32 s73, exec_lo
	v_cmpx_ne_u16_e32 0x80, v5
	s_cbranch_execz .LBB4_14711
; %bb.14704:                            ;   in Loop: Header=BB4_12924 Depth=3
	v_and_b32_e32 v13, 0x7c, v9
	v_and_b32_e32 v5, 3, v9
	s_delay_alu instid0(VALU_DEP_2) | instskip(SKIP_1) | instid1(SALU_CYCLE_1)
	v_cmp_ne_u32_e32 vcc_lo, 0x7c, v13
                                        ; implicit-def: $vgpr13
	s_and_saveexec_b32 s74, vcc_lo
	s_xor_b32 s74, exec_lo, s74
	s_cbranch_execz .LBB4_14708
; %bb.14705:                            ;   in Loop: Header=BB4_12924 Depth=3
	v_bfe_u32 v13, v9, 2, 5
	s_mov_b32 s75, exec_lo
	s_delay_alu instid0(VALU_DEP_1)
	v_cmpx_eq_u32_e32 0, v13
; %bb.14706:                            ;   in Loop: Header=BB4_12924 Depth=3
	v_clz_i32_u32_e32 v5, v5
	v_dual_mov_b32 v14, v9 :: v_dual_mov_b32 v15, v3
	s_delay_alu instid0(VALU_DEP_2) | instskip(NEXT) | instid1(VALU_DEP_1)
	v_min_u32_e32 v5, 32, v5
	v_subrev_nc_u32_e32 v13, 29, v5
	s_delay_alu instid0(VALU_DEP_1) | instskip(NEXT) | instid1(VALU_DEP_1)
	v_lshlrev_b64_e32 v[14:15], v13, v[14:15]
	v_dual_sub_nc_u32 v13, 30, v5 :: v_dual_bitop2_b32 v5, 3, v14 bitop3:0x40
; %bb.14707:                            ;   in Loop: Header=BB4_12924 Depth=3
	s_or_b32 exec_lo, exec_lo, s75
	v_lshlrev_b32_e32 v14, 24, v9
	s_delay_alu instid0(VALU_DEP_1) | instskip(NEXT) | instid1(VALU_DEP_1)
	v_and_b32_e32 v14, 0x80000000, v14
	v_lshl_add_u32 v13, v13, 23, v14
	s_delay_alu instid0(VALU_DEP_1) | instskip(NEXT) | instid1(VALU_DEP_1)
	v_lshl_or_b32 v5, v5, 21, v13
	v_add_nc_u32_e32 v13, 0x38000000, v5
                                        ; implicit-def: $vgpr5
.LBB4_14708:                            ;   in Loop: Header=BB4_12924 Depth=3
	s_and_not1_saveexec_b32 s74, s74
; %bb.14709:                            ;   in Loop: Header=BB4_12924 Depth=3
	v_bfe_i32 v13, v9, 0, 8
	s_delay_alu instid0(VALU_DEP_1) | instskip(SKIP_2) | instid1(VALU_DEP_2)
	v_cmp_lt_i16_e32 vcc_lo, -1, v13
	v_cndmask_b32_e32 v13, 0xff800000, v48, vcc_lo
	v_cmp_eq_u32_e32 vcc_lo, 0, v5
	v_cndmask_b32_e32 v13, 0x7f800001, v13, vcc_lo
; %bb.14710:                            ;   in Loop: Header=BB4_12924 Depth=3
	s_or_b32 exec_lo, exec_lo, s74
.LBB4_14711:                            ;   in Loop: Header=BB4_12924 Depth=3
	s_delay_alu instid0(SALU_CYCLE_1)
	s_or_b32 exec_lo, exec_lo, s73
.LBB4_14712:                            ;   in Loop: Header=BB4_12924 Depth=3
	s_delay_alu instid0(SALU_CYCLE_1) | instskip(NEXT) | instid1(VALU_DEP_1)
	s_or_b32 exec_lo, exec_lo, s13
	v_dual_add_f32 v14, v12, v13 :: v_dual_mov_b32 v87, v3
	v_mov_b32_e32 v13, v3
                                        ; implicit-def: $vgpr66
	s_mov_b32 s13, exec_lo
	s_delay_alu instid0(VALU_DEP_2) | instskip(SKIP_2) | instid1(VALU_DEP_3)
	v_and_b32_e32 v86, 0x7f800000, v14
	v_and_b32_e32 v12, 0x7fffff, v14
	v_lshrrev_b32_e32 v5, 24, v14
	v_cmpx_ne_u64_e32 0x7f800000, v[86:87]
	s_xor_b32 s73, exec_lo, s13
	s_cbranch_execz .LBB4_14726
; %bb.14713:                            ;   in Loop: Header=BB4_12924 Depth=3
	v_and_b32_e32 v86, 0x7fffffff, v14
	v_mov_b32_e32 v87, v3
	v_and_b32_e32 v5, 0x80, v5
                                        ; implicit-def: $vgpr66
	s_mov_b32 s13, exec_lo
	s_delay_alu instid0(VALU_DEP_2)
	v_cmpx_gt_u64_e32 0x47600001, v[86:87]
	s_xor_b32 s74, exec_lo, s13
	s_cbranch_execz .LBB4_14723
; %bb.14714:                            ;   in Loop: Header=BB4_12924 Depth=3
	v_mov_b32_e32 v66, 0
	s_mov_b32 s75, exec_lo
	v_cmpx_ne_u32_e32 0, v14
	s_cbranch_execz .LBB4_14722
; %bb.14715:                            ;   in Loop: Header=BB4_12924 Depth=3
	v_bfe_u32 v66, v14, 23, 8
	v_or_b32_e32 v15, 0x800000, v12
	s_delay_alu instid0(VALU_DEP_2) | instskip(SKIP_2) | instid1(VALU_DEP_2)
	v_cmp_gt_u32_e64 s13, 0x72, v66
	v_sub_nc_u32_e32 v14, 0x71, v66
	v_cmp_eq_u32_e32 vcc_lo, 0, v66
	v_dual_cndmask_b32 v14, 0, v14, s13 :: v_dual_cndmask_b32 v12, v15, v12, vcc_lo
	s_delay_alu instid0(VALU_DEP_1) | instskip(NEXT) | instid1(VALU_DEP_1)
	v_cndmask_b32_e64 v86, v14, 0x70, vcc_lo
	v_dual_add_nc_u32 v14, 21, v86 :: v_dual_add_nc_u32 v87, 20, v86
	s_delay_alu instid0(VALU_DEP_1) | instskip(NEXT) | instid1(VALU_DEP_2)
	v_lshlrev_b64_e64 v[14:15], v14, -1
	v_lshlrev_b64_e64 v[96:97], v87, 1
	s_delay_alu instid0(VALU_DEP_2) | instskip(SKIP_1) | instid1(VALU_DEP_4)
	v_bfi_b32 v14, v14, 0, v12
	v_lshrrev_b64 v[12:13], v86, v[12:13]
	v_bfi_b32 v15, v15, 0, 0
	s_delay_alu instid0(VALU_DEP_1) | instskip(NEXT) | instid1(VALU_DEP_3)
	v_cmp_eq_u64_e64 s13, v[14:15], v[96:97]
	v_mov_b64_e32 v[14:15], v[12:13]
	s_and_saveexec_b32 s76, s13
; %bb.14716:                            ;   in Loop: Header=BB4_12924 Depth=3
	v_bfe_u32 v14, v12, 21, 1
	v_mov_b32_e32 v15, v3
	s_delay_alu instid0(VALU_DEP_1) | instskip(NEXT) | instid1(VALU_DEP_1)
	v_add_nc_u64_e32 v[14:15], v[12:13], v[14:15]
	v_add_nc_u64_e32 v[14:15], -1, v[14:15]
; %bb.14717:                            ;   in Loop: Header=BB4_12924 Depth=3
	s_or_b32 exec_lo, exec_lo, s76
	v_add_nc_u32_e32 v13, 0xffffff81, v66
	v_lshrrev_b32_e32 v15, 23, v12
	s_mov_b32 s13, exec_lo
	s_delay_alu instid0(VALU_DEP_2) | instskip(NEXT) | instid1(VALU_DEP_1)
	v_cndmask_b32_e64 v13, v13, 0xffffff82, vcc_lo
	v_add3_u32 v66, v86, v13, v15
	v_and_b32_e32 v13, 0x1fffff, v14
                                        ; implicit-def: $vgpr14
	s_delay_alu instid0(VALU_DEP_1) | instskip(SKIP_1) | instid1(VALU_DEP_2)
	v_dual_add_nc_u32 v15, 14, v66 :: v_dual_add_nc_u32 v12, v13, v12
	v_mov_b32_e32 v13, v3
	v_cmpx_ne_u32_e32 0, v15
	s_xor_b32 s13, exec_lo, s13
; %bb.14718:                            ;   in Loop: Header=BB4_12924 Depth=3
	s_delay_alu instid0(VALU_DEP_2) | instskip(SKIP_1) | instid1(VALU_DEP_1)
	v_cmp_lt_u64_e32 vcc_lo, 0xffffff, v[12:13]
	v_add_nc_u32_e32 v14, 15, v66
	v_cndmask_b32_e32 v14, v15, v14, vcc_lo
	v_cndmask_b32_e64 v15, 0, 1, vcc_lo
	s_delay_alu instid0(VALU_DEP_1)
	v_lshrrev_b64 v[12:13], v15, v[12:13]
; %bb.14719:                            ;   in Loop: Header=BB4_12924 Depth=3
	s_and_not1_saveexec_b32 s13, s13
; %bb.14720:                            ;   in Loop: Header=BB4_12924 Depth=3
	s_delay_alu instid0(VALU_DEP_1)
	v_bfe_u32 v14, v12, 23, 1
; %bb.14721:                            ;   in Loop: Header=BB4_12924 Depth=3
	s_or_b32 exec_lo, exec_lo, s13
	s_delay_alu instid0(VALU_DEP_2) | instskip(NEXT) | instid1(VALU_DEP_2)
	v_lshrrev_b64 v[12:13], 21, v[12:13]
	v_cmp_gt_i32_e32 vcc_lo, 32, v14
	v_min_i32_e32 v15, 31, v14
	v_cmp_eq_u32_e64 s13, 0, v14
	s_delay_alu instid0(VALU_DEP_2) | instskip(SKIP_1) | instid1(VALU_DEP_2)
	v_dual_cndmask_b32 v13, 0, v13, vcc_lo :: v_dual_lshlrev_b32 v15, 2, v15
	v_cndmask_b32_e32 v12, 3, v12, vcc_lo
	v_and_b32_e32 v15, 0xfc, v15
	s_delay_alu instid0(VALU_DEP_2) | instskip(NEXT) | instid1(VALU_DEP_2)
	v_cmp_eq_u64_e32 vcc_lo, 0, v[12:13]
	v_and_or_b32 v12, v12, 3, v15
	s_and_b32 s13, s13, vcc_lo
	s_delay_alu instid0(VALU_DEP_1) | instid1(SALU_CYCLE_1)
	v_cndmask_b32_e64 v12, v12, 0, s13
	s_delay_alu instid0(VALU_DEP_1)
	v_or_b32_e32 v66, v12, v5
.LBB4_14722:                            ;   in Loop: Header=BB4_12924 Depth=3
	s_or_b32 exec_lo, exec_lo, s75
                                        ; implicit-def: $vgpr5
.LBB4_14723:                            ;   in Loop: Header=BB4_12924 Depth=3
	s_and_not1_saveexec_b32 s13, s74
; %bb.14724:                            ;   in Loop: Header=BB4_12924 Depth=3
	v_or_b32_e32 v66, 0x7b, v5
; %bb.14725:                            ;   in Loop: Header=BB4_12924 Depth=3
	s_or_b32 exec_lo, exec_lo, s13
                                        ; implicit-def: $vgpr14
                                        ; implicit-def: $vgpr12_vgpr13
                                        ; implicit-def: $vgpr5
.LBB4_14726:                            ;   in Loop: Header=BB4_12924 Depth=3
	s_and_not1_saveexec_b32 s13, s73
	s_cbranch_execz .LBB4_14732
; %bb.14727:                            ;   in Loop: Header=BB4_12924 Depth=3
	s_mov_b32 s73, exec_lo
                                        ; implicit-def: $vgpr66
	v_cmpx_ne_u64_e32 0, v[12:13]
	s_xor_b32 s73, exec_lo, s73
; %bb.14728:                            ;   in Loop: Header=BB4_12924 Depth=3
	v_or_b32_e32 v66, 0x7f, v5
                                        ; implicit-def: $vgpr14
; %bb.14729:                            ;   in Loop: Header=BB4_12924 Depth=3
	s_and_not1_saveexec_b32 s73, s73
; %bb.14730:                            ;   in Loop: Header=BB4_12924 Depth=3
	v_cmp_lt_i32_e32 vcc_lo, -1, v14
	v_cndmask_b32_e32 v66, 0xfc, v49, vcc_lo
; %bb.14731:                            ;   in Loop: Header=BB4_12924 Depth=3
	s_or_b32 exec_lo, exec_lo, s73
.LBB4_14732:                            ;   in Loop: Header=BB4_12924 Depth=3
	s_delay_alu instid0(SALU_CYCLE_1) | instskip(SKIP_3) | instid1(VALU_DEP_2)
	s_or_b32 exec_lo, exec_lo, s13
	v_lshrrev_b16 v12, 8, v2
	v_dual_mov_b32 v5, 0 :: v_dual_mov_b32 v14, 0
	s_mov_b32 s13, exec_lo
	v_cmpx_ne_u16_e32 0, v12
	s_cbranch_execz .LBB4_14742
; %bb.14733:                            ;   in Loop: Header=BB4_12924 Depth=3
	v_bfrev_b32_e32 v14, 1
	s_mov_b32 s73, exec_lo
	v_cmpx_ne_u16_e32 0x80, v12
	s_cbranch_execz .LBB4_14741
; %bb.14734:                            ;   in Loop: Header=BB4_12924 Depth=3
	v_and_b32_e32 v15, 0xffff, v12
	s_delay_alu instid0(VALU_DEP_1) | instskip(SKIP_1) | instid1(VALU_DEP_2)
	v_and_b32_e32 v14, 0x7c, v15
	v_and_b32_e32 v13, 3, v15
	v_cmp_ne_u32_e32 vcc_lo, 0x7c, v14
                                        ; implicit-def: $vgpr14
	s_and_saveexec_b32 s74, vcc_lo
	s_delay_alu instid0(SALU_CYCLE_1)
	s_xor_b32 s74, exec_lo, s74
	s_cbranch_execz .LBB4_14738
; %bb.14735:                            ;   in Loop: Header=BB4_12924 Depth=3
	v_bfe_u32 v14, v15, 2, 5
	s_mov_b32 s75, exec_lo
	s_delay_alu instid0(VALU_DEP_1)
	v_cmpx_eq_u32_e32 0, v14
	s_cbranch_execz .LBB4_14737
; %bb.14736:                            ;   in Loop: Header=BB4_12924 Depth=3
	v_clz_i32_u32_e32 v13, v13
	s_delay_alu instid0(VALU_DEP_1) | instskip(SKIP_1) | instid1(VALU_DEP_2)
	v_min_u32_e32 v14, 32, v13
	v_mov_b32_e32 v13, v3
	v_subrev_nc_u32_e32 v15, 29, v14
	v_sub_nc_u32_e32 v14, 30, v14
	s_delay_alu instid0(VALU_DEP_2) | instskip(NEXT) | instid1(VALU_DEP_1)
	v_lshlrev_b64_e32 v[12:13], v15, v[12:13]
	v_and_b32_e32 v13, 3, v12
.LBB4_14737:                            ;   in Loop: Header=BB4_12924 Depth=3
	s_or_b32 exec_lo, exec_lo, s75
	v_lshlrev_b32_e32 v2, 16, v2
	s_delay_alu instid0(VALU_DEP_1) | instskip(NEXT) | instid1(VALU_DEP_1)
	v_and_b32_e32 v2, 0x80000000, v2
	v_lshl_add_u32 v2, v14, 23, v2
	s_delay_alu instid0(VALU_DEP_1) | instskip(NEXT) | instid1(VALU_DEP_1)
	v_lshl_or_b32 v2, v13, 21, v2
                                        ; implicit-def: $vgpr13
	v_add_nc_u32_e32 v14, 0x38000000, v2
                                        ; implicit-def: $vgpr2
.LBB4_14738:                            ;   in Loop: Header=BB4_12924 Depth=3
	s_and_not1_saveexec_b32 s74, s74
; %bb.14739:                            ;   in Loop: Header=BB4_12924 Depth=3
	v_cmp_lt_i16_e32 vcc_lo, -1, v2
	v_cndmask_b32_e32 v2, 0xff800000, v48, vcc_lo
	v_cmp_eq_u32_e32 vcc_lo, 0, v13
	s_delay_alu instid0(VALU_DEP_2)
	v_cndmask_b32_e32 v14, 0x7f800001, v2, vcc_lo
; %bb.14740:                            ;   in Loop: Header=BB4_12924 Depth=3
	s_or_b32 exec_lo, exec_lo, s74
.LBB4_14741:                            ;   in Loop: Header=BB4_12924 Depth=3
	s_delay_alu instid0(SALU_CYCLE_1)
	s_or_b32 exec_lo, exec_lo, s73
.LBB4_14742:                            ;   in Loop: Header=BB4_12924 Depth=3
	s_delay_alu instid0(SALU_CYCLE_1) | instskip(SKIP_2) | instid1(VALU_DEP_1)
	s_or_b32 exec_lo, exec_lo, s13
	v_lshrrev_b16 v12, 8, v9
	s_mov_b32 s13, exec_lo
	v_cmpx_ne_u16_e32 0, v12
	s_cbranch_execz .LBB4_14752
; %bb.14743:                            ;   in Loop: Header=BB4_12924 Depth=3
	v_bfrev_b32_e32 v5, 1
	s_mov_b32 s73, exec_lo
	v_cmpx_ne_u16_e32 0x80, v12
	s_cbranch_execz .LBB4_14751
; %bb.14744:                            ;   in Loop: Header=BB4_12924 Depth=3
	v_and_b32_e32 v13, 0xffff, v12
	s_delay_alu instid0(VALU_DEP_1) | instskip(SKIP_1) | instid1(VALU_DEP_2)
	v_and_b32_e32 v5, 0x7c, v13
	v_and_b32_e32 v2, 3, v13
	v_cmp_ne_u32_e32 vcc_lo, 0x7c, v5
                                        ; implicit-def: $vgpr5
	s_and_saveexec_b32 s74, vcc_lo
	s_delay_alu instid0(SALU_CYCLE_1)
	s_xor_b32 s74, exec_lo, s74
	s_cbranch_execz .LBB4_14748
; %bb.14745:                            ;   in Loop: Header=BB4_12924 Depth=3
	v_bfe_u32 v5, v13, 2, 5
	s_mov_b32 s75, exec_lo
	s_delay_alu instid0(VALU_DEP_1)
	v_cmpx_eq_u32_e32 0, v5
; %bb.14746:                            ;   in Loop: Header=BB4_12924 Depth=3
	v_clz_i32_u32_e32 v2, v2
	s_delay_alu instid0(VALU_DEP_1) | instskip(SKIP_1) | instid1(VALU_DEP_2)
	v_min_u32_e32 v2, 32, v2
	v_mov_b32_e32 v13, v3
	v_subrev_nc_u32_e32 v5, 29, v2
	s_delay_alu instid0(VALU_DEP_1) | instskip(NEXT) | instid1(VALU_DEP_1)
	v_lshlrev_b64_e32 v[12:13], v5, v[12:13]
	v_dual_sub_nc_u32 v5, 30, v2 :: v_dual_bitop2_b32 v2, 3, v12 bitop3:0x40
; %bb.14747:                            ;   in Loop: Header=BB4_12924 Depth=3
	s_or_b32 exec_lo, exec_lo, s75
	v_lshlrev_b32_e32 v12, 16, v9
	s_delay_alu instid0(VALU_DEP_1) | instskip(NEXT) | instid1(VALU_DEP_1)
	v_and_b32_e32 v12, 0x80000000, v12
	v_lshl_add_u32 v5, v5, 23, v12
	s_delay_alu instid0(VALU_DEP_1) | instskip(NEXT) | instid1(VALU_DEP_1)
	v_lshl_or_b32 v2, v2, 21, v5
	v_add_nc_u32_e32 v5, 0x38000000, v2
                                        ; implicit-def: $vgpr2
.LBB4_14748:                            ;   in Loop: Header=BB4_12924 Depth=3
	s_and_not1_saveexec_b32 s74, s74
; %bb.14749:                            ;   in Loop: Header=BB4_12924 Depth=3
	v_cmp_lt_i16_e32 vcc_lo, -1, v9
	v_cndmask_b32_e32 v5, 0xff800000, v48, vcc_lo
	v_cmp_eq_u32_e32 vcc_lo, 0, v2
	s_delay_alu instid0(VALU_DEP_2)
	v_cndmask_b32_e32 v5, 0x7f800001, v5, vcc_lo
; %bb.14750:                            ;   in Loop: Header=BB4_12924 Depth=3
	s_or_b32 exec_lo, exec_lo, s74
.LBB4_14751:                            ;   in Loop: Header=BB4_12924 Depth=3
	s_delay_alu instid0(SALU_CYCLE_1)
	s_or_b32 exec_lo, exec_lo, s73
.LBB4_14752:                            ;   in Loop: Header=BB4_12924 Depth=3
	s_delay_alu instid0(SALU_CYCLE_1) | instskip(NEXT) | instid1(VALU_DEP_1)
	s_or_b32 exec_lo, exec_lo, s13
	v_dual_add_f32 v5, v14, v5 :: v_dual_mov_b32 v15, v3
	v_mov_b32_e32 v13, v3
                                        ; implicit-def: $vgpr113
	s_mov_b32 s13, exec_lo
	s_delay_alu instid0(VALU_DEP_2) | instskip(SKIP_2) | instid1(VALU_DEP_3)
	v_and_b32_e32 v14, 0x7f800000, v5
	v_and_b32_e32 v12, 0x7fffff, v5
	v_lshrrev_b32_e32 v2, 24, v5
	v_cmpx_ne_u64_e32 0x7f800000, v[14:15]
	s_xor_b32 s73, exec_lo, s13
	s_cbranch_execz .LBB4_14766
; %bb.14753:                            ;   in Loop: Header=BB4_12924 Depth=3
	v_and_b32_e32 v14, 0x7fffffff, v5
	v_mov_b32_e32 v15, v3
	v_and_b32_e32 v2, 0x80, v2
                                        ; implicit-def: $vgpr113
	s_mov_b32 s13, exec_lo
	s_delay_alu instid0(VALU_DEP_2)
	v_cmpx_gt_u64_e32 0x47600001, v[14:15]
	s_xor_b32 s74, exec_lo, s13
	s_cbranch_execz .LBB4_14763
; %bb.14754:                            ;   in Loop: Header=BB4_12924 Depth=3
	v_mov_b32_e32 v113, 0
	s_mov_b32 s75, exec_lo
	v_cmpx_ne_u32_e32 0, v5
	s_cbranch_execz .LBB4_14762
; %bb.14755:                            ;   in Loop: Header=BB4_12924 Depth=3
	v_bfe_u32 v5, v5, 23, 8
	v_or_b32_e32 v15, 0x800000, v12
	s_delay_alu instid0(VALU_DEP_2) | instskip(SKIP_2) | instid1(VALU_DEP_2)
	v_cmp_gt_u32_e64 s13, 0x72, v5
	v_sub_nc_u32_e32 v14, 0x71, v5
	v_cmp_eq_u32_e32 vcc_lo, 0, v5
	v_dual_cndmask_b32 v14, 0, v14, s13 :: v_dual_cndmask_b32 v12, v15, v12, vcc_lo
	s_delay_alu instid0(VALU_DEP_1) | instskip(NEXT) | instid1(VALU_DEP_1)
	v_cndmask_b32_e64 v86, v14, 0x70, vcc_lo
	v_dual_add_nc_u32 v14, 21, v86 :: v_dual_add_nc_u32 v87, 20, v86
	s_delay_alu instid0(VALU_DEP_1) | instskip(NEXT) | instid1(VALU_DEP_2)
	v_lshlrev_b64_e64 v[14:15], v14, -1
	v_lshlrev_b64_e64 v[96:97], v87, 1
	s_delay_alu instid0(VALU_DEP_2) | instskip(SKIP_1) | instid1(VALU_DEP_4)
	v_bfi_b32 v14, v14, 0, v12
	v_lshrrev_b64 v[12:13], v86, v[12:13]
	v_bfi_b32 v15, v15, 0, 0
	s_delay_alu instid0(VALU_DEP_1) | instskip(NEXT) | instid1(VALU_DEP_3)
	v_cmp_eq_u64_e64 s13, v[14:15], v[96:97]
	v_mov_b64_e32 v[14:15], v[12:13]
	s_and_saveexec_b32 s76, s13
; %bb.14756:                            ;   in Loop: Header=BB4_12924 Depth=3
	v_bfe_u32 v14, v12, 21, 1
	v_mov_b32_e32 v15, v3
	s_delay_alu instid0(VALU_DEP_1) | instskip(NEXT) | instid1(VALU_DEP_1)
	v_add_nc_u64_e32 v[14:15], v[12:13], v[14:15]
	v_add_nc_u64_e32 v[14:15], -1, v[14:15]
; %bb.14757:                            ;   in Loop: Header=BB4_12924 Depth=3
	s_or_b32 exec_lo, exec_lo, s76
	v_add_nc_u32_e32 v5, 0xffffff81, v5
	v_lshrrev_b32_e32 v13, 23, v12
	s_mov_b32 s13, exec_lo
	s_delay_alu instid0(VALU_DEP_2) | instskip(NEXT) | instid1(VALU_DEP_1)
	v_cndmask_b32_e64 v5, v5, 0xffffff82, vcc_lo
	v_add3_u32 v15, v86, v5, v13
	v_and_b32_e32 v5, 0x1fffff, v14
	s_delay_alu instid0(VALU_DEP_2) | instskip(NEXT) | instid1(VALU_DEP_2)
	v_dual_mov_b32 v13, v3 :: v_dual_add_nc_u32 v14, 14, v15
	v_add_nc_u32_e32 v12, v5, v12
                                        ; implicit-def: $vgpr5
	s_delay_alu instid0(VALU_DEP_2)
	v_cmpx_ne_u32_e32 0, v14
	s_xor_b32 s13, exec_lo, s13
; %bb.14758:                            ;   in Loop: Header=BB4_12924 Depth=3
	s_delay_alu instid0(VALU_DEP_2) | instskip(SKIP_1) | instid1(VALU_DEP_1)
	v_cmp_lt_u64_e32 vcc_lo, 0xffffff, v[12:13]
	v_add_nc_u32_e32 v5, 15, v15
	v_cndmask_b32_e32 v5, v14, v5, vcc_lo
	v_cndmask_b32_e64 v14, 0, 1, vcc_lo
	s_delay_alu instid0(VALU_DEP_1)
	v_lshrrev_b64 v[12:13], v14, v[12:13]
; %bb.14759:                            ;   in Loop: Header=BB4_12924 Depth=3
	s_and_not1_saveexec_b32 s13, s13
; %bb.14760:                            ;   in Loop: Header=BB4_12924 Depth=3
	s_delay_alu instid0(VALU_DEP_1)
	v_bfe_u32 v5, v12, 23, 1
; %bb.14761:                            ;   in Loop: Header=BB4_12924 Depth=3
	s_or_b32 exec_lo, exec_lo, s13
	s_delay_alu instid0(VALU_DEP_2) | instskip(NEXT) | instid1(VALU_DEP_2)
	v_lshrrev_b64 v[12:13], 21, v[12:13]
	v_cmp_gt_i32_e32 vcc_lo, 32, v5
	v_min_i32_e32 v14, 31, v5
	v_cmp_eq_u32_e64 s13, 0, v5
	s_delay_alu instid0(VALU_DEP_2) | instskip(SKIP_1) | instid1(VALU_DEP_2)
	v_dual_cndmask_b32 v12, 3, v12, vcc_lo :: v_dual_lshlrev_b32 v14, 2, v14
	v_cndmask_b32_e32 v13, 0, v13, vcc_lo
	v_and_b32_e32 v14, 0xfc, v14
	s_delay_alu instid0(VALU_DEP_2) | instskip(NEXT) | instid1(VALU_DEP_2)
	v_cmp_eq_u64_e32 vcc_lo, 0, v[12:13]
	v_and_or_b32 v5, v12, 3, v14
	s_and_b32 s13, s13, vcc_lo
	s_delay_alu instid0(VALU_DEP_1) | instid1(SALU_CYCLE_1)
	v_cndmask_b32_e64 v5, v5, 0, s13
	s_delay_alu instid0(VALU_DEP_1)
	v_or_b32_e32 v113, v5, v2
.LBB4_14762:                            ;   in Loop: Header=BB4_12924 Depth=3
	s_or_b32 exec_lo, exec_lo, s75
                                        ; implicit-def: $vgpr2
.LBB4_14763:                            ;   in Loop: Header=BB4_12924 Depth=3
	s_and_not1_saveexec_b32 s13, s74
; %bb.14764:                            ;   in Loop: Header=BB4_12924 Depth=3
	v_or_b32_e32 v113, 0x7b, v2
; %bb.14765:                            ;   in Loop: Header=BB4_12924 Depth=3
	s_or_b32 exec_lo, exec_lo, s13
                                        ; implicit-def: $vgpr5
                                        ; implicit-def: $vgpr12_vgpr13
                                        ; implicit-def: $vgpr2
.LBB4_14766:                            ;   in Loop: Header=BB4_12924 Depth=3
	s_and_not1_saveexec_b32 s13, s73
	s_cbranch_execz .LBB4_14772
; %bb.14767:                            ;   in Loop: Header=BB4_12924 Depth=3
	s_mov_b32 s73, exec_lo
                                        ; implicit-def: $vgpr113
	v_cmpx_ne_u64_e32 0, v[12:13]
	s_xor_b32 s73, exec_lo, s73
; %bb.14768:                            ;   in Loop: Header=BB4_12924 Depth=3
	v_or_b32_e32 v113, 0x7f, v2
                                        ; implicit-def: $vgpr5
; %bb.14769:                            ;   in Loop: Header=BB4_12924 Depth=3
	s_and_not1_saveexec_b32 s73, s73
; %bb.14770:                            ;   in Loop: Header=BB4_12924 Depth=3
	v_cmp_lt_i32_e32 vcc_lo, -1, v5
	v_cndmask_b32_e32 v113, 0xfc, v49, vcc_lo
; %bb.14771:                            ;   in Loop: Header=BB4_12924 Depth=3
	s_or_b32 exec_lo, exec_lo, s73
.LBB4_14772:                            ;   in Loop: Header=BB4_12924 Depth=3
	s_delay_alu instid0(SALU_CYCLE_1) | instskip(SKIP_3) | instid1(VALU_DEP_2)
	s_or_b32 exec_lo, exec_lo, s13
	v_dual_mov_b32 v5, 0 :: v_dual_lshrrev_b32 v2, 16, v4
	v_mov_b32_e32 v12, 0
	s_mov_b32 s73, exec_lo
	v_and_b32_e32 v13, 0xff, v2
	s_delay_alu instid0(VALU_DEP_1)
	v_cmpx_ne_u16_e32 0, v13
	s_cbranch_execz .LBB4_14782
; %bb.14773:                            ;   in Loop: Header=BB4_12924 Depth=3
	v_bfrev_b32_e32 v12, 1
	s_mov_b32 s74, exec_lo
	v_cmpx_ne_u16_e32 0x80, v13
	s_cbranch_execz .LBB4_14781
; %bb.14774:                            ;   in Loop: Header=BB4_12924 Depth=3
	v_and_b32_e32 v12, 0x7c0000, v4
	v_bfe_u32 v13, v4, 16, 2
	s_delay_alu instid0(VALU_DEP_2) | instskip(SKIP_1) | instid1(SALU_CYCLE_1)
	v_cmp_ne_u32_e32 vcc_lo, 0x7c0000, v12
                                        ; implicit-def: $vgpr12
	s_and_saveexec_b32 s13, vcc_lo
	s_xor_b32 s13, exec_lo, s13
	s_cbranch_execz .LBB4_14778
; %bb.14775:                            ;   in Loop: Header=BB4_12924 Depth=3
	v_bfe_u32 v12, v4, 18, 5
	s_mov_b32 s75, exec_lo
	s_delay_alu instid0(VALU_DEP_1)
	v_cmpx_eq_u32_e32 0, v12
; %bb.14776:                            ;   in Loop: Header=BB4_12924 Depth=3
	v_clz_i32_u32_e32 v12, v13
	s_delay_alu instid0(VALU_DEP_1) | instskip(NEXT) | instid1(VALU_DEP_1)
	v_min_u32_e32 v12, 32, v12
	v_subrev_nc_u32_e32 v13, 29, v12
	s_delay_alu instid0(VALU_DEP_1) | instskip(NEXT) | instid1(VALU_DEP_1)
	v_lshlrev_b64_e32 v[14:15], v13, v[2:3]
	v_dual_sub_nc_u32 v12, 30, v12 :: v_dual_bitop2_b32 v13, 3, v14 bitop3:0x40
; %bb.14777:                            ;   in Loop: Header=BB4_12924 Depth=3
	s_or_b32 exec_lo, exec_lo, s75
	v_lshlrev_b32_e32 v2, 24, v2
	s_delay_alu instid0(VALU_DEP_1) | instskip(NEXT) | instid1(VALU_DEP_1)
	v_and_b32_e32 v2, 0x80000000, v2
	v_lshl_add_u32 v2, v12, 23, v2
	s_delay_alu instid0(VALU_DEP_1) | instskip(NEXT) | instid1(VALU_DEP_1)
	v_lshl_or_b32 v2, v13, 21, v2
                                        ; implicit-def: $vgpr13
	v_add_nc_u32_e32 v12, 0x38000000, v2
                                        ; implicit-def: $vgpr2
.LBB4_14778:                            ;   in Loop: Header=BB4_12924 Depth=3
	s_and_not1_saveexec_b32 s75, s13
; %bb.14779:                            ;   in Loop: Header=BB4_12924 Depth=3
	v_bfe_i32 v2, v2, 0, 8
	v_cmp_eq_u32_e32 vcc_lo, 0, v13
	s_delay_alu instid0(VALU_DEP_2) | instskip(NEXT) | instid1(VALU_DEP_1)
	v_cmp_lt_i16_e64 s13, -1, v2
	v_cndmask_b32_e64 v2, 0xff800000, v48, s13
	s_delay_alu instid0(VALU_DEP_1)
	v_cndmask_b32_e32 v12, 0x7f800001, v2, vcc_lo
; %bb.14780:                            ;   in Loop: Header=BB4_12924 Depth=3
	s_or_b32 exec_lo, exec_lo, s75
.LBB4_14781:                            ;   in Loop: Header=BB4_12924 Depth=3
	s_delay_alu instid0(SALU_CYCLE_1)
	s_or_b32 exec_lo, exec_lo, s74
.LBB4_14782:                            ;   in Loop: Header=BB4_12924 Depth=3
	s_delay_alu instid0(SALU_CYCLE_1) | instskip(SKIP_2) | instid1(VALU_DEP_1)
	s_or_b32 exec_lo, exec_lo, s73
	v_lshrrev_b32_e32 v2, 16, v9
	s_mov_b32 s73, exec_lo
	v_and_b32_e32 v13, 0xff, v2
	s_delay_alu instid0(VALU_DEP_1)
	v_cmpx_ne_u16_e32 0, v13
	s_cbranch_execz .LBB4_14792
; %bb.14783:                            ;   in Loop: Header=BB4_12924 Depth=3
	v_bfrev_b32_e32 v5, 1
	s_mov_b32 s74, exec_lo
	v_cmpx_ne_u16_e32 0x80, v13
	s_cbranch_execz .LBB4_14791
; %bb.14784:                            ;   in Loop: Header=BB4_12924 Depth=3
	v_and_b32_e32 v5, 0x7c0000, v9
	v_bfe_u32 v13, v9, 16, 2
	s_delay_alu instid0(VALU_DEP_2) | instskip(SKIP_1) | instid1(SALU_CYCLE_1)
	v_cmp_ne_u32_e32 vcc_lo, 0x7c0000, v5
                                        ; implicit-def: $vgpr5
	s_and_saveexec_b32 s13, vcc_lo
	s_xor_b32 s13, exec_lo, s13
	s_cbranch_execz .LBB4_14788
; %bb.14785:                            ;   in Loop: Header=BB4_12924 Depth=3
	v_bfe_u32 v5, v9, 18, 5
	s_mov_b32 s75, exec_lo
	s_delay_alu instid0(VALU_DEP_1)
	v_cmpx_eq_u32_e32 0, v5
; %bb.14786:                            ;   in Loop: Header=BB4_12924 Depth=3
	v_clz_i32_u32_e32 v5, v13
	s_delay_alu instid0(VALU_DEP_1) | instskip(NEXT) | instid1(VALU_DEP_1)
	v_min_u32_e32 v5, 32, v5
	v_subrev_nc_u32_e32 v13, 29, v5
	s_delay_alu instid0(VALU_DEP_1) | instskip(NEXT) | instid1(VALU_DEP_1)
	v_lshlrev_b64_e32 v[14:15], v13, v[2:3]
	v_dual_sub_nc_u32 v5, 30, v5 :: v_dual_bitop2_b32 v13, 3, v14 bitop3:0x40
; %bb.14787:                            ;   in Loop: Header=BB4_12924 Depth=3
	s_or_b32 exec_lo, exec_lo, s75
	v_lshlrev_b32_e32 v2, 24, v2
	s_delay_alu instid0(VALU_DEP_1) | instskip(NEXT) | instid1(VALU_DEP_1)
	v_and_b32_e32 v2, 0x80000000, v2
	v_lshl_add_u32 v2, v5, 23, v2
	s_delay_alu instid0(VALU_DEP_1) | instskip(NEXT) | instid1(VALU_DEP_1)
	v_lshl_or_b32 v2, v13, 21, v2
                                        ; implicit-def: $vgpr13
	v_add_nc_u32_e32 v5, 0x38000000, v2
                                        ; implicit-def: $vgpr2
.LBB4_14788:                            ;   in Loop: Header=BB4_12924 Depth=3
	s_and_not1_saveexec_b32 s75, s13
; %bb.14789:                            ;   in Loop: Header=BB4_12924 Depth=3
	v_bfe_i32 v2, v2, 0, 8
	v_cmp_eq_u32_e32 vcc_lo, 0, v13
	s_delay_alu instid0(VALU_DEP_2) | instskip(NEXT) | instid1(VALU_DEP_1)
	v_cmp_lt_i16_e64 s13, -1, v2
	v_cndmask_b32_e64 v2, 0xff800000, v48, s13
	s_delay_alu instid0(VALU_DEP_1)
	v_cndmask_b32_e32 v5, 0x7f800001, v2, vcc_lo
; %bb.14790:                            ;   in Loop: Header=BB4_12924 Depth=3
	s_or_b32 exec_lo, exec_lo, s75
.LBB4_14791:                            ;   in Loop: Header=BB4_12924 Depth=3
	s_delay_alu instid0(SALU_CYCLE_1)
	s_or_b32 exec_lo, exec_lo, s74
.LBB4_14792:                            ;   in Loop: Header=BB4_12924 Depth=3
	s_delay_alu instid0(SALU_CYCLE_1) | instskip(NEXT) | instid1(VALU_DEP_1)
	s_or_b32 exec_lo, exec_lo, s73
	v_dual_add_f32 v5, v12, v5 :: v_dual_mov_b32 v15, v3
	s_delay_alu instid0(VALU_DEP_1) | instskip(SKIP_2) | instid1(VALU_DEP_2)
	v_dual_mov_b32 v13, v3 :: v_dual_lshrrev_b32 v2, 24, v5
	v_and_b32_e32 v14, 0x7f800000, v5
	v_and_b32_e32 v12, 0x7fffff, v5
	v_cmp_ne_u64_e32 vcc_lo, 0x7f800000, v[14:15]
                                        ; implicit-def: $vgpr14
	s_and_saveexec_b32 s13, vcc_lo
	s_delay_alu instid0(SALU_CYCLE_1)
	s_xor_b32 s73, exec_lo, s13
	s_cbranch_execz .LBB4_14806
; %bb.14793:                            ;   in Loop: Header=BB4_12924 Depth=3
	v_and_b32_e32 v14, 0x7fffffff, v5
	v_mov_b32_e32 v15, v3
	v_and_b32_e32 v2, 0x80, v2
	s_delay_alu instid0(VALU_DEP_2) | instskip(SKIP_1) | instid1(SALU_CYCLE_1)
	v_cmp_gt_u64_e32 vcc_lo, 0x47600001, v[14:15]
                                        ; implicit-def: $vgpr14
	s_and_saveexec_b32 s13, vcc_lo
	s_xor_b32 s74, exec_lo, s13
	s_cbranch_execz .LBB4_14803
; %bb.14794:                            ;   in Loop: Header=BB4_12924 Depth=3
	v_mov_b32_e32 v14, 0
	s_mov_b32 s75, exec_lo
	v_cmpx_ne_u32_e32 0, v5
	s_cbranch_execz .LBB4_14802
; %bb.14795:                            ;   in Loop: Header=BB4_12924 Depth=3
	v_bfe_u32 v5, v5, 23, 8
	v_or_b32_e32 v15, 0x800000, v12
	s_delay_alu instid0(VALU_DEP_2) | instskip(SKIP_2) | instid1(VALU_DEP_2)
	v_cmp_gt_u32_e64 s13, 0x72, v5
	v_sub_nc_u32_e32 v14, 0x71, v5
	v_cmp_eq_u32_e32 vcc_lo, 0, v5
	v_dual_cndmask_b32 v14, 0, v14, s13 :: v_dual_cndmask_b32 v12, v15, v12, vcc_lo
	s_delay_alu instid0(VALU_DEP_1) | instskip(NEXT) | instid1(VALU_DEP_1)
	v_cndmask_b32_e64 v86, v14, 0x70, vcc_lo
	v_dual_add_nc_u32 v14, 21, v86 :: v_dual_add_nc_u32 v87, 20, v86
	s_delay_alu instid0(VALU_DEP_1) | instskip(NEXT) | instid1(VALU_DEP_2)
	v_lshlrev_b64_e64 v[14:15], v14, -1
	v_lshlrev_b64_e64 v[96:97], v87, 1
	s_delay_alu instid0(VALU_DEP_2) | instskip(SKIP_1) | instid1(VALU_DEP_4)
	v_bfi_b32 v14, v14, 0, v12
	v_lshrrev_b64 v[12:13], v86, v[12:13]
	v_bfi_b32 v15, v15, 0, 0
	s_delay_alu instid0(VALU_DEP_1) | instskip(NEXT) | instid1(VALU_DEP_3)
	v_cmp_eq_u64_e64 s13, v[14:15], v[96:97]
	v_mov_b64_e32 v[14:15], v[12:13]
	s_and_saveexec_b32 s76, s13
; %bb.14796:                            ;   in Loop: Header=BB4_12924 Depth=3
	v_bfe_u32 v14, v12, 21, 1
	v_mov_b32_e32 v15, v3
	s_delay_alu instid0(VALU_DEP_1) | instskip(NEXT) | instid1(VALU_DEP_1)
	v_add_nc_u64_e32 v[14:15], v[12:13], v[14:15]
	v_add_nc_u64_e32 v[14:15], -1, v[14:15]
; %bb.14797:                            ;   in Loop: Header=BB4_12924 Depth=3
	s_or_b32 exec_lo, exec_lo, s76
	v_add_nc_u32_e32 v5, 0xffffff81, v5
	v_lshrrev_b32_e32 v13, 23, v12
	s_mov_b32 s13, exec_lo
	s_delay_alu instid0(VALU_DEP_2) | instskip(NEXT) | instid1(VALU_DEP_1)
	v_cndmask_b32_e64 v5, v5, 0xffffff82, vcc_lo
	v_add3_u32 v15, v86, v5, v13
	v_and_b32_e32 v5, 0x1fffff, v14
	s_delay_alu instid0(VALU_DEP_2) | instskip(NEXT) | instid1(VALU_DEP_2)
	v_dual_mov_b32 v13, v3 :: v_dual_add_nc_u32 v14, 14, v15
	v_add_nc_u32_e32 v12, v5, v12
                                        ; implicit-def: $vgpr5
	s_delay_alu instid0(VALU_DEP_2)
	v_cmpx_ne_u32_e32 0, v14
	s_xor_b32 s13, exec_lo, s13
; %bb.14798:                            ;   in Loop: Header=BB4_12924 Depth=3
	s_delay_alu instid0(VALU_DEP_2) | instskip(SKIP_1) | instid1(VALU_DEP_1)
	v_cmp_lt_u64_e32 vcc_lo, 0xffffff, v[12:13]
	v_add_nc_u32_e32 v5, 15, v15
	v_cndmask_b32_e32 v5, v14, v5, vcc_lo
	v_cndmask_b32_e64 v14, 0, 1, vcc_lo
	s_delay_alu instid0(VALU_DEP_1)
	v_lshrrev_b64 v[12:13], v14, v[12:13]
; %bb.14799:                            ;   in Loop: Header=BB4_12924 Depth=3
	s_and_not1_saveexec_b32 s13, s13
; %bb.14800:                            ;   in Loop: Header=BB4_12924 Depth=3
	s_delay_alu instid0(VALU_DEP_1)
	v_bfe_u32 v5, v12, 23, 1
; %bb.14801:                            ;   in Loop: Header=BB4_12924 Depth=3
	s_or_b32 exec_lo, exec_lo, s13
	s_delay_alu instid0(VALU_DEP_2) | instskip(NEXT) | instid1(VALU_DEP_2)
	v_lshrrev_b64 v[12:13], 21, v[12:13]
	v_cmp_gt_i32_e32 vcc_lo, 32, v5
	v_min_i32_e32 v14, 31, v5
	v_cmp_eq_u32_e64 s13, 0, v5
	s_delay_alu instid0(VALU_DEP_2) | instskip(SKIP_1) | instid1(VALU_DEP_2)
	v_dual_cndmask_b32 v12, 3, v12, vcc_lo :: v_dual_lshlrev_b32 v14, 2, v14
	v_cndmask_b32_e32 v13, 0, v13, vcc_lo
	v_and_b32_e32 v14, 0xfc, v14
	s_delay_alu instid0(VALU_DEP_2) | instskip(NEXT) | instid1(VALU_DEP_2)
	v_cmp_eq_u64_e32 vcc_lo, 0, v[12:13]
	v_and_or_b32 v5, v12, 3, v14
	s_and_b32 s13, s13, vcc_lo
	s_delay_alu instid0(VALU_DEP_1) | instid1(SALU_CYCLE_1)
	v_cndmask_b32_e64 v5, v5, 0, s13
	s_delay_alu instid0(VALU_DEP_1)
	v_or_b32_e32 v14, v5, v2
.LBB4_14802:                            ;   in Loop: Header=BB4_12924 Depth=3
	s_or_b32 exec_lo, exec_lo, s75
                                        ; implicit-def: $vgpr2
.LBB4_14803:                            ;   in Loop: Header=BB4_12924 Depth=3
	s_and_not1_saveexec_b32 s13, s74
; %bb.14804:                            ;   in Loop: Header=BB4_12924 Depth=3
	v_or_b32_e32 v14, 0x7b, v2
; %bb.14805:                            ;   in Loop: Header=BB4_12924 Depth=3
	s_or_b32 exec_lo, exec_lo, s13
                                        ; implicit-def: $vgpr5
                                        ; implicit-def: $vgpr12_vgpr13
                                        ; implicit-def: $vgpr2
.LBB4_14806:                            ;   in Loop: Header=BB4_12924 Depth=3
	s_and_not1_saveexec_b32 s13, s73
	s_cbranch_execz .LBB4_14812
; %bb.14807:                            ;   in Loop: Header=BB4_12924 Depth=3
	s_mov_b32 s73, exec_lo
                                        ; implicit-def: $vgpr14
	v_cmpx_ne_u64_e32 0, v[12:13]
	s_xor_b32 s73, exec_lo, s73
; %bb.14808:                            ;   in Loop: Header=BB4_12924 Depth=3
	v_or_b32_e32 v14, 0x7f, v2
                                        ; implicit-def: $vgpr5
; %bb.14809:                            ;   in Loop: Header=BB4_12924 Depth=3
	s_and_not1_saveexec_b32 s73, s73
; %bb.14810:                            ;   in Loop: Header=BB4_12924 Depth=3
	v_cmp_lt_i32_e32 vcc_lo, -1, v5
	v_cndmask_b32_e32 v14, 0xfc, v49, vcc_lo
; %bb.14811:                            ;   in Loop: Header=BB4_12924 Depth=3
	s_or_b32 exec_lo, exec_lo, s73
.LBB4_14812:                            ;   in Loop: Header=BB4_12924 Depth=3
	s_delay_alu instid0(SALU_CYCLE_1)
	s_or_b32 exec_lo, exec_lo, s13
	v_dual_mov_b32 v12, 0 :: v_dual_mov_b32 v13, 0
	s_mov_b32 s13, exec_lo
	v_cmpx_lt_u32_e32 0xffffff, v4
	s_cbranch_execz .LBB4_14822
; %bb.14813:                            ;   in Loop: Header=BB4_12924 Depth=3
	v_lshrrev_b32_e32 v2, 24, v4
	v_bfrev_b32_e32 v13, 1
	s_mov_b32 s73, exec_lo
	s_delay_alu instid0(VALU_DEP_2)
	v_cmpx_ne_u32_e32 0x80, v2
	s_cbranch_execz .LBB4_14821
; %bb.14814:                            ;   in Loop: Header=BB4_12924 Depth=3
	v_and_b32_e32 v5, 0x7c000000, v4
	v_bfe_u32 v15, v4, 24, 2
	s_mov_b32 s74, exec_lo
                                        ; implicit-def: $vgpr13
	s_delay_alu instid0(VALU_DEP_2)
	v_cmpx_ne_u32_e32 0x7c000000, v5
	s_xor_b32 s74, exec_lo, s74
	s_cbranch_execz .LBB4_14818
; %bb.14815:                            ;   in Loop: Header=BB4_12924 Depth=3
	v_bfe_u32 v5, v4, 26, 5
	s_mov_b32 s75, exec_lo
	s_delay_alu instid0(VALU_DEP_1)
	v_cmpx_eq_u32_e32 0, v5
; %bb.14816:                            ;   in Loop: Header=BB4_12924 Depth=3
	v_clz_i32_u32_e32 v5, v15
	s_delay_alu instid0(VALU_DEP_1) | instskip(NEXT) | instid1(VALU_DEP_1)
	v_min_u32_e32 v5, 32, v5
	v_subrev_nc_u32_e32 v13, 29, v5
	s_delay_alu instid0(VALU_DEP_1) | instskip(NEXT) | instid1(VALU_DEP_1)
	v_lshlrev_b64_e32 v[86:87], v13, v[2:3]
	v_dual_sub_nc_u32 v5, 30, v5 :: v_dual_bitop2_b32 v15, 3, v86 bitop3:0x40
; %bb.14817:                            ;   in Loop: Header=BB4_12924 Depth=3
	s_or_b32 exec_lo, exec_lo, s75
	v_and_b32_e32 v2, 0x80000000, v4
	s_delay_alu instid0(VALU_DEP_1) | instskip(NEXT) | instid1(VALU_DEP_1)
	v_lshl_add_u32 v2, v5, 23, v2
                                        ; implicit-def: $vgpr4_vgpr5
	v_lshl_or_b32 v2, v15, 21, v2
                                        ; implicit-def: $vgpr15
	s_delay_alu instid0(VALU_DEP_1)
	v_add_nc_u32_e32 v13, 0x38000000, v2
.LBB4_14818:                            ;   in Loop: Header=BB4_12924 Depth=3
	s_and_not1_saveexec_b32 s74, s74
; %bb.14819:                            ;   in Loop: Header=BB4_12924 Depth=3
	v_cmp_lt_i32_e32 vcc_lo, -1, v4
	v_cndmask_b32_e32 v2, 0xff800000, v48, vcc_lo
	v_cmp_eq_u32_e32 vcc_lo, 0, v15
	s_delay_alu instid0(VALU_DEP_2)
	v_cndmask_b32_e32 v13, 0x7f800001, v2, vcc_lo
; %bb.14820:                            ;   in Loop: Header=BB4_12924 Depth=3
	s_or_b32 exec_lo, exec_lo, s74
.LBB4_14821:                            ;   in Loop: Header=BB4_12924 Depth=3
	s_delay_alu instid0(SALU_CYCLE_1)
	s_or_b32 exec_lo, exec_lo, s73
.LBB4_14822:                            ;   in Loop: Header=BB4_12924 Depth=3
	s_delay_alu instid0(SALU_CYCLE_1) | instskip(NEXT) | instid1(SALU_CYCLE_1)
	s_or_b32 exec_lo, exec_lo, s13
	s_mov_b32 s13, exec_lo
	v_cmpx_lt_u64_e64 s[22:23], v[8:9]
	s_cbranch_execz .LBB4_14832
; %bb.14823:                            ;   in Loop: Header=BB4_12924 Depth=3
	v_lshrrev_b32_e32 v2, 24, v9
	v_bfrev_b32_e32 v12, 1
	s_mov_b32 s73, exec_lo
	s_delay_alu instid0(VALU_DEP_2)
	v_cmpx_ne_u32_e32 0x80, v2
	s_cbranch_execz .LBB4_14831
; %bb.14824:                            ;   in Loop: Header=BB4_12924 Depth=3
	v_and_b32_e32 v5, 0x7c000000, v9
	v_bfe_u32 v4, v9, 24, 2
	s_mov_b32 s74, exec_lo
                                        ; implicit-def: $vgpr12
	s_delay_alu instid0(VALU_DEP_2)
	v_cmpx_ne_u32_e32 0x7c000000, v5
	s_xor_b32 s74, exec_lo, s74
	s_cbranch_execz .LBB4_14828
; %bb.14825:                            ;   in Loop: Header=BB4_12924 Depth=3
	v_bfe_u32 v5, v9, 26, 5
	s_mov_b32 s75, exec_lo
	s_delay_alu instid0(VALU_DEP_1)
	v_cmpx_eq_u32_e32 0, v5
; %bb.14826:                            ;   in Loop: Header=BB4_12924 Depth=3
	v_clz_i32_u32_e32 v4, v4
	s_delay_alu instid0(VALU_DEP_1) | instskip(NEXT) | instid1(VALU_DEP_1)
	v_min_u32_e32 v12, 32, v4
	v_subrev_nc_u32_e32 v4, 29, v12
	s_delay_alu instid0(VALU_DEP_1) | instskip(SKIP_1) | instid1(VALU_DEP_2)
	v_lshlrev_b64_e32 v[4:5], v4, v[2:3]
	v_sub_nc_u32_e32 v5, 30, v12
	v_and_b32_e32 v4, 3, v4
; %bb.14827:                            ;   in Loop: Header=BB4_12924 Depth=3
	s_or_b32 exec_lo, exec_lo, s75
	v_and_b32_e32 v2, 0x80000000, v9
	s_delay_alu instid0(VALU_DEP_1) | instskip(NEXT) | instid1(VALU_DEP_1)
	v_lshl_add_u32 v2, v5, 23, v2
	v_lshl_or_b32 v2, v4, 21, v2
                                        ; implicit-def: $vgpr4
	s_delay_alu instid0(VALU_DEP_1)
	v_add_nc_u32_e32 v12, 0x38000000, v2
.LBB4_14828:                            ;   in Loop: Header=BB4_12924 Depth=3
	s_and_not1_saveexec_b32 s74, s74
; %bb.14829:                            ;   in Loop: Header=BB4_12924 Depth=3
	v_cmp_lt_i64_e32 vcc_lo, -1, v[8:9]
	v_cndmask_b32_e32 v2, 0xff800000, v48, vcc_lo
	v_cmp_eq_u32_e32 vcc_lo, 0, v4
	s_delay_alu instid0(VALU_DEP_2)
	v_cndmask_b32_e32 v12, 0x7f800001, v2, vcc_lo
; %bb.14830:                            ;   in Loop: Header=BB4_12924 Depth=3
	s_or_b32 exec_lo, exec_lo, s74
.LBB4_14831:                            ;   in Loop: Header=BB4_12924 Depth=3
	s_delay_alu instid0(SALU_CYCLE_1)
	s_or_b32 exec_lo, exec_lo, s73
.LBB4_14832:                            ;   in Loop: Header=BB4_12924 Depth=3
	s_delay_alu instid0(SALU_CYCLE_1) | instskip(NEXT) | instid1(VALU_DEP_1)
	s_or_b32 exec_lo, exec_lo, s13
	v_dual_add_f32 v8, v13, v12 :: v_dual_mov_b32 v13, v3
	v_mov_b32_e32 v5, v3
                                        ; implicit-def: $vgpr15
	s_mov_b32 s13, exec_lo
	s_delay_alu instid0(VALU_DEP_2) | instskip(SKIP_2) | instid1(VALU_DEP_3)
	v_and_b32_e32 v12, 0x7f800000, v8
	v_and_b32_e32 v4, 0x7fffff, v8
	v_lshrrev_b32_e32 v2, 24, v8
	v_cmpx_ne_u64_e32 0x7f800000, v[12:13]
	s_xor_b32 s73, exec_lo, s13
	s_cbranch_execz .LBB4_14846
; %bb.14833:                            ;   in Loop: Header=BB4_12924 Depth=3
	v_and_b32_e32 v12, 0x7fffffff, v8
	v_mov_b32_e32 v13, v3
	v_and_b32_e32 v2, 0x80, v2
                                        ; implicit-def: $vgpr15
	s_mov_b32 s13, exec_lo
	s_delay_alu instid0(VALU_DEP_2)
	v_cmpx_gt_u64_e32 0x47600001, v[12:13]
	s_xor_b32 s74, exec_lo, s13
	s_cbranch_execz .LBB4_14843
; %bb.14834:                            ;   in Loop: Header=BB4_12924 Depth=3
	v_mov_b32_e32 v15, 0
	s_mov_b32 s75, exec_lo
	v_cmpx_ne_u32_e32 0, v8
	s_cbranch_execz .LBB4_14842
; %bb.14835:                            ;   in Loop: Header=BB4_12924 Depth=3
	v_bfe_u32 v12, v8, 23, 8
	v_or_b32_e32 v9, 0x800000, v4
	s_delay_alu instid0(VALU_DEP_2) | instskip(SKIP_2) | instid1(VALU_DEP_2)
	v_cmp_gt_u32_e64 s13, 0x72, v12
	v_sub_nc_u32_e32 v8, 0x71, v12
	v_cmp_eq_u32_e32 vcc_lo, 0, v12
	v_cndmask_b32_e64 v8, 0, v8, s13
	s_delay_alu instid0(VALU_DEP_1) | instskip(NEXT) | instid1(VALU_DEP_1)
	v_cndmask_b32_e64 v13, v8, 0x70, vcc_lo
	v_dual_cndmask_b32 v4, v9, v4, vcc_lo :: v_dual_add_nc_u32 v8, 21, v13
	v_add_nc_u32_e32 v15, 20, v13
	s_delay_alu instid0(VALU_DEP_2) | instskip(NEXT) | instid1(VALU_DEP_2)
	v_lshlrev_b64_e64 v[8:9], v8, -1
	v_lshlrev_b64_e64 v[86:87], v15, 1
	s_delay_alu instid0(VALU_DEP_2) | instskip(SKIP_1) | instid1(VALU_DEP_4)
	v_bfi_b32 v8, v8, 0, v4
	v_lshrrev_b64 v[4:5], v13, v[4:5]
	v_bfi_b32 v9, v9, 0, 0
	s_delay_alu instid0(VALU_DEP_1) | instskip(NEXT) | instid1(VALU_DEP_3)
	v_cmp_eq_u64_e64 s13, v[8:9], v[86:87]
	v_mov_b64_e32 v[8:9], v[4:5]
	s_and_saveexec_b32 s76, s13
; %bb.14836:                            ;   in Loop: Header=BB4_12924 Depth=3
	v_bfe_u32 v8, v4, 21, 1
	v_mov_b32_e32 v9, v3
	s_delay_alu instid0(VALU_DEP_1) | instskip(NEXT) | instid1(VALU_DEP_1)
	v_add_nc_u64_e32 v[8:9], v[4:5], v[8:9]
	v_add_nc_u64_e32 v[8:9], -1, v[8:9]
; %bb.14837:                            ;   in Loop: Header=BB4_12924 Depth=3
	s_or_b32 exec_lo, exec_lo, s76
	v_add_nc_u32_e32 v5, 0xffffff81, v12
	v_lshrrev_b32_e32 v9, 23, v4
	s_mov_b32 s13, exec_lo
	s_delay_alu instid0(VALU_DEP_2) | instskip(NEXT) | instid1(VALU_DEP_1)
	v_cndmask_b32_e64 v5, v5, 0xffffff82, vcc_lo
	v_add3_u32 v12, v13, v5, v9
	v_and_b32_e32 v5, 0x1fffff, v8
                                        ; implicit-def: $vgpr8
	s_delay_alu instid0(VALU_DEP_2) | instskip(NEXT) | instid1(VALU_DEP_2)
	v_add_nc_u32_e32 v9, 14, v12
	v_dual_mov_b32 v5, v3 :: v_dual_add_nc_u32 v4, v5, v4
	s_delay_alu instid0(VALU_DEP_2)
	v_cmpx_ne_u32_e32 0, v9
	s_xor_b32 s13, exec_lo, s13
; %bb.14838:                            ;   in Loop: Header=BB4_12924 Depth=3
	s_delay_alu instid0(VALU_DEP_2) | instskip(SKIP_1) | instid1(VALU_DEP_1)
	v_cmp_lt_u64_e32 vcc_lo, 0xffffff, v[4:5]
	v_add_nc_u32_e32 v8, 15, v12
	v_cndmask_b32_e32 v8, v9, v8, vcc_lo
	v_cndmask_b32_e64 v9, 0, 1, vcc_lo
	s_delay_alu instid0(VALU_DEP_1)
	v_lshrrev_b64 v[4:5], v9, v[4:5]
; %bb.14839:                            ;   in Loop: Header=BB4_12924 Depth=3
	s_and_not1_saveexec_b32 s13, s13
; %bb.14840:                            ;   in Loop: Header=BB4_12924 Depth=3
	s_delay_alu instid0(VALU_DEP_1)
	v_bfe_u32 v8, v4, 23, 1
; %bb.14841:                            ;   in Loop: Header=BB4_12924 Depth=3
	s_or_b32 exec_lo, exec_lo, s13
	s_delay_alu instid0(VALU_DEP_2) | instskip(NEXT) | instid1(VALU_DEP_2)
	v_lshrrev_b64 v[4:5], 21, v[4:5]
	v_cmp_gt_i32_e32 vcc_lo, 32, v8
	v_min_i32_e32 v9, 31, v8
	v_cmp_eq_u32_e64 s13, 0, v8
	s_delay_alu instid0(VALU_DEP_4) | instskip(NEXT) | instid1(VALU_DEP_3)
	v_cndmask_b32_e32 v5, 0, v5, vcc_lo
	v_dual_cndmask_b32 v4, 3, v4 :: v_dual_lshlrev_b32 v9, 2, v9
	s_delay_alu instid0(VALU_DEP_1) | instskip(NEXT) | instid1(VALU_DEP_2)
	v_and_b32_e32 v9, 0xfc, v9
	v_cmp_eq_u64_e32 vcc_lo, 0, v[4:5]
	s_delay_alu instid0(VALU_DEP_2)
	v_and_or_b32 v4, v4, 3, v9
	s_and_b32 s13, s13, vcc_lo
	s_delay_alu instid0(VALU_DEP_1) | instid1(SALU_CYCLE_1)
	v_cndmask_b32_e64 v4, v4, 0, s13
	s_delay_alu instid0(VALU_DEP_1)
	v_or_b32_e32 v15, v4, v2
.LBB4_14842:                            ;   in Loop: Header=BB4_12924 Depth=3
	s_or_b32 exec_lo, exec_lo, s75
                                        ; implicit-def: $vgpr2
.LBB4_14843:                            ;   in Loop: Header=BB4_12924 Depth=3
	s_and_not1_saveexec_b32 s13, s74
; %bb.14844:                            ;   in Loop: Header=BB4_12924 Depth=3
	v_or_b32_e32 v15, 0x7b, v2
; %bb.14845:                            ;   in Loop: Header=BB4_12924 Depth=3
	s_or_b32 exec_lo, exec_lo, s13
                                        ; implicit-def: $vgpr8
                                        ; implicit-def: $vgpr4_vgpr5
                                        ; implicit-def: $vgpr2
.LBB4_14846:                            ;   in Loop: Header=BB4_12924 Depth=3
	s_and_not1_saveexec_b32 s13, s73
	s_cbranch_execz .LBB4_14852
; %bb.14847:                            ;   in Loop: Header=BB4_12924 Depth=3
	s_mov_b32 s73, exec_lo
                                        ; implicit-def: $vgpr15
	v_cmpx_ne_u64_e32 0, v[4:5]
	s_xor_b32 s73, exec_lo, s73
; %bb.14848:                            ;   in Loop: Header=BB4_12924 Depth=3
	v_or_b32_e32 v15, 0x7f, v2
                                        ; implicit-def: $vgpr8
; %bb.14849:                            ;   in Loop: Header=BB4_12924 Depth=3
	s_and_not1_saveexec_b32 s73, s73
; %bb.14850:                            ;   in Loop: Header=BB4_12924 Depth=3
	v_cmp_lt_i32_e32 vcc_lo, -1, v8
	v_cndmask_b32_e32 v15, 0xfc, v49, vcc_lo
; %bb.14851:                            ;   in Loop: Header=BB4_12924 Depth=3
	s_or_b32 exec_lo, exec_lo, s73
.LBB4_14852:                            ;   in Loop: Header=BB4_12924 Depth=3
	s_delay_alu instid0(SALU_CYCLE_1) | instskip(SKIP_4) | instid1(VALU_DEP_2)
	s_or_b32 exec_lo, exec_lo, s13
	v_lshl_or_b32 v2, v101, 8, v51
	v_dual_lshlrev_b32 v4, 16, v115 :: v_dual_lshlrev_b32 v8, 24, v117
	v_dual_mov_b32 v5, v3 :: v_dual_mov_b32 v9, 0
	s_mov_b32 s13, exec_lo
	v_or3_b32 v4, v4, v8, v2
	v_mov_b32_e32 v8, 0
	v_cmpx_ne_u32_e32 0, v51
	s_cbranch_execz .LBB4_14862
; %bb.14853:                            ;   in Loop: Header=BB4_12924 Depth=3
	v_bfrev_b32_e32 v9, 1
	s_mov_b32 s73, exec_lo
	v_cmpx_ne_u32_e32 0x80, v51
	s_cbranch_execz .LBB4_14861
; %bb.14854:                            ;   in Loop: Header=BB4_12924 Depth=3
	v_and_b32_e32 v9, 0x7c, v51
	v_and_b32_e32 v12, 3, v51
	s_delay_alu instid0(VALU_DEP_2) | instskip(SKIP_1) | instid1(SALU_CYCLE_1)
	v_cmp_ne_u32_e32 vcc_lo, 0x7c, v9
                                        ; implicit-def: $vgpr9
	s_and_saveexec_b32 s74, vcc_lo
	s_xor_b32 s74, exec_lo, s74
	s_cbranch_execz .LBB4_14858
; %bb.14855:                            ;   in Loop: Header=BB4_12924 Depth=3
	v_bfe_u32 v9, v51, 2, 5
	s_mov_b32 s75, exec_lo
	s_delay_alu instid0(VALU_DEP_1)
	v_cmpx_eq_u32_e32 0, v9
; %bb.14856:                            ;   in Loop: Header=BB4_12924 Depth=3
	v_clz_i32_u32_e32 v9, v12
	s_delay_alu instid0(VALU_DEP_1) | instskip(NEXT) | instid1(VALU_DEP_1)
	v_min_u32_e32 v9, 32, v9
	v_subrev_nc_u32_e32 v12, 29, v9
	s_delay_alu instid0(VALU_DEP_1) | instskip(NEXT) | instid1(VALU_DEP_1)
	v_lshlrev_b64_e32 v[12:13], v12, v[4:5]
	v_dual_sub_nc_u32 v9, 30, v9 :: v_dual_bitop2_b32 v12, 3, v12 bitop3:0x40
; %bb.14857:                            ;   in Loop: Header=BB4_12924 Depth=3
	s_or_b32 exec_lo, exec_lo, s75
	v_lshlrev_b32_e32 v5, 24, v51
                                        ; implicit-def: $vgpr51
	s_delay_alu instid0(VALU_DEP_1) | instskip(NEXT) | instid1(VALU_DEP_1)
	v_and_b32_e32 v5, 0x80000000, v5
	v_lshl_add_u32 v5, v9, 23, v5
	s_delay_alu instid0(VALU_DEP_1) | instskip(NEXT) | instid1(VALU_DEP_1)
	v_lshl_or_b32 v5, v12, 21, v5
                                        ; implicit-def: $vgpr12
	v_add_nc_u32_e32 v9, 0x38000000, v5
.LBB4_14858:                            ;   in Loop: Header=BB4_12924 Depth=3
	s_and_not1_saveexec_b32 s74, s74
; %bb.14859:                            ;   in Loop: Header=BB4_12924 Depth=3
	v_and_b32_e32 v5, 0x80, v51
	s_delay_alu instid0(VALU_DEP_1) | instskip(SKIP_2) | instid1(VALU_DEP_2)
	v_cmp_eq_u32_e32 vcc_lo, 0, v5
	v_cndmask_b32_e32 v5, 0xff800000, v48, vcc_lo
	v_cmp_eq_u32_e32 vcc_lo, 0, v12
	v_cndmask_b32_e32 v9, 0x7f800001, v5, vcc_lo
; %bb.14860:                            ;   in Loop: Header=BB4_12924 Depth=3
	s_or_b32 exec_lo, exec_lo, s74
.LBB4_14861:                            ;   in Loop: Header=BB4_12924 Depth=3
	s_delay_alu instid0(SALU_CYCLE_1)
	s_or_b32 exec_lo, exec_lo, s73
.LBB4_14862:                            ;   in Loop: Header=BB4_12924 Depth=3
	s_delay_alu instid0(SALU_CYCLE_1) | instskip(SKIP_2) | instid1(VALU_DEP_1)
	s_or_b32 exec_lo, exec_lo, s13
	v_and_b32_e32 v5, 0xff, v10
	s_mov_b32 s13, exec_lo
	v_cmpx_ne_u16_e32 0, v5
	s_cbranch_execz .LBB4_14872
; %bb.14863:                            ;   in Loop: Header=BB4_12924 Depth=3
	v_bfe_i32 v12, v10, 0, 8
	v_bfrev_b32_e32 v8, 1
	s_mov_b32 s73, exec_lo
	s_delay_alu instid0(VALU_DEP_2)
	v_cmpx_ne_u16_e32 0xff80, v12
	s_cbranch_execz .LBB4_14871
; %bb.14864:                            ;   in Loop: Header=BB4_12924 Depth=3
	v_and_b32_e32 v8, 0x7c, v10
	v_and_b32_e32 v5, 3, v10
	s_delay_alu instid0(VALU_DEP_2) | instskip(SKIP_1) | instid1(SALU_CYCLE_1)
	v_cmp_ne_u32_e32 vcc_lo, 0x7c, v8
                                        ; implicit-def: $vgpr8
	s_and_saveexec_b32 s74, vcc_lo
	s_xor_b32 s74, exec_lo, s74
	s_cbranch_execz .LBB4_14868
; %bb.14865:                            ;   in Loop: Header=BB4_12924 Depth=3
	v_bfe_u32 v8, v10, 2, 5
	s_mov_b32 s75, exec_lo
	s_delay_alu instid0(VALU_DEP_1)
	v_cmpx_eq_u32_e32 0, v8
; %bb.14866:                            ;   in Loop: Header=BB4_12924 Depth=3
	v_clz_i32_u32_e32 v5, v5
	s_delay_alu instid0(VALU_DEP_1) | instskip(NEXT) | instid1(VALU_DEP_1)
	v_min_u32_e32 v5, 32, v5
	v_subrev_nc_u32_e32 v8, 29, v5
	s_delay_alu instid0(VALU_DEP_1) | instskip(NEXT) | instid1(VALU_DEP_1)
	v_lshlrev_b64_e32 v[12:13], v8, v[10:11]
	v_dual_sub_nc_u32 v8, 30, v5 :: v_dual_bitop2_b32 v5, 3, v12 bitop3:0x40
; %bb.14867:                            ;   in Loop: Header=BB4_12924 Depth=3
	s_or_b32 exec_lo, exec_lo, s75
	v_lshlrev_b32_e32 v12, 24, v10
	s_delay_alu instid0(VALU_DEP_1) | instskip(NEXT) | instid1(VALU_DEP_1)
	v_and_b32_e32 v12, 0x80000000, v12
	v_lshl_add_u32 v8, v8, 23, v12
                                        ; implicit-def: $vgpr12
	s_delay_alu instid0(VALU_DEP_1) | instskip(NEXT) | instid1(VALU_DEP_1)
	v_lshl_or_b32 v5, v5, 21, v8
	v_add_nc_u32_e32 v8, 0x38000000, v5
                                        ; implicit-def: $vgpr5
.LBB4_14868:                            ;   in Loop: Header=BB4_12924 Depth=3
	s_and_not1_saveexec_b32 s74, s74
; %bb.14869:                            ;   in Loop: Header=BB4_12924 Depth=3
	v_cmp_lt_i16_e32 vcc_lo, -1, v12
	v_cndmask_b32_e32 v8, 0xff800000, v48, vcc_lo
	v_cmp_eq_u32_e32 vcc_lo, 0, v5
	s_delay_alu instid0(VALU_DEP_2)
	v_cndmask_b32_e32 v8, 0x7f800001, v8, vcc_lo
; %bb.14870:                            ;   in Loop: Header=BB4_12924 Depth=3
	s_or_b32 exec_lo, exec_lo, s74
.LBB4_14871:                            ;   in Loop: Header=BB4_12924 Depth=3
	s_delay_alu instid0(SALU_CYCLE_1)
	s_or_b32 exec_lo, exec_lo, s73
.LBB4_14872:                            ;   in Loop: Header=BB4_12924 Depth=3
	s_delay_alu instid0(SALU_CYCLE_1) | instskip(NEXT) | instid1(VALU_DEP_1)
	s_or_b32 exec_lo, exec_lo, s13
	v_dual_add_f32 v12, v9, v8 :: v_dual_mov_b32 v87, v3
	v_mov_b32_e32 v9, v3
                                        ; implicit-def: $vgpr51
	s_mov_b32 s13, exec_lo
	s_delay_alu instid0(VALU_DEP_2) | instskip(SKIP_2) | instid1(VALU_DEP_3)
	v_and_b32_e32 v86, 0x7f800000, v12
	v_and_b32_e32 v8, 0x7fffff, v12
	v_lshrrev_b32_e32 v5, 24, v12
	v_cmpx_ne_u64_e32 0x7f800000, v[86:87]
	s_xor_b32 s73, exec_lo, s13
	s_cbranch_execz .LBB4_14886
; %bb.14873:                            ;   in Loop: Header=BB4_12924 Depth=3
	v_and_b32_e32 v86, 0x7fffffff, v12
	v_mov_b32_e32 v87, v3
	v_and_b32_e32 v5, 0x80, v5
                                        ; implicit-def: $vgpr51
	s_mov_b32 s13, exec_lo
	s_delay_alu instid0(VALU_DEP_2)
	v_cmpx_gt_u64_e32 0x47600001, v[86:87]
	s_xor_b32 s74, exec_lo, s13
	s_cbranch_execz .LBB4_14883
; %bb.14874:                            ;   in Loop: Header=BB4_12924 Depth=3
	v_mov_b32_e32 v51, 0
	s_mov_b32 s75, exec_lo
	v_cmpx_ne_u32_e32 0, v12
	s_cbranch_execz .LBB4_14882
; %bb.14875:                            ;   in Loop: Header=BB4_12924 Depth=3
	v_bfe_u32 v51, v12, 23, 8
	v_or_b32_e32 v13, 0x800000, v8
	s_delay_alu instid0(VALU_DEP_2) | instskip(SKIP_2) | instid1(VALU_DEP_2)
	v_cmp_gt_u32_e64 s13, 0x72, v51
	v_sub_nc_u32_e32 v12, 0x71, v51
	v_cmp_eq_u32_e32 vcc_lo, 0, v51
	v_cndmask_b32_e64 v12, 0, v12, s13
	s_delay_alu instid0(VALU_DEP_1) | instskip(NEXT) | instid1(VALU_DEP_1)
	v_cndmask_b32_e64 v86, v12, 0x70, vcc_lo
	v_dual_cndmask_b32 v8, v13, v8, vcc_lo :: v_dual_add_nc_u32 v12, 21, v86
	v_add_nc_u32_e32 v87, 20, v86
	s_delay_alu instid0(VALU_DEP_2) | instskip(NEXT) | instid1(VALU_DEP_2)
	v_lshlrev_b64_e64 v[12:13], v12, -1
	v_lshlrev_b64_e64 v[96:97], v87, 1
	s_delay_alu instid0(VALU_DEP_2) | instskip(SKIP_1) | instid1(VALU_DEP_4)
	v_bfi_b32 v12, v12, 0, v8
	v_lshrrev_b64 v[8:9], v86, v[8:9]
	v_bfi_b32 v13, v13, 0, 0
	s_delay_alu instid0(VALU_DEP_1) | instskip(NEXT) | instid1(VALU_DEP_3)
	v_cmp_eq_u64_e64 s13, v[12:13], v[96:97]
	v_mov_b64_e32 v[12:13], v[8:9]
	s_and_saveexec_b32 s76, s13
; %bb.14876:                            ;   in Loop: Header=BB4_12924 Depth=3
	v_bfe_u32 v12, v8, 21, 1
	v_mov_b32_e32 v13, v3
	s_delay_alu instid0(VALU_DEP_1) | instskip(NEXT) | instid1(VALU_DEP_1)
	v_add_nc_u64_e32 v[12:13], v[8:9], v[12:13]
	v_add_nc_u64_e32 v[12:13], -1, v[12:13]
; %bb.14877:                            ;   in Loop: Header=BB4_12924 Depth=3
	s_or_b32 exec_lo, exec_lo, s76
	v_add_nc_u32_e32 v9, 0xffffff81, v51
	v_lshrrev_b32_e32 v13, 23, v8
	s_mov_b32 s13, exec_lo
	s_delay_alu instid0(VALU_DEP_2) | instskip(NEXT) | instid1(VALU_DEP_1)
	v_cndmask_b32_e64 v9, v9, 0xffffff82, vcc_lo
	v_add3_u32 v13, v86, v9, v13
	v_and_b32_e32 v9, 0x1fffff, v12
                                        ; implicit-def: $vgpr12
	s_delay_alu instid0(VALU_DEP_1) | instskip(SKIP_1) | instid1(VALU_DEP_2)
	v_dual_add_nc_u32 v51, 14, v13 :: v_dual_add_nc_u32 v8, v9, v8
	v_mov_b32_e32 v9, v3
	v_cmpx_ne_u32_e32 0, v51
	s_xor_b32 s13, exec_lo, s13
; %bb.14878:                            ;   in Loop: Header=BB4_12924 Depth=3
	s_delay_alu instid0(VALU_DEP_2) | instskip(SKIP_2) | instid1(VALU_DEP_2)
	v_cmp_lt_u64_e32 vcc_lo, 0xffffff, v[8:9]
	v_add_nc_u32_e32 v12, 15, v13
	v_cndmask_b32_e64 v13, 0, 1, vcc_lo
	v_cndmask_b32_e32 v12, v51, v12, vcc_lo
	s_delay_alu instid0(VALU_DEP_2)
	v_lshrrev_b64 v[8:9], v13, v[8:9]
; %bb.14879:                            ;   in Loop: Header=BB4_12924 Depth=3
	s_and_not1_saveexec_b32 s13, s13
; %bb.14880:                            ;   in Loop: Header=BB4_12924 Depth=3
	s_delay_alu instid0(VALU_DEP_1)
	v_bfe_u32 v12, v8, 23, 1
; %bb.14881:                            ;   in Loop: Header=BB4_12924 Depth=3
	s_or_b32 exec_lo, exec_lo, s13
	s_delay_alu instid0(VALU_DEP_2) | instskip(NEXT) | instid1(VALU_DEP_2)
	v_lshrrev_b64 v[8:9], 21, v[8:9]
	v_cmp_gt_i32_e32 vcc_lo, 32, v12
	v_min_i32_e32 v13, 31, v12
	v_cmp_eq_u32_e64 s13, 0, v12
	s_delay_alu instid0(VALU_DEP_4) | instskip(NEXT) | instid1(VALU_DEP_3)
	v_cndmask_b32_e32 v9, 0, v9, vcc_lo
	v_dual_cndmask_b32 v8, 3, v8 :: v_dual_lshlrev_b32 v13, 2, v13
	s_delay_alu instid0(VALU_DEP_1) | instskip(NEXT) | instid1(VALU_DEP_2)
	v_and_b32_e32 v13, 0xfc, v13
	v_cmp_eq_u64_e32 vcc_lo, 0, v[8:9]
	s_delay_alu instid0(VALU_DEP_2)
	v_and_or_b32 v8, v8, 3, v13
	s_and_b32 s13, s13, vcc_lo
	s_delay_alu instid0(VALU_DEP_1) | instid1(SALU_CYCLE_1)
	v_cndmask_b32_e64 v8, v8, 0, s13
	s_delay_alu instid0(VALU_DEP_1)
	v_or_b32_e32 v51, v8, v5
.LBB4_14882:                            ;   in Loop: Header=BB4_12924 Depth=3
	s_or_b32 exec_lo, exec_lo, s75
                                        ; implicit-def: $vgpr5
.LBB4_14883:                            ;   in Loop: Header=BB4_12924 Depth=3
	s_and_not1_saveexec_b32 s13, s74
; %bb.14884:                            ;   in Loop: Header=BB4_12924 Depth=3
	v_or_b32_e32 v51, 0x7b, v5
; %bb.14885:                            ;   in Loop: Header=BB4_12924 Depth=3
	s_or_b32 exec_lo, exec_lo, s13
                                        ; implicit-def: $vgpr12
                                        ; implicit-def: $vgpr8_vgpr9
                                        ; implicit-def: $vgpr5
.LBB4_14886:                            ;   in Loop: Header=BB4_12924 Depth=3
	s_and_not1_saveexec_b32 s13, s73
	s_cbranch_execz .LBB4_14892
; %bb.14887:                            ;   in Loop: Header=BB4_12924 Depth=3
	s_mov_b32 s73, exec_lo
                                        ; implicit-def: $vgpr51
	v_cmpx_ne_u64_e32 0, v[8:9]
	s_xor_b32 s73, exec_lo, s73
; %bb.14888:                            ;   in Loop: Header=BB4_12924 Depth=3
	v_or_b32_e32 v51, 0x7f, v5
                                        ; implicit-def: $vgpr12
; %bb.14889:                            ;   in Loop: Header=BB4_12924 Depth=3
	s_and_not1_saveexec_b32 s73, s73
; %bb.14890:                            ;   in Loop: Header=BB4_12924 Depth=3
	v_cmp_lt_i32_e32 vcc_lo, -1, v12
	v_cndmask_b32_e32 v51, 0xfc, v49, vcc_lo
; %bb.14891:                            ;   in Loop: Header=BB4_12924 Depth=3
	s_or_b32 exec_lo, exec_lo, s73
.LBB4_14892:                            ;   in Loop: Header=BB4_12924 Depth=3
	s_delay_alu instid0(SALU_CYCLE_1) | instskip(SKIP_3) | instid1(VALU_DEP_2)
	s_or_b32 exec_lo, exec_lo, s13
	v_lshrrev_b16 v8, 8, v2
	v_dual_mov_b32 v5, 0 :: v_dual_mov_b32 v12, 0
	s_mov_b32 s13, exec_lo
	v_cmpx_ne_u16_e32 0, v8
	s_cbranch_execz .LBB4_14902
; %bb.14893:                            ;   in Loop: Header=BB4_12924 Depth=3
	v_bfrev_b32_e32 v12, 1
	s_mov_b32 s73, exec_lo
	v_cmpx_ne_u16_e32 0x80, v8
	s_cbranch_execz .LBB4_14901
; %bb.14894:                            ;   in Loop: Header=BB4_12924 Depth=3
	v_and_b32_e32 v13, 0xffff, v8
	s_delay_alu instid0(VALU_DEP_1) | instskip(SKIP_1) | instid1(VALU_DEP_2)
	v_and_b32_e32 v12, 0x7c, v13
	v_and_b32_e32 v9, 3, v13
	v_cmp_ne_u32_e32 vcc_lo, 0x7c, v12
                                        ; implicit-def: $vgpr12
	s_and_saveexec_b32 s74, vcc_lo
	s_delay_alu instid0(SALU_CYCLE_1)
	s_xor_b32 s74, exec_lo, s74
	s_cbranch_execz .LBB4_14898
; %bb.14895:                            ;   in Loop: Header=BB4_12924 Depth=3
	v_bfe_u32 v12, v13, 2, 5
	s_mov_b32 s75, exec_lo
	s_delay_alu instid0(VALU_DEP_1)
	v_cmpx_eq_u32_e32 0, v12
	s_cbranch_execz .LBB4_14897
; %bb.14896:                            ;   in Loop: Header=BB4_12924 Depth=3
	v_clz_i32_u32_e32 v9, v9
	s_delay_alu instid0(VALU_DEP_1) | instskip(SKIP_1) | instid1(VALU_DEP_2)
	v_min_u32_e32 v12, 32, v9
	v_mov_b32_e32 v9, v3
	v_subrev_nc_u32_e32 v13, 29, v12
	v_sub_nc_u32_e32 v12, 30, v12
	s_delay_alu instid0(VALU_DEP_2) | instskip(NEXT) | instid1(VALU_DEP_1)
	v_lshlrev_b64_e32 v[8:9], v13, v[8:9]
	v_and_b32_e32 v9, 3, v8
.LBB4_14897:                            ;   in Loop: Header=BB4_12924 Depth=3
	s_or_b32 exec_lo, exec_lo, s75
	v_lshlrev_b32_e32 v2, 16, v2
	s_delay_alu instid0(VALU_DEP_1) | instskip(NEXT) | instid1(VALU_DEP_1)
	v_and_b32_e32 v2, 0x80000000, v2
	v_lshl_add_u32 v2, v12, 23, v2
	s_delay_alu instid0(VALU_DEP_1) | instskip(NEXT) | instid1(VALU_DEP_1)
	v_lshl_or_b32 v2, v9, 21, v2
                                        ; implicit-def: $vgpr9
	v_add_nc_u32_e32 v12, 0x38000000, v2
                                        ; implicit-def: $vgpr2
.LBB4_14898:                            ;   in Loop: Header=BB4_12924 Depth=3
	s_and_not1_saveexec_b32 s74, s74
; %bb.14899:                            ;   in Loop: Header=BB4_12924 Depth=3
	v_cmp_lt_i16_e32 vcc_lo, -1, v2
	v_cndmask_b32_e32 v2, 0xff800000, v48, vcc_lo
	v_cmp_eq_u32_e32 vcc_lo, 0, v9
	s_delay_alu instid0(VALU_DEP_2)
	v_cndmask_b32_e32 v12, 0x7f800001, v2, vcc_lo
; %bb.14900:                            ;   in Loop: Header=BB4_12924 Depth=3
	s_or_b32 exec_lo, exec_lo, s74
.LBB4_14901:                            ;   in Loop: Header=BB4_12924 Depth=3
	s_delay_alu instid0(SALU_CYCLE_1)
	s_or_b32 exec_lo, exec_lo, s73
.LBB4_14902:                            ;   in Loop: Header=BB4_12924 Depth=3
	s_delay_alu instid0(SALU_CYCLE_1) | instskip(SKIP_2) | instid1(VALU_DEP_1)
	s_or_b32 exec_lo, exec_lo, s13
	v_lshrrev_b16 v8, 8, v10
	s_mov_b32 s13, exec_lo
	v_cmpx_ne_u16_e32 0, v8
	s_cbranch_execz .LBB4_14912
; %bb.14903:                            ;   in Loop: Header=BB4_12924 Depth=3
	v_bfrev_b32_e32 v5, 1
	s_mov_b32 s73, exec_lo
	v_cmpx_ne_u16_e32 0x80, v8
	s_cbranch_execz .LBB4_14911
; %bb.14904:                            ;   in Loop: Header=BB4_12924 Depth=3
	v_and_b32_e32 v9, 0xffff, v8
	s_delay_alu instid0(VALU_DEP_1) | instskip(SKIP_1) | instid1(VALU_DEP_2)
	v_and_b32_e32 v5, 0x7c, v9
	v_and_b32_e32 v2, 3, v9
	v_cmp_ne_u32_e32 vcc_lo, 0x7c, v5
                                        ; implicit-def: $vgpr5
	s_and_saveexec_b32 s74, vcc_lo
	s_delay_alu instid0(SALU_CYCLE_1)
	s_xor_b32 s74, exec_lo, s74
	s_cbranch_execz .LBB4_14908
; %bb.14905:                            ;   in Loop: Header=BB4_12924 Depth=3
	v_bfe_u32 v5, v9, 2, 5
	s_mov_b32 s75, exec_lo
	s_delay_alu instid0(VALU_DEP_1)
	v_cmpx_eq_u32_e32 0, v5
; %bb.14906:                            ;   in Loop: Header=BB4_12924 Depth=3
	v_clz_i32_u32_e32 v2, v2
	s_delay_alu instid0(VALU_DEP_1) | instskip(SKIP_1) | instid1(VALU_DEP_2)
	v_min_u32_e32 v2, 32, v2
	v_mov_b32_e32 v9, v3
	v_subrev_nc_u32_e32 v5, 29, v2
	s_delay_alu instid0(VALU_DEP_1) | instskip(NEXT) | instid1(VALU_DEP_1)
	v_lshlrev_b64_e32 v[8:9], v5, v[8:9]
	v_dual_sub_nc_u32 v5, 30, v2 :: v_dual_bitop2_b32 v2, 3, v8 bitop3:0x40
; %bb.14907:                            ;   in Loop: Header=BB4_12924 Depth=3
	s_or_b32 exec_lo, exec_lo, s75
	v_lshlrev_b32_e32 v8, 16, v10
	s_delay_alu instid0(VALU_DEP_1) | instskip(NEXT) | instid1(VALU_DEP_1)
	v_and_b32_e32 v8, 0x80000000, v8
	v_lshl_add_u32 v5, v5, 23, v8
	s_delay_alu instid0(VALU_DEP_1) | instskip(NEXT) | instid1(VALU_DEP_1)
	v_lshl_or_b32 v2, v2, 21, v5
	v_add_nc_u32_e32 v5, 0x38000000, v2
                                        ; implicit-def: $vgpr2
.LBB4_14908:                            ;   in Loop: Header=BB4_12924 Depth=3
	s_and_not1_saveexec_b32 s74, s74
; %bb.14909:                            ;   in Loop: Header=BB4_12924 Depth=3
	v_cmp_lt_i16_e32 vcc_lo, -1, v10
	v_cndmask_b32_e32 v5, 0xff800000, v48, vcc_lo
	v_cmp_eq_u32_e32 vcc_lo, 0, v2
	s_delay_alu instid0(VALU_DEP_2)
	v_cndmask_b32_e32 v5, 0x7f800001, v5, vcc_lo
; %bb.14910:                            ;   in Loop: Header=BB4_12924 Depth=3
	s_or_b32 exec_lo, exec_lo, s74
.LBB4_14911:                            ;   in Loop: Header=BB4_12924 Depth=3
	s_delay_alu instid0(SALU_CYCLE_1)
	s_or_b32 exec_lo, exec_lo, s73
.LBB4_14912:                            ;   in Loop: Header=BB4_12924 Depth=3
	s_delay_alu instid0(SALU_CYCLE_1) | instskip(NEXT) | instid1(VALU_DEP_1)
	s_or_b32 exec_lo, exec_lo, s13
	v_dual_add_f32 v5, v12, v5 :: v_dual_mov_b32 v13, v3
	v_mov_b32_e32 v9, v3
                                        ; implicit-def: $vgpr101
	s_mov_b32 s13, exec_lo
	s_delay_alu instid0(VALU_DEP_2) | instskip(SKIP_2) | instid1(VALU_DEP_3)
	v_and_b32_e32 v12, 0x7f800000, v5
	v_and_b32_e32 v8, 0x7fffff, v5
	v_lshrrev_b32_e32 v2, 24, v5
	v_cmpx_ne_u64_e32 0x7f800000, v[12:13]
	s_xor_b32 s73, exec_lo, s13
	s_cbranch_execz .LBB4_14926
; %bb.14913:                            ;   in Loop: Header=BB4_12924 Depth=3
	v_and_b32_e32 v12, 0x7fffffff, v5
	v_mov_b32_e32 v13, v3
	v_and_b32_e32 v2, 0x80, v2
                                        ; implicit-def: $vgpr101
	s_mov_b32 s13, exec_lo
	s_delay_alu instid0(VALU_DEP_2)
	v_cmpx_gt_u64_e32 0x47600001, v[12:13]
	s_xor_b32 s74, exec_lo, s13
	s_cbranch_execz .LBB4_14923
; %bb.14914:                            ;   in Loop: Header=BB4_12924 Depth=3
	v_mov_b32_e32 v101, 0
	s_mov_b32 s75, exec_lo
	v_cmpx_ne_u32_e32 0, v5
	s_cbranch_execz .LBB4_14922
; %bb.14915:                            ;   in Loop: Header=BB4_12924 Depth=3
	v_bfe_u32 v5, v5, 23, 8
	v_or_b32_e32 v13, 0x800000, v8
	s_delay_alu instid0(VALU_DEP_2) | instskip(SKIP_2) | instid1(VALU_DEP_2)
	v_cmp_gt_u32_e64 s13, 0x72, v5
	v_sub_nc_u32_e32 v12, 0x71, v5
	v_cmp_eq_u32_e32 vcc_lo, 0, v5
	v_cndmask_b32_e64 v12, 0, v12, s13
	s_delay_alu instid0(VALU_DEP_1) | instskip(NEXT) | instid1(VALU_DEP_1)
	v_cndmask_b32_e64 v86, v12, 0x70, vcc_lo
	v_dual_cndmask_b32 v8, v13, v8, vcc_lo :: v_dual_add_nc_u32 v12, 21, v86
	v_add_nc_u32_e32 v87, 20, v86
	s_delay_alu instid0(VALU_DEP_2) | instskip(NEXT) | instid1(VALU_DEP_2)
	v_lshlrev_b64_e64 v[12:13], v12, -1
	v_lshlrev_b64_e64 v[96:97], v87, 1
	s_delay_alu instid0(VALU_DEP_2) | instskip(SKIP_1) | instid1(VALU_DEP_4)
	v_bfi_b32 v12, v12, 0, v8
	v_lshrrev_b64 v[8:9], v86, v[8:9]
	v_bfi_b32 v13, v13, 0, 0
	s_delay_alu instid0(VALU_DEP_1) | instskip(NEXT) | instid1(VALU_DEP_3)
	v_cmp_eq_u64_e64 s13, v[12:13], v[96:97]
	v_mov_b64_e32 v[12:13], v[8:9]
	s_and_saveexec_b32 s76, s13
; %bb.14916:                            ;   in Loop: Header=BB4_12924 Depth=3
	v_bfe_u32 v12, v8, 21, 1
	v_mov_b32_e32 v13, v3
	s_delay_alu instid0(VALU_DEP_1) | instskip(NEXT) | instid1(VALU_DEP_1)
	v_add_nc_u64_e32 v[12:13], v[8:9], v[12:13]
	v_add_nc_u64_e32 v[12:13], -1, v[12:13]
; %bb.14917:                            ;   in Loop: Header=BB4_12924 Depth=3
	s_or_b32 exec_lo, exec_lo, s76
	v_add_nc_u32_e32 v5, 0xffffff81, v5
	v_lshrrev_b32_e32 v9, 23, v8
	s_mov_b32 s13, exec_lo
	s_delay_alu instid0(VALU_DEP_2) | instskip(NEXT) | instid1(VALU_DEP_1)
	v_cndmask_b32_e64 v5, v5, 0xffffff82, vcc_lo
	v_add3_u32 v13, v86, v5, v9
	v_and_b32_e32 v5, 0x1fffff, v12
	s_delay_alu instid0(VALU_DEP_2) | instskip(NEXT) | instid1(VALU_DEP_2)
	v_dual_mov_b32 v9, v3 :: v_dual_add_nc_u32 v12, 14, v13
	v_add_nc_u32_e32 v8, v5, v8
                                        ; implicit-def: $vgpr5
	s_delay_alu instid0(VALU_DEP_2)
	v_cmpx_ne_u32_e32 0, v12
	s_xor_b32 s13, exec_lo, s13
; %bb.14918:                            ;   in Loop: Header=BB4_12924 Depth=3
	s_delay_alu instid0(VALU_DEP_2) | instskip(SKIP_1) | instid1(VALU_DEP_1)
	v_cmp_lt_u64_e32 vcc_lo, 0xffffff, v[8:9]
	v_add_nc_u32_e32 v5, 15, v13
	v_cndmask_b32_e32 v5, v12, v5, vcc_lo
	v_cndmask_b32_e64 v12, 0, 1, vcc_lo
	s_delay_alu instid0(VALU_DEP_1)
	v_lshrrev_b64 v[8:9], v12, v[8:9]
; %bb.14919:                            ;   in Loop: Header=BB4_12924 Depth=3
	s_and_not1_saveexec_b32 s13, s13
; %bb.14920:                            ;   in Loop: Header=BB4_12924 Depth=3
	s_delay_alu instid0(VALU_DEP_1)
	v_bfe_u32 v5, v8, 23, 1
; %bb.14921:                            ;   in Loop: Header=BB4_12924 Depth=3
	s_or_b32 exec_lo, exec_lo, s13
	s_delay_alu instid0(VALU_DEP_2) | instskip(NEXT) | instid1(VALU_DEP_2)
	v_lshrrev_b64 v[8:9], 21, v[8:9]
	v_cmp_gt_i32_e32 vcc_lo, 32, v5
	v_min_i32_e32 v12, 31, v5
	v_cmp_eq_u32_e64 s13, 0, v5
	s_delay_alu instid0(VALU_DEP_4) | instskip(NEXT) | instid1(VALU_DEP_3)
	v_cndmask_b32_e32 v8, 3, v8, vcc_lo
	v_dual_cndmask_b32 v9, 0, v9 :: v_dual_lshlrev_b32 v12, 2, v12
	s_delay_alu instid0(VALU_DEP_1) | instskip(NEXT) | instid1(VALU_DEP_2)
	v_and_b32_e32 v12, 0xfc, v12
	v_cmp_eq_u64_e32 vcc_lo, 0, v[8:9]
	s_delay_alu instid0(VALU_DEP_2)
	v_and_or_b32 v5, v8, 3, v12
	s_and_b32 s13, s13, vcc_lo
	s_delay_alu instid0(VALU_DEP_1) | instid1(SALU_CYCLE_1)
	v_cndmask_b32_e64 v5, v5, 0, s13
	s_delay_alu instid0(VALU_DEP_1)
	v_or_b32_e32 v101, v5, v2
.LBB4_14922:                            ;   in Loop: Header=BB4_12924 Depth=3
	s_or_b32 exec_lo, exec_lo, s75
                                        ; implicit-def: $vgpr2
.LBB4_14923:                            ;   in Loop: Header=BB4_12924 Depth=3
	s_and_not1_saveexec_b32 s13, s74
; %bb.14924:                            ;   in Loop: Header=BB4_12924 Depth=3
	v_or_b32_e32 v101, 0x7b, v2
; %bb.14925:                            ;   in Loop: Header=BB4_12924 Depth=3
	s_or_b32 exec_lo, exec_lo, s13
                                        ; implicit-def: $vgpr5
                                        ; implicit-def: $vgpr8_vgpr9
                                        ; implicit-def: $vgpr2
.LBB4_14926:                            ;   in Loop: Header=BB4_12924 Depth=3
	s_and_not1_saveexec_b32 s13, s73
	s_cbranch_execz .LBB4_14932
; %bb.14927:                            ;   in Loop: Header=BB4_12924 Depth=3
	s_mov_b32 s73, exec_lo
                                        ; implicit-def: $vgpr101
	v_cmpx_ne_u64_e32 0, v[8:9]
	s_xor_b32 s73, exec_lo, s73
; %bb.14928:                            ;   in Loop: Header=BB4_12924 Depth=3
	v_or_b32_e32 v101, 0x7f, v2
                                        ; implicit-def: $vgpr5
; %bb.14929:                            ;   in Loop: Header=BB4_12924 Depth=3
	s_and_not1_saveexec_b32 s73, s73
; %bb.14930:                            ;   in Loop: Header=BB4_12924 Depth=3
	v_cmp_lt_i32_e32 vcc_lo, -1, v5
	v_cndmask_b32_e32 v101, 0xfc, v49, vcc_lo
; %bb.14931:                            ;   in Loop: Header=BB4_12924 Depth=3
	s_or_b32 exec_lo, exec_lo, s73
.LBB4_14932:                            ;   in Loop: Header=BB4_12924 Depth=3
	s_delay_alu instid0(SALU_CYCLE_1) | instskip(SKIP_3) | instid1(VALU_DEP_2)
	s_or_b32 exec_lo, exec_lo, s13
	v_dual_mov_b32 v5, 0 :: v_dual_lshrrev_b32 v2, 16, v4
	v_mov_b32_e32 v8, 0
	s_mov_b32 s13, exec_lo
	v_and_b32_e32 v9, 0xff, v2
	s_delay_alu instid0(VALU_DEP_1)
	v_cmpx_ne_u16_e32 0, v9
	s_cbranch_execz .LBB4_14942
; %bb.14933:                            ;   in Loop: Header=BB4_12924 Depth=3
	v_bfrev_b32_e32 v8, 1
	s_mov_b32 s73, exec_lo
	v_cmpx_ne_u16_e32 0x80, v9
	s_cbranch_execz .LBB4_14941
; %bb.14934:                            ;   in Loop: Header=BB4_12924 Depth=3
	v_and_b32_e32 v8, 0x7c0000, v4
	v_bfe_u32 v9, v4, 16, 2
	s_delay_alu instid0(VALU_DEP_2) | instskip(SKIP_1) | instid1(SALU_CYCLE_1)
	v_cmp_ne_u32_e32 vcc_lo, 0x7c0000, v8
                                        ; implicit-def: $vgpr8
	s_and_saveexec_b32 s74, vcc_lo
	s_xor_b32 s74, exec_lo, s74
	s_cbranch_execz .LBB4_14938
; %bb.14935:                            ;   in Loop: Header=BB4_12924 Depth=3
	v_bfe_u32 v8, v4, 18, 5
	s_mov_b32 s75, exec_lo
	s_delay_alu instid0(VALU_DEP_1)
	v_cmpx_eq_u32_e32 0, v8
; %bb.14936:                            ;   in Loop: Header=BB4_12924 Depth=3
	v_clz_i32_u32_e32 v8, v9
	s_delay_alu instid0(VALU_DEP_1) | instskip(NEXT) | instid1(VALU_DEP_1)
	v_min_u32_e32 v8, 32, v8
	v_subrev_nc_u32_e32 v9, 29, v8
	v_sub_nc_u32_e32 v8, 30, v8
	s_delay_alu instid0(VALU_DEP_2) | instskip(NEXT) | instid1(VALU_DEP_1)
	v_lshlrev_b64_e32 v[12:13], v9, v[2:3]
	v_and_b32_e32 v9, 3, v12
; %bb.14937:                            ;   in Loop: Header=BB4_12924 Depth=3
	s_or_b32 exec_lo, exec_lo, s75
	v_lshlrev_b32_e32 v2, 24, v2
	s_delay_alu instid0(VALU_DEP_1) | instskip(NEXT) | instid1(VALU_DEP_1)
	v_and_b32_e32 v2, 0x80000000, v2
	v_lshl_add_u32 v2, v8, 23, v2
	s_delay_alu instid0(VALU_DEP_1) | instskip(NEXT) | instid1(VALU_DEP_1)
	v_lshl_or_b32 v2, v9, 21, v2
                                        ; implicit-def: $vgpr9
	v_add_nc_u32_e32 v8, 0x38000000, v2
                                        ; implicit-def: $vgpr2
.LBB4_14938:                            ;   in Loop: Header=BB4_12924 Depth=3
	s_and_not1_saveexec_b32 s74, s74
; %bb.14939:                            ;   in Loop: Header=BB4_12924 Depth=3
	v_bfe_i32 v2, v2, 0, 8
	s_delay_alu instid0(VALU_DEP_1) | instskip(SKIP_2) | instid1(VALU_DEP_2)
	v_cmp_lt_i16_e32 vcc_lo, -1, v2
	v_cndmask_b32_e32 v2, 0xff800000, v48, vcc_lo
	v_cmp_eq_u32_e32 vcc_lo, 0, v9
	v_cndmask_b32_e32 v8, 0x7f800001, v2, vcc_lo
; %bb.14940:                            ;   in Loop: Header=BB4_12924 Depth=3
	s_or_b32 exec_lo, exec_lo, s74
.LBB4_14941:                            ;   in Loop: Header=BB4_12924 Depth=3
	s_delay_alu instid0(SALU_CYCLE_1)
	s_or_b32 exec_lo, exec_lo, s73
.LBB4_14942:                            ;   in Loop: Header=BB4_12924 Depth=3
	s_delay_alu instid0(SALU_CYCLE_1) | instskip(SKIP_2) | instid1(VALU_DEP_1)
	s_or_b32 exec_lo, exec_lo, s13
	v_lshrrev_b32_e32 v2, 16, v10
	s_mov_b32 s13, exec_lo
	v_and_b32_e32 v9, 0xff, v2
	s_delay_alu instid0(VALU_DEP_1)
	v_cmpx_ne_u16_e32 0, v9
	s_cbranch_execz .LBB4_14952
; %bb.14943:                            ;   in Loop: Header=BB4_12924 Depth=3
	v_bfrev_b32_e32 v5, 1
	s_mov_b32 s73, exec_lo
	v_cmpx_ne_u16_e32 0x80, v9
	s_cbranch_execz .LBB4_14951
; %bb.14944:                            ;   in Loop: Header=BB4_12924 Depth=3
	v_and_b32_e32 v5, 0x7c0000, v10
	v_bfe_u32 v9, v10, 16, 2
	s_delay_alu instid0(VALU_DEP_2) | instskip(SKIP_1) | instid1(SALU_CYCLE_1)
	v_cmp_ne_u32_e32 vcc_lo, 0x7c0000, v5
                                        ; implicit-def: $vgpr5
	s_and_saveexec_b32 s74, vcc_lo
	s_xor_b32 s74, exec_lo, s74
	s_cbranch_execz .LBB4_14948
; %bb.14945:                            ;   in Loop: Header=BB4_12924 Depth=3
	v_bfe_u32 v5, v10, 18, 5
	s_mov_b32 s75, exec_lo
	s_delay_alu instid0(VALU_DEP_1)
	v_cmpx_eq_u32_e32 0, v5
; %bb.14946:                            ;   in Loop: Header=BB4_12924 Depth=3
	v_clz_i32_u32_e32 v5, v9
	s_delay_alu instid0(VALU_DEP_1) | instskip(NEXT) | instid1(VALU_DEP_1)
	v_min_u32_e32 v5, 32, v5
	v_subrev_nc_u32_e32 v9, 29, v5
	s_delay_alu instid0(VALU_DEP_1) | instskip(NEXT) | instid1(VALU_DEP_1)
	v_lshlrev_b64_e32 v[12:13], v9, v[2:3]
	v_dual_sub_nc_u32 v5, 30, v5 :: v_dual_bitop2_b32 v9, 3, v12 bitop3:0x40
; %bb.14947:                            ;   in Loop: Header=BB4_12924 Depth=3
	s_or_b32 exec_lo, exec_lo, s75
	v_lshlrev_b32_e32 v2, 24, v2
	s_delay_alu instid0(VALU_DEP_1) | instskip(NEXT) | instid1(VALU_DEP_1)
	v_and_b32_e32 v2, 0x80000000, v2
	v_lshl_add_u32 v2, v5, 23, v2
	s_delay_alu instid0(VALU_DEP_1) | instskip(NEXT) | instid1(VALU_DEP_1)
	v_lshl_or_b32 v2, v9, 21, v2
                                        ; implicit-def: $vgpr9
	v_add_nc_u32_e32 v5, 0x38000000, v2
                                        ; implicit-def: $vgpr2
.LBB4_14948:                            ;   in Loop: Header=BB4_12924 Depth=3
	s_and_not1_saveexec_b32 s74, s74
; %bb.14949:                            ;   in Loop: Header=BB4_12924 Depth=3
	v_bfe_i32 v2, v2, 0, 8
	s_delay_alu instid0(VALU_DEP_1) | instskip(SKIP_2) | instid1(VALU_DEP_2)
	v_cmp_lt_i16_e32 vcc_lo, -1, v2
	v_cndmask_b32_e32 v2, 0xff800000, v48, vcc_lo
	v_cmp_eq_u32_e32 vcc_lo, 0, v9
	v_cndmask_b32_e32 v5, 0x7f800001, v2, vcc_lo
; %bb.14950:                            ;   in Loop: Header=BB4_12924 Depth=3
	s_or_b32 exec_lo, exec_lo, s74
.LBB4_14951:                            ;   in Loop: Header=BB4_12924 Depth=3
	s_delay_alu instid0(SALU_CYCLE_1)
	s_or_b32 exec_lo, exec_lo, s73
.LBB4_14952:                            ;   in Loop: Header=BB4_12924 Depth=3
	s_delay_alu instid0(SALU_CYCLE_1) | instskip(NEXT) | instid1(VALU_DEP_1)
	s_or_b32 exec_lo, exec_lo, s13
	v_dual_add_f32 v5, v8, v5 :: v_dual_mov_b32 v13, v3
	v_mov_b32_e32 v9, v3
                                        ; implicit-def: $vgpr115
	s_mov_b32 s13, exec_lo
	s_delay_alu instid0(VALU_DEP_2) | instskip(SKIP_2) | instid1(VALU_DEP_3)
	v_and_b32_e32 v12, 0x7f800000, v5
	v_and_b32_e32 v8, 0x7fffff, v5
	v_lshrrev_b32_e32 v2, 24, v5
	v_cmpx_ne_u64_e32 0x7f800000, v[12:13]
	s_xor_b32 s73, exec_lo, s13
	s_cbranch_execz .LBB4_14966
; %bb.14953:                            ;   in Loop: Header=BB4_12924 Depth=3
	v_and_b32_e32 v12, 0x7fffffff, v5
	v_mov_b32_e32 v13, v3
	v_and_b32_e32 v2, 0x80, v2
                                        ; implicit-def: $vgpr115
	s_mov_b32 s13, exec_lo
	s_delay_alu instid0(VALU_DEP_2)
	v_cmpx_gt_u64_e32 0x47600001, v[12:13]
	s_xor_b32 s74, exec_lo, s13
	s_cbranch_execz .LBB4_14963
; %bb.14954:                            ;   in Loop: Header=BB4_12924 Depth=3
	v_mov_b32_e32 v115, 0
	s_mov_b32 s75, exec_lo
	v_cmpx_ne_u32_e32 0, v5
	s_cbranch_execz .LBB4_14962
; %bb.14955:                            ;   in Loop: Header=BB4_12924 Depth=3
	v_bfe_u32 v5, v5, 23, 8
	v_or_b32_e32 v13, 0x800000, v8
	s_delay_alu instid0(VALU_DEP_2) | instskip(SKIP_2) | instid1(VALU_DEP_2)
	v_cmp_gt_u32_e64 s13, 0x72, v5
	v_sub_nc_u32_e32 v12, 0x71, v5
	v_cmp_eq_u32_e32 vcc_lo, 0, v5
	v_cndmask_b32_e64 v12, 0, v12, s13
	s_delay_alu instid0(VALU_DEP_1) | instskip(NEXT) | instid1(VALU_DEP_1)
	v_cndmask_b32_e64 v86, v12, 0x70, vcc_lo
	v_dual_cndmask_b32 v8, v13, v8, vcc_lo :: v_dual_add_nc_u32 v12, 21, v86
	v_add_nc_u32_e32 v87, 20, v86
	s_delay_alu instid0(VALU_DEP_2) | instskip(NEXT) | instid1(VALU_DEP_2)
	v_lshlrev_b64_e64 v[12:13], v12, -1
	v_lshlrev_b64_e64 v[96:97], v87, 1
	s_delay_alu instid0(VALU_DEP_2) | instskip(SKIP_1) | instid1(VALU_DEP_4)
	v_bfi_b32 v12, v12, 0, v8
	v_lshrrev_b64 v[8:9], v86, v[8:9]
	v_bfi_b32 v13, v13, 0, 0
	s_delay_alu instid0(VALU_DEP_1) | instskip(NEXT) | instid1(VALU_DEP_3)
	v_cmp_eq_u64_e64 s13, v[12:13], v[96:97]
	v_mov_b64_e32 v[12:13], v[8:9]
	s_and_saveexec_b32 s76, s13
; %bb.14956:                            ;   in Loop: Header=BB4_12924 Depth=3
	v_bfe_u32 v12, v8, 21, 1
	v_mov_b32_e32 v13, v3
	s_delay_alu instid0(VALU_DEP_1) | instskip(NEXT) | instid1(VALU_DEP_1)
	v_add_nc_u64_e32 v[12:13], v[8:9], v[12:13]
	v_add_nc_u64_e32 v[12:13], -1, v[12:13]
; %bb.14957:                            ;   in Loop: Header=BB4_12924 Depth=3
	s_or_b32 exec_lo, exec_lo, s76
	v_add_nc_u32_e32 v5, 0xffffff81, v5
	v_lshrrev_b32_e32 v9, 23, v8
	s_mov_b32 s13, exec_lo
	s_delay_alu instid0(VALU_DEP_2) | instskip(NEXT) | instid1(VALU_DEP_1)
	v_cndmask_b32_e64 v5, v5, 0xffffff82, vcc_lo
	v_add3_u32 v13, v86, v5, v9
	v_and_b32_e32 v5, 0x1fffff, v12
	s_delay_alu instid0(VALU_DEP_2) | instskip(NEXT) | instid1(VALU_DEP_2)
	v_dual_mov_b32 v9, v3 :: v_dual_add_nc_u32 v12, 14, v13
	v_add_nc_u32_e32 v8, v5, v8
                                        ; implicit-def: $vgpr5
	s_delay_alu instid0(VALU_DEP_2)
	v_cmpx_ne_u32_e32 0, v12
	s_xor_b32 s13, exec_lo, s13
; %bb.14958:                            ;   in Loop: Header=BB4_12924 Depth=3
	s_delay_alu instid0(VALU_DEP_2) | instskip(SKIP_1) | instid1(VALU_DEP_1)
	v_cmp_lt_u64_e32 vcc_lo, 0xffffff, v[8:9]
	v_add_nc_u32_e32 v5, 15, v13
	v_cndmask_b32_e32 v5, v12, v5, vcc_lo
	v_cndmask_b32_e64 v12, 0, 1, vcc_lo
	s_delay_alu instid0(VALU_DEP_1)
	v_lshrrev_b64 v[8:9], v12, v[8:9]
; %bb.14959:                            ;   in Loop: Header=BB4_12924 Depth=3
	s_and_not1_saveexec_b32 s13, s13
; %bb.14960:                            ;   in Loop: Header=BB4_12924 Depth=3
	s_delay_alu instid0(VALU_DEP_1)
	v_bfe_u32 v5, v8, 23, 1
; %bb.14961:                            ;   in Loop: Header=BB4_12924 Depth=3
	s_or_b32 exec_lo, exec_lo, s13
	s_delay_alu instid0(VALU_DEP_2) | instskip(NEXT) | instid1(VALU_DEP_2)
	v_lshrrev_b64 v[8:9], 21, v[8:9]
	v_cmp_gt_i32_e32 vcc_lo, 32, v5
	v_min_i32_e32 v12, 31, v5
	v_cmp_eq_u32_e64 s13, 0, v5
	s_delay_alu instid0(VALU_DEP_4) | instskip(NEXT) | instid1(VALU_DEP_3)
	v_cndmask_b32_e32 v8, 3, v8, vcc_lo
	v_dual_cndmask_b32 v9, 0, v9 :: v_dual_lshlrev_b32 v12, 2, v12
	s_delay_alu instid0(VALU_DEP_1) | instskip(NEXT) | instid1(VALU_DEP_2)
	v_and_b32_e32 v12, 0xfc, v12
	v_cmp_eq_u64_e32 vcc_lo, 0, v[8:9]
	s_delay_alu instid0(VALU_DEP_2)
	v_and_or_b32 v5, v8, 3, v12
	s_and_b32 s13, s13, vcc_lo
	s_delay_alu instid0(VALU_DEP_1) | instid1(SALU_CYCLE_1)
	v_cndmask_b32_e64 v5, v5, 0, s13
	s_delay_alu instid0(VALU_DEP_1)
	v_or_b32_e32 v115, v5, v2
.LBB4_14962:                            ;   in Loop: Header=BB4_12924 Depth=3
	s_or_b32 exec_lo, exec_lo, s75
                                        ; implicit-def: $vgpr2
.LBB4_14963:                            ;   in Loop: Header=BB4_12924 Depth=3
	s_and_not1_saveexec_b32 s13, s74
; %bb.14964:                            ;   in Loop: Header=BB4_12924 Depth=3
	v_or_b32_e32 v115, 0x7b, v2
; %bb.14965:                            ;   in Loop: Header=BB4_12924 Depth=3
	s_or_b32 exec_lo, exec_lo, s13
                                        ; implicit-def: $vgpr5
                                        ; implicit-def: $vgpr8_vgpr9
                                        ; implicit-def: $vgpr2
.LBB4_14966:                            ;   in Loop: Header=BB4_12924 Depth=3
	s_and_not1_saveexec_b32 s13, s73
	s_cbranch_execz .LBB4_14972
; %bb.14967:                            ;   in Loop: Header=BB4_12924 Depth=3
	s_mov_b32 s73, exec_lo
                                        ; implicit-def: $vgpr115
	v_cmpx_ne_u64_e32 0, v[8:9]
	s_xor_b32 s73, exec_lo, s73
; %bb.14968:                            ;   in Loop: Header=BB4_12924 Depth=3
	v_or_b32_e32 v115, 0x7f, v2
                                        ; implicit-def: $vgpr5
; %bb.14969:                            ;   in Loop: Header=BB4_12924 Depth=3
	s_and_not1_saveexec_b32 s73, s73
; %bb.14970:                            ;   in Loop: Header=BB4_12924 Depth=3
	v_cmp_lt_i32_e32 vcc_lo, -1, v5
	v_cndmask_b32_e32 v115, 0xfc, v49, vcc_lo
; %bb.14971:                            ;   in Loop: Header=BB4_12924 Depth=3
	s_or_b32 exec_lo, exec_lo, s73
.LBB4_14972:                            ;   in Loop: Header=BB4_12924 Depth=3
	s_delay_alu instid0(SALU_CYCLE_1)
	s_or_b32 exec_lo, exec_lo, s13
	v_dual_mov_b32 v8, 0 :: v_dual_mov_b32 v9, 0
	s_mov_b32 s13, exec_lo
	v_cmpx_lt_u32_e32 0xffffff, v4
	s_cbranch_execz .LBB4_14982
; %bb.14973:                            ;   in Loop: Header=BB4_12924 Depth=3
	v_lshrrev_b32_e32 v2, 24, v4
	v_bfrev_b32_e32 v9, 1
	s_mov_b32 s73, exec_lo
	s_delay_alu instid0(VALU_DEP_2)
	v_cmpx_ne_u32_e32 0x80, v2
	s_cbranch_execz .LBB4_14981
; %bb.14974:                            ;   in Loop: Header=BB4_12924 Depth=3
	v_and_b32_e32 v5, 0x7c000000, v4
	v_bfe_u32 v12, v4, 24, 2
	s_mov_b32 s74, exec_lo
                                        ; implicit-def: $vgpr9
	s_delay_alu instid0(VALU_DEP_2)
	v_cmpx_ne_u32_e32 0x7c000000, v5
	s_xor_b32 s74, exec_lo, s74
	s_cbranch_execz .LBB4_14978
; %bb.14975:                            ;   in Loop: Header=BB4_12924 Depth=3
	v_bfe_u32 v5, v4, 26, 5
	s_mov_b32 s75, exec_lo
	s_delay_alu instid0(VALU_DEP_1)
	v_cmpx_eq_u32_e32 0, v5
; %bb.14976:                            ;   in Loop: Header=BB4_12924 Depth=3
	v_clz_i32_u32_e32 v5, v12
	s_delay_alu instid0(VALU_DEP_1) | instskip(NEXT) | instid1(VALU_DEP_1)
	v_min_u32_e32 v5, 32, v5
	v_subrev_nc_u32_e32 v9, 29, v5
	s_delay_alu instid0(VALU_DEP_1) | instskip(NEXT) | instid1(VALU_DEP_1)
	v_lshlrev_b64_e32 v[12:13], v9, v[2:3]
	v_dual_sub_nc_u32 v5, 30, v5 :: v_dual_bitop2_b32 v12, 3, v12 bitop3:0x40
; %bb.14977:                            ;   in Loop: Header=BB4_12924 Depth=3
	s_or_b32 exec_lo, exec_lo, s75
	v_and_b32_e32 v2, 0x80000000, v4
	s_delay_alu instid0(VALU_DEP_1) | instskip(NEXT) | instid1(VALU_DEP_1)
	v_lshl_add_u32 v2, v5, 23, v2
                                        ; implicit-def: $vgpr4_vgpr5
	v_lshl_or_b32 v2, v12, 21, v2
                                        ; implicit-def: $vgpr12
	s_delay_alu instid0(VALU_DEP_1)
	v_add_nc_u32_e32 v9, 0x38000000, v2
.LBB4_14978:                            ;   in Loop: Header=BB4_12924 Depth=3
	s_and_not1_saveexec_b32 s74, s74
; %bb.14979:                            ;   in Loop: Header=BB4_12924 Depth=3
	v_cmp_lt_i32_e32 vcc_lo, -1, v4
	v_cndmask_b32_e32 v2, 0xff800000, v48, vcc_lo
	v_cmp_eq_u32_e32 vcc_lo, 0, v12
	s_delay_alu instid0(VALU_DEP_2)
	v_cndmask_b32_e32 v9, 0x7f800001, v2, vcc_lo
; %bb.14980:                            ;   in Loop: Header=BB4_12924 Depth=3
	s_or_b32 exec_lo, exec_lo, s74
.LBB4_14981:                            ;   in Loop: Header=BB4_12924 Depth=3
	s_delay_alu instid0(SALU_CYCLE_1)
	s_or_b32 exec_lo, exec_lo, s73
.LBB4_14982:                            ;   in Loop: Header=BB4_12924 Depth=3
	s_delay_alu instid0(SALU_CYCLE_1) | instskip(NEXT) | instid1(SALU_CYCLE_1)
	s_or_b32 exec_lo, exec_lo, s13
	s_mov_b32 s13, exec_lo
	v_cmpx_lt_u32_e32 0xffffff, v10
	s_cbranch_execz .LBB4_14992
; %bb.14983:                            ;   in Loop: Header=BB4_12924 Depth=3
	v_lshrrev_b32_e32 v2, 24, v10
	v_bfrev_b32_e32 v8, 1
	s_mov_b32 s73, exec_lo
	s_delay_alu instid0(VALU_DEP_2)
	v_cmpx_ne_u32_e32 0x80, v2
	s_cbranch_execz .LBB4_14991
; %bb.14984:                            ;   in Loop: Header=BB4_12924 Depth=3
	v_and_b32_e32 v5, 0x7c000000, v10
	v_bfe_u32 v4, v10, 24, 2
	s_mov_b32 s74, exec_lo
                                        ; implicit-def: $vgpr8
	s_delay_alu instid0(VALU_DEP_2)
	v_cmpx_ne_u32_e32 0x7c000000, v5
	s_xor_b32 s74, exec_lo, s74
	s_cbranch_execz .LBB4_14988
; %bb.14985:                            ;   in Loop: Header=BB4_12924 Depth=3
	v_bfe_u32 v5, v10, 26, 5
	s_mov_b32 s75, exec_lo
	s_delay_alu instid0(VALU_DEP_1)
	v_cmpx_eq_u32_e32 0, v5
; %bb.14986:                            ;   in Loop: Header=BB4_12924 Depth=3
	v_clz_i32_u32_e32 v4, v4
	s_delay_alu instid0(VALU_DEP_1) | instskip(NEXT) | instid1(VALU_DEP_1)
	v_min_u32_e32 v8, 32, v4
	v_subrev_nc_u32_e32 v4, 29, v8
	s_delay_alu instid0(VALU_DEP_1) | instskip(SKIP_1) | instid1(VALU_DEP_2)
	v_lshlrev_b64_e32 v[4:5], v4, v[2:3]
	v_sub_nc_u32_e32 v5, 30, v8
	v_and_b32_e32 v4, 3, v4
; %bb.14987:                            ;   in Loop: Header=BB4_12924 Depth=3
	s_or_b32 exec_lo, exec_lo, s75
	v_and_b32_e32 v2, 0x80000000, v10
	s_delay_alu instid0(VALU_DEP_1) | instskip(NEXT) | instid1(VALU_DEP_1)
	v_lshl_add_u32 v2, v5, 23, v2
	v_lshl_or_b32 v2, v4, 21, v2
                                        ; implicit-def: $vgpr4
	s_delay_alu instid0(VALU_DEP_1)
	v_add_nc_u32_e32 v8, 0x38000000, v2
.LBB4_14988:                            ;   in Loop: Header=BB4_12924 Depth=3
	s_and_not1_saveexec_b32 s74, s74
; %bb.14989:                            ;   in Loop: Header=BB4_12924 Depth=3
	v_cmp_lt_i32_e32 vcc_lo, -1, v10
	v_cndmask_b32_e32 v2, 0xff800000, v48, vcc_lo
	v_cmp_eq_u32_e32 vcc_lo, 0, v4
	s_delay_alu instid0(VALU_DEP_2)
	v_cndmask_b32_e32 v8, 0x7f800001, v2, vcc_lo
; %bb.14990:                            ;   in Loop: Header=BB4_12924 Depth=3
	s_or_b32 exec_lo, exec_lo, s74
.LBB4_14991:                            ;   in Loop: Header=BB4_12924 Depth=3
	s_delay_alu instid0(SALU_CYCLE_1)
	s_or_b32 exec_lo, exec_lo, s73
.LBB4_14992:                            ;   in Loop: Header=BB4_12924 Depth=3
	s_delay_alu instid0(SALU_CYCLE_1) | instskip(NEXT) | instid1(VALU_DEP_1)
	s_or_b32 exec_lo, exec_lo, s13
	v_dual_add_f32 v8, v9, v8 :: v_dual_mov_b32 v13, v3
	v_mov_b32_e32 v5, v3
                                        ; implicit-def: $vgpr117
	s_mov_b32 s13, exec_lo
	s_delay_alu instid0(VALU_DEP_2) | instskip(SKIP_2) | instid1(VALU_DEP_3)
	v_and_b32_e32 v12, 0x7f800000, v8
	v_and_b32_e32 v4, 0x7fffff, v8
	v_lshrrev_b32_e32 v2, 24, v8
	v_cmpx_ne_u64_e32 0x7f800000, v[12:13]
	s_xor_b32 s73, exec_lo, s13
	s_cbranch_execz .LBB4_15006
; %bb.14993:                            ;   in Loop: Header=BB4_12924 Depth=3
	v_and_b32_e32 v12, 0x7fffffff, v8
	v_mov_b32_e32 v13, v3
	v_and_b32_e32 v2, 0x80, v2
                                        ; implicit-def: $vgpr117
	s_mov_b32 s13, exec_lo
	s_delay_alu instid0(VALU_DEP_2)
	v_cmpx_gt_u64_e32 0x47600001, v[12:13]
	s_xor_b32 s74, exec_lo, s13
	s_cbranch_execz .LBB4_15003
; %bb.14994:                            ;   in Loop: Header=BB4_12924 Depth=3
	v_mov_b32_e32 v117, 0
	s_mov_b32 s75, exec_lo
	v_cmpx_ne_u32_e32 0, v8
	s_cbranch_execz .LBB4_15002
; %bb.14995:                            ;   in Loop: Header=BB4_12924 Depth=3
	v_bfe_u32 v12, v8, 23, 8
	v_or_b32_e32 v9, 0x800000, v4
	s_delay_alu instid0(VALU_DEP_2) | instskip(SKIP_2) | instid1(VALU_DEP_2)
	v_cmp_gt_u32_e64 s13, 0x72, v12
	v_sub_nc_u32_e32 v8, 0x71, v12
	v_cmp_eq_u32_e32 vcc_lo, 0, v12
	v_cndmask_b32_e64 v8, 0, v8, s13
	s_delay_alu instid0(VALU_DEP_1) | instskip(NEXT) | instid1(VALU_DEP_1)
	v_cndmask_b32_e64 v13, v8, 0x70, vcc_lo
	v_dual_cndmask_b32 v4, v9, v4, vcc_lo :: v_dual_add_nc_u32 v8, 21, v13
	v_add_nc_u32_e32 v86, 20, v13
	s_delay_alu instid0(VALU_DEP_2) | instskip(NEXT) | instid1(VALU_DEP_2)
	v_lshlrev_b64_e64 v[8:9], v8, -1
	v_lshlrev_b64_e64 v[86:87], v86, 1
	s_delay_alu instid0(VALU_DEP_2) | instskip(SKIP_1) | instid1(VALU_DEP_4)
	v_bfi_b32 v8, v8, 0, v4
	v_lshrrev_b64 v[4:5], v13, v[4:5]
	v_bfi_b32 v9, v9, 0, 0
	s_delay_alu instid0(VALU_DEP_1) | instskip(NEXT) | instid1(VALU_DEP_3)
	v_cmp_eq_u64_e64 s13, v[8:9], v[86:87]
	v_mov_b64_e32 v[8:9], v[4:5]
	s_and_saveexec_b32 s76, s13
; %bb.14996:                            ;   in Loop: Header=BB4_12924 Depth=3
	v_bfe_u32 v8, v4, 21, 1
	v_mov_b32_e32 v9, v3
	s_delay_alu instid0(VALU_DEP_1) | instskip(NEXT) | instid1(VALU_DEP_1)
	v_add_nc_u64_e32 v[8:9], v[4:5], v[8:9]
	v_add_nc_u64_e32 v[8:9], -1, v[8:9]
; %bb.14997:                            ;   in Loop: Header=BB4_12924 Depth=3
	s_or_b32 exec_lo, exec_lo, s76
	v_add_nc_u32_e32 v5, 0xffffff81, v12
	v_lshrrev_b32_e32 v9, 23, v4
	s_mov_b32 s13, exec_lo
	s_delay_alu instid0(VALU_DEP_2) | instskip(NEXT) | instid1(VALU_DEP_1)
	v_cndmask_b32_e64 v5, v5, 0xffffff82, vcc_lo
	v_add3_u32 v12, v13, v5, v9
	v_and_b32_e32 v5, 0x1fffff, v8
                                        ; implicit-def: $vgpr8
	s_delay_alu instid0(VALU_DEP_2) | instskip(NEXT) | instid1(VALU_DEP_2)
	v_add_nc_u32_e32 v9, 14, v12
	v_dual_mov_b32 v5, v3 :: v_dual_add_nc_u32 v4, v5, v4
	s_delay_alu instid0(VALU_DEP_2)
	v_cmpx_ne_u32_e32 0, v9
	s_xor_b32 s13, exec_lo, s13
; %bb.14998:                            ;   in Loop: Header=BB4_12924 Depth=3
	s_delay_alu instid0(VALU_DEP_2) | instskip(SKIP_1) | instid1(VALU_DEP_1)
	v_cmp_lt_u64_e32 vcc_lo, 0xffffff, v[4:5]
	v_add_nc_u32_e32 v8, 15, v12
	v_cndmask_b32_e32 v8, v9, v8, vcc_lo
	v_cndmask_b32_e64 v9, 0, 1, vcc_lo
	s_delay_alu instid0(VALU_DEP_1)
	v_lshrrev_b64 v[4:5], v9, v[4:5]
; %bb.14999:                            ;   in Loop: Header=BB4_12924 Depth=3
	s_and_not1_saveexec_b32 s13, s13
; %bb.15000:                            ;   in Loop: Header=BB4_12924 Depth=3
	s_delay_alu instid0(VALU_DEP_1)
	v_bfe_u32 v8, v4, 23, 1
; %bb.15001:                            ;   in Loop: Header=BB4_12924 Depth=3
	s_or_b32 exec_lo, exec_lo, s13
	s_delay_alu instid0(VALU_DEP_2) | instskip(NEXT) | instid1(VALU_DEP_2)
	v_lshrrev_b64 v[4:5], 21, v[4:5]
	v_cmp_gt_i32_e32 vcc_lo, 32, v8
	v_min_i32_e32 v9, 31, v8
	v_cmp_eq_u32_e64 s13, 0, v8
	s_delay_alu instid0(VALU_DEP_4) | instskip(NEXT) | instid1(VALU_DEP_3)
	v_cndmask_b32_e32 v5, 0, v5, vcc_lo
	v_dual_cndmask_b32 v4, 3, v4 :: v_dual_lshlrev_b32 v9, 2, v9
	s_delay_alu instid0(VALU_DEP_1) | instskip(NEXT) | instid1(VALU_DEP_2)
	v_and_b32_e32 v9, 0xfc, v9
	v_cmp_eq_u64_e32 vcc_lo, 0, v[4:5]
	s_delay_alu instid0(VALU_DEP_2)
	v_and_or_b32 v4, v4, 3, v9
	s_and_b32 s13, s13, vcc_lo
	s_delay_alu instid0(VALU_DEP_1) | instid1(SALU_CYCLE_1)
	v_cndmask_b32_e64 v4, v4, 0, s13
	s_delay_alu instid0(VALU_DEP_1)
	v_or_b32_e32 v117, v4, v2
.LBB4_15002:                            ;   in Loop: Header=BB4_12924 Depth=3
	s_or_b32 exec_lo, exec_lo, s75
                                        ; implicit-def: $vgpr2
.LBB4_15003:                            ;   in Loop: Header=BB4_12924 Depth=3
	s_and_not1_saveexec_b32 s13, s74
; %bb.15004:                            ;   in Loop: Header=BB4_12924 Depth=3
	v_or_b32_e32 v117, 0x7b, v2
; %bb.15005:                            ;   in Loop: Header=BB4_12924 Depth=3
	s_or_b32 exec_lo, exec_lo, s13
                                        ; implicit-def: $vgpr8
                                        ; implicit-def: $vgpr4_vgpr5
                                        ; implicit-def: $vgpr2
.LBB4_15006:                            ;   in Loop: Header=BB4_12924 Depth=3
	s_and_not1_saveexec_b32 s13, s73
	s_cbranch_execz .LBB4_15012
; %bb.15007:                            ;   in Loop: Header=BB4_12924 Depth=3
	s_mov_b32 s73, exec_lo
                                        ; implicit-def: $vgpr117
	v_cmpx_ne_u64_e32 0, v[4:5]
	s_xor_b32 s73, exec_lo, s73
; %bb.15008:                            ;   in Loop: Header=BB4_12924 Depth=3
	v_or_b32_e32 v117, 0x7f, v2
                                        ; implicit-def: $vgpr8
; %bb.15009:                            ;   in Loop: Header=BB4_12924 Depth=3
	s_and_not1_saveexec_b32 s73, s73
; %bb.15010:                            ;   in Loop: Header=BB4_12924 Depth=3
	v_cmp_lt_i32_e32 vcc_lo, -1, v8
	v_cndmask_b32_e32 v117, 0xfc, v49, vcc_lo
; %bb.15011:                            ;   in Loop: Header=BB4_12924 Depth=3
	s_or_b32 exec_lo, exec_lo, s73
.LBB4_15012:                            ;   in Loop: Header=BB4_12924 Depth=3
	s_delay_alu instid0(SALU_CYCLE_1) | instskip(SKIP_4) | instid1(VALU_DEP_2)
	s_or_b32 exec_lo, exec_lo, s13
	v_dual_lshlrev_b32 v4, 24, v103 :: v_dual_lshlrev_b32 v8, 16, v100
	v_lshl_or_b32 v2, v64, 8, v31
	v_dual_mov_b32 v5, v3 :: v_dual_mov_b32 v9, 0
	s_mov_b32 s13, exec_lo
	v_or3_b32 v4, v8, v4, v2
	v_mov_b32_e32 v8, 0
	v_cmpx_ne_u32_e32 0, v31
	s_cbranch_execz .LBB4_15022
; %bb.15013:                            ;   in Loop: Header=BB4_12924 Depth=3
	v_bfrev_b32_e32 v8, 1
	s_mov_b32 s73, exec_lo
	v_cmpx_ne_u32_e32 0x80, v31
	s_cbranch_execz .LBB4_15021
; %bb.15014:                            ;   in Loop: Header=BB4_12924 Depth=3
	v_and_b32_e32 v8, 0x7c, v31
	v_and_b32_e32 v12, 3, v31
	s_delay_alu instid0(VALU_DEP_2) | instskip(SKIP_1) | instid1(SALU_CYCLE_1)
	v_cmp_ne_u32_e32 vcc_lo, 0x7c, v8
                                        ; implicit-def: $vgpr8
	s_and_saveexec_b32 s74, vcc_lo
	s_xor_b32 s74, exec_lo, s74
	s_cbranch_execz .LBB4_15018
; %bb.15015:                            ;   in Loop: Header=BB4_12924 Depth=3
	v_bfe_u32 v8, v31, 2, 5
	s_mov_b32 s75, exec_lo
	s_delay_alu instid0(VALU_DEP_1)
	v_cmpx_eq_u32_e32 0, v8
; %bb.15016:                            ;   in Loop: Header=BB4_12924 Depth=3
	v_clz_i32_u32_e32 v8, v12
	s_delay_alu instid0(VALU_DEP_1) | instskip(NEXT) | instid1(VALU_DEP_1)
	v_min_u32_e32 v8, 32, v8
	v_subrev_nc_u32_e32 v12, 29, v8
	v_sub_nc_u32_e32 v8, 30, v8
	s_delay_alu instid0(VALU_DEP_2) | instskip(NEXT) | instid1(VALU_DEP_1)
	v_lshlrev_b64_e32 v[12:13], v12, v[4:5]
	v_and_b32_e32 v12, 3, v12
; %bb.15017:                            ;   in Loop: Header=BB4_12924 Depth=3
	s_or_b32 exec_lo, exec_lo, s75
	v_lshlrev_b32_e32 v5, 24, v31
                                        ; implicit-def: $vgpr31
	s_delay_alu instid0(VALU_DEP_1) | instskip(NEXT) | instid1(VALU_DEP_1)
	v_and_b32_e32 v5, 0x80000000, v5
	v_lshl_add_u32 v5, v8, 23, v5
	s_delay_alu instid0(VALU_DEP_1) | instskip(NEXT) | instid1(VALU_DEP_1)
	v_lshl_or_b32 v5, v12, 21, v5
                                        ; implicit-def: $vgpr12
	v_add_nc_u32_e32 v8, 0x38000000, v5
.LBB4_15018:                            ;   in Loop: Header=BB4_12924 Depth=3
	s_and_not1_saveexec_b32 s74, s74
; %bb.15019:                            ;   in Loop: Header=BB4_12924 Depth=3
	v_and_b32_e32 v5, 0x80, v31
	s_delay_alu instid0(VALU_DEP_1) | instskip(SKIP_2) | instid1(VALU_DEP_2)
	v_cmp_eq_u32_e32 vcc_lo, 0, v5
	v_cndmask_b32_e32 v5, 0xff800000, v48, vcc_lo
	v_cmp_eq_u32_e32 vcc_lo, 0, v12
	v_cndmask_b32_e32 v8, 0x7f800001, v5, vcc_lo
; %bb.15020:                            ;   in Loop: Header=BB4_12924 Depth=3
	s_or_b32 exec_lo, exec_lo, s74
.LBB4_15021:                            ;   in Loop: Header=BB4_12924 Depth=3
	s_delay_alu instid0(SALU_CYCLE_1)
	s_or_b32 exec_lo, exec_lo, s73
.LBB4_15022:                            ;   in Loop: Header=BB4_12924 Depth=3
	s_delay_alu instid0(SALU_CYCLE_1) | instskip(SKIP_2) | instid1(VALU_DEP_1)
	s_or_b32 exec_lo, exec_lo, s13
	v_and_b32_e32 v5, 0xff, v11
	s_mov_b32 s13, exec_lo
	v_cmpx_ne_u16_e32 0, v5
	s_cbranch_execz .LBB4_15032
; %bb.15023:                            ;   in Loop: Header=BB4_12924 Depth=3
	v_bfrev_b32_e32 v9, 1
	s_mov_b32 s73, exec_lo
	v_cmpx_ne_u16_e32 0x80, v5
	s_cbranch_execz .LBB4_15031
; %bb.15024:                            ;   in Loop: Header=BB4_12924 Depth=3
	v_and_b32_e32 v9, 0x7c, v11
	v_and_b32_e32 v5, 3, v11
	s_delay_alu instid0(VALU_DEP_2) | instskip(SKIP_1) | instid1(SALU_CYCLE_1)
	v_cmp_ne_u32_e32 vcc_lo, 0x7c, v9
                                        ; implicit-def: $vgpr9
	s_and_saveexec_b32 s74, vcc_lo
	s_xor_b32 s74, exec_lo, s74
	s_cbranch_execz .LBB4_15028
; %bb.15025:                            ;   in Loop: Header=BB4_12924 Depth=3
	v_bfe_u32 v9, v11, 2, 5
	s_mov_b32 s75, exec_lo
	s_delay_alu instid0(VALU_DEP_1)
	v_cmpx_eq_u32_e32 0, v9
; %bb.15026:                            ;   in Loop: Header=BB4_12924 Depth=3
	v_clz_i32_u32_e32 v5, v5
	v_dual_mov_b32 v12, v11 :: v_dual_mov_b32 v13, v3
	s_delay_alu instid0(VALU_DEP_2) | instskip(NEXT) | instid1(VALU_DEP_1)
	v_min_u32_e32 v5, 32, v5
	v_subrev_nc_u32_e32 v9, 29, v5
	s_delay_alu instid0(VALU_DEP_1) | instskip(NEXT) | instid1(VALU_DEP_1)
	v_lshlrev_b64_e32 v[12:13], v9, v[12:13]
	v_dual_sub_nc_u32 v9, 30, v5 :: v_dual_bitop2_b32 v5, 3, v12 bitop3:0x40
; %bb.15027:                            ;   in Loop: Header=BB4_12924 Depth=3
	s_or_b32 exec_lo, exec_lo, s75
	v_lshlrev_b32_e32 v12, 24, v11
	s_delay_alu instid0(VALU_DEP_1) | instskip(NEXT) | instid1(VALU_DEP_1)
	v_and_b32_e32 v12, 0x80000000, v12
	v_lshl_add_u32 v9, v9, 23, v12
	s_delay_alu instid0(VALU_DEP_1) | instskip(NEXT) | instid1(VALU_DEP_1)
	v_lshl_or_b32 v5, v5, 21, v9
	v_add_nc_u32_e32 v9, 0x38000000, v5
                                        ; implicit-def: $vgpr5
.LBB4_15028:                            ;   in Loop: Header=BB4_12924 Depth=3
	s_and_not1_saveexec_b32 s74, s74
; %bb.15029:                            ;   in Loop: Header=BB4_12924 Depth=3
	v_bfe_i32 v9, v11, 0, 8
	s_delay_alu instid0(VALU_DEP_1) | instskip(SKIP_2) | instid1(VALU_DEP_2)
	v_cmp_lt_i16_e32 vcc_lo, -1, v9
	v_cndmask_b32_e32 v9, 0xff800000, v48, vcc_lo
	v_cmp_eq_u32_e32 vcc_lo, 0, v5
	v_cndmask_b32_e32 v9, 0x7f800001, v9, vcc_lo
; %bb.15030:                            ;   in Loop: Header=BB4_12924 Depth=3
	s_or_b32 exec_lo, exec_lo, s74
.LBB4_15031:                            ;   in Loop: Header=BB4_12924 Depth=3
	s_delay_alu instid0(SALU_CYCLE_1)
	s_or_b32 exec_lo, exec_lo, s73
.LBB4_15032:                            ;   in Loop: Header=BB4_12924 Depth=3
	s_delay_alu instid0(SALU_CYCLE_1) | instskip(NEXT) | instid1(VALU_DEP_1)
	s_or_b32 exec_lo, exec_lo, s13
	v_dual_add_f32 v12, v8, v9 :: v_dual_mov_b32 v87, v3
	v_mov_b32_e32 v9, v3
                                        ; implicit-def: $vgpr31
	s_mov_b32 s13, exec_lo
	s_delay_alu instid0(VALU_DEP_2) | instskip(SKIP_2) | instid1(VALU_DEP_3)
	v_and_b32_e32 v86, 0x7f800000, v12
	v_and_b32_e32 v8, 0x7fffff, v12
	v_lshrrev_b32_e32 v5, 24, v12
	v_cmpx_ne_u64_e32 0x7f800000, v[86:87]
	s_xor_b32 s73, exec_lo, s13
	s_cbranch_execz .LBB4_15046
; %bb.15033:                            ;   in Loop: Header=BB4_12924 Depth=3
	v_and_b32_e32 v86, 0x7fffffff, v12
	v_mov_b32_e32 v87, v3
	v_and_b32_e32 v5, 0x80, v5
                                        ; implicit-def: $vgpr31
	s_mov_b32 s13, exec_lo
	s_delay_alu instid0(VALU_DEP_2)
	v_cmpx_gt_u64_e32 0x47600001, v[86:87]
	s_xor_b32 s74, exec_lo, s13
	s_cbranch_execz .LBB4_15043
; %bb.15034:                            ;   in Loop: Header=BB4_12924 Depth=3
	v_mov_b32_e32 v31, 0
	s_mov_b32 s75, exec_lo
	v_cmpx_ne_u32_e32 0, v12
	s_cbranch_execz .LBB4_15042
; %bb.15035:                            ;   in Loop: Header=BB4_12924 Depth=3
	v_bfe_u32 v31, v12, 23, 8
	v_or_b32_e32 v13, 0x800000, v8
	s_delay_alu instid0(VALU_DEP_2) | instskip(SKIP_2) | instid1(VALU_DEP_2)
	v_cmp_gt_u32_e64 s13, 0x72, v31
	v_sub_nc_u32_e32 v12, 0x71, v31
	v_cmp_eq_u32_e32 vcc_lo, 0, v31
	v_cndmask_b32_e64 v12, 0, v12, s13
	v_cndmask_b32_e32 v8, v13, v8, vcc_lo
	s_delay_alu instid0(VALU_DEP_2) | instskip(NEXT) | instid1(VALU_DEP_1)
	v_cndmask_b32_e64 v64, v12, 0x70, vcc_lo
	v_dual_add_nc_u32 v12, 21, v64 :: v_dual_add_nc_u32 v86, 20, v64
	s_delay_alu instid0(VALU_DEP_1) | instskip(NEXT) | instid1(VALU_DEP_2)
	v_lshlrev_b64_e64 v[12:13], v12, -1
	v_lshlrev_b64_e64 v[86:87], v86, 1
	s_delay_alu instid0(VALU_DEP_2) | instskip(SKIP_1) | instid1(VALU_DEP_4)
	v_bfi_b32 v12, v12, 0, v8
	v_lshrrev_b64 v[8:9], v64, v[8:9]
	v_bfi_b32 v13, v13, 0, 0
	s_delay_alu instid0(VALU_DEP_1) | instskip(NEXT) | instid1(VALU_DEP_3)
	v_cmp_eq_u64_e64 s13, v[12:13], v[86:87]
	v_mov_b64_e32 v[12:13], v[8:9]
	s_and_saveexec_b32 s76, s13
; %bb.15036:                            ;   in Loop: Header=BB4_12924 Depth=3
	v_bfe_u32 v12, v8, 21, 1
	v_mov_b32_e32 v13, v3
	s_delay_alu instid0(VALU_DEP_1) | instskip(NEXT) | instid1(VALU_DEP_1)
	v_add_nc_u64_e32 v[12:13], v[8:9], v[12:13]
	v_add_nc_u64_e32 v[12:13], -1, v[12:13]
; %bb.15037:                            ;   in Loop: Header=BB4_12924 Depth=3
	s_or_b32 exec_lo, exec_lo, s76
	v_add_nc_u32_e32 v9, 0xffffff81, v31
	v_lshrrev_b32_e32 v13, 23, v8
	s_mov_b32 s13, exec_lo
	s_delay_alu instid0(VALU_DEP_2) | instskip(NEXT) | instid1(VALU_DEP_1)
	v_cndmask_b32_e64 v9, v9, 0xffffff82, vcc_lo
	v_add3_u32 v13, v64, v9, v13
	v_and_b32_e32 v9, 0x1fffff, v12
                                        ; implicit-def: $vgpr12
	s_delay_alu instid0(VALU_DEP_1) | instskip(SKIP_1) | instid1(VALU_DEP_2)
	v_dual_add_nc_u32 v31, 14, v13 :: v_dual_add_nc_u32 v8, v9, v8
	v_mov_b32_e32 v9, v3
	v_cmpx_ne_u32_e32 0, v31
	s_xor_b32 s13, exec_lo, s13
; %bb.15038:                            ;   in Loop: Header=BB4_12924 Depth=3
	s_delay_alu instid0(VALU_DEP_2) | instskip(SKIP_2) | instid1(VALU_DEP_2)
	v_cmp_lt_u64_e32 vcc_lo, 0xffffff, v[8:9]
	v_add_nc_u32_e32 v12, 15, v13
	v_cndmask_b32_e64 v13, 0, 1, vcc_lo
	v_cndmask_b32_e32 v12, v31, v12, vcc_lo
	s_delay_alu instid0(VALU_DEP_2)
	v_lshrrev_b64 v[8:9], v13, v[8:9]
; %bb.15039:                            ;   in Loop: Header=BB4_12924 Depth=3
	s_and_not1_saveexec_b32 s13, s13
; %bb.15040:                            ;   in Loop: Header=BB4_12924 Depth=3
	s_delay_alu instid0(VALU_DEP_1)
	v_bfe_u32 v12, v8, 23, 1
; %bb.15041:                            ;   in Loop: Header=BB4_12924 Depth=3
	s_or_b32 exec_lo, exec_lo, s13
	s_delay_alu instid0(VALU_DEP_2) | instskip(NEXT) | instid1(VALU_DEP_2)
	v_lshrrev_b64 v[8:9], 21, v[8:9]
	v_cmp_gt_i32_e32 vcc_lo, 32, v12
	v_min_i32_e32 v13, 31, v12
	v_cmp_eq_u32_e64 s13, 0, v12
	s_delay_alu instid0(VALU_DEP_4) | instskip(NEXT) | instid1(VALU_DEP_3)
	v_cndmask_b32_e32 v9, 0, v9, vcc_lo
	v_dual_cndmask_b32 v8, 3, v8 :: v_dual_lshlrev_b32 v13, 2, v13
	s_delay_alu instid0(VALU_DEP_1) | instskip(NEXT) | instid1(VALU_DEP_2)
	v_and_b32_e32 v13, 0xfc, v13
	v_cmp_eq_u64_e32 vcc_lo, 0, v[8:9]
	s_delay_alu instid0(VALU_DEP_2)
	v_and_or_b32 v8, v8, 3, v13
	s_and_b32 s13, s13, vcc_lo
	s_delay_alu instid0(VALU_DEP_1) | instid1(SALU_CYCLE_1)
	v_cndmask_b32_e64 v8, v8, 0, s13
	s_delay_alu instid0(VALU_DEP_1)
	v_or_b32_e32 v31, v8, v5
.LBB4_15042:                            ;   in Loop: Header=BB4_12924 Depth=3
	s_or_b32 exec_lo, exec_lo, s75
                                        ; implicit-def: $vgpr5
.LBB4_15043:                            ;   in Loop: Header=BB4_12924 Depth=3
	s_and_not1_saveexec_b32 s13, s74
; %bb.15044:                            ;   in Loop: Header=BB4_12924 Depth=3
	v_or_b32_e32 v31, 0x7b, v5
; %bb.15045:                            ;   in Loop: Header=BB4_12924 Depth=3
	s_or_b32 exec_lo, exec_lo, s13
                                        ; implicit-def: $vgpr12
                                        ; implicit-def: $vgpr8_vgpr9
                                        ; implicit-def: $vgpr5
.LBB4_15046:                            ;   in Loop: Header=BB4_12924 Depth=3
	s_and_not1_saveexec_b32 s13, s73
	s_cbranch_execz .LBB4_15052
; %bb.15047:                            ;   in Loop: Header=BB4_12924 Depth=3
	s_mov_b32 s73, exec_lo
                                        ; implicit-def: $vgpr31
	v_cmpx_ne_u64_e32 0, v[8:9]
	s_xor_b32 s73, exec_lo, s73
; %bb.15048:                            ;   in Loop: Header=BB4_12924 Depth=3
	v_or_b32_e32 v31, 0x7f, v5
                                        ; implicit-def: $vgpr12
; %bb.15049:                            ;   in Loop: Header=BB4_12924 Depth=3
	s_and_not1_saveexec_b32 s73, s73
; %bb.15050:                            ;   in Loop: Header=BB4_12924 Depth=3
	v_cmp_lt_i32_e32 vcc_lo, -1, v12
	v_cndmask_b32_e32 v31, 0xfc, v49, vcc_lo
; %bb.15051:                            ;   in Loop: Header=BB4_12924 Depth=3
	s_or_b32 exec_lo, exec_lo, s73
.LBB4_15052:                            ;   in Loop: Header=BB4_12924 Depth=3
	s_delay_alu instid0(SALU_CYCLE_1) | instskip(SKIP_3) | instid1(VALU_DEP_2)
	s_or_b32 exec_lo, exec_lo, s13
	v_lshrrev_b16 v8, 8, v2
	v_dual_mov_b32 v5, 0 :: v_dual_mov_b32 v12, 0
	s_mov_b32 s13, exec_lo
	v_cmpx_ne_u16_e32 0, v8
	s_cbranch_execz .LBB4_15062
; %bb.15053:                            ;   in Loop: Header=BB4_12924 Depth=3
	v_bfrev_b32_e32 v12, 1
	s_mov_b32 s73, exec_lo
	v_cmpx_ne_u16_e32 0x80, v8
	s_cbranch_execz .LBB4_15061
; %bb.15054:                            ;   in Loop: Header=BB4_12924 Depth=3
	v_and_b32_e32 v13, 0xffff, v8
	s_delay_alu instid0(VALU_DEP_1) | instskip(SKIP_1) | instid1(VALU_DEP_2)
	v_and_b32_e32 v12, 0x7c, v13
	v_and_b32_e32 v9, 3, v13
	v_cmp_ne_u32_e32 vcc_lo, 0x7c, v12
                                        ; implicit-def: $vgpr12
	s_and_saveexec_b32 s74, vcc_lo
	s_delay_alu instid0(SALU_CYCLE_1)
	s_xor_b32 s74, exec_lo, s74
	s_cbranch_execz .LBB4_15058
; %bb.15055:                            ;   in Loop: Header=BB4_12924 Depth=3
	v_bfe_u32 v12, v13, 2, 5
	s_mov_b32 s75, exec_lo
	s_delay_alu instid0(VALU_DEP_1)
	v_cmpx_eq_u32_e32 0, v12
	s_cbranch_execz .LBB4_15057
; %bb.15056:                            ;   in Loop: Header=BB4_12924 Depth=3
	v_clz_i32_u32_e32 v9, v9
	s_delay_alu instid0(VALU_DEP_1) | instskip(SKIP_1) | instid1(VALU_DEP_2)
	v_min_u32_e32 v12, 32, v9
	v_mov_b32_e32 v9, v3
	v_subrev_nc_u32_e32 v13, 29, v12
	v_sub_nc_u32_e32 v12, 30, v12
	s_delay_alu instid0(VALU_DEP_2) | instskip(NEXT) | instid1(VALU_DEP_1)
	v_lshlrev_b64_e32 v[8:9], v13, v[8:9]
	v_and_b32_e32 v9, 3, v8
.LBB4_15057:                            ;   in Loop: Header=BB4_12924 Depth=3
	s_or_b32 exec_lo, exec_lo, s75
	v_lshlrev_b32_e32 v2, 16, v2
	s_delay_alu instid0(VALU_DEP_1) | instskip(NEXT) | instid1(VALU_DEP_1)
	v_and_b32_e32 v2, 0x80000000, v2
	v_lshl_add_u32 v2, v12, 23, v2
	s_delay_alu instid0(VALU_DEP_1) | instskip(NEXT) | instid1(VALU_DEP_1)
	v_lshl_or_b32 v2, v9, 21, v2
                                        ; implicit-def: $vgpr9
	v_add_nc_u32_e32 v12, 0x38000000, v2
                                        ; implicit-def: $vgpr2
.LBB4_15058:                            ;   in Loop: Header=BB4_12924 Depth=3
	s_and_not1_saveexec_b32 s74, s74
; %bb.15059:                            ;   in Loop: Header=BB4_12924 Depth=3
	v_cmp_lt_i16_e32 vcc_lo, -1, v2
	v_cndmask_b32_e32 v2, 0xff800000, v48, vcc_lo
	v_cmp_eq_u32_e32 vcc_lo, 0, v9
	s_delay_alu instid0(VALU_DEP_2)
	v_cndmask_b32_e32 v12, 0x7f800001, v2, vcc_lo
; %bb.15060:                            ;   in Loop: Header=BB4_12924 Depth=3
	s_or_b32 exec_lo, exec_lo, s74
.LBB4_15061:                            ;   in Loop: Header=BB4_12924 Depth=3
	s_delay_alu instid0(SALU_CYCLE_1)
	s_or_b32 exec_lo, exec_lo, s73
.LBB4_15062:                            ;   in Loop: Header=BB4_12924 Depth=3
	s_delay_alu instid0(SALU_CYCLE_1) | instskip(SKIP_2) | instid1(VALU_DEP_1)
	s_or_b32 exec_lo, exec_lo, s13
	v_lshrrev_b16 v8, 8, v11
	s_mov_b32 s13, exec_lo
	v_cmpx_ne_u16_e32 0, v8
	s_cbranch_execz .LBB4_15072
; %bb.15063:                            ;   in Loop: Header=BB4_12924 Depth=3
	v_bfrev_b32_e32 v5, 1
	s_mov_b32 s73, exec_lo
	v_cmpx_ne_u16_e32 0x80, v8
	s_cbranch_execz .LBB4_15071
; %bb.15064:                            ;   in Loop: Header=BB4_12924 Depth=3
	v_and_b32_e32 v9, 0xffff, v8
	s_delay_alu instid0(VALU_DEP_1) | instskip(SKIP_1) | instid1(VALU_DEP_2)
	v_and_b32_e32 v5, 0x7c, v9
	v_and_b32_e32 v2, 3, v9
	v_cmp_ne_u32_e32 vcc_lo, 0x7c, v5
                                        ; implicit-def: $vgpr5
	s_and_saveexec_b32 s74, vcc_lo
	s_delay_alu instid0(SALU_CYCLE_1)
	s_xor_b32 s74, exec_lo, s74
	s_cbranch_execz .LBB4_15068
; %bb.15065:                            ;   in Loop: Header=BB4_12924 Depth=3
	v_bfe_u32 v5, v9, 2, 5
	s_mov_b32 s75, exec_lo
	s_delay_alu instid0(VALU_DEP_1)
	v_cmpx_eq_u32_e32 0, v5
; %bb.15066:                            ;   in Loop: Header=BB4_12924 Depth=3
	v_clz_i32_u32_e32 v2, v2
	s_delay_alu instid0(VALU_DEP_1) | instskip(SKIP_1) | instid1(VALU_DEP_2)
	v_min_u32_e32 v2, 32, v2
	v_mov_b32_e32 v9, v3
	v_subrev_nc_u32_e32 v5, 29, v2
	s_delay_alu instid0(VALU_DEP_1) | instskip(NEXT) | instid1(VALU_DEP_1)
	v_lshlrev_b64_e32 v[8:9], v5, v[8:9]
	v_dual_sub_nc_u32 v5, 30, v2 :: v_dual_bitop2_b32 v2, 3, v8 bitop3:0x40
; %bb.15067:                            ;   in Loop: Header=BB4_12924 Depth=3
	s_or_b32 exec_lo, exec_lo, s75
	v_lshlrev_b32_e32 v8, 16, v11
	s_delay_alu instid0(VALU_DEP_1) | instskip(NEXT) | instid1(VALU_DEP_1)
	v_and_b32_e32 v8, 0x80000000, v8
	v_lshl_add_u32 v5, v5, 23, v8
	s_delay_alu instid0(VALU_DEP_1) | instskip(NEXT) | instid1(VALU_DEP_1)
	v_lshl_or_b32 v2, v2, 21, v5
	v_add_nc_u32_e32 v5, 0x38000000, v2
                                        ; implicit-def: $vgpr2
.LBB4_15068:                            ;   in Loop: Header=BB4_12924 Depth=3
	s_and_not1_saveexec_b32 s74, s74
; %bb.15069:                            ;   in Loop: Header=BB4_12924 Depth=3
	v_cmp_lt_i16_e32 vcc_lo, -1, v11
	v_cndmask_b32_e32 v5, 0xff800000, v48, vcc_lo
	v_cmp_eq_u32_e32 vcc_lo, 0, v2
	s_delay_alu instid0(VALU_DEP_2)
	v_cndmask_b32_e32 v5, 0x7f800001, v5, vcc_lo
; %bb.15070:                            ;   in Loop: Header=BB4_12924 Depth=3
	s_or_b32 exec_lo, exec_lo, s74
.LBB4_15071:                            ;   in Loop: Header=BB4_12924 Depth=3
	s_delay_alu instid0(SALU_CYCLE_1)
	s_or_b32 exec_lo, exec_lo, s73
.LBB4_15072:                            ;   in Loop: Header=BB4_12924 Depth=3
	s_delay_alu instid0(SALU_CYCLE_1) | instskip(NEXT) | instid1(VALU_DEP_1)
	s_or_b32 exec_lo, exec_lo, s13
	v_dual_add_f32 v5, v12, v5 :: v_dual_mov_b32 v13, v3
	v_mov_b32_e32 v9, v3
                                        ; implicit-def: $vgpr64
	s_mov_b32 s13, exec_lo
	s_delay_alu instid0(VALU_DEP_2) | instskip(SKIP_2) | instid1(VALU_DEP_3)
	v_and_b32_e32 v12, 0x7f800000, v5
	v_and_b32_e32 v8, 0x7fffff, v5
	v_lshrrev_b32_e32 v2, 24, v5
	v_cmpx_ne_u64_e32 0x7f800000, v[12:13]
	s_xor_b32 s73, exec_lo, s13
	s_cbranch_execz .LBB4_15086
; %bb.15073:                            ;   in Loop: Header=BB4_12924 Depth=3
	v_and_b32_e32 v12, 0x7fffffff, v5
	v_mov_b32_e32 v13, v3
	v_and_b32_e32 v2, 0x80, v2
                                        ; implicit-def: $vgpr64
	s_mov_b32 s13, exec_lo
	s_delay_alu instid0(VALU_DEP_2)
	v_cmpx_gt_u64_e32 0x47600001, v[12:13]
	s_xor_b32 s74, exec_lo, s13
	s_cbranch_execz .LBB4_15083
; %bb.15074:                            ;   in Loop: Header=BB4_12924 Depth=3
	v_mov_b32_e32 v64, 0
	s_mov_b32 s75, exec_lo
	v_cmpx_ne_u32_e32 0, v5
	s_cbranch_execz .LBB4_15082
; %bb.15075:                            ;   in Loop: Header=BB4_12924 Depth=3
	v_bfe_u32 v5, v5, 23, 8
	v_or_b32_e32 v13, 0x800000, v8
	s_delay_alu instid0(VALU_DEP_2) | instskip(SKIP_2) | instid1(VALU_DEP_2)
	v_cmp_gt_u32_e64 s13, 0x72, v5
	v_sub_nc_u32_e32 v12, 0x71, v5
	v_cmp_eq_u32_e32 vcc_lo, 0, v5
	v_cndmask_b32_e64 v12, 0, v12, s13
	v_cndmask_b32_e32 v8, v13, v8, vcc_lo
	s_delay_alu instid0(VALU_DEP_2) | instskip(NEXT) | instid1(VALU_DEP_1)
	v_cndmask_b32_e64 v64, v12, 0x70, vcc_lo
	v_dual_add_nc_u32 v12, 21, v64 :: v_dual_add_nc_u32 v86, 20, v64
	s_delay_alu instid0(VALU_DEP_1) | instskip(NEXT) | instid1(VALU_DEP_2)
	v_lshlrev_b64_e64 v[12:13], v12, -1
	v_lshlrev_b64_e64 v[86:87], v86, 1
	s_delay_alu instid0(VALU_DEP_2) | instskip(SKIP_1) | instid1(VALU_DEP_4)
	v_bfi_b32 v12, v12, 0, v8
	v_lshrrev_b64 v[8:9], v64, v[8:9]
	v_bfi_b32 v13, v13, 0, 0
	s_delay_alu instid0(VALU_DEP_1) | instskip(NEXT) | instid1(VALU_DEP_3)
	v_cmp_eq_u64_e64 s13, v[12:13], v[86:87]
	v_mov_b64_e32 v[12:13], v[8:9]
	s_and_saveexec_b32 s76, s13
; %bb.15076:                            ;   in Loop: Header=BB4_12924 Depth=3
	v_bfe_u32 v12, v8, 21, 1
	v_mov_b32_e32 v13, v3
	s_delay_alu instid0(VALU_DEP_1) | instskip(NEXT) | instid1(VALU_DEP_1)
	v_add_nc_u64_e32 v[12:13], v[8:9], v[12:13]
	v_add_nc_u64_e32 v[12:13], -1, v[12:13]
; %bb.15077:                            ;   in Loop: Header=BB4_12924 Depth=3
	s_or_b32 exec_lo, exec_lo, s76
	v_add_nc_u32_e32 v5, 0xffffff81, v5
	v_lshrrev_b32_e32 v9, 23, v8
	s_mov_b32 s13, exec_lo
	s_delay_alu instid0(VALU_DEP_2) | instskip(NEXT) | instid1(VALU_DEP_1)
	v_cndmask_b32_e64 v5, v5, 0xffffff82, vcc_lo
	v_add3_u32 v13, v64, v5, v9
	v_and_b32_e32 v5, 0x1fffff, v12
	s_delay_alu instid0(VALU_DEP_2) | instskip(NEXT) | instid1(VALU_DEP_2)
	v_dual_mov_b32 v9, v3 :: v_dual_add_nc_u32 v12, 14, v13
	v_add_nc_u32_e32 v8, v5, v8
                                        ; implicit-def: $vgpr5
	s_delay_alu instid0(VALU_DEP_2)
	v_cmpx_ne_u32_e32 0, v12
	s_xor_b32 s13, exec_lo, s13
; %bb.15078:                            ;   in Loop: Header=BB4_12924 Depth=3
	s_delay_alu instid0(VALU_DEP_2) | instskip(SKIP_1) | instid1(VALU_DEP_1)
	v_cmp_lt_u64_e32 vcc_lo, 0xffffff, v[8:9]
	v_add_nc_u32_e32 v5, 15, v13
	v_cndmask_b32_e32 v5, v12, v5, vcc_lo
	v_cndmask_b32_e64 v12, 0, 1, vcc_lo
	s_delay_alu instid0(VALU_DEP_1)
	v_lshrrev_b64 v[8:9], v12, v[8:9]
; %bb.15079:                            ;   in Loop: Header=BB4_12924 Depth=3
	s_and_not1_saveexec_b32 s13, s13
; %bb.15080:                            ;   in Loop: Header=BB4_12924 Depth=3
	s_delay_alu instid0(VALU_DEP_1)
	v_bfe_u32 v5, v8, 23, 1
; %bb.15081:                            ;   in Loop: Header=BB4_12924 Depth=3
	s_or_b32 exec_lo, exec_lo, s13
	s_delay_alu instid0(VALU_DEP_2) | instskip(NEXT) | instid1(VALU_DEP_2)
	v_lshrrev_b64 v[8:9], 21, v[8:9]
	v_cmp_gt_i32_e32 vcc_lo, 32, v5
	v_min_i32_e32 v12, 31, v5
	v_cmp_eq_u32_e64 s13, 0, v5
	s_delay_alu instid0(VALU_DEP_4) | instskip(NEXT) | instid1(VALU_DEP_3)
	v_cndmask_b32_e32 v8, 3, v8, vcc_lo
	v_dual_cndmask_b32 v9, 0, v9 :: v_dual_lshlrev_b32 v12, 2, v12
	s_delay_alu instid0(VALU_DEP_1) | instskip(NEXT) | instid1(VALU_DEP_2)
	v_and_b32_e32 v12, 0xfc, v12
	v_cmp_eq_u64_e32 vcc_lo, 0, v[8:9]
	s_delay_alu instid0(VALU_DEP_2)
	v_and_or_b32 v5, v8, 3, v12
	s_and_b32 s13, s13, vcc_lo
	s_delay_alu instid0(VALU_DEP_1) | instid1(SALU_CYCLE_1)
	v_cndmask_b32_e64 v5, v5, 0, s13
	s_delay_alu instid0(VALU_DEP_1)
	v_or_b32_e32 v64, v5, v2
.LBB4_15082:                            ;   in Loop: Header=BB4_12924 Depth=3
	s_or_b32 exec_lo, exec_lo, s75
                                        ; implicit-def: $vgpr2
.LBB4_15083:                            ;   in Loop: Header=BB4_12924 Depth=3
	s_and_not1_saveexec_b32 s13, s74
; %bb.15084:                            ;   in Loop: Header=BB4_12924 Depth=3
	v_or_b32_e32 v64, 0x7b, v2
; %bb.15085:                            ;   in Loop: Header=BB4_12924 Depth=3
	s_or_b32 exec_lo, exec_lo, s13
                                        ; implicit-def: $vgpr5
                                        ; implicit-def: $vgpr8_vgpr9
                                        ; implicit-def: $vgpr2
.LBB4_15086:                            ;   in Loop: Header=BB4_12924 Depth=3
	s_and_not1_saveexec_b32 s13, s73
	s_cbranch_execz .LBB4_15092
; %bb.15087:                            ;   in Loop: Header=BB4_12924 Depth=3
	s_mov_b32 s73, exec_lo
                                        ; implicit-def: $vgpr64
	v_cmpx_ne_u64_e32 0, v[8:9]
	s_xor_b32 s73, exec_lo, s73
; %bb.15088:                            ;   in Loop: Header=BB4_12924 Depth=3
	v_or_b32_e32 v64, 0x7f, v2
                                        ; implicit-def: $vgpr5
; %bb.15089:                            ;   in Loop: Header=BB4_12924 Depth=3
	s_and_not1_saveexec_b32 s73, s73
; %bb.15090:                            ;   in Loop: Header=BB4_12924 Depth=3
	v_cmp_lt_i32_e32 vcc_lo, -1, v5
	v_cndmask_b32_e32 v64, 0xfc, v49, vcc_lo
; %bb.15091:                            ;   in Loop: Header=BB4_12924 Depth=3
	s_or_b32 exec_lo, exec_lo, s73
.LBB4_15092:                            ;   in Loop: Header=BB4_12924 Depth=3
	s_delay_alu instid0(SALU_CYCLE_1) | instskip(SKIP_3) | instid1(VALU_DEP_2)
	s_or_b32 exec_lo, exec_lo, s13
	v_dual_mov_b32 v5, 0 :: v_dual_lshrrev_b32 v2, 16, v4
	v_mov_b32_e32 v8, 0
	s_mov_b32 s13, exec_lo
	v_and_b32_e32 v9, 0xff, v2
	s_delay_alu instid0(VALU_DEP_1)
	v_cmpx_ne_u16_e32 0, v9
	s_cbranch_execz .LBB4_15102
; %bb.15093:                            ;   in Loop: Header=BB4_12924 Depth=3
	v_bfrev_b32_e32 v8, 1
	s_mov_b32 s73, exec_lo
	v_cmpx_ne_u16_e32 0x80, v9
	s_cbranch_execz .LBB4_15101
; %bb.15094:                            ;   in Loop: Header=BB4_12924 Depth=3
	v_and_b32_e32 v8, 0x7c0000, v4
	v_bfe_u32 v9, v4, 16, 2
	s_delay_alu instid0(VALU_DEP_2) | instskip(SKIP_1) | instid1(SALU_CYCLE_1)
	v_cmp_ne_u32_e32 vcc_lo, 0x7c0000, v8
                                        ; implicit-def: $vgpr8
	s_and_saveexec_b32 s74, vcc_lo
	s_xor_b32 s74, exec_lo, s74
	s_cbranch_execz .LBB4_15098
; %bb.15095:                            ;   in Loop: Header=BB4_12924 Depth=3
	v_bfe_u32 v8, v4, 18, 5
	s_mov_b32 s75, exec_lo
	s_delay_alu instid0(VALU_DEP_1)
	v_cmpx_eq_u32_e32 0, v8
; %bb.15096:                            ;   in Loop: Header=BB4_12924 Depth=3
	v_clz_i32_u32_e32 v8, v9
	s_delay_alu instid0(VALU_DEP_1) | instskip(NEXT) | instid1(VALU_DEP_1)
	v_min_u32_e32 v8, 32, v8
	v_subrev_nc_u32_e32 v9, 29, v8
	v_sub_nc_u32_e32 v8, 30, v8
	s_delay_alu instid0(VALU_DEP_2) | instskip(NEXT) | instid1(VALU_DEP_1)
	v_lshlrev_b64_e32 v[12:13], v9, v[2:3]
	v_and_b32_e32 v9, 3, v12
; %bb.15097:                            ;   in Loop: Header=BB4_12924 Depth=3
	s_or_b32 exec_lo, exec_lo, s75
	v_lshlrev_b32_e32 v2, 24, v2
	s_delay_alu instid0(VALU_DEP_1) | instskip(NEXT) | instid1(VALU_DEP_1)
	v_and_b32_e32 v2, 0x80000000, v2
	v_lshl_add_u32 v2, v8, 23, v2
	s_delay_alu instid0(VALU_DEP_1) | instskip(NEXT) | instid1(VALU_DEP_1)
	v_lshl_or_b32 v2, v9, 21, v2
                                        ; implicit-def: $vgpr9
	v_add_nc_u32_e32 v8, 0x38000000, v2
                                        ; implicit-def: $vgpr2
.LBB4_15098:                            ;   in Loop: Header=BB4_12924 Depth=3
	s_and_not1_saveexec_b32 s74, s74
; %bb.15099:                            ;   in Loop: Header=BB4_12924 Depth=3
	v_bfe_i32 v2, v2, 0, 8
	s_delay_alu instid0(VALU_DEP_1) | instskip(SKIP_2) | instid1(VALU_DEP_2)
	v_cmp_lt_i16_e32 vcc_lo, -1, v2
	v_cndmask_b32_e32 v2, 0xff800000, v48, vcc_lo
	v_cmp_eq_u32_e32 vcc_lo, 0, v9
	v_cndmask_b32_e32 v8, 0x7f800001, v2, vcc_lo
; %bb.15100:                            ;   in Loop: Header=BB4_12924 Depth=3
	s_or_b32 exec_lo, exec_lo, s74
.LBB4_15101:                            ;   in Loop: Header=BB4_12924 Depth=3
	s_delay_alu instid0(SALU_CYCLE_1)
	s_or_b32 exec_lo, exec_lo, s73
.LBB4_15102:                            ;   in Loop: Header=BB4_12924 Depth=3
	s_delay_alu instid0(SALU_CYCLE_1) | instskip(SKIP_2) | instid1(VALU_DEP_1)
	s_or_b32 exec_lo, exec_lo, s13
	v_lshrrev_b32_e32 v2, 16, v11
	s_mov_b32 s13, exec_lo
	v_and_b32_e32 v9, 0xff, v2
	s_delay_alu instid0(VALU_DEP_1)
	v_cmpx_ne_u16_e32 0, v9
	s_cbranch_execz .LBB4_15112
; %bb.15103:                            ;   in Loop: Header=BB4_12924 Depth=3
	v_bfrev_b32_e32 v5, 1
	s_mov_b32 s73, exec_lo
	v_cmpx_ne_u16_e32 0x80, v9
	s_cbranch_execz .LBB4_15111
; %bb.15104:                            ;   in Loop: Header=BB4_12924 Depth=3
	v_and_b32_e32 v5, 0x7c0000, v11
	v_bfe_u32 v9, v11, 16, 2
	s_delay_alu instid0(VALU_DEP_2) | instskip(SKIP_1) | instid1(SALU_CYCLE_1)
	v_cmp_ne_u32_e32 vcc_lo, 0x7c0000, v5
                                        ; implicit-def: $vgpr5
	s_and_saveexec_b32 s74, vcc_lo
	s_xor_b32 s74, exec_lo, s74
	s_cbranch_execz .LBB4_15108
; %bb.15105:                            ;   in Loop: Header=BB4_12924 Depth=3
	v_bfe_u32 v5, v11, 18, 5
	s_mov_b32 s75, exec_lo
	s_delay_alu instid0(VALU_DEP_1)
	v_cmpx_eq_u32_e32 0, v5
; %bb.15106:                            ;   in Loop: Header=BB4_12924 Depth=3
	v_clz_i32_u32_e32 v5, v9
	s_delay_alu instid0(VALU_DEP_1) | instskip(NEXT) | instid1(VALU_DEP_1)
	v_min_u32_e32 v5, 32, v5
	v_subrev_nc_u32_e32 v9, 29, v5
	s_delay_alu instid0(VALU_DEP_1) | instskip(NEXT) | instid1(VALU_DEP_1)
	v_lshlrev_b64_e32 v[12:13], v9, v[2:3]
	v_dual_sub_nc_u32 v5, 30, v5 :: v_dual_bitop2_b32 v9, 3, v12 bitop3:0x40
; %bb.15107:                            ;   in Loop: Header=BB4_12924 Depth=3
	s_or_b32 exec_lo, exec_lo, s75
	v_lshlrev_b32_e32 v2, 24, v2
	s_delay_alu instid0(VALU_DEP_1) | instskip(NEXT) | instid1(VALU_DEP_1)
	v_and_b32_e32 v2, 0x80000000, v2
	v_lshl_add_u32 v2, v5, 23, v2
	s_delay_alu instid0(VALU_DEP_1) | instskip(NEXT) | instid1(VALU_DEP_1)
	v_lshl_or_b32 v2, v9, 21, v2
                                        ; implicit-def: $vgpr9
	v_add_nc_u32_e32 v5, 0x38000000, v2
                                        ; implicit-def: $vgpr2
.LBB4_15108:                            ;   in Loop: Header=BB4_12924 Depth=3
	s_and_not1_saveexec_b32 s74, s74
; %bb.15109:                            ;   in Loop: Header=BB4_12924 Depth=3
	v_bfe_i32 v2, v2, 0, 8
	s_delay_alu instid0(VALU_DEP_1) | instskip(SKIP_2) | instid1(VALU_DEP_2)
	v_cmp_lt_i16_e32 vcc_lo, -1, v2
	v_cndmask_b32_e32 v2, 0xff800000, v48, vcc_lo
	v_cmp_eq_u32_e32 vcc_lo, 0, v9
	v_cndmask_b32_e32 v5, 0x7f800001, v2, vcc_lo
; %bb.15110:                            ;   in Loop: Header=BB4_12924 Depth=3
	s_or_b32 exec_lo, exec_lo, s74
.LBB4_15111:                            ;   in Loop: Header=BB4_12924 Depth=3
	s_delay_alu instid0(SALU_CYCLE_1)
	s_or_b32 exec_lo, exec_lo, s73
.LBB4_15112:                            ;   in Loop: Header=BB4_12924 Depth=3
	s_delay_alu instid0(SALU_CYCLE_1) | instskip(NEXT) | instid1(VALU_DEP_1)
	s_or_b32 exec_lo, exec_lo, s13
	v_dual_add_f32 v5, v8, v5 :: v_dual_mov_b32 v13, v3
	s_delay_alu instid0(VALU_DEP_1) | instskip(SKIP_2) | instid1(VALU_DEP_2)
	v_dual_mov_b32 v9, v3 :: v_dual_lshrrev_b32 v2, 24, v5
	v_and_b32_e32 v12, 0x7f800000, v5
	v_and_b32_e32 v8, 0x7fffff, v5
	v_cmp_ne_u64_e32 vcc_lo, 0x7f800000, v[12:13]
                                        ; implicit-def: $vgpr12
	s_and_saveexec_b32 s13, vcc_lo
	s_delay_alu instid0(SALU_CYCLE_1)
	s_xor_b32 s73, exec_lo, s13
	s_cbranch_execz .LBB4_15126
; %bb.15113:                            ;   in Loop: Header=BB4_12924 Depth=3
	v_and_b32_e32 v12, 0x7fffffff, v5
	v_mov_b32_e32 v13, v3
	v_and_b32_e32 v2, 0x80, v2
	s_delay_alu instid0(VALU_DEP_2) | instskip(SKIP_1) | instid1(SALU_CYCLE_1)
	v_cmp_gt_u64_e32 vcc_lo, 0x47600001, v[12:13]
                                        ; implicit-def: $vgpr12
	s_and_saveexec_b32 s13, vcc_lo
	s_xor_b32 s74, exec_lo, s13
	s_cbranch_execz .LBB4_15123
; %bb.15114:                            ;   in Loop: Header=BB4_12924 Depth=3
	v_mov_b32_e32 v12, 0
	s_mov_b32 s75, exec_lo
	v_cmpx_ne_u32_e32 0, v5
	s_cbranch_execz .LBB4_15122
; %bb.15115:                            ;   in Loop: Header=BB4_12924 Depth=3
	v_bfe_u32 v5, v5, 23, 8
	v_or_b32_e32 v13, 0x800000, v8
	s_delay_alu instid0(VALU_DEP_2) | instskip(SKIP_2) | instid1(VALU_DEP_2)
	v_cmp_gt_u32_e64 s13, 0x72, v5
	v_sub_nc_u32_e32 v12, 0x71, v5
	v_cmp_eq_u32_e32 vcc_lo, 0, v5
	v_cndmask_b32_e64 v12, 0, v12, s13
	s_delay_alu instid0(VALU_DEP_1) | instskip(NEXT) | instid1(VALU_DEP_1)
	v_cndmask_b32_e64 v86, v12, 0x70, vcc_lo
	v_dual_cndmask_b32 v8, v13, v8, vcc_lo :: v_dual_add_nc_u32 v12, 21, v86
	v_add_nc_u32_e32 v87, 20, v86
	s_delay_alu instid0(VALU_DEP_2) | instskip(NEXT) | instid1(VALU_DEP_2)
	v_lshlrev_b64_e64 v[12:13], v12, -1
	v_lshlrev_b64_e64 v[96:97], v87, 1
	s_delay_alu instid0(VALU_DEP_2) | instskip(SKIP_1) | instid1(VALU_DEP_4)
	v_bfi_b32 v12, v12, 0, v8
	v_lshrrev_b64 v[8:9], v86, v[8:9]
	v_bfi_b32 v13, v13, 0, 0
	s_delay_alu instid0(VALU_DEP_1) | instskip(NEXT) | instid1(VALU_DEP_3)
	v_cmp_eq_u64_e64 s13, v[12:13], v[96:97]
	v_mov_b64_e32 v[12:13], v[8:9]
	s_and_saveexec_b32 s76, s13
; %bb.15116:                            ;   in Loop: Header=BB4_12924 Depth=3
	v_bfe_u32 v12, v8, 21, 1
	v_mov_b32_e32 v13, v3
	s_delay_alu instid0(VALU_DEP_1) | instskip(NEXT) | instid1(VALU_DEP_1)
	v_add_nc_u64_e32 v[12:13], v[8:9], v[12:13]
	v_add_nc_u64_e32 v[12:13], -1, v[12:13]
; %bb.15117:                            ;   in Loop: Header=BB4_12924 Depth=3
	s_or_b32 exec_lo, exec_lo, s76
	v_add_nc_u32_e32 v5, 0xffffff81, v5
	v_lshrrev_b32_e32 v9, 23, v8
	s_mov_b32 s13, exec_lo
	s_delay_alu instid0(VALU_DEP_2) | instskip(NEXT) | instid1(VALU_DEP_1)
	v_cndmask_b32_e64 v5, v5, 0xffffff82, vcc_lo
	v_add3_u32 v13, v86, v5, v9
	v_and_b32_e32 v5, 0x1fffff, v12
	s_delay_alu instid0(VALU_DEP_2) | instskip(NEXT) | instid1(VALU_DEP_2)
	v_dual_mov_b32 v9, v3 :: v_dual_add_nc_u32 v12, 14, v13
	v_add_nc_u32_e32 v8, v5, v8
                                        ; implicit-def: $vgpr5
	s_delay_alu instid0(VALU_DEP_2)
	v_cmpx_ne_u32_e32 0, v12
	s_xor_b32 s13, exec_lo, s13
; %bb.15118:                            ;   in Loop: Header=BB4_12924 Depth=3
	s_delay_alu instid0(VALU_DEP_2) | instskip(SKIP_1) | instid1(VALU_DEP_1)
	v_cmp_lt_u64_e32 vcc_lo, 0xffffff, v[8:9]
	v_add_nc_u32_e32 v5, 15, v13
	v_cndmask_b32_e32 v5, v12, v5, vcc_lo
	v_cndmask_b32_e64 v12, 0, 1, vcc_lo
	s_delay_alu instid0(VALU_DEP_1)
	v_lshrrev_b64 v[8:9], v12, v[8:9]
; %bb.15119:                            ;   in Loop: Header=BB4_12924 Depth=3
	s_and_not1_saveexec_b32 s13, s13
; %bb.15120:                            ;   in Loop: Header=BB4_12924 Depth=3
	s_delay_alu instid0(VALU_DEP_1)
	v_bfe_u32 v5, v8, 23, 1
; %bb.15121:                            ;   in Loop: Header=BB4_12924 Depth=3
	s_or_b32 exec_lo, exec_lo, s13
	s_delay_alu instid0(VALU_DEP_2) | instskip(NEXT) | instid1(VALU_DEP_2)
	v_lshrrev_b64 v[8:9], 21, v[8:9]
	v_cmp_gt_i32_e32 vcc_lo, 32, v5
	v_min_i32_e32 v12, 31, v5
	v_cmp_eq_u32_e64 s13, 0, v5
	s_delay_alu instid0(VALU_DEP_4) | instskip(NEXT) | instid1(VALU_DEP_3)
	v_cndmask_b32_e32 v8, 3, v8, vcc_lo
	v_dual_cndmask_b32 v9, 0, v9 :: v_dual_lshlrev_b32 v12, 2, v12
	s_delay_alu instid0(VALU_DEP_1) | instskip(NEXT) | instid1(VALU_DEP_2)
	v_and_b32_e32 v12, 0xfc, v12
	v_cmp_eq_u64_e32 vcc_lo, 0, v[8:9]
	s_delay_alu instid0(VALU_DEP_2)
	v_and_or_b32 v5, v8, 3, v12
	s_and_b32 s13, s13, vcc_lo
	s_delay_alu instid0(VALU_DEP_1) | instid1(SALU_CYCLE_1)
	v_cndmask_b32_e64 v5, v5, 0, s13
	s_delay_alu instid0(VALU_DEP_1)
	v_or_b32_e32 v12, v5, v2
.LBB4_15122:                            ;   in Loop: Header=BB4_12924 Depth=3
	s_or_b32 exec_lo, exec_lo, s75
                                        ; implicit-def: $vgpr2
.LBB4_15123:                            ;   in Loop: Header=BB4_12924 Depth=3
	s_and_not1_saveexec_b32 s13, s74
; %bb.15124:                            ;   in Loop: Header=BB4_12924 Depth=3
	v_or_b32_e32 v12, 0x7b, v2
; %bb.15125:                            ;   in Loop: Header=BB4_12924 Depth=3
	s_or_b32 exec_lo, exec_lo, s13
                                        ; implicit-def: $vgpr5
                                        ; implicit-def: $vgpr8_vgpr9
                                        ; implicit-def: $vgpr2
.LBB4_15126:                            ;   in Loop: Header=BB4_12924 Depth=3
	s_and_not1_saveexec_b32 s13, s73
	s_cbranch_execz .LBB4_15132
; %bb.15127:                            ;   in Loop: Header=BB4_12924 Depth=3
	s_mov_b32 s73, exec_lo
                                        ; implicit-def: $vgpr12
	v_cmpx_ne_u64_e32 0, v[8:9]
	s_xor_b32 s73, exec_lo, s73
; %bb.15128:                            ;   in Loop: Header=BB4_12924 Depth=3
	v_or_b32_e32 v12, 0x7f, v2
                                        ; implicit-def: $vgpr5
; %bb.15129:                            ;   in Loop: Header=BB4_12924 Depth=3
	s_and_not1_saveexec_b32 s73, s73
; %bb.15130:                            ;   in Loop: Header=BB4_12924 Depth=3
	v_cmp_lt_i32_e32 vcc_lo, -1, v5
	v_cndmask_b32_e32 v12, 0xfc, v49, vcc_lo
; %bb.15131:                            ;   in Loop: Header=BB4_12924 Depth=3
	s_or_b32 exec_lo, exec_lo, s73
.LBB4_15132:                            ;   in Loop: Header=BB4_12924 Depth=3
	s_delay_alu instid0(SALU_CYCLE_1)
	s_or_b32 exec_lo, exec_lo, s13
	v_dual_mov_b32 v8, 0 :: v_dual_mov_b32 v9, 0
	s_mov_b32 s13, exec_lo
	v_cmpx_lt_u32_e32 0xffffff, v4
	s_cbranch_execz .LBB4_15142
; %bb.15133:                            ;   in Loop: Header=BB4_12924 Depth=3
	v_lshrrev_b32_e32 v2, 24, v4
	v_bfrev_b32_e32 v9, 1
	s_mov_b32 s73, exec_lo
	s_delay_alu instid0(VALU_DEP_2)
	v_cmpx_ne_u32_e32 0x80, v2
	s_cbranch_execz .LBB4_15141
; %bb.15134:                            ;   in Loop: Header=BB4_12924 Depth=3
	v_and_b32_e32 v5, 0x7c000000, v4
	v_bfe_u32 v13, v4, 24, 2
	s_mov_b32 s74, exec_lo
                                        ; implicit-def: $vgpr9
	s_delay_alu instid0(VALU_DEP_2)
	v_cmpx_ne_u32_e32 0x7c000000, v5
	s_xor_b32 s74, exec_lo, s74
	s_cbranch_execz .LBB4_15138
; %bb.15135:                            ;   in Loop: Header=BB4_12924 Depth=3
	v_bfe_u32 v5, v4, 26, 5
	s_mov_b32 s75, exec_lo
	s_delay_alu instid0(VALU_DEP_1)
	v_cmpx_eq_u32_e32 0, v5
; %bb.15136:                            ;   in Loop: Header=BB4_12924 Depth=3
	v_clz_i32_u32_e32 v5, v13
	s_delay_alu instid0(VALU_DEP_1) | instskip(NEXT) | instid1(VALU_DEP_1)
	v_min_u32_e32 v5, 32, v5
	v_subrev_nc_u32_e32 v9, 29, v5
	s_delay_alu instid0(VALU_DEP_1) | instskip(NEXT) | instid1(VALU_DEP_1)
	v_lshlrev_b64_e32 v[86:87], v9, v[2:3]
	v_dual_sub_nc_u32 v5, 30, v5 :: v_dual_bitop2_b32 v13, 3, v86 bitop3:0x40
; %bb.15137:                            ;   in Loop: Header=BB4_12924 Depth=3
	s_or_b32 exec_lo, exec_lo, s75
	v_and_b32_e32 v2, 0x80000000, v4
	s_delay_alu instid0(VALU_DEP_1) | instskip(NEXT) | instid1(VALU_DEP_1)
	v_lshl_add_u32 v2, v5, 23, v2
                                        ; implicit-def: $vgpr4_vgpr5
	v_lshl_or_b32 v2, v13, 21, v2
                                        ; implicit-def: $vgpr13
	s_delay_alu instid0(VALU_DEP_1)
	v_add_nc_u32_e32 v9, 0x38000000, v2
.LBB4_15138:                            ;   in Loop: Header=BB4_12924 Depth=3
	s_and_not1_saveexec_b32 s74, s74
; %bb.15139:                            ;   in Loop: Header=BB4_12924 Depth=3
	v_cmp_lt_i32_e32 vcc_lo, -1, v4
	v_cndmask_b32_e32 v2, 0xff800000, v48, vcc_lo
	v_cmp_eq_u32_e32 vcc_lo, 0, v13
	s_delay_alu instid0(VALU_DEP_2)
	v_cndmask_b32_e32 v9, 0x7f800001, v2, vcc_lo
; %bb.15140:                            ;   in Loop: Header=BB4_12924 Depth=3
	s_or_b32 exec_lo, exec_lo, s74
.LBB4_15141:                            ;   in Loop: Header=BB4_12924 Depth=3
	s_delay_alu instid0(SALU_CYCLE_1)
	s_or_b32 exec_lo, exec_lo, s73
.LBB4_15142:                            ;   in Loop: Header=BB4_12924 Depth=3
	s_delay_alu instid0(SALU_CYCLE_1) | instskip(NEXT) | instid1(SALU_CYCLE_1)
	s_or_b32 exec_lo, exec_lo, s13
	s_mov_b32 s13, exec_lo
	v_cmpx_lt_u64_e64 s[22:23], v[10:11]
	s_cbranch_execz .LBB4_15152
; %bb.15143:                            ;   in Loop: Header=BB4_12924 Depth=3
	v_lshrrev_b32_e32 v2, 24, v11
	v_bfrev_b32_e32 v8, 1
	s_mov_b32 s73, exec_lo
	s_delay_alu instid0(VALU_DEP_2)
	v_cmpx_ne_u32_e32 0x80, v2
	s_cbranch_execz .LBB4_15151
; %bb.15144:                            ;   in Loop: Header=BB4_12924 Depth=3
	v_and_b32_e32 v5, 0x7c000000, v11
	v_bfe_u32 v4, v11, 24, 2
	s_mov_b32 s74, exec_lo
                                        ; implicit-def: $vgpr8
	s_delay_alu instid0(VALU_DEP_2)
	v_cmpx_ne_u32_e32 0x7c000000, v5
	s_xor_b32 s74, exec_lo, s74
	s_cbranch_execz .LBB4_15148
; %bb.15145:                            ;   in Loop: Header=BB4_12924 Depth=3
	v_bfe_u32 v5, v11, 26, 5
	s_mov_b32 s75, exec_lo
	s_delay_alu instid0(VALU_DEP_1)
	v_cmpx_eq_u32_e32 0, v5
; %bb.15146:                            ;   in Loop: Header=BB4_12924 Depth=3
	v_clz_i32_u32_e32 v4, v4
	s_delay_alu instid0(VALU_DEP_1) | instskip(NEXT) | instid1(VALU_DEP_1)
	v_min_u32_e32 v8, 32, v4
	v_subrev_nc_u32_e32 v4, 29, v8
	s_delay_alu instid0(VALU_DEP_1) | instskip(SKIP_1) | instid1(VALU_DEP_2)
	v_lshlrev_b64_e32 v[4:5], v4, v[2:3]
	v_sub_nc_u32_e32 v5, 30, v8
	v_and_b32_e32 v4, 3, v4
; %bb.15147:                            ;   in Loop: Header=BB4_12924 Depth=3
	s_or_b32 exec_lo, exec_lo, s75
	v_and_b32_e32 v2, 0x80000000, v11
                                        ; implicit-def: $vgpr10_vgpr11
	s_delay_alu instid0(VALU_DEP_1) | instskip(NEXT) | instid1(VALU_DEP_1)
	v_lshl_add_u32 v2, v5, 23, v2
	v_lshl_or_b32 v2, v4, 21, v2
                                        ; implicit-def: $vgpr4
	s_delay_alu instid0(VALU_DEP_1)
	v_add_nc_u32_e32 v8, 0x38000000, v2
.LBB4_15148:                            ;   in Loop: Header=BB4_12924 Depth=3
	s_and_not1_saveexec_b32 s74, s74
; %bb.15149:                            ;   in Loop: Header=BB4_12924 Depth=3
	v_cmp_lt_i64_e32 vcc_lo, -1, v[10:11]
	v_cndmask_b32_e32 v2, 0xff800000, v48, vcc_lo
	v_cmp_eq_u32_e32 vcc_lo, 0, v4
	s_delay_alu instid0(VALU_DEP_2)
	v_cndmask_b32_e32 v8, 0x7f800001, v2, vcc_lo
; %bb.15150:                            ;   in Loop: Header=BB4_12924 Depth=3
	s_or_b32 exec_lo, exec_lo, s74
.LBB4_15151:                            ;   in Loop: Header=BB4_12924 Depth=3
	s_delay_alu instid0(SALU_CYCLE_1)
	s_or_b32 exec_lo, exec_lo, s73
.LBB4_15152:                            ;   in Loop: Header=BB4_12924 Depth=3
	s_delay_alu instid0(SALU_CYCLE_1) | instskip(NEXT) | instid1(VALU_DEP_1)
	s_or_b32 exec_lo, exec_lo, s13
	v_dual_add_f32 v9, v9, v8 :: v_dual_mov_b32 v11, v3
	v_mov_b32_e32 v5, v3
                                        ; implicit-def: $vgpr8
	s_mov_b32 s13, exec_lo
	s_delay_alu instid0(VALU_DEP_2) | instskip(SKIP_2) | instid1(VALU_DEP_3)
	v_and_b32_e32 v10, 0x7f800000, v9
	v_and_b32_e32 v4, 0x7fffff, v9
	v_lshrrev_b32_e32 v2, 24, v9
	v_cmpx_ne_u64_e32 0x7f800000, v[10:11]
	s_xor_b32 s73, exec_lo, s13
	s_cbranch_execz .LBB4_15166
; %bb.15153:                            ;   in Loop: Header=BB4_12924 Depth=3
	v_and_b32_e32 v10, 0x7fffffff, v9
	v_mov_b32_e32 v11, v3
	v_and_b32_e32 v2, 0x80, v2
                                        ; implicit-def: $vgpr8
	s_mov_b32 s13, exec_lo
	s_delay_alu instid0(VALU_DEP_2)
	v_cmpx_gt_u64_e32 0x47600001, v[10:11]
	s_xor_b32 s74, exec_lo, s13
	s_cbranch_execz .LBB4_15163
; %bb.15154:                            ;   in Loop: Header=BB4_12924 Depth=3
	v_mov_b32_e32 v8, 0
	s_mov_b32 s75, exec_lo
	v_cmpx_ne_u32_e32 0, v9
	s_cbranch_execz .LBB4_15162
; %bb.15155:                            ;   in Loop: Header=BB4_12924 Depth=3
	v_bfe_u32 v10, v9, 23, 8
	v_or_b32_e32 v9, 0x800000, v4
	s_delay_alu instid0(VALU_DEP_2) | instskip(SKIP_2) | instid1(VALU_DEP_2)
	v_cmp_gt_u32_e64 s13, 0x72, v10
	v_sub_nc_u32_e32 v8, 0x71, v10
	v_cmp_eq_u32_e32 vcc_lo, 0, v10
	v_cndmask_b32_e64 v8, 0, v8, s13
	s_delay_alu instid0(VALU_DEP_1) | instskip(NEXT) | instid1(VALU_DEP_1)
	v_cndmask_b32_e64 v11, v8, 0x70, vcc_lo
	v_dual_cndmask_b32 v4, v9, v4, vcc_lo :: v_dual_add_nc_u32 v8, 21, v11
	v_add_nc_u32_e32 v13, 20, v11
	s_delay_alu instid0(VALU_DEP_2) | instskip(NEXT) | instid1(VALU_DEP_2)
	v_lshlrev_b64_e64 v[8:9], v8, -1
	v_lshlrev_b64_e64 v[86:87], v13, 1
	s_delay_alu instid0(VALU_DEP_2) | instskip(SKIP_1) | instid1(VALU_DEP_4)
	v_bfi_b32 v8, v8, 0, v4
	v_lshrrev_b64 v[4:5], v11, v[4:5]
	v_bfi_b32 v9, v9, 0, 0
	s_delay_alu instid0(VALU_DEP_1) | instskip(NEXT) | instid1(VALU_DEP_3)
	v_cmp_eq_u64_e64 s13, v[8:9], v[86:87]
	v_mov_b64_e32 v[8:9], v[4:5]
	s_and_saveexec_b32 s76, s13
; %bb.15156:                            ;   in Loop: Header=BB4_12924 Depth=3
	v_bfe_u32 v8, v4, 21, 1
	v_mov_b32_e32 v9, v3
	s_delay_alu instid0(VALU_DEP_1) | instskip(NEXT) | instid1(VALU_DEP_1)
	v_add_nc_u64_e32 v[8:9], v[4:5], v[8:9]
	v_add_nc_u64_e32 v[8:9], -1, v[8:9]
; %bb.15157:                            ;   in Loop: Header=BB4_12924 Depth=3
	s_or_b32 exec_lo, exec_lo, s76
	v_add_nc_u32_e32 v5, 0xffffff81, v10
	v_lshrrev_b32_e32 v9, 23, v4
	s_mov_b32 s13, exec_lo
	s_delay_alu instid0(VALU_DEP_2) | instskip(NEXT) | instid1(VALU_DEP_1)
	v_cndmask_b32_e64 v5, v5, 0xffffff82, vcc_lo
	v_add3_u32 v9, v11, v5, v9
	v_and_b32_e32 v5, 0x1fffff, v8
                                        ; implicit-def: $vgpr8
	s_delay_alu instid0(VALU_DEP_1) | instskip(SKIP_1) | instid1(VALU_DEP_2)
	v_dual_add_nc_u32 v10, 14, v9 :: v_dual_add_nc_u32 v4, v5, v4
	v_mov_b32_e32 v5, v3
	v_cmpx_ne_u32_e32 0, v10
	s_xor_b32 s13, exec_lo, s13
; %bb.15158:                            ;   in Loop: Header=BB4_12924 Depth=3
	s_delay_alu instid0(VALU_DEP_2) | instskip(SKIP_2) | instid1(VALU_DEP_2)
	v_cmp_lt_u64_e32 vcc_lo, 0xffffff, v[4:5]
	v_add_nc_u32_e32 v8, 15, v9
	v_cndmask_b32_e64 v9, 0, 1, vcc_lo
	v_cndmask_b32_e32 v8, v10, v8, vcc_lo
	s_delay_alu instid0(VALU_DEP_2)
	v_lshrrev_b64 v[4:5], v9, v[4:5]
; %bb.15159:                            ;   in Loop: Header=BB4_12924 Depth=3
	s_and_not1_saveexec_b32 s13, s13
; %bb.15160:                            ;   in Loop: Header=BB4_12924 Depth=3
	s_delay_alu instid0(VALU_DEP_1)
	v_bfe_u32 v8, v4, 23, 1
; %bb.15161:                            ;   in Loop: Header=BB4_12924 Depth=3
	s_or_b32 exec_lo, exec_lo, s13
	s_delay_alu instid0(VALU_DEP_2) | instskip(NEXT) | instid1(VALU_DEP_2)
	v_lshrrev_b64 v[4:5], 21, v[4:5]
	v_cmp_gt_i32_e32 vcc_lo, 32, v8
	v_min_i32_e32 v9, 31, v8
	v_cmp_eq_u32_e64 s13, 0, v8
	s_delay_alu instid0(VALU_DEP_4) | instskip(NEXT) | instid1(VALU_DEP_3)
	v_cndmask_b32_e32 v5, 0, v5, vcc_lo
	v_dual_cndmask_b32 v4, 3, v4 :: v_dual_lshlrev_b32 v9, 2, v9
	s_delay_alu instid0(VALU_DEP_1) | instskip(NEXT) | instid1(VALU_DEP_2)
	v_and_b32_e32 v9, 0xfc, v9
	v_cmp_eq_u64_e32 vcc_lo, 0, v[4:5]
	s_delay_alu instid0(VALU_DEP_2)
	v_and_or_b32 v4, v4, 3, v9
	s_and_b32 s13, s13, vcc_lo
	s_delay_alu instid0(VALU_DEP_1) | instid1(SALU_CYCLE_1)
	v_cndmask_b32_e64 v4, v4, 0, s13
	s_delay_alu instid0(VALU_DEP_1)
	v_or_b32_e32 v8, v4, v2
.LBB4_15162:                            ;   in Loop: Header=BB4_12924 Depth=3
	s_or_b32 exec_lo, exec_lo, s75
                                        ; implicit-def: $vgpr2
.LBB4_15163:                            ;   in Loop: Header=BB4_12924 Depth=3
	s_and_not1_saveexec_b32 s13, s74
; %bb.15164:                            ;   in Loop: Header=BB4_12924 Depth=3
	v_or_b32_e32 v8, 0x7b, v2
; %bb.15165:                            ;   in Loop: Header=BB4_12924 Depth=3
	s_or_b32 exec_lo, exec_lo, s13
                                        ; implicit-def: $vgpr9
                                        ; implicit-def: $vgpr4_vgpr5
                                        ; implicit-def: $vgpr2
.LBB4_15166:                            ;   in Loop: Header=BB4_12924 Depth=3
	s_and_not1_saveexec_b32 s13, s73
	s_cbranch_execz .LBB4_12923
; %bb.15167:                            ;   in Loop: Header=BB4_12924 Depth=3
	s_mov_b32 s73, exec_lo
                                        ; implicit-def: $vgpr8
	v_cmpx_ne_u64_e32 0, v[4:5]
	s_xor_b32 s73, exec_lo, s73
; %bb.15168:                            ;   in Loop: Header=BB4_12924 Depth=3
	v_or_b32_e32 v8, 0x7f, v2
                                        ; implicit-def: $vgpr9
; %bb.15169:                            ;   in Loop: Header=BB4_12924 Depth=3
	s_and_not1_saveexec_b32 s73, s73
	s_cbranch_execz .LBB4_12922
; %bb.15170:                            ;   in Loop: Header=BB4_12924 Depth=3
	v_cmp_lt_i32_e32 vcc_lo, -1, v9
	v_cndmask_b32_e32 v8, 0xfc, v49, vcc_lo
	s_branch .LBB4_12922
.LBB4_15171:                            ;   in Loop: Header=BB4_8155 Depth=2
	s_or_b32 exec_lo, exec_lo, s15
	v_mov_b32_e32 v47, v77
.LBB4_15172:                            ;   in Loop: Header=BB4_8155 Depth=2
	s_or_b32 exec_lo, exec_lo, s14
	v_dual_lshlrev_b32 v30, 10, v21 :: v_dual_mov_b32 v2, 0
	s_mov_b32 s13, 0
	s_mov_b32 s15, exec_lo
                                        ; implicit-def: $vgpr66
                                        ; implicit-def: $vgpr67
	s_delay_alu instid0(VALU_DEP_1)
	v_cmpx_ne_u32_e64 v47, v30
	s_cbranch_execz .LBB4_16242
; %bb.15173:                            ;   in Loop: Header=BB4_8155 Depth=2
	v_dual_lshlrev_b32 v2, 5, v20 :: v_dual_sub_nc_u32 v5, v47, v30
	v_and_b32_e32 v4, 31, v0
	s_mov_b32 s42, exec_lo
	s_delay_alu instid0(VALU_DEP_1) | instskip(NEXT) | instid1(VALU_DEP_1)
	v_dual_ashrrev_i32 v8, 31, v5 :: v_dual_sub_nc_u32 v2, v4, v2
	v_dual_lshrrev_b32 v8, 23, v8 :: v_dual_ashrrev_i32 v4, 31, v2
	s_delay_alu instid0(VALU_DEP_1) | instskip(NEXT) | instid1(VALU_DEP_1)
	v_lshrrev_b32_e32 v4, 27, v4
	v_add_nc_u32_e32 v4, v2, v4
	s_delay_alu instid0(VALU_DEP_1) | instskip(NEXT) | instid1(VALU_DEP_1)
	v_and_b32_e32 v9, 0xffffffe0, v4
	v_dual_sub_nc_u32 v31, v2, v9 :: v_dual_add_nc_u32 v8, v5, v8
	s_delay_alu instid0(VALU_DEP_1) | instskip(NEXT) | instid1(VALU_DEP_2)
	v_lshlrev_b32_e32 v2, 4, v31
	v_and_b32_e32 v50, 0xfffffe00, v8
	s_delay_alu instid0(VALU_DEP_1) | instskip(NEXT) | instid1(VALU_DEP_1)
	v_dual_ashrrev_i32 v4, 5, v4 :: v_dual_sub_nc_u32 v51, v5, v50
	v_lshl_add_u32 v2, v4, 9, v2
	v_ashrrev_i32_e32 v8, 9, v8
	s_delay_alu instid0(VALU_DEP_3) | instskip(NEXT) | instid1(VALU_DEP_3)
	v_cmp_lt_i32_e64 s13, 15, v51
	v_sub_nc_u32_e32 v65, v5, v2
	s_delay_alu instid0(VALU_DEP_2) | instskip(NEXT) | instid1(VALU_DEP_1)
	v_add_co_ci_u32_e64 v8, null, 0, v8, s13
	v_sub_nc_u32_e32 v64, v8, v4
	s_delay_alu instid0(VALU_DEP_3)
	v_cmpx_lt_i32_e32 15, v65
	s_cbranch_execz .LBB4_16241
; %bb.15174:                            ;   in Loop: Header=BB4_8155 Depth=2
	s_trap 2
	scratch_load_b64 v[10:11], off, s33 offset:220 ; 8-byte Folded Reload
	v_add_nc_u32_e32 v8, v2, v30
	ds_load_b64 v[4:5], v0
	v_ashrrev_i32_e32 v9, 31, v8
	s_wait_dscnt 0x0
	v_readfirstlane_b32 s74, v4
	v_readfirstlane_b32 s75, v5
	s_delay_alu instid0(VALU_DEP_3)
	v_add_nc_u64_e32 v[42:43], v[4:5], v[8:9]
	s_and_b32 s43, s74, 3
	s_bfe_i32 s14, s74, 0x80000
	s_clz_i32_u32 s77, s43
	s_bfe_u32 s73, s74, 0x50002
	s_min_u32 s77, s77, 32
	s_and_b32 s76, s74, 0x7c
	s_sub_co_i32 s88, s77, 29
	s_lshl_b32 s78, s74, 24
	s_sext_i32_i8 s79, s74
	s_lshl_b64 s[74:75], s[74:75], s88
	s_and_b32 s78, s78, 0x80000000
	s_sub_co_i32 s75, 30, s77
	s_and_b32 s74, s74, 3
	s_cmp_gt_i32 s79, -1
	s_cselect_b32 s77, s47, 0xff800000
	s_cmp_eq_u32 s43, 0
	s_cselect_b32 s77, s77, 0x7f800001
	s_cmp_eq_u32 s73, 0
	s_cselect_b32 s73, s75, s73
	s_cselect_b32 s43, s74, s43
	s_lshl_b32 s73, s73, 23
	s_lshl_b32 s43, s43, 21
	s_add_co_i32 s73, s73, s78
	s_delay_alu instid0(SALU_CYCLE_1) | instskip(NEXT) | instid1(SALU_CYCLE_1)
	s_or_b32 s43, s73, s43
	s_add_co_i32 s73, s43, 0x38000000
	s_cmp_eq_u32 s76, 0x7c
	s_mov_b32 s43, 0
	s_cselect_b32 s73, s77, s73
	s_and_b32 s74, s14, 0xff
	s_wait_loadcnt 0x0
	v_add_nc_u64_e32 v[12:13], v[8:9], v[10:11]
	scratch_load_b64 v[10:11], off, s33 offset:228 ; 8-byte Folded Reload
	s_wait_loadcnt 0x0
	v_add_nc_u64_e32 v[14:15], v[8:9], v[10:11]
	s_branch .LBB4_15177
.LBB4_15175:                            ;   in Loop: Header=BB4_15177 Depth=3
	s_or_b32 exec_lo, exec_lo, s75
.LBB4_15176:                            ;   in Loop: Header=BB4_15177 Depth=3
	s_delay_alu instid0(SALU_CYCLE_1)
	s_or_b32 exec_lo, exec_lo, s14
	v_lshl_or_b32 v2, v21, 8, v20
	v_dual_lshlrev_b32 v4, 16, v40 :: v_dual_lshlrev_b32 v11, 16, v113
	v_dual_lshlrev_b32 v5, 24, v44 :: v_dual_lshlrev_b32 v17, 24, v117
	v_lshl_or_b32 v10, v100, 8, v66
	v_lshl_or_b32 v20, v116, 8, v101
	v_dual_lshlrev_b32 v21, 16, v119 :: v_dual_lshlrev_b32 v66, 24, v41
	v_dual_lshlrev_b32 v67, 24, v8 :: v_dual_sub_nc_u32 v65, v65, v54
	v_lshlrev_b32_e32 v16, 16, v16
	v_lshl_or_b32 v18, v19, 8, v18
	v_or3_b32 v9, v2, v4, v5
	v_or3_b32 v8, v10, v11, v17
	v_or3_b32 v10, v20, v21, v66
	v_add_nc_u64_e32 v[12:13], v[12:13], v[54:55]
	v_or3_b32 v11, v18, v16, v67
	v_add_nc_u64_e32 v[42:43], v[42:43], v[54:55]
	v_cmp_gt_i32_e32 vcc_lo, 16, v65
	v_sub_nc_u32_e32 v64, v64, v36
	global_store_b128 v[14:15], v[8:11], off th:TH_STORE_NT
	s_wait_xcnt 0x0
	v_add_nc_u64_e32 v[14:15], v[14:15], v[54:55]
	s_or_b32 s43, vcc_lo, s43
	s_delay_alu instid0(SALU_CYCLE_1)
	s_and_not1_b32 exec_lo, exec_lo, s43
	s_cbranch_execz .LBB4_16240
.LBB4_15177:                            ;   Parent Loop BB4_47 Depth=1
                                        ;     Parent Loop BB4_8155 Depth=2
                                        ; =>    This Inner Loop Header: Depth=3
	s_cmp_lt_i32 s74, 0x80
	s_cbranch_scc1 .LBB4_15181
; %bb.15178:                            ;   in Loop: Header=BB4_15177 Depth=3
	s_and_b32 s14, 0xffff, s74
	s_delay_alu instid0(SALU_CYCLE_1)
	s_cmp_eq_u32 s14, 0x80
	s_mov_b32 s14, -1
	s_cbranch_scc0 .LBB4_15180
; %bb.15179:                            ;   in Loop: Header=BB4_15177 Depth=3
	s_mov_b32 s14, 0
.LBB4_15180:                            ;   in Loop: Header=BB4_15177 Depth=3
	s_brev_b32 s75, 1
	s_branch .LBB4_15183
.LBB4_15181:                            ;   in Loop: Header=BB4_15177 Depth=3
	s_mov_b32 s14, 0
	s_brev_b32 s75, 1
	s_cbranch_execz .LBB4_15183
; %bb.15182:                            ;   in Loop: Header=BB4_15177 Depth=3
	s_and_b32 s14, 0xffff, s74
	s_mov_b32 s75, 0
	s_cmp_lg_u32 s14, 0
	s_cselect_b32 s14, -1, 0
.LBB4_15183:                            ;   in Loop: Header=BB4_15177 Depth=3
	s_delay_alu instid0(SALU_CYCLE_1)
	s_and_not1_b32 vcc_lo, exec_lo, s14
	s_cbranch_vccnz .LBB4_15185
; %bb.15184:                            ;   in Loop: Header=BB4_15177 Depth=3
	s_mov_b32 s75, s73
.LBB4_15185:                            ;   in Loop: Header=BB4_15177 Depth=3
	global_load_b128 v[8:11], v[12:13], off th:TH_LOAD_NT
	s_wait_loadcnt 0x0
	v_and_b32_e32 v2, 0xff, v8
	s_delay_alu instid0(VALU_DEP_1)
	v_cmp_ne_u16_e32 vcc_lo, 0, v2
	v_mov_b32_e32 v2, 0
	s_wait_xcnt 0x0
	s_and_saveexec_b32 s14, vcc_lo
	s_cbranch_execz .LBB4_15195
; %bb.15186:                            ;   in Loop: Header=BB4_15177 Depth=3
	v_bfe_i32 v5, v8, 0, 8
	v_bfrev_b32_e32 v2, 1
	s_mov_b32 s76, exec_lo
	s_delay_alu instid0(VALU_DEP_2)
	v_cmpx_ne_u16_e32 0xff80, v5
	s_cbranch_execz .LBB4_15194
; %bb.15187:                            ;   in Loop: Header=BB4_15177 Depth=3
	v_and_b32_e32 v2, 0x7c, v8
	v_and_b32_e32 v4, 3, v8
	s_delay_alu instid0(VALU_DEP_2) | instskip(SKIP_1) | instid1(SALU_CYCLE_1)
	v_cmp_ne_u32_e32 vcc_lo, 0x7c, v2
                                        ; implicit-def: $vgpr2
	s_and_saveexec_b32 s77, vcc_lo
	s_xor_b32 s77, exec_lo, s77
	s_cbranch_execz .LBB4_15191
; %bb.15188:                            ;   in Loop: Header=BB4_15177 Depth=3
	v_bfe_u32 v2, v8, 2, 5
	s_mov_b32 s78, exec_lo
	s_delay_alu instid0(VALU_DEP_1)
	v_cmpx_eq_u32_e32 0, v2
; %bb.15189:                            ;   in Loop: Header=BB4_15177 Depth=3
	v_clz_i32_u32_e32 v2, v4
	s_delay_alu instid0(VALU_DEP_1) | instskip(NEXT) | instid1(VALU_DEP_1)
	v_min_u32_e32 v2, 32, v2
	v_subrev_nc_u32_e32 v4, 29, v2
	s_delay_alu instid0(VALU_DEP_1) | instskip(NEXT) | instid1(VALU_DEP_1)
	v_lshlrev_b64_e32 v[4:5], v4, v[8:9]
	v_dual_sub_nc_u32 v2, 30, v2 :: v_dual_bitop2_b32 v4, 3, v4 bitop3:0x40
; %bb.15190:                            ;   in Loop: Header=BB4_15177 Depth=3
	s_or_b32 exec_lo, exec_lo, s78
	v_lshlrev_b32_e32 v5, 24, v8
	s_delay_alu instid0(VALU_DEP_1) | instskip(NEXT) | instid1(VALU_DEP_1)
	v_and_b32_e32 v5, 0x80000000, v5
	v_lshl_add_u32 v2, v2, 23, v5
                                        ; implicit-def: $vgpr5
	s_delay_alu instid0(VALU_DEP_1) | instskip(NEXT) | instid1(VALU_DEP_1)
	v_lshl_or_b32 v2, v4, 21, v2
                                        ; implicit-def: $vgpr4
	v_add_nc_u32_e32 v2, 0x38000000, v2
.LBB4_15191:                            ;   in Loop: Header=BB4_15177 Depth=3
	s_and_not1_saveexec_b32 s77, s77
; %bb.15192:                            ;   in Loop: Header=BB4_15177 Depth=3
	v_cmp_lt_i16_e32 vcc_lo, -1, v5
	v_cndmask_b32_e32 v2, 0xff800000, v48, vcc_lo
	v_cmp_eq_u32_e32 vcc_lo, 0, v4
	s_delay_alu instid0(VALU_DEP_2)
	v_cndmask_b32_e32 v2, 0x7f800001, v2, vcc_lo
; %bb.15193:                            ;   in Loop: Header=BB4_15177 Depth=3
	s_or_b32 exec_lo, exec_lo, s77
.LBB4_15194:                            ;   in Loop: Header=BB4_15177 Depth=3
	s_delay_alu instid0(SALU_CYCLE_1)
	s_or_b32 exec_lo, exec_lo, s76
.LBB4_15195:                            ;   in Loop: Header=BB4_15177 Depth=3
	s_delay_alu instid0(SALU_CYCLE_1) | instskip(NEXT) | instid1(VALU_DEP_1)
	s_or_b32 exec_lo, exec_lo, s14
	v_dual_mul_f32 v16, s75, v2 :: v_dual_mov_b32 v19, v3
	v_mov_b32_e32 v5, v3
                                        ; implicit-def: $vgpr21
	s_mov_b32 s14, exec_lo
	s_delay_alu instid0(VALU_DEP_2) | instskip(SKIP_2) | instid1(VALU_DEP_3)
	v_and_b32_e32 v18, 0x7f800000, v16
	v_and_b32_e32 v4, 0x7fffff, v16
	v_lshrrev_b32_e32 v2, 24, v16
	v_cmpx_ne_u64_e32 0x7f800000, v[18:19]
	s_xor_b32 s76, exec_lo, s14
	s_cbranch_execz .LBB4_15209
; %bb.15196:                            ;   in Loop: Header=BB4_15177 Depth=3
	v_and_b32_e32 v18, 0x7fffffff, v16
	v_mov_b32_e32 v19, v3
	v_and_b32_e32 v2, 0x80, v2
                                        ; implicit-def: $vgpr21
	s_mov_b32 s14, exec_lo
	s_delay_alu instid0(VALU_DEP_2)
	v_cmpx_gt_u64_e32 0x47600001, v[18:19]
	s_xor_b32 s77, exec_lo, s14
	s_cbranch_execz .LBB4_15206
; %bb.15197:                            ;   in Loop: Header=BB4_15177 Depth=3
	v_mov_b32_e32 v21, 0
	s_mov_b32 s78, exec_lo
	v_cmpx_ne_u32_e32 0, v16
	s_cbranch_execz .LBB4_15205
; %bb.15198:                            ;   in Loop: Header=BB4_15177 Depth=3
	v_bfe_u32 v18, v16, 23, 8
	v_or_b32_e32 v20, 0x800000, v4
	s_delay_alu instid0(VALU_DEP_2) | instskip(SKIP_1) | instid1(VALU_DEP_2)
	v_sub_nc_u32_e32 v16, 0x71, v18
	v_cmp_gt_u32_e32 vcc_lo, 0x72, v18
	v_cndmask_b32_e32 v16, 0, v16, vcc_lo
	v_cmp_eq_u32_e32 vcc_lo, 0, v18
	s_delay_alu instid0(VALU_DEP_2) | instskip(NEXT) | instid1(VALU_DEP_1)
	v_cndmask_b32_e64 v19, v16, 0x70, vcc_lo
	v_dual_cndmask_b32 v4, v20, v4, vcc_lo :: v_dual_add_nc_u32 v16, 21, v19
	v_add_nc_u32_e32 v21, 20, v19
	s_delay_alu instid0(VALU_DEP_2) | instskip(NEXT) | instid1(VALU_DEP_2)
	v_lshlrev_b64_e64 v[16:17], v16, -1
	v_lshlrev_b64_e64 v[20:21], v21, 1
	s_delay_alu instid0(VALU_DEP_2) | instskip(SKIP_1) | instid1(VALU_DEP_4)
	v_bfi_b32 v16, v16, 0, v4
	v_lshrrev_b64 v[4:5], v19, v[4:5]
	v_bfi_b32 v17, v17, 0, 0
	s_delay_alu instid0(VALU_DEP_1) | instskip(NEXT) | instid1(VALU_DEP_3)
	v_cmp_eq_u64_e64 s14, v[16:17], v[20:21]
	v_mov_b64_e32 v[16:17], v[4:5]
	s_and_saveexec_b32 s79, s14
; %bb.15199:                            ;   in Loop: Header=BB4_15177 Depth=3
	v_bfe_u32 v16, v4, 21, 1
	v_mov_b32_e32 v17, v3
	s_delay_alu instid0(VALU_DEP_1) | instskip(NEXT) | instid1(VALU_DEP_1)
	v_add_nc_u64_e32 v[16:17], v[4:5], v[16:17]
	v_add_nc_u64_e32 v[16:17], -1, v[16:17]
; %bb.15200:                            ;   in Loop: Header=BB4_15177 Depth=3
	s_or_b32 exec_lo, exec_lo, s79
	v_add_nc_u32_e32 v5, 0xffffff81, v18
	v_lshrrev_b32_e32 v17, 23, v4
	s_mov_b32 s14, exec_lo
	s_delay_alu instid0(VALU_DEP_2) | instskip(NEXT) | instid1(VALU_DEP_1)
	v_cndmask_b32_e64 v5, v5, 0xffffff82, vcc_lo
	v_add3_u32 v17, v19, v5, v17
	v_and_b32_e32 v5, 0x1fffff, v16
                                        ; implicit-def: $vgpr16
	s_delay_alu instid0(VALU_DEP_1) | instskip(SKIP_1) | instid1(VALU_DEP_2)
	v_dual_add_nc_u32 v18, 14, v17 :: v_dual_add_nc_u32 v4, v5, v4
	v_mov_b32_e32 v5, v3
	v_cmpx_ne_u32_e32 0, v18
	s_xor_b32 s14, exec_lo, s14
; %bb.15201:                            ;   in Loop: Header=BB4_15177 Depth=3
	s_delay_alu instid0(VALU_DEP_2) | instskip(SKIP_2) | instid1(VALU_DEP_2)
	v_cmp_lt_u64_e32 vcc_lo, 0xffffff, v[4:5]
	v_add_nc_u32_e32 v16, 15, v17
	v_cndmask_b32_e64 v17, 0, 1, vcc_lo
	v_cndmask_b32_e32 v16, v18, v16, vcc_lo
	s_delay_alu instid0(VALU_DEP_2)
	v_lshrrev_b64 v[4:5], v17, v[4:5]
; %bb.15202:                            ;   in Loop: Header=BB4_15177 Depth=3
	s_and_not1_saveexec_b32 s14, s14
; %bb.15203:                            ;   in Loop: Header=BB4_15177 Depth=3
	s_delay_alu instid0(VALU_DEP_1)
	v_bfe_u32 v16, v4, 23, 1
; %bb.15204:                            ;   in Loop: Header=BB4_15177 Depth=3
	s_or_b32 exec_lo, exec_lo, s14
	s_delay_alu instid0(VALU_DEP_2) | instskip(NEXT) | instid1(VALU_DEP_2)
	v_lshrrev_b64 v[4:5], 21, v[4:5]
	v_cmp_gt_i32_e32 vcc_lo, 32, v16
	v_min_i32_e32 v17, 31, v16
	v_cmp_eq_u32_e64 s14, 0, v16
	s_delay_alu instid0(VALU_DEP_4) | instskip(NEXT) | instid1(VALU_DEP_3)
	v_cndmask_b32_e32 v5, 0, v5, vcc_lo
	v_dual_cndmask_b32 v4, 3, v4 :: v_dual_lshlrev_b32 v17, 2, v17
	s_delay_alu instid0(VALU_DEP_1) | instskip(NEXT) | instid1(VALU_DEP_2)
	v_and_b32_e32 v17, 0xfc, v17
	v_cmp_eq_u64_e32 vcc_lo, 0, v[4:5]
	s_delay_alu instid0(VALU_DEP_2)
	v_and_or_b32 v4, v4, 3, v17
	s_and_b32 s14, s14, vcc_lo
	s_delay_alu instid0(VALU_DEP_1) | instid1(SALU_CYCLE_1)
	v_cndmask_b32_e64 v4, v4, 0, s14
	s_delay_alu instid0(VALU_DEP_1)
	v_or_b32_e32 v21, v4, v2
.LBB4_15205:                            ;   in Loop: Header=BB4_15177 Depth=3
	s_or_b32 exec_lo, exec_lo, s78
                                        ; implicit-def: $vgpr2
.LBB4_15206:                            ;   in Loop: Header=BB4_15177 Depth=3
	s_and_not1_saveexec_b32 s14, s77
; %bb.15207:                            ;   in Loop: Header=BB4_15177 Depth=3
	v_or_b32_e32 v21, 0x7b, v2
; %bb.15208:                            ;   in Loop: Header=BB4_15177 Depth=3
	s_or_b32 exec_lo, exec_lo, s14
                                        ; implicit-def: $vgpr16
                                        ; implicit-def: $vgpr4_vgpr5
                                        ; implicit-def: $vgpr2
.LBB4_15209:                            ;   in Loop: Header=BB4_15177 Depth=3
	s_and_not1_saveexec_b32 s14, s76
	s_cbranch_execz .LBB4_15215
; %bb.15210:                            ;   in Loop: Header=BB4_15177 Depth=3
	s_mov_b32 s76, exec_lo
                                        ; implicit-def: $vgpr21
	v_cmpx_ne_u64_e32 0, v[4:5]
	s_xor_b32 s76, exec_lo, s76
; %bb.15211:                            ;   in Loop: Header=BB4_15177 Depth=3
	v_or_b32_e32 v21, 0x7f, v2
                                        ; implicit-def: $vgpr16
; %bb.15212:                            ;   in Loop: Header=BB4_15177 Depth=3
	s_and_not1_saveexec_b32 s76, s76
; %bb.15213:                            ;   in Loop: Header=BB4_15177 Depth=3
	v_cmp_lt_i32_e32 vcc_lo, -1, v16
	v_cndmask_b32_e32 v21, 0xfc, v49, vcc_lo
; %bb.15214:                            ;   in Loop: Header=BB4_15177 Depth=3
	s_or_b32 exec_lo, exec_lo, s76
.LBB4_15215:                            ;   in Loop: Header=BB4_15177 Depth=3
	s_delay_alu instid0(SALU_CYCLE_1) | instskip(SKIP_3) | instid1(VALU_DEP_2)
	s_or_b32 exec_lo, exec_lo, s14
	v_lshrrev_b16 v4, 8, v8
	v_mov_b32_e32 v5, 0
	s_mov_b32 s14, exec_lo
	v_cmpx_ne_u16_e32 0, v4
	s_cbranch_execz .LBB4_15225
; %bb.15216:                            ;   in Loop: Header=BB4_15177 Depth=3
	v_bfrev_b32_e32 v5, 1
	s_mov_b32 s76, exec_lo
	v_cmpx_ne_u16_e32 0x80, v4
	s_cbranch_execz .LBB4_15224
; %bb.15217:                            ;   in Loop: Header=BB4_15177 Depth=3
	v_and_b32_e32 v16, 0xffff, v4
	s_delay_alu instid0(VALU_DEP_1) | instskip(SKIP_1) | instid1(VALU_DEP_2)
	v_and_b32_e32 v5, 0x7c, v16
	v_and_b32_e32 v2, 3, v16
	v_cmp_ne_u32_e32 vcc_lo, 0x7c, v5
                                        ; implicit-def: $vgpr5
	s_and_saveexec_b32 s77, vcc_lo
	s_delay_alu instid0(SALU_CYCLE_1)
	s_xor_b32 s77, exec_lo, s77
	s_cbranch_execz .LBB4_15221
; %bb.15218:                            ;   in Loop: Header=BB4_15177 Depth=3
	v_bfe_u32 v5, v16, 2, 5
	s_mov_b32 s78, exec_lo
	s_delay_alu instid0(VALU_DEP_1)
	v_cmpx_eq_u32_e32 0, v5
; %bb.15219:                            ;   in Loop: Header=BB4_15177 Depth=3
	v_clz_i32_u32_e32 v2, v2
	v_mov_b32_e32 v5, v3
	s_delay_alu instid0(VALU_DEP_2) | instskip(NEXT) | instid1(VALU_DEP_1)
	v_min_u32_e32 v2, 32, v2
	v_subrev_nc_u32_e32 v16, 29, v2
	s_delay_alu instid0(VALU_DEP_1) | instskip(NEXT) | instid1(VALU_DEP_1)
	v_lshlrev_b64_e32 v[4:5], v16, v[4:5]
	v_dual_sub_nc_u32 v5, 30, v2 :: v_dual_bitop2_b32 v2, 3, v4 bitop3:0x40
; %bb.15220:                            ;   in Loop: Header=BB4_15177 Depth=3
	s_or_b32 exec_lo, exec_lo, s78
	v_lshlrev_b32_e32 v4, 16, v8
	s_delay_alu instid0(VALU_DEP_1) | instskip(NEXT) | instid1(VALU_DEP_1)
	v_and_b32_e32 v4, 0x80000000, v4
	v_lshl_add_u32 v4, v5, 23, v4
	s_delay_alu instid0(VALU_DEP_1) | instskip(NEXT) | instid1(VALU_DEP_1)
	v_lshl_or_b32 v2, v2, 21, v4
	v_add_nc_u32_e32 v5, 0x38000000, v2
                                        ; implicit-def: $vgpr2
.LBB4_15221:                            ;   in Loop: Header=BB4_15177 Depth=3
	s_and_not1_saveexec_b32 s77, s77
; %bb.15222:                            ;   in Loop: Header=BB4_15177 Depth=3
	v_cmp_lt_i16_e32 vcc_lo, -1, v8
	v_cndmask_b32_e32 v4, 0xff800000, v48, vcc_lo
	v_cmp_eq_u32_e32 vcc_lo, 0, v2
	s_delay_alu instid0(VALU_DEP_2)
	v_cndmask_b32_e32 v5, 0x7f800001, v4, vcc_lo
; %bb.15223:                            ;   in Loop: Header=BB4_15177 Depth=3
	s_or_b32 exec_lo, exec_lo, s77
.LBB4_15224:                            ;   in Loop: Header=BB4_15177 Depth=3
	s_delay_alu instid0(SALU_CYCLE_1)
	s_or_b32 exec_lo, exec_lo, s76
.LBB4_15225:                            ;   in Loop: Header=BB4_15177 Depth=3
	s_delay_alu instid0(SALU_CYCLE_1) | instskip(NEXT) | instid1(VALU_DEP_1)
	s_or_b32 exec_lo, exec_lo, s14
	v_dual_mul_f32 v16, s75, v5 :: v_dual_mov_b32 v19, v3
	v_mov_b32_e32 v5, v3
                                        ; implicit-def: $vgpr66
	s_mov_b32 s14, exec_lo
	s_delay_alu instid0(VALU_DEP_2) | instskip(SKIP_2) | instid1(VALU_DEP_3)
	v_and_b32_e32 v18, 0x7f800000, v16
	v_and_b32_e32 v4, 0x7fffff, v16
	v_lshrrev_b32_e32 v2, 24, v16
	v_cmpx_ne_u64_e32 0x7f800000, v[18:19]
	s_xor_b32 s76, exec_lo, s14
	s_cbranch_execz .LBB4_15239
; %bb.15226:                            ;   in Loop: Header=BB4_15177 Depth=3
	v_and_b32_e32 v18, 0x7fffffff, v16
	v_mov_b32_e32 v19, v3
	v_and_b32_e32 v2, 0x80, v2
                                        ; implicit-def: $vgpr66
	s_mov_b32 s14, exec_lo
	s_delay_alu instid0(VALU_DEP_2)
	v_cmpx_gt_u64_e32 0x47600001, v[18:19]
	s_xor_b32 s77, exec_lo, s14
	s_cbranch_execz .LBB4_15236
; %bb.15227:                            ;   in Loop: Header=BB4_15177 Depth=3
	v_mov_b32_e32 v66, 0
	s_mov_b32 s78, exec_lo
	v_cmpx_ne_u32_e32 0, v16
	s_cbranch_execz .LBB4_15235
; %bb.15228:                            ;   in Loop: Header=BB4_15177 Depth=3
	v_bfe_u32 v18, v16, 23, 8
	v_or_b32_e32 v20, 0x800000, v4
	s_delay_alu instid0(VALU_DEP_2) | instskip(SKIP_1) | instid1(VALU_DEP_2)
	v_sub_nc_u32_e32 v16, 0x71, v18
	v_cmp_gt_u32_e32 vcc_lo, 0x72, v18
	v_cndmask_b32_e32 v16, 0, v16, vcc_lo
	v_cmp_eq_u32_e32 vcc_lo, 0, v18
	s_delay_alu instid0(VALU_DEP_2) | instskip(NEXT) | instid1(VALU_DEP_1)
	v_cndmask_b32_e64 v19, v16, 0x70, vcc_lo
	v_dual_cndmask_b32 v4, v20, v4, vcc_lo :: v_dual_add_nc_u32 v16, 21, v19
	v_add_nc_u32_e32 v66, 20, v19
	s_delay_alu instid0(VALU_DEP_2) | instskip(NEXT) | instid1(VALU_DEP_2)
	v_lshlrev_b64_e64 v[16:17], v16, -1
	v_lshlrev_b64_e64 v[66:67], v66, 1
	s_delay_alu instid0(VALU_DEP_2) | instskip(SKIP_1) | instid1(VALU_DEP_4)
	v_bfi_b32 v16, v16, 0, v4
	v_lshrrev_b64 v[4:5], v19, v[4:5]
	v_bfi_b32 v17, v17, 0, 0
	s_delay_alu instid0(VALU_DEP_1) | instskip(NEXT) | instid1(VALU_DEP_3)
	v_cmp_eq_u64_e64 s14, v[16:17], v[66:67]
	v_mov_b64_e32 v[16:17], v[4:5]
	s_and_saveexec_b32 s79, s14
; %bb.15229:                            ;   in Loop: Header=BB4_15177 Depth=3
	v_bfe_u32 v16, v4, 21, 1
	v_mov_b32_e32 v17, v3
	s_delay_alu instid0(VALU_DEP_1) | instskip(NEXT) | instid1(VALU_DEP_1)
	v_add_nc_u64_e32 v[16:17], v[4:5], v[16:17]
	v_add_nc_u64_e32 v[16:17], -1, v[16:17]
; %bb.15230:                            ;   in Loop: Header=BB4_15177 Depth=3
	s_or_b32 exec_lo, exec_lo, s79
	v_add_nc_u32_e32 v5, 0xffffff81, v18
	v_lshrrev_b32_e32 v17, 23, v4
	s_mov_b32 s14, exec_lo
	s_delay_alu instid0(VALU_DEP_2) | instskip(NEXT) | instid1(VALU_DEP_1)
	v_cndmask_b32_e64 v5, v5, 0xffffff82, vcc_lo
	v_add3_u32 v17, v19, v5, v17
	v_and_b32_e32 v5, 0x1fffff, v16
                                        ; implicit-def: $vgpr16
	s_delay_alu instid0(VALU_DEP_1) | instskip(SKIP_1) | instid1(VALU_DEP_2)
	v_dual_add_nc_u32 v18, 14, v17 :: v_dual_add_nc_u32 v4, v5, v4
	v_mov_b32_e32 v5, v3
	v_cmpx_ne_u32_e32 0, v18
	s_xor_b32 s14, exec_lo, s14
; %bb.15231:                            ;   in Loop: Header=BB4_15177 Depth=3
	s_delay_alu instid0(VALU_DEP_2) | instskip(SKIP_2) | instid1(VALU_DEP_2)
	v_cmp_lt_u64_e32 vcc_lo, 0xffffff, v[4:5]
	v_add_nc_u32_e32 v16, 15, v17
	v_cndmask_b32_e64 v17, 0, 1, vcc_lo
	v_cndmask_b32_e32 v16, v18, v16, vcc_lo
	s_delay_alu instid0(VALU_DEP_2)
	v_lshrrev_b64 v[4:5], v17, v[4:5]
; %bb.15232:                            ;   in Loop: Header=BB4_15177 Depth=3
	s_and_not1_saveexec_b32 s14, s14
; %bb.15233:                            ;   in Loop: Header=BB4_15177 Depth=3
	s_delay_alu instid0(VALU_DEP_1)
	v_bfe_u32 v16, v4, 23, 1
; %bb.15234:                            ;   in Loop: Header=BB4_15177 Depth=3
	s_or_b32 exec_lo, exec_lo, s14
	s_delay_alu instid0(VALU_DEP_2) | instskip(NEXT) | instid1(VALU_DEP_2)
	v_lshrrev_b64 v[4:5], 21, v[4:5]
	v_cmp_gt_i32_e32 vcc_lo, 32, v16
	v_min_i32_e32 v17, 31, v16
	v_cmp_eq_u32_e64 s14, 0, v16
	s_delay_alu instid0(VALU_DEP_4) | instskip(NEXT) | instid1(VALU_DEP_3)
	v_cndmask_b32_e32 v5, 0, v5, vcc_lo
	v_dual_cndmask_b32 v4, 3, v4 :: v_dual_lshlrev_b32 v17, 2, v17
	s_delay_alu instid0(VALU_DEP_1) | instskip(NEXT) | instid1(VALU_DEP_2)
	v_and_b32_e32 v17, 0xfc, v17
	v_cmp_eq_u64_e32 vcc_lo, 0, v[4:5]
	s_delay_alu instid0(VALU_DEP_2)
	v_and_or_b32 v4, v4, 3, v17
	s_and_b32 s14, s14, vcc_lo
	s_delay_alu instid0(VALU_DEP_1) | instid1(SALU_CYCLE_1)
	v_cndmask_b32_e64 v4, v4, 0, s14
	s_delay_alu instid0(VALU_DEP_1)
	v_or_b32_e32 v66, v4, v2
.LBB4_15235:                            ;   in Loop: Header=BB4_15177 Depth=3
	s_or_b32 exec_lo, exec_lo, s78
                                        ; implicit-def: $vgpr2
.LBB4_15236:                            ;   in Loop: Header=BB4_15177 Depth=3
	s_and_not1_saveexec_b32 s14, s77
; %bb.15237:                            ;   in Loop: Header=BB4_15177 Depth=3
	v_or_b32_e32 v66, 0x7b, v2
; %bb.15238:                            ;   in Loop: Header=BB4_15177 Depth=3
	s_or_b32 exec_lo, exec_lo, s14
                                        ; implicit-def: $vgpr16
                                        ; implicit-def: $vgpr4_vgpr5
                                        ; implicit-def: $vgpr2
.LBB4_15239:                            ;   in Loop: Header=BB4_15177 Depth=3
	s_and_not1_saveexec_b32 s14, s76
	s_cbranch_execz .LBB4_15245
; %bb.15240:                            ;   in Loop: Header=BB4_15177 Depth=3
	s_mov_b32 s76, exec_lo
                                        ; implicit-def: $vgpr66
	v_cmpx_ne_u64_e32 0, v[4:5]
	s_xor_b32 s76, exec_lo, s76
; %bb.15241:                            ;   in Loop: Header=BB4_15177 Depth=3
	v_or_b32_e32 v66, 0x7f, v2
                                        ; implicit-def: $vgpr16
; %bb.15242:                            ;   in Loop: Header=BB4_15177 Depth=3
	s_and_not1_saveexec_b32 s76, s76
; %bb.15243:                            ;   in Loop: Header=BB4_15177 Depth=3
	v_cmp_lt_i32_e32 vcc_lo, -1, v16
	v_cndmask_b32_e32 v66, 0xfc, v49, vcc_lo
; %bb.15244:                            ;   in Loop: Header=BB4_15177 Depth=3
	s_or_b32 exec_lo, exec_lo, s76
.LBB4_15245:                            ;   in Loop: Header=BB4_15177 Depth=3
	s_delay_alu instid0(SALU_CYCLE_1) | instskip(SKIP_2) | instid1(VALU_DEP_1)
	s_or_b32 exec_lo, exec_lo, s14
	v_dual_lshrrev_b32 v2, 16, v8 :: v_dual_mov_b32 v4, 0
	s_mov_b32 s14, exec_lo
	v_and_b32_e32 v5, 0xff, v2
	s_delay_alu instid0(VALU_DEP_1)
	v_cmpx_ne_u16_e32 0, v5
	s_cbranch_execz .LBB4_15255
; %bb.15246:                            ;   in Loop: Header=BB4_15177 Depth=3
	v_bfrev_b32_e32 v4, 1
	s_mov_b32 s76, exec_lo
	v_cmpx_ne_u16_e32 0x80, v5
	s_cbranch_execz .LBB4_15254
; %bb.15247:                            ;   in Loop: Header=BB4_15177 Depth=3
	v_and_b32_e32 v4, 0x7c0000, v8
	v_bfe_u32 v5, v8, 16, 2
	s_delay_alu instid0(VALU_DEP_2) | instskip(SKIP_1) | instid1(SALU_CYCLE_1)
	v_cmp_ne_u32_e32 vcc_lo, 0x7c0000, v4
                                        ; implicit-def: $vgpr4
	s_and_saveexec_b32 s77, vcc_lo
	s_xor_b32 s77, exec_lo, s77
	s_cbranch_execz .LBB4_15251
; %bb.15248:                            ;   in Loop: Header=BB4_15177 Depth=3
	v_bfe_u32 v4, v8, 18, 5
	s_mov_b32 s78, exec_lo
	s_delay_alu instid0(VALU_DEP_1)
	v_cmpx_eq_u32_e32 0, v4
; %bb.15249:                            ;   in Loop: Header=BB4_15177 Depth=3
	v_clz_i32_u32_e32 v4, v5
	s_delay_alu instid0(VALU_DEP_1) | instskip(NEXT) | instid1(VALU_DEP_1)
	v_min_u32_e32 v4, 32, v4
	v_subrev_nc_u32_e32 v5, 29, v4
	v_sub_nc_u32_e32 v4, 30, v4
	s_delay_alu instid0(VALU_DEP_2) | instskip(NEXT) | instid1(VALU_DEP_1)
	v_lshlrev_b64_e32 v[16:17], v5, v[2:3]
	v_and_b32_e32 v5, 3, v16
; %bb.15250:                            ;   in Loop: Header=BB4_15177 Depth=3
	s_or_b32 exec_lo, exec_lo, s78
	v_lshlrev_b32_e32 v2, 24, v2
	s_delay_alu instid0(VALU_DEP_1) | instskip(NEXT) | instid1(VALU_DEP_1)
	v_and_b32_e32 v2, 0x80000000, v2
	v_lshl_add_u32 v2, v4, 23, v2
	s_delay_alu instid0(VALU_DEP_1) | instskip(NEXT) | instid1(VALU_DEP_1)
	v_lshl_or_b32 v2, v5, 21, v2
                                        ; implicit-def: $vgpr5
	v_add_nc_u32_e32 v4, 0x38000000, v2
                                        ; implicit-def: $vgpr2
.LBB4_15251:                            ;   in Loop: Header=BB4_15177 Depth=3
	s_and_not1_saveexec_b32 s77, s77
; %bb.15252:                            ;   in Loop: Header=BB4_15177 Depth=3
	v_bfe_i32 v2, v2, 0, 8
	s_delay_alu instid0(VALU_DEP_1) | instskip(SKIP_2) | instid1(VALU_DEP_2)
	v_cmp_lt_i16_e32 vcc_lo, -1, v2
	v_cndmask_b32_e32 v2, 0xff800000, v48, vcc_lo
	v_cmp_eq_u32_e32 vcc_lo, 0, v5
	v_cndmask_b32_e32 v4, 0x7f800001, v2, vcc_lo
; %bb.15253:                            ;   in Loop: Header=BB4_15177 Depth=3
	s_or_b32 exec_lo, exec_lo, s77
.LBB4_15254:                            ;   in Loop: Header=BB4_15177 Depth=3
	s_delay_alu instid0(SALU_CYCLE_1)
	s_or_b32 exec_lo, exec_lo, s76
.LBB4_15255:                            ;   in Loop: Header=BB4_15177 Depth=3
	s_delay_alu instid0(SALU_CYCLE_1) | instskip(NEXT) | instid1(VALU_DEP_1)
	s_or_b32 exec_lo, exec_lo, s14
	v_dual_mul_f32 v16, s75, v4 :: v_dual_mov_b32 v19, v3
	v_mov_b32_e32 v5, v3
                                        ; implicit-def: $vgpr100
	s_mov_b32 s14, exec_lo
	s_delay_alu instid0(VALU_DEP_2) | instskip(SKIP_2) | instid1(VALU_DEP_3)
	v_and_b32_e32 v18, 0x7f800000, v16
	v_and_b32_e32 v4, 0x7fffff, v16
	v_lshrrev_b32_e32 v2, 24, v16
	v_cmpx_ne_u64_e32 0x7f800000, v[18:19]
	s_xor_b32 s76, exec_lo, s14
	s_cbranch_execz .LBB4_15269
; %bb.15256:                            ;   in Loop: Header=BB4_15177 Depth=3
	v_and_b32_e32 v18, 0x7fffffff, v16
	v_mov_b32_e32 v19, v3
	v_and_b32_e32 v2, 0x80, v2
                                        ; implicit-def: $vgpr100
	s_mov_b32 s14, exec_lo
	s_delay_alu instid0(VALU_DEP_2)
	v_cmpx_gt_u64_e32 0x47600001, v[18:19]
	s_xor_b32 s77, exec_lo, s14
	s_cbranch_execz .LBB4_15266
; %bb.15257:                            ;   in Loop: Header=BB4_15177 Depth=3
	v_mov_b32_e32 v100, 0
	s_mov_b32 s78, exec_lo
	v_cmpx_ne_u32_e32 0, v16
	s_cbranch_execz .LBB4_15265
; %bb.15258:                            ;   in Loop: Header=BB4_15177 Depth=3
	v_bfe_u32 v18, v16, 23, 8
	v_or_b32_e32 v20, 0x800000, v4
	s_delay_alu instid0(VALU_DEP_2) | instskip(SKIP_1) | instid1(VALU_DEP_2)
	v_sub_nc_u32_e32 v16, 0x71, v18
	v_cmp_gt_u32_e32 vcc_lo, 0x72, v18
	v_cndmask_b32_e32 v16, 0, v16, vcc_lo
	v_cmp_eq_u32_e32 vcc_lo, 0, v18
	s_delay_alu instid0(VALU_DEP_2) | instskip(NEXT) | instid1(VALU_DEP_1)
	v_cndmask_b32_e64 v19, v16, 0x70, vcc_lo
	v_dual_cndmask_b32 v4, v20, v4, vcc_lo :: v_dual_add_nc_u32 v16, 21, v19
	v_add_nc_u32_e32 v67, 20, v19
	s_delay_alu instid0(VALU_DEP_2) | instskip(NEXT) | instid1(VALU_DEP_2)
	v_lshlrev_b64_e64 v[16:17], v16, -1
	v_lshlrev_b64_e64 v[86:87], v67, 1
	s_delay_alu instid0(VALU_DEP_2) | instskip(SKIP_1) | instid1(VALU_DEP_4)
	v_bfi_b32 v16, v16, 0, v4
	v_lshrrev_b64 v[4:5], v19, v[4:5]
	v_bfi_b32 v17, v17, 0, 0
	s_delay_alu instid0(VALU_DEP_1) | instskip(NEXT) | instid1(VALU_DEP_3)
	v_cmp_eq_u64_e64 s14, v[16:17], v[86:87]
	v_mov_b64_e32 v[16:17], v[4:5]
	s_and_saveexec_b32 s79, s14
; %bb.15259:                            ;   in Loop: Header=BB4_15177 Depth=3
	v_bfe_u32 v16, v4, 21, 1
	v_mov_b32_e32 v17, v3
	s_delay_alu instid0(VALU_DEP_1) | instskip(NEXT) | instid1(VALU_DEP_1)
	v_add_nc_u64_e32 v[16:17], v[4:5], v[16:17]
	v_add_nc_u64_e32 v[16:17], -1, v[16:17]
; %bb.15260:                            ;   in Loop: Header=BB4_15177 Depth=3
	s_or_b32 exec_lo, exec_lo, s79
	v_add_nc_u32_e32 v5, 0xffffff81, v18
	v_lshrrev_b32_e32 v17, 23, v4
	s_mov_b32 s14, exec_lo
	s_delay_alu instid0(VALU_DEP_2) | instskip(NEXT) | instid1(VALU_DEP_1)
	v_cndmask_b32_e64 v5, v5, 0xffffff82, vcc_lo
	v_add3_u32 v17, v19, v5, v17
	v_and_b32_e32 v5, 0x1fffff, v16
                                        ; implicit-def: $vgpr16
	s_delay_alu instid0(VALU_DEP_1) | instskip(SKIP_1) | instid1(VALU_DEP_2)
	v_dual_add_nc_u32 v18, 14, v17 :: v_dual_add_nc_u32 v4, v5, v4
	v_mov_b32_e32 v5, v3
	v_cmpx_ne_u32_e32 0, v18
	s_xor_b32 s14, exec_lo, s14
; %bb.15261:                            ;   in Loop: Header=BB4_15177 Depth=3
	s_delay_alu instid0(VALU_DEP_2) | instskip(SKIP_2) | instid1(VALU_DEP_2)
	v_cmp_lt_u64_e32 vcc_lo, 0xffffff, v[4:5]
	v_add_nc_u32_e32 v16, 15, v17
	v_cndmask_b32_e64 v17, 0, 1, vcc_lo
	v_cndmask_b32_e32 v16, v18, v16, vcc_lo
	s_delay_alu instid0(VALU_DEP_2)
	v_lshrrev_b64 v[4:5], v17, v[4:5]
; %bb.15262:                            ;   in Loop: Header=BB4_15177 Depth=3
	s_and_not1_saveexec_b32 s14, s14
; %bb.15263:                            ;   in Loop: Header=BB4_15177 Depth=3
	s_delay_alu instid0(VALU_DEP_1)
	v_bfe_u32 v16, v4, 23, 1
; %bb.15264:                            ;   in Loop: Header=BB4_15177 Depth=3
	s_or_b32 exec_lo, exec_lo, s14
	s_delay_alu instid0(VALU_DEP_2) | instskip(NEXT) | instid1(VALU_DEP_2)
	v_lshrrev_b64 v[4:5], 21, v[4:5]
	v_cmp_gt_i32_e32 vcc_lo, 32, v16
	v_min_i32_e32 v17, 31, v16
	v_cmp_eq_u32_e64 s14, 0, v16
	s_delay_alu instid0(VALU_DEP_4) | instskip(NEXT) | instid1(VALU_DEP_3)
	v_cndmask_b32_e32 v5, 0, v5, vcc_lo
	v_dual_cndmask_b32 v4, 3, v4 :: v_dual_lshlrev_b32 v17, 2, v17
	s_delay_alu instid0(VALU_DEP_1) | instskip(NEXT) | instid1(VALU_DEP_2)
	v_and_b32_e32 v17, 0xfc, v17
	v_cmp_eq_u64_e32 vcc_lo, 0, v[4:5]
	s_delay_alu instid0(VALU_DEP_2)
	v_and_or_b32 v4, v4, 3, v17
	s_and_b32 s14, s14, vcc_lo
	s_delay_alu instid0(VALU_DEP_1) | instid1(SALU_CYCLE_1)
	v_cndmask_b32_e64 v4, v4, 0, s14
	s_delay_alu instid0(VALU_DEP_1)
	v_or_b32_e32 v100, v4, v2
.LBB4_15265:                            ;   in Loop: Header=BB4_15177 Depth=3
	s_or_b32 exec_lo, exec_lo, s78
                                        ; implicit-def: $vgpr2
.LBB4_15266:                            ;   in Loop: Header=BB4_15177 Depth=3
	s_and_not1_saveexec_b32 s14, s77
; %bb.15267:                            ;   in Loop: Header=BB4_15177 Depth=3
	v_or_b32_e32 v100, 0x7b, v2
; %bb.15268:                            ;   in Loop: Header=BB4_15177 Depth=3
	s_or_b32 exec_lo, exec_lo, s14
                                        ; implicit-def: $vgpr16
                                        ; implicit-def: $vgpr4_vgpr5
                                        ; implicit-def: $vgpr2
.LBB4_15269:                            ;   in Loop: Header=BB4_15177 Depth=3
	s_and_not1_saveexec_b32 s14, s76
	s_cbranch_execz .LBB4_15275
; %bb.15270:                            ;   in Loop: Header=BB4_15177 Depth=3
	s_mov_b32 s76, exec_lo
                                        ; implicit-def: $vgpr100
	v_cmpx_ne_u64_e32 0, v[4:5]
	s_xor_b32 s76, exec_lo, s76
; %bb.15271:                            ;   in Loop: Header=BB4_15177 Depth=3
	v_or_b32_e32 v100, 0x7f, v2
                                        ; implicit-def: $vgpr16
; %bb.15272:                            ;   in Loop: Header=BB4_15177 Depth=3
	s_and_not1_saveexec_b32 s76, s76
; %bb.15273:                            ;   in Loop: Header=BB4_15177 Depth=3
	v_cmp_lt_i32_e32 vcc_lo, -1, v16
	v_cndmask_b32_e32 v100, 0xfc, v49, vcc_lo
; %bb.15274:                            ;   in Loop: Header=BB4_15177 Depth=3
	s_or_b32 exec_lo, exec_lo, s76
.LBB4_15275:                            ;   in Loop: Header=BB4_15177 Depth=3
	s_delay_alu instid0(SALU_CYCLE_1)
	s_or_b32 exec_lo, exec_lo, s14
	v_mov_b32_e32 v4, 0
	s_mov_b32 s14, exec_lo
	v_cmpx_lt_u32_e32 0xffffff, v8
	s_cbranch_execz .LBB4_15285
; %bb.15276:                            ;   in Loop: Header=BB4_15177 Depth=3
	v_lshrrev_b32_e32 v2, 24, v8
	v_bfrev_b32_e32 v4, 1
	s_mov_b32 s76, exec_lo
	s_delay_alu instid0(VALU_DEP_2)
	v_cmpx_ne_u32_e32 0x80, v2
	s_cbranch_execz .LBB4_15284
; %bb.15277:                            ;   in Loop: Header=BB4_15177 Depth=3
	v_and_b32_e32 v4, 0x7c000000, v8
	v_bfe_u32 v5, v8, 24, 2
	s_delay_alu instid0(VALU_DEP_2) | instskip(SKIP_1) | instid1(SALU_CYCLE_1)
	v_cmp_ne_u32_e32 vcc_lo, 0x7c000000, v4
                                        ; implicit-def: $vgpr4
	s_and_saveexec_b32 s77, vcc_lo
	s_xor_b32 s77, exec_lo, s77
	s_cbranch_execz .LBB4_15281
; %bb.15278:                            ;   in Loop: Header=BB4_15177 Depth=3
	v_bfe_u32 v4, v8, 26, 5
	s_mov_b32 s78, exec_lo
	s_delay_alu instid0(VALU_DEP_1)
	v_cmpx_eq_u32_e32 0, v4
; %bb.15279:                            ;   in Loop: Header=BB4_15177 Depth=3
	v_clz_i32_u32_e32 v4, v5
	s_delay_alu instid0(VALU_DEP_1) | instskip(NEXT) | instid1(VALU_DEP_1)
	v_min_u32_e32 v4, 32, v4
	v_subrev_nc_u32_e32 v5, 29, v4
	v_sub_nc_u32_e32 v4, 30, v4
	s_delay_alu instid0(VALU_DEP_2) | instskip(NEXT) | instid1(VALU_DEP_1)
	v_lshlrev_b64_e32 v[16:17], v5, v[2:3]
	v_and_b32_e32 v5, 3, v16
; %bb.15280:                            ;   in Loop: Header=BB4_15177 Depth=3
	s_or_b32 exec_lo, exec_lo, s78
	v_and_b32_e32 v2, 0x80000000, v8
	s_delay_alu instid0(VALU_DEP_1) | instskip(NEXT) | instid1(VALU_DEP_1)
	v_lshl_add_u32 v2, v4, 23, v2
	v_lshl_or_b32 v2, v5, 21, v2
                                        ; implicit-def: $vgpr5
	s_delay_alu instid0(VALU_DEP_1)
	v_add_nc_u32_e32 v4, 0x38000000, v2
.LBB4_15281:                            ;   in Loop: Header=BB4_15177 Depth=3
	s_and_not1_saveexec_b32 s77, s77
; %bb.15282:                            ;   in Loop: Header=BB4_15177 Depth=3
	v_cmp_lt_i32_e32 vcc_lo, -1, v8
	v_cndmask_b32_e32 v2, 0xff800000, v48, vcc_lo
	v_cmp_eq_u32_e32 vcc_lo, 0, v5
	s_delay_alu instid0(VALU_DEP_2)
	v_cndmask_b32_e32 v4, 0x7f800001, v2, vcc_lo
; %bb.15283:                            ;   in Loop: Header=BB4_15177 Depth=3
	s_or_b32 exec_lo, exec_lo, s77
.LBB4_15284:                            ;   in Loop: Header=BB4_15177 Depth=3
	s_delay_alu instid0(SALU_CYCLE_1)
	s_or_b32 exec_lo, exec_lo, s76
.LBB4_15285:                            ;   in Loop: Header=BB4_15177 Depth=3
	s_delay_alu instid0(SALU_CYCLE_1) | instskip(NEXT) | instid1(VALU_DEP_1)
	s_or_b32 exec_lo, exec_lo, s14
	v_dual_mul_f32 v16, s75, v4 :: v_dual_mov_b32 v19, v3
	v_mov_b32_e32 v5, v3
                                        ; implicit-def: $vgpr113
	s_mov_b32 s14, exec_lo
	s_delay_alu instid0(VALU_DEP_2) | instskip(SKIP_2) | instid1(VALU_DEP_3)
	v_and_b32_e32 v18, 0x7f800000, v16
	v_and_b32_e32 v4, 0x7fffff, v16
	v_lshrrev_b32_e32 v2, 24, v16
	v_cmpx_ne_u64_e32 0x7f800000, v[18:19]
	s_xor_b32 s76, exec_lo, s14
	s_cbranch_execz .LBB4_15299
; %bb.15286:                            ;   in Loop: Header=BB4_15177 Depth=3
	v_and_b32_e32 v18, 0x7fffffff, v16
	v_mov_b32_e32 v19, v3
	v_and_b32_e32 v2, 0x80, v2
                                        ; implicit-def: $vgpr113
	s_mov_b32 s14, exec_lo
	s_delay_alu instid0(VALU_DEP_2)
	v_cmpx_gt_u64_e32 0x47600001, v[18:19]
	s_xor_b32 s77, exec_lo, s14
	s_cbranch_execz .LBB4_15296
; %bb.15287:                            ;   in Loop: Header=BB4_15177 Depth=3
	v_mov_b32_e32 v113, 0
	s_mov_b32 s78, exec_lo
	v_cmpx_ne_u32_e32 0, v16
	s_cbranch_execz .LBB4_15295
; %bb.15288:                            ;   in Loop: Header=BB4_15177 Depth=3
	v_bfe_u32 v18, v16, 23, 8
	v_or_b32_e32 v20, 0x800000, v4
	s_delay_alu instid0(VALU_DEP_2) | instskip(SKIP_1) | instid1(VALU_DEP_2)
	v_sub_nc_u32_e32 v16, 0x71, v18
	v_cmp_gt_u32_e32 vcc_lo, 0x72, v18
	v_cndmask_b32_e32 v16, 0, v16, vcc_lo
	v_cmp_eq_u32_e32 vcc_lo, 0, v18
	s_delay_alu instid0(VALU_DEP_2) | instskip(NEXT) | instid1(VALU_DEP_1)
	v_cndmask_b32_e64 v19, v16, 0x70, vcc_lo
	v_dual_cndmask_b32 v4, v20, v4, vcc_lo :: v_dual_add_nc_u32 v16, 21, v19
	v_add_nc_u32_e32 v67, 20, v19
	s_delay_alu instid0(VALU_DEP_2) | instskip(NEXT) | instid1(VALU_DEP_2)
	v_lshlrev_b64_e64 v[16:17], v16, -1
	v_lshlrev_b64_e64 v[86:87], v67, 1
	s_delay_alu instid0(VALU_DEP_2) | instskip(SKIP_1) | instid1(VALU_DEP_4)
	v_bfi_b32 v16, v16, 0, v4
	v_lshrrev_b64 v[4:5], v19, v[4:5]
	v_bfi_b32 v17, v17, 0, 0
	s_delay_alu instid0(VALU_DEP_1) | instskip(NEXT) | instid1(VALU_DEP_3)
	v_cmp_eq_u64_e64 s14, v[16:17], v[86:87]
	v_mov_b64_e32 v[16:17], v[4:5]
	s_and_saveexec_b32 s79, s14
; %bb.15289:                            ;   in Loop: Header=BB4_15177 Depth=3
	v_bfe_u32 v16, v4, 21, 1
	v_mov_b32_e32 v17, v3
	s_delay_alu instid0(VALU_DEP_1) | instskip(NEXT) | instid1(VALU_DEP_1)
	v_add_nc_u64_e32 v[16:17], v[4:5], v[16:17]
	v_add_nc_u64_e32 v[16:17], -1, v[16:17]
; %bb.15290:                            ;   in Loop: Header=BB4_15177 Depth=3
	s_or_b32 exec_lo, exec_lo, s79
	v_add_nc_u32_e32 v5, 0xffffff81, v18
	v_lshrrev_b32_e32 v17, 23, v4
	s_mov_b32 s14, exec_lo
	s_delay_alu instid0(VALU_DEP_2) | instskip(NEXT) | instid1(VALU_DEP_1)
	v_cndmask_b32_e64 v5, v5, 0xffffff82, vcc_lo
	v_add3_u32 v17, v19, v5, v17
	v_and_b32_e32 v5, 0x1fffff, v16
                                        ; implicit-def: $vgpr16
	s_delay_alu instid0(VALU_DEP_1) | instskip(SKIP_1) | instid1(VALU_DEP_2)
	v_dual_add_nc_u32 v18, 14, v17 :: v_dual_add_nc_u32 v4, v5, v4
	v_mov_b32_e32 v5, v3
	v_cmpx_ne_u32_e32 0, v18
	s_xor_b32 s14, exec_lo, s14
; %bb.15291:                            ;   in Loop: Header=BB4_15177 Depth=3
	s_delay_alu instid0(VALU_DEP_2) | instskip(SKIP_2) | instid1(VALU_DEP_2)
	v_cmp_lt_u64_e32 vcc_lo, 0xffffff, v[4:5]
	v_add_nc_u32_e32 v16, 15, v17
	v_cndmask_b32_e64 v17, 0, 1, vcc_lo
	v_cndmask_b32_e32 v16, v18, v16, vcc_lo
	s_delay_alu instid0(VALU_DEP_2)
	v_lshrrev_b64 v[4:5], v17, v[4:5]
; %bb.15292:                            ;   in Loop: Header=BB4_15177 Depth=3
	s_and_not1_saveexec_b32 s14, s14
; %bb.15293:                            ;   in Loop: Header=BB4_15177 Depth=3
	s_delay_alu instid0(VALU_DEP_1)
	v_bfe_u32 v16, v4, 23, 1
; %bb.15294:                            ;   in Loop: Header=BB4_15177 Depth=3
	s_or_b32 exec_lo, exec_lo, s14
	s_delay_alu instid0(VALU_DEP_2) | instskip(NEXT) | instid1(VALU_DEP_2)
	v_lshrrev_b64 v[4:5], 21, v[4:5]
	v_cmp_gt_i32_e32 vcc_lo, 32, v16
	v_min_i32_e32 v17, 31, v16
	v_cmp_eq_u32_e64 s14, 0, v16
	s_delay_alu instid0(VALU_DEP_4) | instskip(NEXT) | instid1(VALU_DEP_3)
	v_cndmask_b32_e32 v5, 0, v5, vcc_lo
	v_dual_cndmask_b32 v4, 3, v4 :: v_dual_lshlrev_b32 v17, 2, v17
	s_delay_alu instid0(VALU_DEP_1) | instskip(NEXT) | instid1(VALU_DEP_2)
	v_and_b32_e32 v17, 0xfc, v17
	v_cmp_eq_u64_e32 vcc_lo, 0, v[4:5]
	s_delay_alu instid0(VALU_DEP_2)
	v_and_or_b32 v4, v4, 3, v17
	s_and_b32 s14, s14, vcc_lo
	s_delay_alu instid0(VALU_DEP_1) | instid1(SALU_CYCLE_1)
	v_cndmask_b32_e64 v4, v4, 0, s14
	s_delay_alu instid0(VALU_DEP_1)
	v_or_b32_e32 v113, v4, v2
.LBB4_15295:                            ;   in Loop: Header=BB4_15177 Depth=3
	s_or_b32 exec_lo, exec_lo, s78
                                        ; implicit-def: $vgpr2
.LBB4_15296:                            ;   in Loop: Header=BB4_15177 Depth=3
	s_and_not1_saveexec_b32 s14, s77
; %bb.15297:                            ;   in Loop: Header=BB4_15177 Depth=3
	v_or_b32_e32 v113, 0x7b, v2
; %bb.15298:                            ;   in Loop: Header=BB4_15177 Depth=3
	s_or_b32 exec_lo, exec_lo, s14
                                        ; implicit-def: $vgpr16
                                        ; implicit-def: $vgpr4_vgpr5
                                        ; implicit-def: $vgpr2
.LBB4_15299:                            ;   in Loop: Header=BB4_15177 Depth=3
	s_and_not1_saveexec_b32 s14, s76
	s_cbranch_execz .LBB4_15305
; %bb.15300:                            ;   in Loop: Header=BB4_15177 Depth=3
	s_mov_b32 s76, exec_lo
                                        ; implicit-def: $vgpr113
	v_cmpx_ne_u64_e32 0, v[4:5]
	s_xor_b32 s76, exec_lo, s76
; %bb.15301:                            ;   in Loop: Header=BB4_15177 Depth=3
	v_or_b32_e32 v113, 0x7f, v2
                                        ; implicit-def: $vgpr16
; %bb.15302:                            ;   in Loop: Header=BB4_15177 Depth=3
	s_and_not1_saveexec_b32 s76, s76
; %bb.15303:                            ;   in Loop: Header=BB4_15177 Depth=3
	v_cmp_lt_i32_e32 vcc_lo, -1, v16
	v_cndmask_b32_e32 v113, 0xfc, v49, vcc_lo
; %bb.15304:                            ;   in Loop: Header=BB4_15177 Depth=3
	s_or_b32 exec_lo, exec_lo, s76
.LBB4_15305:                            ;   in Loop: Header=BB4_15177 Depth=3
	s_delay_alu instid0(SALU_CYCLE_1) | instskip(SKIP_4) | instid1(VALU_DEP_3)
	s_or_b32 exec_lo, exec_lo, s14
	v_and_b32_e32 v16, 0xff, v9
	v_dual_mov_b32 v4, v9 :: v_dual_mov_b32 v5, v3
	v_mov_b32_e32 v2, 0
	s_mov_b32 s14, exec_lo
	v_cmpx_ne_u16_e32 0, v16
	s_cbranch_execz .LBB4_15315
; %bb.15306:                            ;   in Loop: Header=BB4_15177 Depth=3
	v_bfrev_b32_e32 v2, 1
	s_mov_b32 s76, exec_lo
	v_cmpx_ne_u16_e32 0x80, v16
	s_cbranch_execz .LBB4_15314
; %bb.15307:                            ;   in Loop: Header=BB4_15177 Depth=3
	v_and_b32_e32 v2, 0x7c, v9
	v_and_b32_e32 v16, 3, v9
	s_delay_alu instid0(VALU_DEP_2) | instskip(SKIP_1) | instid1(SALU_CYCLE_1)
	v_cmp_ne_u32_e32 vcc_lo, 0x7c, v2
                                        ; implicit-def: $vgpr2
	s_and_saveexec_b32 s77, vcc_lo
	s_xor_b32 s77, exec_lo, s77
	s_cbranch_execz .LBB4_15311
; %bb.15308:                            ;   in Loop: Header=BB4_15177 Depth=3
	v_bfe_u32 v2, v9, 2, 5
	s_mov_b32 s78, exec_lo
	s_delay_alu instid0(VALU_DEP_1)
	v_cmpx_eq_u32_e32 0, v2
; %bb.15309:                            ;   in Loop: Header=BB4_15177 Depth=3
	v_clz_i32_u32_e32 v2, v16
	s_delay_alu instid0(VALU_DEP_1) | instskip(NEXT) | instid1(VALU_DEP_1)
	v_min_u32_e32 v2, 32, v2
	v_subrev_nc_u32_e32 v16, 29, v2
	s_delay_alu instid0(VALU_DEP_1) | instskip(NEXT) | instid1(VALU_DEP_1)
	v_lshlrev_b64_e32 v[16:17], v16, v[4:5]
	v_dual_sub_nc_u32 v2, 30, v2 :: v_dual_bitop2_b32 v16, 3, v16 bitop3:0x40
; %bb.15310:                            ;   in Loop: Header=BB4_15177 Depth=3
	s_or_b32 exec_lo, exec_lo, s78
	v_lshlrev_b32_e32 v5, 24, v9
	s_delay_alu instid0(VALU_DEP_1) | instskip(NEXT) | instid1(VALU_DEP_1)
	v_and_b32_e32 v5, 0x80000000, v5
	v_lshl_add_u32 v2, v2, 23, v5
	s_delay_alu instid0(VALU_DEP_1) | instskip(NEXT) | instid1(VALU_DEP_1)
	v_lshl_or_b32 v2, v16, 21, v2
                                        ; implicit-def: $vgpr16
	v_add_nc_u32_e32 v2, 0x38000000, v2
.LBB4_15311:                            ;   in Loop: Header=BB4_15177 Depth=3
	s_and_not1_saveexec_b32 s77, s77
; %bb.15312:                            ;   in Loop: Header=BB4_15177 Depth=3
	v_bfe_i32 v2, v9, 0, 8
	s_delay_alu instid0(VALU_DEP_1) | instskip(SKIP_2) | instid1(VALU_DEP_2)
	v_cmp_lt_i16_e32 vcc_lo, -1, v2
	v_cndmask_b32_e32 v2, 0xff800000, v48, vcc_lo
	v_cmp_eq_u32_e32 vcc_lo, 0, v16
	v_cndmask_b32_e32 v2, 0x7f800001, v2, vcc_lo
; %bb.15313:                            ;   in Loop: Header=BB4_15177 Depth=3
	s_or_b32 exec_lo, exec_lo, s77
.LBB4_15314:                            ;   in Loop: Header=BB4_15177 Depth=3
	s_delay_alu instid0(SALU_CYCLE_1)
	s_or_b32 exec_lo, exec_lo, s76
.LBB4_15315:                            ;   in Loop: Header=BB4_15177 Depth=3
	s_delay_alu instid0(SALU_CYCLE_1) | instskip(NEXT) | instid1(VALU_DEP_1)
	s_or_b32 exec_lo, exec_lo, s14
	v_dual_mul_f32 v5, s75, v2 :: v_dual_mov_b32 v19, v3
	v_mov_b32_e32 v17, v3
                                        ; implicit-def: $vgpr20
	s_mov_b32 s14, exec_lo
	s_delay_alu instid0(VALU_DEP_2) | instskip(SKIP_2) | instid1(VALU_DEP_3)
	v_and_b32_e32 v18, 0x7f800000, v5
	v_and_b32_e32 v16, 0x7fffff, v5
	v_lshrrev_b32_e32 v2, 24, v5
	v_cmpx_ne_u64_e32 0x7f800000, v[18:19]
	s_xor_b32 s76, exec_lo, s14
	s_cbranch_execz .LBB4_15329
; %bb.15316:                            ;   in Loop: Header=BB4_15177 Depth=3
	v_and_b32_e32 v18, 0x7fffffff, v5
	v_mov_b32_e32 v19, v3
	v_and_b32_e32 v2, 0x80, v2
                                        ; implicit-def: $vgpr20
	s_mov_b32 s14, exec_lo
	s_delay_alu instid0(VALU_DEP_2)
	v_cmpx_gt_u64_e32 0x47600001, v[18:19]
	s_xor_b32 s77, exec_lo, s14
	s_cbranch_execz .LBB4_15326
; %bb.15317:                            ;   in Loop: Header=BB4_15177 Depth=3
	v_mov_b32_e32 v20, 0
	s_mov_b32 s78, exec_lo
	v_cmpx_ne_u32_e32 0, v5
	s_cbranch_execz .LBB4_15325
; %bb.15318:                            ;   in Loop: Header=BB4_15177 Depth=3
	v_bfe_u32 v5, v5, 23, 8
	v_or_b32_e32 v67, 0x800000, v16
	s_delay_alu instid0(VALU_DEP_2) | instskip(SKIP_1) | instid1(VALU_DEP_2)
	v_sub_nc_u32_e32 v18, 0x71, v5
	v_cmp_gt_u32_e32 vcc_lo, 0x72, v5
	v_cndmask_b32_e32 v18, 0, v18, vcc_lo
	v_cmp_eq_u32_e32 vcc_lo, 0, v5
	s_delay_alu instid0(VALU_DEP_2) | instskip(SKIP_1) | instid1(VALU_DEP_2)
	v_cndmask_b32_e64 v20, v18, 0x70, vcc_lo
	v_cndmask_b32_e32 v16, v67, v16, vcc_lo
	v_dual_add_nc_u32 v18, 21, v20 :: v_dual_add_nc_u32 v86, 20, v20
	s_delay_alu instid0(VALU_DEP_1) | instskip(NEXT) | instid1(VALU_DEP_2)
	v_lshlrev_b64_e64 v[18:19], v18, -1
	v_lshlrev_b64_e64 v[86:87], v86, 1
	s_delay_alu instid0(VALU_DEP_2) | instskip(SKIP_1) | instid1(VALU_DEP_4)
	v_bfi_b32 v18, v18, 0, v16
	v_lshrrev_b64 v[16:17], v20, v[16:17]
	v_bfi_b32 v19, v19, 0, 0
	s_delay_alu instid0(VALU_DEP_1) | instskip(NEXT) | instid1(VALU_DEP_3)
	v_cmp_eq_u64_e64 s14, v[18:19], v[86:87]
	v_mov_b64_e32 v[18:19], v[16:17]
	s_and_saveexec_b32 s79, s14
; %bb.15319:                            ;   in Loop: Header=BB4_15177 Depth=3
	v_bfe_u32 v18, v16, 21, 1
	v_mov_b32_e32 v19, v3
	s_delay_alu instid0(VALU_DEP_1) | instskip(NEXT) | instid1(VALU_DEP_1)
	v_add_nc_u64_e32 v[18:19], v[16:17], v[18:19]
	v_add_nc_u64_e32 v[18:19], -1, v[18:19]
; %bb.15320:                            ;   in Loop: Header=BB4_15177 Depth=3
	s_or_b32 exec_lo, exec_lo, s79
	v_add_nc_u32_e32 v5, 0xffffff81, v5
	v_lshrrev_b32_e32 v17, 23, v16
	s_mov_b32 s14, exec_lo
	s_delay_alu instid0(VALU_DEP_2) | instskip(NEXT) | instid1(VALU_DEP_1)
	v_cndmask_b32_e64 v5, v5, 0xffffff82, vcc_lo
	v_add3_u32 v19, v20, v5, v17
	v_and_b32_e32 v5, 0x1fffff, v18
	s_delay_alu instid0(VALU_DEP_2) | instskip(NEXT) | instid1(VALU_DEP_2)
	v_dual_mov_b32 v17, v3 :: v_dual_add_nc_u32 v18, 14, v19
	v_add_nc_u32_e32 v16, v5, v16
                                        ; implicit-def: $vgpr5
	s_delay_alu instid0(VALU_DEP_2)
	v_cmpx_ne_u32_e32 0, v18
	s_xor_b32 s14, exec_lo, s14
; %bb.15321:                            ;   in Loop: Header=BB4_15177 Depth=3
	s_delay_alu instid0(VALU_DEP_2) | instskip(SKIP_1) | instid1(VALU_DEP_1)
	v_cmp_lt_u64_e32 vcc_lo, 0xffffff, v[16:17]
	v_add_nc_u32_e32 v5, 15, v19
	v_cndmask_b32_e32 v5, v18, v5, vcc_lo
	v_cndmask_b32_e64 v18, 0, 1, vcc_lo
	s_delay_alu instid0(VALU_DEP_1)
	v_lshrrev_b64 v[16:17], v18, v[16:17]
; %bb.15322:                            ;   in Loop: Header=BB4_15177 Depth=3
	s_and_not1_saveexec_b32 s14, s14
; %bb.15323:                            ;   in Loop: Header=BB4_15177 Depth=3
	s_delay_alu instid0(VALU_DEP_1)
	v_bfe_u32 v5, v16, 23, 1
; %bb.15324:                            ;   in Loop: Header=BB4_15177 Depth=3
	s_or_b32 exec_lo, exec_lo, s14
	s_delay_alu instid0(VALU_DEP_2) | instskip(NEXT) | instid1(VALU_DEP_2)
	v_lshrrev_b64 v[16:17], 21, v[16:17]
	v_cmp_gt_i32_e32 vcc_lo, 32, v5
	v_min_i32_e32 v18, 31, v5
	v_cmp_eq_u32_e64 s14, 0, v5
	s_delay_alu instid0(VALU_DEP_2) | instskip(SKIP_1) | instid1(VALU_DEP_2)
	v_dual_cndmask_b32 v16, 3, v16, vcc_lo :: v_dual_lshlrev_b32 v18, 2, v18
	v_cndmask_b32_e32 v17, 0, v17, vcc_lo
	v_and_b32_e32 v18, 0xfc, v18
	s_delay_alu instid0(VALU_DEP_2) | instskip(NEXT) | instid1(VALU_DEP_2)
	v_cmp_eq_u64_e32 vcc_lo, 0, v[16:17]
	v_and_or_b32 v5, v16, 3, v18
	s_and_b32 s14, s14, vcc_lo
	s_delay_alu instid0(VALU_DEP_1) | instid1(SALU_CYCLE_1)
	v_cndmask_b32_e64 v5, v5, 0, s14
	s_delay_alu instid0(VALU_DEP_1)
	v_or_b32_e32 v20, v5, v2
.LBB4_15325:                            ;   in Loop: Header=BB4_15177 Depth=3
	s_or_b32 exec_lo, exec_lo, s78
                                        ; implicit-def: $vgpr2
.LBB4_15326:                            ;   in Loop: Header=BB4_15177 Depth=3
	s_and_not1_saveexec_b32 s14, s77
; %bb.15327:                            ;   in Loop: Header=BB4_15177 Depth=3
	v_or_b32_e32 v20, 0x7b, v2
; %bb.15328:                            ;   in Loop: Header=BB4_15177 Depth=3
	s_or_b32 exec_lo, exec_lo, s14
                                        ; implicit-def: $vgpr5
                                        ; implicit-def: $vgpr16_vgpr17
                                        ; implicit-def: $vgpr2
.LBB4_15329:                            ;   in Loop: Header=BB4_15177 Depth=3
	s_and_not1_saveexec_b32 s14, s76
	s_cbranch_execz .LBB4_15335
; %bb.15330:                            ;   in Loop: Header=BB4_15177 Depth=3
	s_mov_b32 s76, exec_lo
                                        ; implicit-def: $vgpr20
	v_cmpx_ne_u64_e32 0, v[16:17]
	s_xor_b32 s76, exec_lo, s76
; %bb.15331:                            ;   in Loop: Header=BB4_15177 Depth=3
	v_or_b32_e32 v20, 0x7f, v2
                                        ; implicit-def: $vgpr5
; %bb.15332:                            ;   in Loop: Header=BB4_15177 Depth=3
	s_and_not1_saveexec_b32 s76, s76
; %bb.15333:                            ;   in Loop: Header=BB4_15177 Depth=3
	v_cmp_lt_i32_e32 vcc_lo, -1, v5
	v_cndmask_b32_e32 v20, 0xfc, v49, vcc_lo
; %bb.15334:                            ;   in Loop: Header=BB4_15177 Depth=3
	s_or_b32 exec_lo, exec_lo, s76
.LBB4_15335:                            ;   in Loop: Header=BB4_15177 Depth=3
	s_delay_alu instid0(SALU_CYCLE_1) | instskip(SKIP_3) | instid1(VALU_DEP_2)
	s_or_b32 exec_lo, exec_lo, s14
	v_lshrrev_b16 v16, 8, v4
	v_mov_b32_e32 v17, 0
	s_mov_b32 s14, exec_lo
	v_cmpx_ne_u16_e32 0, v16
	s_cbranch_execz .LBB4_15345
; %bb.15336:                            ;   in Loop: Header=BB4_15177 Depth=3
	v_bfrev_b32_e32 v17, 1
	s_mov_b32 s76, exec_lo
	v_cmpx_ne_u16_e32 0x80, v16
	s_cbranch_execz .LBB4_15344
; %bb.15337:                            ;   in Loop: Header=BB4_15177 Depth=3
	v_and_b32_e32 v5, 0xffff, v16
	s_delay_alu instid0(VALU_DEP_1) | instskip(SKIP_1) | instid1(VALU_DEP_2)
	v_and_b32_e32 v17, 0x7c, v5
	v_and_b32_e32 v2, 3, v5
	v_cmp_ne_u32_e32 vcc_lo, 0x7c, v17
                                        ; implicit-def: $vgpr17
	s_and_saveexec_b32 s77, vcc_lo
	s_delay_alu instid0(SALU_CYCLE_1)
	s_xor_b32 s77, exec_lo, s77
	s_cbranch_execz .LBB4_15341
; %bb.15338:                            ;   in Loop: Header=BB4_15177 Depth=3
	v_bfe_u32 v5, v5, 2, 5
	s_mov_b32 s78, exec_lo
	s_delay_alu instid0(VALU_DEP_1)
	v_cmpx_eq_u32_e32 0, v5
; %bb.15339:                            ;   in Loop: Header=BB4_15177 Depth=3
	v_clz_i32_u32_e32 v2, v2
	s_delay_alu instid0(VALU_DEP_1) | instskip(SKIP_1) | instid1(VALU_DEP_2)
	v_min_u32_e32 v2, 32, v2
	v_mov_b32_e32 v17, v3
	v_subrev_nc_u32_e32 v5, 29, v2
	s_delay_alu instid0(VALU_DEP_1) | instskip(NEXT) | instid1(VALU_DEP_1)
	v_lshlrev_b64_e32 v[16:17], v5, v[16:17]
	v_dual_sub_nc_u32 v5, 30, v2 :: v_dual_bitop2_b32 v2, 3, v16 bitop3:0x40
; %bb.15340:                            ;   in Loop: Header=BB4_15177 Depth=3
	s_or_b32 exec_lo, exec_lo, s78
	v_lshlrev_b32_e32 v4, 16, v4
	s_delay_alu instid0(VALU_DEP_1) | instskip(NEXT) | instid1(VALU_DEP_1)
	v_and_b32_e32 v4, 0x80000000, v4
	v_lshl_add_u32 v4, v5, 23, v4
	s_delay_alu instid0(VALU_DEP_1) | instskip(NEXT) | instid1(VALU_DEP_1)
	v_lshl_or_b32 v2, v2, 21, v4
                                        ; implicit-def: $vgpr4_vgpr5
	v_add_nc_u32_e32 v17, 0x38000000, v2
                                        ; implicit-def: $vgpr2
.LBB4_15341:                            ;   in Loop: Header=BB4_15177 Depth=3
	s_and_not1_saveexec_b32 s77, s77
; %bb.15342:                            ;   in Loop: Header=BB4_15177 Depth=3
	v_cmp_lt_i16_e32 vcc_lo, -1, v4
	v_cndmask_b32_e32 v4, 0xff800000, v48, vcc_lo
	v_cmp_eq_u32_e32 vcc_lo, 0, v2
	s_delay_alu instid0(VALU_DEP_2)
	v_cndmask_b32_e32 v17, 0x7f800001, v4, vcc_lo
; %bb.15343:                            ;   in Loop: Header=BB4_15177 Depth=3
	s_or_b32 exec_lo, exec_lo, s77
.LBB4_15344:                            ;   in Loop: Header=BB4_15177 Depth=3
	s_delay_alu instid0(SALU_CYCLE_1)
	s_or_b32 exec_lo, exec_lo, s76
.LBB4_15345:                            ;   in Loop: Header=BB4_15177 Depth=3
	s_delay_alu instid0(SALU_CYCLE_1) | instskip(NEXT) | instid1(VALU_DEP_1)
	s_or_b32 exec_lo, exec_lo, s14
	v_dual_mul_f32 v16, s75, v17 :: v_dual_mov_b32 v19, v3
	v_mov_b32_e32 v5, v3
                                        ; implicit-def: $vgpr40
	s_mov_b32 s14, exec_lo
	s_delay_alu instid0(VALU_DEP_2) | instskip(SKIP_2) | instid1(VALU_DEP_3)
	v_and_b32_e32 v18, 0x7f800000, v16
	v_and_b32_e32 v4, 0x7fffff, v16
	v_lshrrev_b32_e32 v2, 24, v16
	v_cmpx_ne_u64_e32 0x7f800000, v[18:19]
	s_xor_b32 s76, exec_lo, s14
	s_cbranch_execz .LBB4_15359
; %bb.15346:                            ;   in Loop: Header=BB4_15177 Depth=3
	v_and_b32_e32 v18, 0x7fffffff, v16
	v_mov_b32_e32 v19, v3
	v_and_b32_e32 v2, 0x80, v2
                                        ; implicit-def: $vgpr40
	s_mov_b32 s14, exec_lo
	s_delay_alu instid0(VALU_DEP_2)
	v_cmpx_gt_u64_e32 0x47600001, v[18:19]
	s_xor_b32 s77, exec_lo, s14
	s_cbranch_execz .LBB4_15356
; %bb.15347:                            ;   in Loop: Header=BB4_15177 Depth=3
	v_mov_b32_e32 v40, 0
	s_mov_b32 s78, exec_lo
	v_cmpx_ne_u32_e32 0, v16
	s_cbranch_execz .LBB4_15355
; %bb.15348:                            ;   in Loop: Header=BB4_15177 Depth=3
	v_bfe_u32 v18, v16, 23, 8
	v_or_b32_e32 v67, 0x800000, v4
	s_delay_alu instid0(VALU_DEP_2) | instskip(SKIP_1) | instid1(VALU_DEP_2)
	v_sub_nc_u32_e32 v16, 0x71, v18
	v_cmp_gt_u32_e32 vcc_lo, 0x72, v18
	v_cndmask_b32_e32 v16, 0, v16, vcc_lo
	v_cmp_eq_u32_e32 vcc_lo, 0, v18
	s_delay_alu instid0(VALU_DEP_2) | instskip(NEXT) | instid1(VALU_DEP_1)
	v_cndmask_b32_e64 v19, v16, 0x70, vcc_lo
	v_dual_cndmask_b32 v4, v67, v4, vcc_lo :: v_dual_add_nc_u32 v16, 21, v19
	v_add_nc_u32_e32 v86, 20, v19
	s_delay_alu instid0(VALU_DEP_2) | instskip(NEXT) | instid1(VALU_DEP_2)
	v_lshlrev_b64_e64 v[16:17], v16, -1
	v_lshlrev_b64_e64 v[86:87], v86, 1
	s_delay_alu instid0(VALU_DEP_2) | instskip(SKIP_1) | instid1(VALU_DEP_4)
	v_bfi_b32 v16, v16, 0, v4
	v_lshrrev_b64 v[4:5], v19, v[4:5]
	v_bfi_b32 v17, v17, 0, 0
	s_delay_alu instid0(VALU_DEP_1) | instskip(NEXT) | instid1(VALU_DEP_3)
	v_cmp_eq_u64_e64 s14, v[16:17], v[86:87]
	v_mov_b64_e32 v[16:17], v[4:5]
	s_and_saveexec_b32 s79, s14
; %bb.15349:                            ;   in Loop: Header=BB4_15177 Depth=3
	v_bfe_u32 v16, v4, 21, 1
	v_mov_b32_e32 v17, v3
	s_delay_alu instid0(VALU_DEP_1) | instskip(NEXT) | instid1(VALU_DEP_1)
	v_add_nc_u64_e32 v[16:17], v[4:5], v[16:17]
	v_add_nc_u64_e32 v[16:17], -1, v[16:17]
; %bb.15350:                            ;   in Loop: Header=BB4_15177 Depth=3
	s_or_b32 exec_lo, exec_lo, s79
	v_add_nc_u32_e32 v5, 0xffffff81, v18
	v_lshrrev_b32_e32 v17, 23, v4
	s_mov_b32 s14, exec_lo
	s_delay_alu instid0(VALU_DEP_2) | instskip(NEXT) | instid1(VALU_DEP_1)
	v_cndmask_b32_e64 v5, v5, 0xffffff82, vcc_lo
	v_add3_u32 v17, v19, v5, v17
	v_and_b32_e32 v5, 0x1fffff, v16
                                        ; implicit-def: $vgpr16
	s_delay_alu instid0(VALU_DEP_1) | instskip(SKIP_1) | instid1(VALU_DEP_2)
	v_dual_add_nc_u32 v18, 14, v17 :: v_dual_add_nc_u32 v4, v5, v4
	v_mov_b32_e32 v5, v3
	v_cmpx_ne_u32_e32 0, v18
	s_xor_b32 s14, exec_lo, s14
; %bb.15351:                            ;   in Loop: Header=BB4_15177 Depth=3
	s_delay_alu instid0(VALU_DEP_2) | instskip(SKIP_2) | instid1(VALU_DEP_2)
	v_cmp_lt_u64_e32 vcc_lo, 0xffffff, v[4:5]
	v_add_nc_u32_e32 v16, 15, v17
	v_cndmask_b32_e64 v17, 0, 1, vcc_lo
	v_cndmask_b32_e32 v16, v18, v16, vcc_lo
	s_delay_alu instid0(VALU_DEP_2)
	v_lshrrev_b64 v[4:5], v17, v[4:5]
; %bb.15352:                            ;   in Loop: Header=BB4_15177 Depth=3
	s_and_not1_saveexec_b32 s14, s14
; %bb.15353:                            ;   in Loop: Header=BB4_15177 Depth=3
	s_delay_alu instid0(VALU_DEP_1)
	v_bfe_u32 v16, v4, 23, 1
; %bb.15354:                            ;   in Loop: Header=BB4_15177 Depth=3
	s_or_b32 exec_lo, exec_lo, s14
	s_delay_alu instid0(VALU_DEP_2) | instskip(NEXT) | instid1(VALU_DEP_2)
	v_lshrrev_b64 v[4:5], 21, v[4:5]
	v_cmp_gt_i32_e32 vcc_lo, 32, v16
	v_min_i32_e32 v17, 31, v16
	v_cmp_eq_u32_e64 s14, 0, v16
	s_delay_alu instid0(VALU_DEP_4) | instskip(NEXT) | instid1(VALU_DEP_3)
	v_cndmask_b32_e32 v5, 0, v5, vcc_lo
	v_dual_cndmask_b32 v4, 3, v4 :: v_dual_lshlrev_b32 v17, 2, v17
	s_delay_alu instid0(VALU_DEP_1) | instskip(NEXT) | instid1(VALU_DEP_2)
	v_and_b32_e32 v17, 0xfc, v17
	v_cmp_eq_u64_e32 vcc_lo, 0, v[4:5]
	s_delay_alu instid0(VALU_DEP_2)
	v_and_or_b32 v4, v4, 3, v17
	s_and_b32 s14, s14, vcc_lo
	s_delay_alu instid0(VALU_DEP_1) | instid1(SALU_CYCLE_1)
	v_cndmask_b32_e64 v4, v4, 0, s14
	s_delay_alu instid0(VALU_DEP_1)
	v_or_b32_e32 v40, v4, v2
.LBB4_15355:                            ;   in Loop: Header=BB4_15177 Depth=3
	s_or_b32 exec_lo, exec_lo, s78
                                        ; implicit-def: $vgpr2
.LBB4_15356:                            ;   in Loop: Header=BB4_15177 Depth=3
	s_and_not1_saveexec_b32 s14, s77
; %bb.15357:                            ;   in Loop: Header=BB4_15177 Depth=3
	v_or_b32_e32 v40, 0x7b, v2
; %bb.15358:                            ;   in Loop: Header=BB4_15177 Depth=3
	s_or_b32 exec_lo, exec_lo, s14
                                        ; implicit-def: $vgpr16
                                        ; implicit-def: $vgpr4_vgpr5
                                        ; implicit-def: $vgpr2
.LBB4_15359:                            ;   in Loop: Header=BB4_15177 Depth=3
	s_and_not1_saveexec_b32 s14, s76
	s_cbranch_execz .LBB4_15365
; %bb.15360:                            ;   in Loop: Header=BB4_15177 Depth=3
	s_mov_b32 s76, exec_lo
                                        ; implicit-def: $vgpr40
	v_cmpx_ne_u64_e32 0, v[4:5]
	s_xor_b32 s76, exec_lo, s76
; %bb.15361:                            ;   in Loop: Header=BB4_15177 Depth=3
	v_or_b32_e32 v40, 0x7f, v2
                                        ; implicit-def: $vgpr16
; %bb.15362:                            ;   in Loop: Header=BB4_15177 Depth=3
	s_and_not1_saveexec_b32 s76, s76
; %bb.15363:                            ;   in Loop: Header=BB4_15177 Depth=3
	v_cmp_lt_i32_e32 vcc_lo, -1, v16
	v_cndmask_b32_e32 v40, 0xfc, v49, vcc_lo
; %bb.15364:                            ;   in Loop: Header=BB4_15177 Depth=3
	s_or_b32 exec_lo, exec_lo, s76
.LBB4_15365:                            ;   in Loop: Header=BB4_15177 Depth=3
	s_delay_alu instid0(SALU_CYCLE_1) | instskip(SKIP_2) | instid1(VALU_DEP_1)
	s_or_b32 exec_lo, exec_lo, s14
	v_dual_lshrrev_b32 v2, 16, v9 :: v_dual_mov_b32 v4, 0
	s_mov_b32 s14, exec_lo
	v_and_b32_e32 v5, 0xff, v2
	s_delay_alu instid0(VALU_DEP_1)
	v_cmpx_ne_u16_e32 0, v5
	s_cbranch_execz .LBB4_15375
; %bb.15366:                            ;   in Loop: Header=BB4_15177 Depth=3
	v_bfrev_b32_e32 v4, 1
	s_mov_b32 s76, exec_lo
	v_cmpx_ne_u16_e32 0x80, v5
	s_cbranch_execz .LBB4_15374
; %bb.15367:                            ;   in Loop: Header=BB4_15177 Depth=3
	v_and_b32_e32 v4, 0x7c0000, v9
	v_bfe_u32 v5, v9, 16, 2
	s_delay_alu instid0(VALU_DEP_2) | instskip(SKIP_1) | instid1(SALU_CYCLE_1)
	v_cmp_ne_u32_e32 vcc_lo, 0x7c0000, v4
                                        ; implicit-def: $vgpr4
	s_and_saveexec_b32 s77, vcc_lo
	s_xor_b32 s77, exec_lo, s77
	s_cbranch_execz .LBB4_15371
; %bb.15368:                            ;   in Loop: Header=BB4_15177 Depth=3
	v_bfe_u32 v4, v9, 18, 5
	s_mov_b32 s78, exec_lo
	s_delay_alu instid0(VALU_DEP_1)
	v_cmpx_eq_u32_e32 0, v4
; %bb.15369:                            ;   in Loop: Header=BB4_15177 Depth=3
	v_clz_i32_u32_e32 v4, v5
	s_delay_alu instid0(VALU_DEP_1) | instskip(NEXT) | instid1(VALU_DEP_1)
	v_min_u32_e32 v4, 32, v4
	v_subrev_nc_u32_e32 v5, 29, v4
	v_sub_nc_u32_e32 v4, 30, v4
	s_delay_alu instid0(VALU_DEP_2) | instskip(NEXT) | instid1(VALU_DEP_1)
	v_lshlrev_b64_e32 v[16:17], v5, v[2:3]
	v_and_b32_e32 v5, 3, v16
; %bb.15370:                            ;   in Loop: Header=BB4_15177 Depth=3
	s_or_b32 exec_lo, exec_lo, s78
	v_lshlrev_b32_e32 v2, 24, v2
	s_delay_alu instid0(VALU_DEP_1) | instskip(NEXT) | instid1(VALU_DEP_1)
	v_and_b32_e32 v2, 0x80000000, v2
	v_lshl_add_u32 v2, v4, 23, v2
	s_delay_alu instid0(VALU_DEP_1) | instskip(NEXT) | instid1(VALU_DEP_1)
	v_lshl_or_b32 v2, v5, 21, v2
                                        ; implicit-def: $vgpr5
	v_add_nc_u32_e32 v4, 0x38000000, v2
                                        ; implicit-def: $vgpr2
.LBB4_15371:                            ;   in Loop: Header=BB4_15177 Depth=3
	s_and_not1_saveexec_b32 s77, s77
; %bb.15372:                            ;   in Loop: Header=BB4_15177 Depth=3
	v_bfe_i32 v2, v2, 0, 8
	s_delay_alu instid0(VALU_DEP_1) | instskip(SKIP_2) | instid1(VALU_DEP_2)
	v_cmp_lt_i16_e32 vcc_lo, -1, v2
	v_cndmask_b32_e32 v2, 0xff800000, v48, vcc_lo
	v_cmp_eq_u32_e32 vcc_lo, 0, v5
	v_cndmask_b32_e32 v4, 0x7f800001, v2, vcc_lo
; %bb.15373:                            ;   in Loop: Header=BB4_15177 Depth=3
	s_or_b32 exec_lo, exec_lo, s77
.LBB4_15374:                            ;   in Loop: Header=BB4_15177 Depth=3
	s_delay_alu instid0(SALU_CYCLE_1)
	s_or_b32 exec_lo, exec_lo, s76
.LBB4_15375:                            ;   in Loop: Header=BB4_15177 Depth=3
	s_delay_alu instid0(SALU_CYCLE_1) | instskip(NEXT) | instid1(VALU_DEP_1)
	s_or_b32 exec_lo, exec_lo, s14
	v_dual_mul_f32 v16, s75, v4 :: v_dual_mov_b32 v19, v3
	v_mov_b32_e32 v5, v3
                                        ; implicit-def: $vgpr44
	s_mov_b32 s14, exec_lo
	s_delay_alu instid0(VALU_DEP_2) | instskip(SKIP_2) | instid1(VALU_DEP_3)
	v_and_b32_e32 v18, 0x7f800000, v16
	v_and_b32_e32 v4, 0x7fffff, v16
	v_lshrrev_b32_e32 v2, 24, v16
	v_cmpx_ne_u64_e32 0x7f800000, v[18:19]
	s_xor_b32 s76, exec_lo, s14
	s_cbranch_execz .LBB4_15389
; %bb.15376:                            ;   in Loop: Header=BB4_15177 Depth=3
	v_and_b32_e32 v18, 0x7fffffff, v16
	v_mov_b32_e32 v19, v3
	v_and_b32_e32 v2, 0x80, v2
                                        ; implicit-def: $vgpr44
	s_mov_b32 s14, exec_lo
	s_delay_alu instid0(VALU_DEP_2)
	v_cmpx_gt_u64_e32 0x47600001, v[18:19]
	s_xor_b32 s77, exec_lo, s14
	s_cbranch_execz .LBB4_15386
; %bb.15377:                            ;   in Loop: Header=BB4_15177 Depth=3
	v_mov_b32_e32 v44, 0
	s_mov_b32 s78, exec_lo
	v_cmpx_ne_u32_e32 0, v16
	s_cbranch_execz .LBB4_15385
; %bb.15378:                            ;   in Loop: Header=BB4_15177 Depth=3
	v_bfe_u32 v18, v16, 23, 8
	v_or_b32_e32 v67, 0x800000, v4
	s_delay_alu instid0(VALU_DEP_2) | instskip(SKIP_1) | instid1(VALU_DEP_2)
	v_sub_nc_u32_e32 v16, 0x71, v18
	v_cmp_gt_u32_e32 vcc_lo, 0x72, v18
	v_cndmask_b32_e32 v16, 0, v16, vcc_lo
	v_cmp_eq_u32_e32 vcc_lo, 0, v18
	s_delay_alu instid0(VALU_DEP_2) | instskip(NEXT) | instid1(VALU_DEP_1)
	v_cndmask_b32_e64 v19, v16, 0x70, vcc_lo
	v_dual_cndmask_b32 v4, v67, v4, vcc_lo :: v_dual_add_nc_u32 v16, 21, v19
	v_add_nc_u32_e32 v86, 20, v19
	s_delay_alu instid0(VALU_DEP_2) | instskip(NEXT) | instid1(VALU_DEP_2)
	v_lshlrev_b64_e64 v[16:17], v16, -1
	v_lshlrev_b64_e64 v[86:87], v86, 1
	s_delay_alu instid0(VALU_DEP_2) | instskip(SKIP_1) | instid1(VALU_DEP_4)
	v_bfi_b32 v16, v16, 0, v4
	v_lshrrev_b64 v[4:5], v19, v[4:5]
	v_bfi_b32 v17, v17, 0, 0
	s_delay_alu instid0(VALU_DEP_1) | instskip(NEXT) | instid1(VALU_DEP_3)
	v_cmp_eq_u64_e64 s14, v[16:17], v[86:87]
	v_mov_b64_e32 v[16:17], v[4:5]
	s_and_saveexec_b32 s79, s14
; %bb.15379:                            ;   in Loop: Header=BB4_15177 Depth=3
	v_bfe_u32 v16, v4, 21, 1
	v_mov_b32_e32 v17, v3
	s_delay_alu instid0(VALU_DEP_1) | instskip(NEXT) | instid1(VALU_DEP_1)
	v_add_nc_u64_e32 v[16:17], v[4:5], v[16:17]
	v_add_nc_u64_e32 v[16:17], -1, v[16:17]
; %bb.15380:                            ;   in Loop: Header=BB4_15177 Depth=3
	s_or_b32 exec_lo, exec_lo, s79
	v_add_nc_u32_e32 v5, 0xffffff81, v18
	v_lshrrev_b32_e32 v17, 23, v4
	s_mov_b32 s14, exec_lo
	s_delay_alu instid0(VALU_DEP_2) | instskip(NEXT) | instid1(VALU_DEP_1)
	v_cndmask_b32_e64 v5, v5, 0xffffff82, vcc_lo
	v_add3_u32 v17, v19, v5, v17
	v_and_b32_e32 v5, 0x1fffff, v16
                                        ; implicit-def: $vgpr16
	s_delay_alu instid0(VALU_DEP_1) | instskip(SKIP_1) | instid1(VALU_DEP_2)
	v_dual_add_nc_u32 v18, 14, v17 :: v_dual_add_nc_u32 v4, v5, v4
	v_mov_b32_e32 v5, v3
	v_cmpx_ne_u32_e32 0, v18
	s_xor_b32 s14, exec_lo, s14
; %bb.15381:                            ;   in Loop: Header=BB4_15177 Depth=3
	s_delay_alu instid0(VALU_DEP_2) | instskip(SKIP_2) | instid1(VALU_DEP_2)
	v_cmp_lt_u64_e32 vcc_lo, 0xffffff, v[4:5]
	v_add_nc_u32_e32 v16, 15, v17
	v_cndmask_b32_e64 v17, 0, 1, vcc_lo
	v_cndmask_b32_e32 v16, v18, v16, vcc_lo
	s_delay_alu instid0(VALU_DEP_2)
	v_lshrrev_b64 v[4:5], v17, v[4:5]
; %bb.15382:                            ;   in Loop: Header=BB4_15177 Depth=3
	s_and_not1_saveexec_b32 s14, s14
; %bb.15383:                            ;   in Loop: Header=BB4_15177 Depth=3
	s_delay_alu instid0(VALU_DEP_1)
	v_bfe_u32 v16, v4, 23, 1
; %bb.15384:                            ;   in Loop: Header=BB4_15177 Depth=3
	s_or_b32 exec_lo, exec_lo, s14
	s_delay_alu instid0(VALU_DEP_2) | instskip(NEXT) | instid1(VALU_DEP_2)
	v_lshrrev_b64 v[4:5], 21, v[4:5]
	v_cmp_gt_i32_e32 vcc_lo, 32, v16
	v_min_i32_e32 v17, 31, v16
	v_cmp_eq_u32_e64 s14, 0, v16
	s_delay_alu instid0(VALU_DEP_4) | instskip(NEXT) | instid1(VALU_DEP_3)
	v_cndmask_b32_e32 v5, 0, v5, vcc_lo
	v_dual_cndmask_b32 v4, 3, v4 :: v_dual_lshlrev_b32 v17, 2, v17
	s_delay_alu instid0(VALU_DEP_1) | instskip(NEXT) | instid1(VALU_DEP_2)
	v_and_b32_e32 v17, 0xfc, v17
	v_cmp_eq_u64_e32 vcc_lo, 0, v[4:5]
	s_delay_alu instid0(VALU_DEP_2)
	v_and_or_b32 v4, v4, 3, v17
	s_and_b32 s14, s14, vcc_lo
	s_delay_alu instid0(VALU_DEP_1) | instid1(SALU_CYCLE_1)
	v_cndmask_b32_e64 v4, v4, 0, s14
	s_delay_alu instid0(VALU_DEP_1)
	v_or_b32_e32 v44, v4, v2
.LBB4_15385:                            ;   in Loop: Header=BB4_15177 Depth=3
	s_or_b32 exec_lo, exec_lo, s78
                                        ; implicit-def: $vgpr2
.LBB4_15386:                            ;   in Loop: Header=BB4_15177 Depth=3
	s_and_not1_saveexec_b32 s14, s77
; %bb.15387:                            ;   in Loop: Header=BB4_15177 Depth=3
	v_or_b32_e32 v44, 0x7b, v2
; %bb.15388:                            ;   in Loop: Header=BB4_15177 Depth=3
	s_or_b32 exec_lo, exec_lo, s14
                                        ; implicit-def: $vgpr16
                                        ; implicit-def: $vgpr4_vgpr5
                                        ; implicit-def: $vgpr2
.LBB4_15389:                            ;   in Loop: Header=BB4_15177 Depth=3
	s_and_not1_saveexec_b32 s14, s76
	s_cbranch_execz .LBB4_15395
; %bb.15390:                            ;   in Loop: Header=BB4_15177 Depth=3
	s_mov_b32 s76, exec_lo
                                        ; implicit-def: $vgpr44
	v_cmpx_ne_u64_e32 0, v[4:5]
	s_xor_b32 s76, exec_lo, s76
; %bb.15391:                            ;   in Loop: Header=BB4_15177 Depth=3
	v_or_b32_e32 v44, 0x7f, v2
                                        ; implicit-def: $vgpr16
; %bb.15392:                            ;   in Loop: Header=BB4_15177 Depth=3
	s_and_not1_saveexec_b32 s76, s76
; %bb.15393:                            ;   in Loop: Header=BB4_15177 Depth=3
	v_cmp_lt_i32_e32 vcc_lo, -1, v16
	v_cndmask_b32_e32 v44, 0xfc, v49, vcc_lo
; %bb.15394:                            ;   in Loop: Header=BB4_15177 Depth=3
	s_or_b32 exec_lo, exec_lo, s76
.LBB4_15395:                            ;   in Loop: Header=BB4_15177 Depth=3
	s_delay_alu instid0(SALU_CYCLE_1)
	s_or_b32 exec_lo, exec_lo, s14
	v_mov_b32_e32 v4, 0
	s_mov_b32 s14, exec_lo
	v_cmpx_lt_u64_e64 s[22:23], v[8:9]
	s_cbranch_execz .LBB4_15405
; %bb.15396:                            ;   in Loop: Header=BB4_15177 Depth=3
	v_lshrrev_b32_e32 v2, 24, v9
	v_bfrev_b32_e32 v4, 1
	s_mov_b32 s76, exec_lo
	s_delay_alu instid0(VALU_DEP_2)
	v_cmpx_ne_u32_e32 0x80, v2
	s_cbranch_execz .LBB4_15404
; %bb.15397:                            ;   in Loop: Header=BB4_15177 Depth=3
	v_and_b32_e32 v4, 0x7c000000, v9
	v_bfe_u32 v5, v9, 24, 2
	s_delay_alu instid0(VALU_DEP_2) | instskip(SKIP_1) | instid1(SALU_CYCLE_1)
	v_cmp_ne_u32_e32 vcc_lo, 0x7c000000, v4
                                        ; implicit-def: $vgpr4
	s_and_saveexec_b32 s77, vcc_lo
	s_xor_b32 s77, exec_lo, s77
	s_cbranch_execz .LBB4_15401
; %bb.15398:                            ;   in Loop: Header=BB4_15177 Depth=3
	v_bfe_u32 v4, v9, 26, 5
	s_mov_b32 s78, exec_lo
	s_delay_alu instid0(VALU_DEP_1)
	v_cmpx_eq_u32_e32 0, v4
; %bb.15399:                            ;   in Loop: Header=BB4_15177 Depth=3
	v_clz_i32_u32_e32 v4, v5
	s_delay_alu instid0(VALU_DEP_1) | instskip(NEXT) | instid1(VALU_DEP_1)
	v_min_u32_e32 v4, 32, v4
	v_subrev_nc_u32_e32 v5, 29, v4
	v_sub_nc_u32_e32 v4, 30, v4
	s_delay_alu instid0(VALU_DEP_2) | instskip(NEXT) | instid1(VALU_DEP_1)
	v_lshlrev_b64_e32 v[16:17], v5, v[2:3]
	v_and_b32_e32 v5, 3, v16
; %bb.15400:                            ;   in Loop: Header=BB4_15177 Depth=3
	s_or_b32 exec_lo, exec_lo, s78
	v_and_b32_e32 v2, 0x80000000, v9
	s_delay_alu instid0(VALU_DEP_1) | instskip(NEXT) | instid1(VALU_DEP_1)
	v_lshl_add_u32 v2, v4, 23, v2
	v_lshl_or_b32 v2, v5, 21, v2
                                        ; implicit-def: $vgpr5
	s_delay_alu instid0(VALU_DEP_1)
	v_add_nc_u32_e32 v4, 0x38000000, v2
.LBB4_15401:                            ;   in Loop: Header=BB4_15177 Depth=3
	s_and_not1_saveexec_b32 s77, s77
; %bb.15402:                            ;   in Loop: Header=BB4_15177 Depth=3
	v_cmp_lt_i64_e32 vcc_lo, -1, v[8:9]
	v_cndmask_b32_e32 v2, 0xff800000, v48, vcc_lo
	v_cmp_eq_u32_e32 vcc_lo, 0, v5
	s_delay_alu instid0(VALU_DEP_2)
	v_cndmask_b32_e32 v4, 0x7f800001, v2, vcc_lo
; %bb.15403:                            ;   in Loop: Header=BB4_15177 Depth=3
	s_or_b32 exec_lo, exec_lo, s77
.LBB4_15404:                            ;   in Loop: Header=BB4_15177 Depth=3
	s_delay_alu instid0(SALU_CYCLE_1)
	s_or_b32 exec_lo, exec_lo, s76
.LBB4_15405:                            ;   in Loop: Header=BB4_15177 Depth=3
	s_delay_alu instid0(SALU_CYCLE_1) | instskip(NEXT) | instid1(VALU_DEP_1)
	s_or_b32 exec_lo, exec_lo, s14
	v_dual_mul_f32 v8, s75, v4 :: v_dual_mov_b32 v17, v3
	v_mov_b32_e32 v5, v3
                                        ; implicit-def: $vgpr45
	s_mov_b32 s14, exec_lo
	s_delay_alu instid0(VALU_DEP_2) | instskip(SKIP_2) | instid1(VALU_DEP_3)
	v_and_b32_e32 v16, 0x7f800000, v8
	v_and_b32_e32 v4, 0x7fffff, v8
	v_lshrrev_b32_e32 v2, 24, v8
	v_cmpx_ne_u64_e32 0x7f800000, v[16:17]
	s_xor_b32 s76, exec_lo, s14
	s_cbranch_execz .LBB4_15419
; %bb.15406:                            ;   in Loop: Header=BB4_15177 Depth=3
	v_and_b32_e32 v16, 0x7fffffff, v8
	v_mov_b32_e32 v17, v3
	v_and_b32_e32 v2, 0x80, v2
                                        ; implicit-def: $vgpr45
	s_mov_b32 s14, exec_lo
	s_delay_alu instid0(VALU_DEP_2)
	v_cmpx_gt_u64_e32 0x47600001, v[16:17]
	s_xor_b32 s77, exec_lo, s14
	s_cbranch_execz .LBB4_15416
; %bb.15407:                            ;   in Loop: Header=BB4_15177 Depth=3
	v_mov_b32_e32 v45, 0
	s_mov_b32 s78, exec_lo
	v_cmpx_ne_u32_e32 0, v8
	s_cbranch_execz .LBB4_15415
; %bb.15408:                            ;   in Loop: Header=BB4_15177 Depth=3
	v_bfe_u32 v16, v8, 23, 8
	v_or_b32_e32 v18, 0x800000, v4
	s_delay_alu instid0(VALU_DEP_2) | instskip(SKIP_1) | instid1(VALU_DEP_2)
	v_sub_nc_u32_e32 v8, 0x71, v16
	v_cmp_gt_u32_e32 vcc_lo, 0x72, v16
	v_cndmask_b32_e32 v8, 0, v8, vcc_lo
	v_cmp_eq_u32_e32 vcc_lo, 0, v16
	s_delay_alu instid0(VALU_DEP_2) | instskip(NEXT) | instid1(VALU_DEP_1)
	v_cndmask_b32_e64 v17, v8, 0x70, vcc_lo
	v_dual_cndmask_b32 v4, v18, v4, vcc_lo :: v_dual_add_nc_u32 v8, 21, v17
	v_add_nc_u32_e32 v19, 20, v17
	s_delay_alu instid0(VALU_DEP_2) | instskip(NEXT) | instid1(VALU_DEP_2)
	v_lshlrev_b64_e64 v[8:9], v8, -1
	v_lshlrev_b64_e64 v[18:19], v19, 1
	s_delay_alu instid0(VALU_DEP_2) | instskip(SKIP_1) | instid1(VALU_DEP_4)
	v_bfi_b32 v8, v8, 0, v4
	v_lshrrev_b64 v[4:5], v17, v[4:5]
	v_bfi_b32 v9, v9, 0, 0
	s_delay_alu instid0(VALU_DEP_1) | instskip(NEXT) | instid1(VALU_DEP_3)
	v_cmp_eq_u64_e64 s14, v[8:9], v[18:19]
	v_mov_b64_e32 v[8:9], v[4:5]
	s_and_saveexec_b32 s79, s14
; %bb.15409:                            ;   in Loop: Header=BB4_15177 Depth=3
	v_bfe_u32 v8, v4, 21, 1
	v_mov_b32_e32 v9, v3
	s_delay_alu instid0(VALU_DEP_1) | instskip(NEXT) | instid1(VALU_DEP_1)
	v_add_nc_u64_e32 v[8:9], v[4:5], v[8:9]
	v_add_nc_u64_e32 v[8:9], -1, v[8:9]
; %bb.15410:                            ;   in Loop: Header=BB4_15177 Depth=3
	s_or_b32 exec_lo, exec_lo, s79
	v_add_nc_u32_e32 v5, 0xffffff81, v16
	v_lshrrev_b32_e32 v9, 23, v4
	s_mov_b32 s14, exec_lo
	s_delay_alu instid0(VALU_DEP_2) | instskip(NEXT) | instid1(VALU_DEP_1)
	v_cndmask_b32_e64 v5, v5, 0xffffff82, vcc_lo
	v_add3_u32 v9, v17, v5, v9
	v_and_b32_e32 v5, 0x1fffff, v8
                                        ; implicit-def: $vgpr8
	s_delay_alu instid0(VALU_DEP_1) | instskip(SKIP_1) | instid1(VALU_DEP_2)
	v_dual_add_nc_u32 v16, 14, v9 :: v_dual_add_nc_u32 v4, v5, v4
	v_mov_b32_e32 v5, v3
	v_cmpx_ne_u32_e32 0, v16
	s_xor_b32 s14, exec_lo, s14
; %bb.15411:                            ;   in Loop: Header=BB4_15177 Depth=3
	s_delay_alu instid0(VALU_DEP_2) | instskip(SKIP_2) | instid1(VALU_DEP_2)
	v_cmp_lt_u64_e32 vcc_lo, 0xffffff, v[4:5]
	v_add_nc_u32_e32 v8, 15, v9
	v_cndmask_b32_e64 v9, 0, 1, vcc_lo
	v_cndmask_b32_e32 v8, v16, v8, vcc_lo
	s_delay_alu instid0(VALU_DEP_2)
	v_lshrrev_b64 v[4:5], v9, v[4:5]
; %bb.15412:                            ;   in Loop: Header=BB4_15177 Depth=3
	s_and_not1_saveexec_b32 s14, s14
; %bb.15413:                            ;   in Loop: Header=BB4_15177 Depth=3
	s_delay_alu instid0(VALU_DEP_1)
	v_bfe_u32 v8, v4, 23, 1
; %bb.15414:                            ;   in Loop: Header=BB4_15177 Depth=3
	s_or_b32 exec_lo, exec_lo, s14
	s_delay_alu instid0(VALU_DEP_2) | instskip(NEXT) | instid1(VALU_DEP_2)
	v_lshrrev_b64 v[4:5], 21, v[4:5]
	v_cmp_gt_i32_e32 vcc_lo, 32, v8
	v_min_i32_e32 v9, 31, v8
	v_cmp_eq_u32_e64 s14, 0, v8
	s_delay_alu instid0(VALU_DEP_4) | instskip(NEXT) | instid1(VALU_DEP_3)
	v_cndmask_b32_e32 v5, 0, v5, vcc_lo
	v_dual_cndmask_b32 v4, 3, v4 :: v_dual_lshlrev_b32 v9, 2, v9
	s_delay_alu instid0(VALU_DEP_1) | instskip(NEXT) | instid1(VALU_DEP_2)
	v_and_b32_e32 v9, 0xfc, v9
	v_cmp_eq_u64_e32 vcc_lo, 0, v[4:5]
	s_delay_alu instid0(VALU_DEP_2)
	v_and_or_b32 v4, v4, 3, v9
	s_and_b32 s14, s14, vcc_lo
	s_delay_alu instid0(VALU_DEP_1) | instid1(SALU_CYCLE_1)
	v_cndmask_b32_e64 v4, v4, 0, s14
	s_delay_alu instid0(VALU_DEP_1)
	v_or_b32_e32 v45, v4, v2
.LBB4_15415:                            ;   in Loop: Header=BB4_15177 Depth=3
	s_or_b32 exec_lo, exec_lo, s78
                                        ; implicit-def: $vgpr2
.LBB4_15416:                            ;   in Loop: Header=BB4_15177 Depth=3
	s_and_not1_saveexec_b32 s14, s77
; %bb.15417:                            ;   in Loop: Header=BB4_15177 Depth=3
	v_or_b32_e32 v45, 0x7b, v2
; %bb.15418:                            ;   in Loop: Header=BB4_15177 Depth=3
	s_or_b32 exec_lo, exec_lo, s14
                                        ; implicit-def: $vgpr8
                                        ; implicit-def: $vgpr4_vgpr5
                                        ; implicit-def: $vgpr2
.LBB4_15419:                            ;   in Loop: Header=BB4_15177 Depth=3
	s_and_not1_saveexec_b32 s14, s76
	s_cbranch_execz .LBB4_15425
; %bb.15420:                            ;   in Loop: Header=BB4_15177 Depth=3
	s_mov_b32 s76, exec_lo
                                        ; implicit-def: $vgpr45
	v_cmpx_ne_u64_e32 0, v[4:5]
	s_xor_b32 s76, exec_lo, s76
; %bb.15421:                            ;   in Loop: Header=BB4_15177 Depth=3
	v_or_b32_e32 v45, 0x7f, v2
                                        ; implicit-def: $vgpr8
; %bb.15422:                            ;   in Loop: Header=BB4_15177 Depth=3
	s_and_not1_saveexec_b32 s76, s76
; %bb.15423:                            ;   in Loop: Header=BB4_15177 Depth=3
	v_cmp_lt_i32_e32 vcc_lo, -1, v8
	v_cndmask_b32_e32 v45, 0xfc, v49, vcc_lo
; %bb.15424:                            ;   in Loop: Header=BB4_15177 Depth=3
	s_or_b32 exec_lo, exec_lo, s76
.LBB4_15425:                            ;   in Loop: Header=BB4_15177 Depth=3
	s_delay_alu instid0(SALU_CYCLE_1) | instskip(SKIP_1) | instid1(VALU_DEP_1)
	s_or_b32 exec_lo, exec_lo, s14
	v_and_b32_e32 v2, 0xff, v10
	v_cmp_ne_u16_e32 vcc_lo, 0, v2
	v_mov_b32_e32 v2, 0
	s_and_saveexec_b32 s14, vcc_lo
	s_cbranch_execz .LBB4_15435
; %bb.15426:                            ;   in Loop: Header=BB4_15177 Depth=3
	v_bfe_i32 v5, v10, 0, 8
	v_bfrev_b32_e32 v2, 1
	s_mov_b32 s76, exec_lo
	s_delay_alu instid0(VALU_DEP_2)
	v_cmpx_ne_u16_e32 0xff80, v5
	s_cbranch_execz .LBB4_15434
; %bb.15427:                            ;   in Loop: Header=BB4_15177 Depth=3
	v_and_b32_e32 v2, 0x7c, v10
	v_and_b32_e32 v4, 3, v10
	s_delay_alu instid0(VALU_DEP_2) | instskip(SKIP_1) | instid1(SALU_CYCLE_1)
	v_cmp_ne_u32_e32 vcc_lo, 0x7c, v2
                                        ; implicit-def: $vgpr2
	s_and_saveexec_b32 s77, vcc_lo
	s_xor_b32 s77, exec_lo, s77
	s_cbranch_execz .LBB4_15431
; %bb.15428:                            ;   in Loop: Header=BB4_15177 Depth=3
	v_bfe_u32 v2, v10, 2, 5
	s_mov_b32 s78, exec_lo
	s_delay_alu instid0(VALU_DEP_1)
	v_cmpx_eq_u32_e32 0, v2
; %bb.15429:                            ;   in Loop: Header=BB4_15177 Depth=3
	v_clz_i32_u32_e32 v2, v4
	s_delay_alu instid0(VALU_DEP_1) | instskip(NEXT) | instid1(VALU_DEP_1)
	v_min_u32_e32 v2, 32, v2
	v_subrev_nc_u32_e32 v4, 29, v2
	s_delay_alu instid0(VALU_DEP_1) | instskip(NEXT) | instid1(VALU_DEP_1)
	v_lshlrev_b64_e32 v[4:5], v4, v[10:11]
	v_dual_sub_nc_u32 v2, 30, v2 :: v_dual_bitop2_b32 v4, 3, v4 bitop3:0x40
; %bb.15430:                            ;   in Loop: Header=BB4_15177 Depth=3
	s_or_b32 exec_lo, exec_lo, s78
	v_lshlrev_b32_e32 v5, 24, v10
	s_delay_alu instid0(VALU_DEP_1) | instskip(NEXT) | instid1(VALU_DEP_1)
	v_and_b32_e32 v5, 0x80000000, v5
	v_lshl_add_u32 v2, v2, 23, v5
                                        ; implicit-def: $vgpr5
	s_delay_alu instid0(VALU_DEP_1) | instskip(NEXT) | instid1(VALU_DEP_1)
	v_lshl_or_b32 v2, v4, 21, v2
                                        ; implicit-def: $vgpr4
	v_add_nc_u32_e32 v2, 0x38000000, v2
.LBB4_15431:                            ;   in Loop: Header=BB4_15177 Depth=3
	s_and_not1_saveexec_b32 s77, s77
; %bb.15432:                            ;   in Loop: Header=BB4_15177 Depth=3
	v_cmp_lt_i16_e32 vcc_lo, -1, v5
	v_cndmask_b32_e32 v2, 0xff800000, v48, vcc_lo
	v_cmp_eq_u32_e32 vcc_lo, 0, v4
	s_delay_alu instid0(VALU_DEP_2)
	v_cndmask_b32_e32 v2, 0x7f800001, v2, vcc_lo
; %bb.15433:                            ;   in Loop: Header=BB4_15177 Depth=3
	s_or_b32 exec_lo, exec_lo, s77
.LBB4_15434:                            ;   in Loop: Header=BB4_15177 Depth=3
	s_delay_alu instid0(SALU_CYCLE_1)
	s_or_b32 exec_lo, exec_lo, s76
.LBB4_15435:                            ;   in Loop: Header=BB4_15177 Depth=3
	s_delay_alu instid0(SALU_CYCLE_1) | instskip(NEXT) | instid1(VALU_DEP_1)
	s_or_b32 exec_lo, exec_lo, s14
	v_dual_mul_f32 v8, s75, v2 :: v_dual_mov_b32 v17, v3
	v_mov_b32_e32 v5, v3
                                        ; implicit-def: $vgpr101
	s_mov_b32 s14, exec_lo
	s_delay_alu instid0(VALU_DEP_2) | instskip(SKIP_2) | instid1(VALU_DEP_3)
	v_and_b32_e32 v16, 0x7f800000, v8
	v_and_b32_e32 v4, 0x7fffff, v8
	v_lshrrev_b32_e32 v2, 24, v8
	v_cmpx_ne_u64_e32 0x7f800000, v[16:17]
	s_xor_b32 s76, exec_lo, s14
	s_cbranch_execz .LBB4_15449
; %bb.15436:                            ;   in Loop: Header=BB4_15177 Depth=3
	v_and_b32_e32 v16, 0x7fffffff, v8
	v_mov_b32_e32 v17, v3
	v_and_b32_e32 v2, 0x80, v2
                                        ; implicit-def: $vgpr101
	s_mov_b32 s14, exec_lo
	s_delay_alu instid0(VALU_DEP_2)
	v_cmpx_gt_u64_e32 0x47600001, v[16:17]
	s_xor_b32 s77, exec_lo, s14
	s_cbranch_execz .LBB4_15446
; %bb.15437:                            ;   in Loop: Header=BB4_15177 Depth=3
	v_mov_b32_e32 v101, 0
	s_mov_b32 s78, exec_lo
	v_cmpx_ne_u32_e32 0, v8
	s_cbranch_execz .LBB4_15445
; %bb.15438:                            ;   in Loop: Header=BB4_15177 Depth=3
	v_bfe_u32 v16, v8, 23, 8
	v_or_b32_e32 v18, 0x800000, v4
	s_delay_alu instid0(VALU_DEP_2) | instskip(SKIP_1) | instid1(VALU_DEP_2)
	v_sub_nc_u32_e32 v8, 0x71, v16
	v_cmp_gt_u32_e32 vcc_lo, 0x72, v16
	v_cndmask_b32_e32 v8, 0, v8, vcc_lo
	v_cmp_eq_u32_e32 vcc_lo, 0, v16
	s_delay_alu instid0(VALU_DEP_2) | instskip(NEXT) | instid1(VALU_DEP_1)
	v_cndmask_b32_e64 v17, v8, 0x70, vcc_lo
	v_dual_cndmask_b32 v4, v18, v4, vcc_lo :: v_dual_add_nc_u32 v8, 21, v17
	v_add_nc_u32_e32 v19, 20, v17
	s_delay_alu instid0(VALU_DEP_2) | instskip(NEXT) | instid1(VALU_DEP_2)
	v_lshlrev_b64_e64 v[8:9], v8, -1
	v_lshlrev_b64_e64 v[18:19], v19, 1
	s_delay_alu instid0(VALU_DEP_2) | instskip(SKIP_1) | instid1(VALU_DEP_4)
	v_bfi_b32 v8, v8, 0, v4
	v_lshrrev_b64 v[4:5], v17, v[4:5]
	v_bfi_b32 v9, v9, 0, 0
	s_delay_alu instid0(VALU_DEP_1) | instskip(NEXT) | instid1(VALU_DEP_3)
	v_cmp_eq_u64_e64 s14, v[8:9], v[18:19]
	v_mov_b64_e32 v[8:9], v[4:5]
	s_and_saveexec_b32 s79, s14
; %bb.15439:                            ;   in Loop: Header=BB4_15177 Depth=3
	v_bfe_u32 v8, v4, 21, 1
	v_mov_b32_e32 v9, v3
	s_delay_alu instid0(VALU_DEP_1) | instskip(NEXT) | instid1(VALU_DEP_1)
	v_add_nc_u64_e32 v[8:9], v[4:5], v[8:9]
	v_add_nc_u64_e32 v[8:9], -1, v[8:9]
; %bb.15440:                            ;   in Loop: Header=BB4_15177 Depth=3
	s_or_b32 exec_lo, exec_lo, s79
	v_add_nc_u32_e32 v5, 0xffffff81, v16
	v_lshrrev_b32_e32 v9, 23, v4
	s_mov_b32 s14, exec_lo
	s_delay_alu instid0(VALU_DEP_2) | instskip(NEXT) | instid1(VALU_DEP_1)
	v_cndmask_b32_e64 v5, v5, 0xffffff82, vcc_lo
	v_add3_u32 v9, v17, v5, v9
	v_and_b32_e32 v5, 0x1fffff, v8
                                        ; implicit-def: $vgpr8
	s_delay_alu instid0(VALU_DEP_1) | instskip(SKIP_1) | instid1(VALU_DEP_2)
	v_dual_add_nc_u32 v16, 14, v9 :: v_dual_add_nc_u32 v4, v5, v4
	v_mov_b32_e32 v5, v3
	v_cmpx_ne_u32_e32 0, v16
	s_xor_b32 s14, exec_lo, s14
; %bb.15441:                            ;   in Loop: Header=BB4_15177 Depth=3
	s_delay_alu instid0(VALU_DEP_2) | instskip(SKIP_2) | instid1(VALU_DEP_2)
	v_cmp_lt_u64_e32 vcc_lo, 0xffffff, v[4:5]
	v_add_nc_u32_e32 v8, 15, v9
	v_cndmask_b32_e64 v9, 0, 1, vcc_lo
	v_cndmask_b32_e32 v8, v16, v8, vcc_lo
	s_delay_alu instid0(VALU_DEP_2)
	v_lshrrev_b64 v[4:5], v9, v[4:5]
; %bb.15442:                            ;   in Loop: Header=BB4_15177 Depth=3
	s_and_not1_saveexec_b32 s14, s14
; %bb.15443:                            ;   in Loop: Header=BB4_15177 Depth=3
	s_delay_alu instid0(VALU_DEP_1)
	v_bfe_u32 v8, v4, 23, 1
; %bb.15444:                            ;   in Loop: Header=BB4_15177 Depth=3
	s_or_b32 exec_lo, exec_lo, s14
	s_delay_alu instid0(VALU_DEP_2) | instskip(NEXT) | instid1(VALU_DEP_2)
	v_lshrrev_b64 v[4:5], 21, v[4:5]
	v_cmp_gt_i32_e32 vcc_lo, 32, v8
	v_min_i32_e32 v9, 31, v8
	v_cmp_eq_u32_e64 s14, 0, v8
	s_delay_alu instid0(VALU_DEP_4) | instskip(NEXT) | instid1(VALU_DEP_3)
	v_cndmask_b32_e32 v5, 0, v5, vcc_lo
	v_dual_cndmask_b32 v4, 3, v4 :: v_dual_lshlrev_b32 v9, 2, v9
	s_delay_alu instid0(VALU_DEP_1) | instskip(NEXT) | instid1(VALU_DEP_2)
	v_and_b32_e32 v9, 0xfc, v9
	v_cmp_eq_u64_e32 vcc_lo, 0, v[4:5]
	s_delay_alu instid0(VALU_DEP_2)
	v_and_or_b32 v4, v4, 3, v9
	s_and_b32 s14, s14, vcc_lo
	s_delay_alu instid0(VALU_DEP_1) | instid1(SALU_CYCLE_1)
	v_cndmask_b32_e64 v4, v4, 0, s14
	s_delay_alu instid0(VALU_DEP_1)
	v_or_b32_e32 v101, v4, v2
.LBB4_15445:                            ;   in Loop: Header=BB4_15177 Depth=3
	s_or_b32 exec_lo, exec_lo, s78
                                        ; implicit-def: $vgpr2
.LBB4_15446:                            ;   in Loop: Header=BB4_15177 Depth=3
	s_and_not1_saveexec_b32 s14, s77
; %bb.15447:                            ;   in Loop: Header=BB4_15177 Depth=3
	v_or_b32_e32 v101, 0x7b, v2
; %bb.15448:                            ;   in Loop: Header=BB4_15177 Depth=3
	s_or_b32 exec_lo, exec_lo, s14
                                        ; implicit-def: $vgpr8
                                        ; implicit-def: $vgpr4_vgpr5
                                        ; implicit-def: $vgpr2
.LBB4_15449:                            ;   in Loop: Header=BB4_15177 Depth=3
	s_and_not1_saveexec_b32 s14, s76
	s_cbranch_execz .LBB4_15455
; %bb.15450:                            ;   in Loop: Header=BB4_15177 Depth=3
	s_mov_b32 s76, exec_lo
                                        ; implicit-def: $vgpr101
	v_cmpx_ne_u64_e32 0, v[4:5]
	s_xor_b32 s76, exec_lo, s76
; %bb.15451:                            ;   in Loop: Header=BB4_15177 Depth=3
	v_or_b32_e32 v101, 0x7f, v2
                                        ; implicit-def: $vgpr8
; %bb.15452:                            ;   in Loop: Header=BB4_15177 Depth=3
	s_and_not1_saveexec_b32 s76, s76
; %bb.15453:                            ;   in Loop: Header=BB4_15177 Depth=3
	v_cmp_lt_i32_e32 vcc_lo, -1, v8
	v_cndmask_b32_e32 v101, 0xfc, v49, vcc_lo
; %bb.15454:                            ;   in Loop: Header=BB4_15177 Depth=3
	s_or_b32 exec_lo, exec_lo, s76
.LBB4_15455:                            ;   in Loop: Header=BB4_15177 Depth=3
	s_delay_alu instid0(SALU_CYCLE_1) | instskip(SKIP_3) | instid1(VALU_DEP_2)
	s_or_b32 exec_lo, exec_lo, s14
	v_lshrrev_b16 v4, 8, v10
	v_mov_b32_e32 v5, 0
	s_mov_b32 s14, exec_lo
	v_cmpx_ne_u16_e32 0, v4
	s_cbranch_execz .LBB4_15465
; %bb.15456:                            ;   in Loop: Header=BB4_15177 Depth=3
	v_bfrev_b32_e32 v5, 1
	s_mov_b32 s76, exec_lo
	v_cmpx_ne_u16_e32 0x80, v4
	s_cbranch_execz .LBB4_15464
; %bb.15457:                            ;   in Loop: Header=BB4_15177 Depth=3
	v_and_b32_e32 v8, 0xffff, v4
	s_delay_alu instid0(VALU_DEP_1) | instskip(SKIP_1) | instid1(VALU_DEP_2)
	v_and_b32_e32 v5, 0x7c, v8
	v_and_b32_e32 v2, 3, v8
	v_cmp_ne_u32_e32 vcc_lo, 0x7c, v5
                                        ; implicit-def: $vgpr5
	s_and_saveexec_b32 s77, vcc_lo
	s_delay_alu instid0(SALU_CYCLE_1)
	s_xor_b32 s77, exec_lo, s77
	s_cbranch_execz .LBB4_15461
; %bb.15458:                            ;   in Loop: Header=BB4_15177 Depth=3
	v_bfe_u32 v5, v8, 2, 5
	s_mov_b32 s78, exec_lo
	s_delay_alu instid0(VALU_DEP_1)
	v_cmpx_eq_u32_e32 0, v5
; %bb.15459:                            ;   in Loop: Header=BB4_15177 Depth=3
	v_clz_i32_u32_e32 v2, v2
	v_mov_b32_e32 v5, v3
	s_delay_alu instid0(VALU_DEP_2) | instskip(NEXT) | instid1(VALU_DEP_1)
	v_min_u32_e32 v2, 32, v2
	v_subrev_nc_u32_e32 v8, 29, v2
	s_delay_alu instid0(VALU_DEP_1) | instskip(NEXT) | instid1(VALU_DEP_1)
	v_lshlrev_b64_e32 v[4:5], v8, v[4:5]
	v_dual_sub_nc_u32 v5, 30, v2 :: v_dual_bitop2_b32 v2, 3, v4 bitop3:0x40
; %bb.15460:                            ;   in Loop: Header=BB4_15177 Depth=3
	s_or_b32 exec_lo, exec_lo, s78
	v_lshlrev_b32_e32 v4, 16, v10
	s_delay_alu instid0(VALU_DEP_1) | instskip(NEXT) | instid1(VALU_DEP_1)
	v_and_b32_e32 v4, 0x80000000, v4
	v_lshl_add_u32 v4, v5, 23, v4
	s_delay_alu instid0(VALU_DEP_1) | instskip(NEXT) | instid1(VALU_DEP_1)
	v_lshl_or_b32 v2, v2, 21, v4
	v_add_nc_u32_e32 v5, 0x38000000, v2
                                        ; implicit-def: $vgpr2
.LBB4_15461:                            ;   in Loop: Header=BB4_15177 Depth=3
	s_and_not1_saveexec_b32 s77, s77
; %bb.15462:                            ;   in Loop: Header=BB4_15177 Depth=3
	v_cmp_lt_i16_e32 vcc_lo, -1, v10
	v_cndmask_b32_e32 v4, 0xff800000, v48, vcc_lo
	v_cmp_eq_u32_e32 vcc_lo, 0, v2
	s_delay_alu instid0(VALU_DEP_2)
	v_cndmask_b32_e32 v5, 0x7f800001, v4, vcc_lo
; %bb.15463:                            ;   in Loop: Header=BB4_15177 Depth=3
	s_or_b32 exec_lo, exec_lo, s77
.LBB4_15464:                            ;   in Loop: Header=BB4_15177 Depth=3
	s_delay_alu instid0(SALU_CYCLE_1)
	s_or_b32 exec_lo, exec_lo, s76
.LBB4_15465:                            ;   in Loop: Header=BB4_15177 Depth=3
	s_delay_alu instid0(SALU_CYCLE_1) | instskip(NEXT) | instid1(VALU_DEP_1)
	s_or_b32 exec_lo, exec_lo, s14
	v_dual_mul_f32 v8, s75, v5 :: v_dual_mov_b32 v17, v3
	v_mov_b32_e32 v5, v3
                                        ; implicit-def: $vgpr116
	s_mov_b32 s14, exec_lo
	s_delay_alu instid0(VALU_DEP_2) | instskip(SKIP_2) | instid1(VALU_DEP_3)
	v_and_b32_e32 v16, 0x7f800000, v8
	v_and_b32_e32 v4, 0x7fffff, v8
	v_lshrrev_b32_e32 v2, 24, v8
	v_cmpx_ne_u64_e32 0x7f800000, v[16:17]
	s_xor_b32 s76, exec_lo, s14
	s_cbranch_execz .LBB4_15479
; %bb.15466:                            ;   in Loop: Header=BB4_15177 Depth=3
	v_and_b32_e32 v16, 0x7fffffff, v8
	v_mov_b32_e32 v17, v3
	v_and_b32_e32 v2, 0x80, v2
                                        ; implicit-def: $vgpr116
	s_mov_b32 s14, exec_lo
	s_delay_alu instid0(VALU_DEP_2)
	v_cmpx_gt_u64_e32 0x47600001, v[16:17]
	s_xor_b32 s77, exec_lo, s14
	s_cbranch_execz .LBB4_15476
; %bb.15467:                            ;   in Loop: Header=BB4_15177 Depth=3
	v_mov_b32_e32 v116, 0
	s_mov_b32 s78, exec_lo
	v_cmpx_ne_u32_e32 0, v8
	s_cbranch_execz .LBB4_15475
; %bb.15468:                            ;   in Loop: Header=BB4_15177 Depth=3
	v_bfe_u32 v16, v8, 23, 8
	v_or_b32_e32 v18, 0x800000, v4
	s_delay_alu instid0(VALU_DEP_2) | instskip(SKIP_1) | instid1(VALU_DEP_2)
	v_sub_nc_u32_e32 v8, 0x71, v16
	v_cmp_gt_u32_e32 vcc_lo, 0x72, v16
	v_cndmask_b32_e32 v8, 0, v8, vcc_lo
	v_cmp_eq_u32_e32 vcc_lo, 0, v16
	s_delay_alu instid0(VALU_DEP_2) | instskip(NEXT) | instid1(VALU_DEP_1)
	v_cndmask_b32_e64 v17, v8, 0x70, vcc_lo
	v_dual_cndmask_b32 v4, v18, v4, vcc_lo :: v_dual_add_nc_u32 v8, 21, v17
	v_add_nc_u32_e32 v19, 20, v17
	s_delay_alu instid0(VALU_DEP_2) | instskip(NEXT) | instid1(VALU_DEP_2)
	v_lshlrev_b64_e64 v[8:9], v8, -1
	v_lshlrev_b64_e64 v[18:19], v19, 1
	s_delay_alu instid0(VALU_DEP_2) | instskip(SKIP_1) | instid1(VALU_DEP_4)
	v_bfi_b32 v8, v8, 0, v4
	v_lshrrev_b64 v[4:5], v17, v[4:5]
	v_bfi_b32 v9, v9, 0, 0
	s_delay_alu instid0(VALU_DEP_1) | instskip(NEXT) | instid1(VALU_DEP_3)
	v_cmp_eq_u64_e64 s14, v[8:9], v[18:19]
	v_mov_b64_e32 v[8:9], v[4:5]
	s_and_saveexec_b32 s79, s14
; %bb.15469:                            ;   in Loop: Header=BB4_15177 Depth=3
	v_bfe_u32 v8, v4, 21, 1
	v_mov_b32_e32 v9, v3
	s_delay_alu instid0(VALU_DEP_1) | instskip(NEXT) | instid1(VALU_DEP_1)
	v_add_nc_u64_e32 v[8:9], v[4:5], v[8:9]
	v_add_nc_u64_e32 v[8:9], -1, v[8:9]
; %bb.15470:                            ;   in Loop: Header=BB4_15177 Depth=3
	s_or_b32 exec_lo, exec_lo, s79
	v_add_nc_u32_e32 v5, 0xffffff81, v16
	v_lshrrev_b32_e32 v9, 23, v4
	s_mov_b32 s14, exec_lo
	s_delay_alu instid0(VALU_DEP_2) | instskip(NEXT) | instid1(VALU_DEP_1)
	v_cndmask_b32_e64 v5, v5, 0xffffff82, vcc_lo
	v_add3_u32 v9, v17, v5, v9
	v_and_b32_e32 v5, 0x1fffff, v8
                                        ; implicit-def: $vgpr8
	s_delay_alu instid0(VALU_DEP_1) | instskip(SKIP_1) | instid1(VALU_DEP_2)
	v_dual_add_nc_u32 v16, 14, v9 :: v_dual_add_nc_u32 v4, v5, v4
	v_mov_b32_e32 v5, v3
	v_cmpx_ne_u32_e32 0, v16
	s_xor_b32 s14, exec_lo, s14
; %bb.15471:                            ;   in Loop: Header=BB4_15177 Depth=3
	s_delay_alu instid0(VALU_DEP_2) | instskip(SKIP_2) | instid1(VALU_DEP_2)
	v_cmp_lt_u64_e32 vcc_lo, 0xffffff, v[4:5]
	v_add_nc_u32_e32 v8, 15, v9
	v_cndmask_b32_e64 v9, 0, 1, vcc_lo
	v_cndmask_b32_e32 v8, v16, v8, vcc_lo
	s_delay_alu instid0(VALU_DEP_2)
	v_lshrrev_b64 v[4:5], v9, v[4:5]
; %bb.15472:                            ;   in Loop: Header=BB4_15177 Depth=3
	s_and_not1_saveexec_b32 s14, s14
; %bb.15473:                            ;   in Loop: Header=BB4_15177 Depth=3
	s_delay_alu instid0(VALU_DEP_1)
	v_bfe_u32 v8, v4, 23, 1
; %bb.15474:                            ;   in Loop: Header=BB4_15177 Depth=3
	s_or_b32 exec_lo, exec_lo, s14
	s_delay_alu instid0(VALU_DEP_2) | instskip(NEXT) | instid1(VALU_DEP_2)
	v_lshrrev_b64 v[4:5], 21, v[4:5]
	v_cmp_gt_i32_e32 vcc_lo, 32, v8
	v_min_i32_e32 v9, 31, v8
	v_cmp_eq_u32_e64 s14, 0, v8
	s_delay_alu instid0(VALU_DEP_4) | instskip(NEXT) | instid1(VALU_DEP_3)
	v_cndmask_b32_e32 v5, 0, v5, vcc_lo
	v_dual_cndmask_b32 v4, 3, v4 :: v_dual_lshlrev_b32 v9, 2, v9
	s_delay_alu instid0(VALU_DEP_1) | instskip(NEXT) | instid1(VALU_DEP_2)
	v_and_b32_e32 v9, 0xfc, v9
	v_cmp_eq_u64_e32 vcc_lo, 0, v[4:5]
	s_delay_alu instid0(VALU_DEP_2)
	v_and_or_b32 v4, v4, 3, v9
	s_and_b32 s14, s14, vcc_lo
	s_delay_alu instid0(VALU_DEP_1) | instid1(SALU_CYCLE_1)
	v_cndmask_b32_e64 v4, v4, 0, s14
	s_delay_alu instid0(VALU_DEP_1)
	v_or_b32_e32 v116, v4, v2
.LBB4_15475:                            ;   in Loop: Header=BB4_15177 Depth=3
	s_or_b32 exec_lo, exec_lo, s78
                                        ; implicit-def: $vgpr2
.LBB4_15476:                            ;   in Loop: Header=BB4_15177 Depth=3
	s_and_not1_saveexec_b32 s14, s77
; %bb.15477:                            ;   in Loop: Header=BB4_15177 Depth=3
	v_or_b32_e32 v116, 0x7b, v2
; %bb.15478:                            ;   in Loop: Header=BB4_15177 Depth=3
	s_or_b32 exec_lo, exec_lo, s14
                                        ; implicit-def: $vgpr8
                                        ; implicit-def: $vgpr4_vgpr5
                                        ; implicit-def: $vgpr2
.LBB4_15479:                            ;   in Loop: Header=BB4_15177 Depth=3
	s_and_not1_saveexec_b32 s14, s76
	s_cbranch_execz .LBB4_15485
; %bb.15480:                            ;   in Loop: Header=BB4_15177 Depth=3
	s_mov_b32 s76, exec_lo
                                        ; implicit-def: $vgpr116
	v_cmpx_ne_u64_e32 0, v[4:5]
	s_xor_b32 s76, exec_lo, s76
; %bb.15481:                            ;   in Loop: Header=BB4_15177 Depth=3
	v_or_b32_e32 v116, 0x7f, v2
                                        ; implicit-def: $vgpr8
; %bb.15482:                            ;   in Loop: Header=BB4_15177 Depth=3
	s_and_not1_saveexec_b32 s76, s76
; %bb.15483:                            ;   in Loop: Header=BB4_15177 Depth=3
	v_cmp_lt_i32_e32 vcc_lo, -1, v8
	v_cndmask_b32_e32 v116, 0xfc, v49, vcc_lo
; %bb.15484:                            ;   in Loop: Header=BB4_15177 Depth=3
	s_or_b32 exec_lo, exec_lo, s76
.LBB4_15485:                            ;   in Loop: Header=BB4_15177 Depth=3
	s_delay_alu instid0(SALU_CYCLE_1) | instskip(SKIP_2) | instid1(VALU_DEP_1)
	s_or_b32 exec_lo, exec_lo, s14
	v_dual_lshrrev_b32 v2, 16, v10 :: v_dual_mov_b32 v4, 0
	s_mov_b32 s14, exec_lo
	v_and_b32_e32 v5, 0xff, v2
	s_delay_alu instid0(VALU_DEP_1)
	v_cmpx_ne_u16_e32 0, v5
	s_cbranch_execz .LBB4_15495
; %bb.15486:                            ;   in Loop: Header=BB4_15177 Depth=3
	v_bfrev_b32_e32 v4, 1
	s_mov_b32 s76, exec_lo
	v_cmpx_ne_u16_e32 0x80, v5
	s_cbranch_execz .LBB4_15494
; %bb.15487:                            ;   in Loop: Header=BB4_15177 Depth=3
	v_and_b32_e32 v4, 0x7c0000, v10
	v_bfe_u32 v5, v10, 16, 2
	s_delay_alu instid0(VALU_DEP_2) | instskip(SKIP_1) | instid1(SALU_CYCLE_1)
	v_cmp_ne_u32_e32 vcc_lo, 0x7c0000, v4
                                        ; implicit-def: $vgpr4
	s_and_saveexec_b32 s77, vcc_lo
	s_xor_b32 s77, exec_lo, s77
	s_cbranch_execz .LBB4_15491
; %bb.15488:                            ;   in Loop: Header=BB4_15177 Depth=3
	v_bfe_u32 v4, v10, 18, 5
	s_mov_b32 s78, exec_lo
	s_delay_alu instid0(VALU_DEP_1)
	v_cmpx_eq_u32_e32 0, v4
; %bb.15489:                            ;   in Loop: Header=BB4_15177 Depth=3
	v_clz_i32_u32_e32 v4, v5
	s_delay_alu instid0(VALU_DEP_1) | instskip(NEXT) | instid1(VALU_DEP_1)
	v_min_u32_e32 v4, 32, v4
	v_subrev_nc_u32_e32 v5, 29, v4
	v_sub_nc_u32_e32 v4, 30, v4
	s_delay_alu instid0(VALU_DEP_2) | instskip(NEXT) | instid1(VALU_DEP_1)
	v_lshlrev_b64_e32 v[8:9], v5, v[2:3]
	v_and_b32_e32 v5, 3, v8
; %bb.15490:                            ;   in Loop: Header=BB4_15177 Depth=3
	s_or_b32 exec_lo, exec_lo, s78
	v_lshlrev_b32_e32 v2, 24, v2
	s_delay_alu instid0(VALU_DEP_1) | instskip(NEXT) | instid1(VALU_DEP_1)
	v_and_b32_e32 v2, 0x80000000, v2
	v_lshl_add_u32 v2, v4, 23, v2
	s_delay_alu instid0(VALU_DEP_1) | instskip(NEXT) | instid1(VALU_DEP_1)
	v_lshl_or_b32 v2, v5, 21, v2
                                        ; implicit-def: $vgpr5
	v_add_nc_u32_e32 v4, 0x38000000, v2
                                        ; implicit-def: $vgpr2
.LBB4_15491:                            ;   in Loop: Header=BB4_15177 Depth=3
	s_and_not1_saveexec_b32 s77, s77
; %bb.15492:                            ;   in Loop: Header=BB4_15177 Depth=3
	v_bfe_i32 v2, v2, 0, 8
	s_delay_alu instid0(VALU_DEP_1) | instskip(SKIP_2) | instid1(VALU_DEP_2)
	v_cmp_lt_i16_e32 vcc_lo, -1, v2
	v_cndmask_b32_e32 v2, 0xff800000, v48, vcc_lo
	v_cmp_eq_u32_e32 vcc_lo, 0, v5
	v_cndmask_b32_e32 v4, 0x7f800001, v2, vcc_lo
; %bb.15493:                            ;   in Loop: Header=BB4_15177 Depth=3
	s_or_b32 exec_lo, exec_lo, s77
.LBB4_15494:                            ;   in Loop: Header=BB4_15177 Depth=3
	s_delay_alu instid0(SALU_CYCLE_1)
	s_or_b32 exec_lo, exec_lo, s76
.LBB4_15495:                            ;   in Loop: Header=BB4_15177 Depth=3
	s_delay_alu instid0(SALU_CYCLE_1) | instskip(NEXT) | instid1(VALU_DEP_1)
	s_or_b32 exec_lo, exec_lo, s14
	v_dual_mul_f32 v8, s75, v4 :: v_dual_mov_b32 v17, v3
	v_mov_b32_e32 v5, v3
                                        ; implicit-def: $vgpr119
	s_mov_b32 s14, exec_lo
	s_delay_alu instid0(VALU_DEP_2) | instskip(SKIP_2) | instid1(VALU_DEP_3)
	v_and_b32_e32 v16, 0x7f800000, v8
	v_and_b32_e32 v4, 0x7fffff, v8
	v_lshrrev_b32_e32 v2, 24, v8
	v_cmpx_ne_u64_e32 0x7f800000, v[16:17]
	s_xor_b32 s76, exec_lo, s14
	s_cbranch_execz .LBB4_15509
; %bb.15496:                            ;   in Loop: Header=BB4_15177 Depth=3
	v_and_b32_e32 v16, 0x7fffffff, v8
	v_mov_b32_e32 v17, v3
	v_and_b32_e32 v2, 0x80, v2
                                        ; implicit-def: $vgpr119
	s_mov_b32 s14, exec_lo
	s_delay_alu instid0(VALU_DEP_2)
	v_cmpx_gt_u64_e32 0x47600001, v[16:17]
	s_xor_b32 s77, exec_lo, s14
	s_cbranch_execz .LBB4_15506
; %bb.15497:                            ;   in Loop: Header=BB4_15177 Depth=3
	v_mov_b32_e32 v119, 0
	s_mov_b32 s78, exec_lo
	v_cmpx_ne_u32_e32 0, v8
	s_cbranch_execz .LBB4_15505
; %bb.15498:                            ;   in Loop: Header=BB4_15177 Depth=3
	v_bfe_u32 v16, v8, 23, 8
	v_or_b32_e32 v18, 0x800000, v4
	s_delay_alu instid0(VALU_DEP_2) | instskip(SKIP_1) | instid1(VALU_DEP_2)
	v_sub_nc_u32_e32 v8, 0x71, v16
	v_cmp_gt_u32_e32 vcc_lo, 0x72, v16
	v_cndmask_b32_e32 v8, 0, v8, vcc_lo
	v_cmp_eq_u32_e32 vcc_lo, 0, v16
	s_delay_alu instid0(VALU_DEP_2) | instskip(NEXT) | instid1(VALU_DEP_1)
	v_cndmask_b32_e64 v17, v8, 0x70, vcc_lo
	v_dual_cndmask_b32 v4, v18, v4, vcc_lo :: v_dual_add_nc_u32 v8, 21, v17
	v_add_nc_u32_e32 v19, 20, v17
	s_delay_alu instid0(VALU_DEP_2) | instskip(NEXT) | instid1(VALU_DEP_2)
	v_lshlrev_b64_e64 v[8:9], v8, -1
	v_lshlrev_b64_e64 v[18:19], v19, 1
	s_delay_alu instid0(VALU_DEP_2) | instskip(SKIP_1) | instid1(VALU_DEP_4)
	v_bfi_b32 v8, v8, 0, v4
	v_lshrrev_b64 v[4:5], v17, v[4:5]
	v_bfi_b32 v9, v9, 0, 0
	s_delay_alu instid0(VALU_DEP_1) | instskip(NEXT) | instid1(VALU_DEP_3)
	v_cmp_eq_u64_e64 s14, v[8:9], v[18:19]
	v_mov_b64_e32 v[8:9], v[4:5]
	s_and_saveexec_b32 s79, s14
; %bb.15499:                            ;   in Loop: Header=BB4_15177 Depth=3
	v_bfe_u32 v8, v4, 21, 1
	v_mov_b32_e32 v9, v3
	s_delay_alu instid0(VALU_DEP_1) | instskip(NEXT) | instid1(VALU_DEP_1)
	v_add_nc_u64_e32 v[8:9], v[4:5], v[8:9]
	v_add_nc_u64_e32 v[8:9], -1, v[8:9]
; %bb.15500:                            ;   in Loop: Header=BB4_15177 Depth=3
	s_or_b32 exec_lo, exec_lo, s79
	v_add_nc_u32_e32 v5, 0xffffff81, v16
	v_lshrrev_b32_e32 v9, 23, v4
	s_mov_b32 s14, exec_lo
	s_delay_alu instid0(VALU_DEP_2) | instskip(NEXT) | instid1(VALU_DEP_1)
	v_cndmask_b32_e64 v5, v5, 0xffffff82, vcc_lo
	v_add3_u32 v9, v17, v5, v9
	v_and_b32_e32 v5, 0x1fffff, v8
                                        ; implicit-def: $vgpr8
	s_delay_alu instid0(VALU_DEP_1) | instskip(SKIP_1) | instid1(VALU_DEP_2)
	v_dual_add_nc_u32 v16, 14, v9 :: v_dual_add_nc_u32 v4, v5, v4
	v_mov_b32_e32 v5, v3
	v_cmpx_ne_u32_e32 0, v16
	s_xor_b32 s14, exec_lo, s14
; %bb.15501:                            ;   in Loop: Header=BB4_15177 Depth=3
	s_delay_alu instid0(VALU_DEP_2) | instskip(SKIP_2) | instid1(VALU_DEP_2)
	v_cmp_lt_u64_e32 vcc_lo, 0xffffff, v[4:5]
	v_add_nc_u32_e32 v8, 15, v9
	v_cndmask_b32_e64 v9, 0, 1, vcc_lo
	v_cndmask_b32_e32 v8, v16, v8, vcc_lo
	s_delay_alu instid0(VALU_DEP_2)
	v_lshrrev_b64 v[4:5], v9, v[4:5]
; %bb.15502:                            ;   in Loop: Header=BB4_15177 Depth=3
	s_and_not1_saveexec_b32 s14, s14
; %bb.15503:                            ;   in Loop: Header=BB4_15177 Depth=3
	s_delay_alu instid0(VALU_DEP_1)
	v_bfe_u32 v8, v4, 23, 1
; %bb.15504:                            ;   in Loop: Header=BB4_15177 Depth=3
	s_or_b32 exec_lo, exec_lo, s14
	s_delay_alu instid0(VALU_DEP_2) | instskip(NEXT) | instid1(VALU_DEP_2)
	v_lshrrev_b64 v[4:5], 21, v[4:5]
	v_cmp_gt_i32_e32 vcc_lo, 32, v8
	v_min_i32_e32 v9, 31, v8
	v_cmp_eq_u32_e64 s14, 0, v8
	s_delay_alu instid0(VALU_DEP_4) | instskip(NEXT) | instid1(VALU_DEP_3)
	v_cndmask_b32_e32 v5, 0, v5, vcc_lo
	v_dual_cndmask_b32 v4, 3, v4 :: v_dual_lshlrev_b32 v9, 2, v9
	s_delay_alu instid0(VALU_DEP_1) | instskip(NEXT) | instid1(VALU_DEP_2)
	v_and_b32_e32 v9, 0xfc, v9
	v_cmp_eq_u64_e32 vcc_lo, 0, v[4:5]
	s_delay_alu instid0(VALU_DEP_2)
	v_and_or_b32 v4, v4, 3, v9
	s_and_b32 s14, s14, vcc_lo
	s_delay_alu instid0(VALU_DEP_1) | instid1(SALU_CYCLE_1)
	v_cndmask_b32_e64 v4, v4, 0, s14
	s_delay_alu instid0(VALU_DEP_1)
	v_or_b32_e32 v119, v4, v2
.LBB4_15505:                            ;   in Loop: Header=BB4_15177 Depth=3
	s_or_b32 exec_lo, exec_lo, s78
                                        ; implicit-def: $vgpr2
.LBB4_15506:                            ;   in Loop: Header=BB4_15177 Depth=3
	s_and_not1_saveexec_b32 s14, s77
; %bb.15507:                            ;   in Loop: Header=BB4_15177 Depth=3
	v_or_b32_e32 v119, 0x7b, v2
; %bb.15508:                            ;   in Loop: Header=BB4_15177 Depth=3
	s_or_b32 exec_lo, exec_lo, s14
                                        ; implicit-def: $vgpr8
                                        ; implicit-def: $vgpr4_vgpr5
                                        ; implicit-def: $vgpr2
.LBB4_15509:                            ;   in Loop: Header=BB4_15177 Depth=3
	s_and_not1_saveexec_b32 s14, s76
	s_cbranch_execz .LBB4_15515
; %bb.15510:                            ;   in Loop: Header=BB4_15177 Depth=3
	s_mov_b32 s76, exec_lo
                                        ; implicit-def: $vgpr119
	v_cmpx_ne_u64_e32 0, v[4:5]
	s_xor_b32 s76, exec_lo, s76
; %bb.15511:                            ;   in Loop: Header=BB4_15177 Depth=3
	v_or_b32_e32 v119, 0x7f, v2
                                        ; implicit-def: $vgpr8
; %bb.15512:                            ;   in Loop: Header=BB4_15177 Depth=3
	s_and_not1_saveexec_b32 s76, s76
; %bb.15513:                            ;   in Loop: Header=BB4_15177 Depth=3
	v_cmp_lt_i32_e32 vcc_lo, -1, v8
	v_cndmask_b32_e32 v119, 0xfc, v49, vcc_lo
; %bb.15514:                            ;   in Loop: Header=BB4_15177 Depth=3
	s_or_b32 exec_lo, exec_lo, s76
.LBB4_15515:                            ;   in Loop: Header=BB4_15177 Depth=3
	s_delay_alu instid0(SALU_CYCLE_1)
	s_or_b32 exec_lo, exec_lo, s14
	v_mov_b32_e32 v4, 0
	s_mov_b32 s14, exec_lo
	v_cmpx_lt_u32_e32 0xffffff, v10
	s_cbranch_execz .LBB4_15525
; %bb.15516:                            ;   in Loop: Header=BB4_15177 Depth=3
	v_lshrrev_b32_e32 v2, 24, v10
	v_bfrev_b32_e32 v4, 1
	s_mov_b32 s76, exec_lo
	s_delay_alu instid0(VALU_DEP_2)
	v_cmpx_ne_u32_e32 0x80, v2
	s_cbranch_execz .LBB4_15524
; %bb.15517:                            ;   in Loop: Header=BB4_15177 Depth=3
	v_and_b32_e32 v4, 0x7c000000, v10
	v_bfe_u32 v5, v10, 24, 2
	s_delay_alu instid0(VALU_DEP_2) | instskip(SKIP_1) | instid1(SALU_CYCLE_1)
	v_cmp_ne_u32_e32 vcc_lo, 0x7c000000, v4
                                        ; implicit-def: $vgpr4
	s_and_saveexec_b32 s77, vcc_lo
	s_xor_b32 s77, exec_lo, s77
	s_cbranch_execz .LBB4_15521
; %bb.15518:                            ;   in Loop: Header=BB4_15177 Depth=3
	v_bfe_u32 v4, v10, 26, 5
	s_mov_b32 s78, exec_lo
	s_delay_alu instid0(VALU_DEP_1)
	v_cmpx_eq_u32_e32 0, v4
; %bb.15519:                            ;   in Loop: Header=BB4_15177 Depth=3
	v_clz_i32_u32_e32 v4, v5
	s_delay_alu instid0(VALU_DEP_1) | instskip(NEXT) | instid1(VALU_DEP_1)
	v_min_u32_e32 v4, 32, v4
	v_subrev_nc_u32_e32 v5, 29, v4
	v_sub_nc_u32_e32 v4, 30, v4
	s_delay_alu instid0(VALU_DEP_2) | instskip(NEXT) | instid1(VALU_DEP_1)
	v_lshlrev_b64_e32 v[8:9], v5, v[2:3]
	v_and_b32_e32 v5, 3, v8
; %bb.15520:                            ;   in Loop: Header=BB4_15177 Depth=3
	s_or_b32 exec_lo, exec_lo, s78
	v_and_b32_e32 v2, 0x80000000, v10
	s_delay_alu instid0(VALU_DEP_1) | instskip(NEXT) | instid1(VALU_DEP_1)
	v_lshl_add_u32 v2, v4, 23, v2
	v_lshl_or_b32 v2, v5, 21, v2
                                        ; implicit-def: $vgpr5
	s_delay_alu instid0(VALU_DEP_1)
	v_add_nc_u32_e32 v4, 0x38000000, v2
.LBB4_15521:                            ;   in Loop: Header=BB4_15177 Depth=3
	s_and_not1_saveexec_b32 s77, s77
; %bb.15522:                            ;   in Loop: Header=BB4_15177 Depth=3
	v_cmp_lt_i32_e32 vcc_lo, -1, v10
	v_cndmask_b32_e32 v2, 0xff800000, v48, vcc_lo
	v_cmp_eq_u32_e32 vcc_lo, 0, v5
	s_delay_alu instid0(VALU_DEP_2)
	v_cndmask_b32_e32 v4, 0x7f800001, v2, vcc_lo
; %bb.15523:                            ;   in Loop: Header=BB4_15177 Depth=3
	s_or_b32 exec_lo, exec_lo, s77
.LBB4_15524:                            ;   in Loop: Header=BB4_15177 Depth=3
	s_delay_alu instid0(SALU_CYCLE_1)
	s_or_b32 exec_lo, exec_lo, s76
.LBB4_15525:                            ;   in Loop: Header=BB4_15177 Depth=3
	s_delay_alu instid0(SALU_CYCLE_1) | instskip(NEXT) | instid1(VALU_DEP_1)
	s_or_b32 exec_lo, exec_lo, s14
	v_dual_mul_f32 v8, s75, v4 :: v_dual_mov_b32 v17, v3
	v_mov_b32_e32 v5, v3
                                        ; implicit-def: $vgpr41
	s_mov_b32 s14, exec_lo
	s_delay_alu instid0(VALU_DEP_2) | instskip(SKIP_2) | instid1(VALU_DEP_3)
	v_and_b32_e32 v16, 0x7f800000, v8
	v_and_b32_e32 v4, 0x7fffff, v8
	v_lshrrev_b32_e32 v2, 24, v8
	v_cmpx_ne_u64_e32 0x7f800000, v[16:17]
	s_xor_b32 s76, exec_lo, s14
	s_cbranch_execz .LBB4_15539
; %bb.15526:                            ;   in Loop: Header=BB4_15177 Depth=3
	v_and_b32_e32 v16, 0x7fffffff, v8
	v_mov_b32_e32 v17, v3
	v_and_b32_e32 v2, 0x80, v2
                                        ; implicit-def: $vgpr41
	s_mov_b32 s14, exec_lo
	s_delay_alu instid0(VALU_DEP_2)
	v_cmpx_gt_u64_e32 0x47600001, v[16:17]
	s_xor_b32 s77, exec_lo, s14
	s_cbranch_execz .LBB4_15536
; %bb.15527:                            ;   in Loop: Header=BB4_15177 Depth=3
	v_mov_b32_e32 v41, 0
	s_mov_b32 s78, exec_lo
	v_cmpx_ne_u32_e32 0, v8
	s_cbranch_execz .LBB4_15535
; %bb.15528:                            ;   in Loop: Header=BB4_15177 Depth=3
	v_bfe_u32 v16, v8, 23, 8
	v_or_b32_e32 v18, 0x800000, v4
	s_delay_alu instid0(VALU_DEP_2) | instskip(SKIP_1) | instid1(VALU_DEP_2)
	v_sub_nc_u32_e32 v8, 0x71, v16
	v_cmp_gt_u32_e32 vcc_lo, 0x72, v16
	v_cndmask_b32_e32 v8, 0, v8, vcc_lo
	v_cmp_eq_u32_e32 vcc_lo, 0, v16
	s_delay_alu instid0(VALU_DEP_2) | instskip(NEXT) | instid1(VALU_DEP_1)
	v_cndmask_b32_e64 v17, v8, 0x70, vcc_lo
	v_dual_cndmask_b32 v4, v18, v4, vcc_lo :: v_dual_add_nc_u32 v8, 21, v17
	v_add_nc_u32_e32 v19, 20, v17
	s_delay_alu instid0(VALU_DEP_2) | instskip(NEXT) | instid1(VALU_DEP_2)
	v_lshlrev_b64_e64 v[8:9], v8, -1
	v_lshlrev_b64_e64 v[18:19], v19, 1
	s_delay_alu instid0(VALU_DEP_2) | instskip(SKIP_1) | instid1(VALU_DEP_4)
	v_bfi_b32 v8, v8, 0, v4
	v_lshrrev_b64 v[4:5], v17, v[4:5]
	v_bfi_b32 v9, v9, 0, 0
	s_delay_alu instid0(VALU_DEP_1) | instskip(NEXT) | instid1(VALU_DEP_3)
	v_cmp_eq_u64_e64 s14, v[8:9], v[18:19]
	v_mov_b64_e32 v[8:9], v[4:5]
	s_and_saveexec_b32 s79, s14
; %bb.15529:                            ;   in Loop: Header=BB4_15177 Depth=3
	v_bfe_u32 v8, v4, 21, 1
	v_mov_b32_e32 v9, v3
	s_delay_alu instid0(VALU_DEP_1) | instskip(NEXT) | instid1(VALU_DEP_1)
	v_add_nc_u64_e32 v[8:9], v[4:5], v[8:9]
	v_add_nc_u64_e32 v[8:9], -1, v[8:9]
; %bb.15530:                            ;   in Loop: Header=BB4_15177 Depth=3
	s_or_b32 exec_lo, exec_lo, s79
	v_add_nc_u32_e32 v5, 0xffffff81, v16
	v_lshrrev_b32_e32 v9, 23, v4
	s_mov_b32 s14, exec_lo
	s_delay_alu instid0(VALU_DEP_2) | instskip(NEXT) | instid1(VALU_DEP_1)
	v_cndmask_b32_e64 v5, v5, 0xffffff82, vcc_lo
	v_add3_u32 v9, v17, v5, v9
	v_and_b32_e32 v5, 0x1fffff, v8
                                        ; implicit-def: $vgpr8
	s_delay_alu instid0(VALU_DEP_1) | instskip(SKIP_1) | instid1(VALU_DEP_2)
	v_dual_add_nc_u32 v16, 14, v9 :: v_dual_add_nc_u32 v4, v5, v4
	v_mov_b32_e32 v5, v3
	v_cmpx_ne_u32_e32 0, v16
	s_xor_b32 s14, exec_lo, s14
; %bb.15531:                            ;   in Loop: Header=BB4_15177 Depth=3
	s_delay_alu instid0(VALU_DEP_2) | instskip(SKIP_2) | instid1(VALU_DEP_2)
	v_cmp_lt_u64_e32 vcc_lo, 0xffffff, v[4:5]
	v_add_nc_u32_e32 v8, 15, v9
	v_cndmask_b32_e64 v9, 0, 1, vcc_lo
	v_cndmask_b32_e32 v8, v16, v8, vcc_lo
	s_delay_alu instid0(VALU_DEP_2)
	v_lshrrev_b64 v[4:5], v9, v[4:5]
; %bb.15532:                            ;   in Loop: Header=BB4_15177 Depth=3
	s_and_not1_saveexec_b32 s14, s14
; %bb.15533:                            ;   in Loop: Header=BB4_15177 Depth=3
	s_delay_alu instid0(VALU_DEP_1)
	v_bfe_u32 v8, v4, 23, 1
; %bb.15534:                            ;   in Loop: Header=BB4_15177 Depth=3
	s_or_b32 exec_lo, exec_lo, s14
	s_delay_alu instid0(VALU_DEP_2) | instskip(NEXT) | instid1(VALU_DEP_2)
	v_lshrrev_b64 v[4:5], 21, v[4:5]
	v_cmp_gt_i32_e32 vcc_lo, 32, v8
	v_min_i32_e32 v9, 31, v8
	v_cmp_eq_u32_e64 s14, 0, v8
	s_delay_alu instid0(VALU_DEP_4) | instskip(NEXT) | instid1(VALU_DEP_3)
	v_cndmask_b32_e32 v5, 0, v5, vcc_lo
	v_dual_cndmask_b32 v4, 3, v4 :: v_dual_lshlrev_b32 v9, 2, v9
	s_delay_alu instid0(VALU_DEP_1) | instskip(NEXT) | instid1(VALU_DEP_2)
	v_and_b32_e32 v9, 0xfc, v9
	v_cmp_eq_u64_e32 vcc_lo, 0, v[4:5]
	s_delay_alu instid0(VALU_DEP_2)
	v_and_or_b32 v4, v4, 3, v9
	s_and_b32 s14, s14, vcc_lo
	s_delay_alu instid0(VALU_DEP_1) | instid1(SALU_CYCLE_1)
	v_cndmask_b32_e64 v4, v4, 0, s14
	s_delay_alu instid0(VALU_DEP_1)
	v_or_b32_e32 v41, v4, v2
.LBB4_15535:                            ;   in Loop: Header=BB4_15177 Depth=3
	s_or_b32 exec_lo, exec_lo, s78
                                        ; implicit-def: $vgpr2
.LBB4_15536:                            ;   in Loop: Header=BB4_15177 Depth=3
	s_and_not1_saveexec_b32 s14, s77
; %bb.15537:                            ;   in Loop: Header=BB4_15177 Depth=3
	v_or_b32_e32 v41, 0x7b, v2
; %bb.15538:                            ;   in Loop: Header=BB4_15177 Depth=3
	s_or_b32 exec_lo, exec_lo, s14
                                        ; implicit-def: $vgpr8
                                        ; implicit-def: $vgpr4_vgpr5
                                        ; implicit-def: $vgpr2
.LBB4_15539:                            ;   in Loop: Header=BB4_15177 Depth=3
	s_and_not1_saveexec_b32 s14, s76
	s_cbranch_execz .LBB4_15545
; %bb.15540:                            ;   in Loop: Header=BB4_15177 Depth=3
	s_mov_b32 s76, exec_lo
                                        ; implicit-def: $vgpr41
	v_cmpx_ne_u64_e32 0, v[4:5]
	s_xor_b32 s76, exec_lo, s76
; %bb.15541:                            ;   in Loop: Header=BB4_15177 Depth=3
	v_or_b32_e32 v41, 0x7f, v2
                                        ; implicit-def: $vgpr8
; %bb.15542:                            ;   in Loop: Header=BB4_15177 Depth=3
	s_and_not1_saveexec_b32 s76, s76
; %bb.15543:                            ;   in Loop: Header=BB4_15177 Depth=3
	v_cmp_lt_i32_e32 vcc_lo, -1, v8
	v_cndmask_b32_e32 v41, 0xfc, v49, vcc_lo
; %bb.15544:                            ;   in Loop: Header=BB4_15177 Depth=3
	s_or_b32 exec_lo, exec_lo, s76
.LBB4_15545:                            ;   in Loop: Header=BB4_15177 Depth=3
	s_delay_alu instid0(SALU_CYCLE_1) | instskip(SKIP_4) | instid1(VALU_DEP_3)
	s_or_b32 exec_lo, exec_lo, s14
	v_and_b32_e32 v8, 0xff, v11
	v_dual_mov_b32 v4, v11 :: v_dual_mov_b32 v5, v3
	v_mov_b32_e32 v2, 0
	s_mov_b32 s14, exec_lo
	v_cmpx_ne_u16_e32 0, v8
	s_cbranch_execz .LBB4_15555
; %bb.15546:                            ;   in Loop: Header=BB4_15177 Depth=3
	v_bfrev_b32_e32 v2, 1
	s_mov_b32 s76, exec_lo
	v_cmpx_ne_u16_e32 0x80, v8
	s_cbranch_execz .LBB4_15554
; %bb.15547:                            ;   in Loop: Header=BB4_15177 Depth=3
	v_and_b32_e32 v2, 0x7c, v11
	v_and_b32_e32 v8, 3, v11
	s_delay_alu instid0(VALU_DEP_2) | instskip(SKIP_1) | instid1(SALU_CYCLE_1)
	v_cmp_ne_u32_e32 vcc_lo, 0x7c, v2
                                        ; implicit-def: $vgpr2
	s_and_saveexec_b32 s77, vcc_lo
	s_xor_b32 s77, exec_lo, s77
	s_cbranch_execz .LBB4_15551
; %bb.15548:                            ;   in Loop: Header=BB4_15177 Depth=3
	v_bfe_u32 v2, v11, 2, 5
	s_mov_b32 s78, exec_lo
	s_delay_alu instid0(VALU_DEP_1)
	v_cmpx_eq_u32_e32 0, v2
; %bb.15549:                            ;   in Loop: Header=BB4_15177 Depth=3
	v_clz_i32_u32_e32 v2, v8
	s_delay_alu instid0(VALU_DEP_1) | instskip(NEXT) | instid1(VALU_DEP_1)
	v_min_u32_e32 v2, 32, v2
	v_subrev_nc_u32_e32 v8, 29, v2
	s_delay_alu instid0(VALU_DEP_1) | instskip(NEXT) | instid1(VALU_DEP_1)
	v_lshlrev_b64_e32 v[8:9], v8, v[4:5]
	v_dual_sub_nc_u32 v2, 30, v2 :: v_dual_bitop2_b32 v8, 3, v8 bitop3:0x40
; %bb.15550:                            ;   in Loop: Header=BB4_15177 Depth=3
	s_or_b32 exec_lo, exec_lo, s78
	v_lshlrev_b32_e32 v5, 24, v11
	s_delay_alu instid0(VALU_DEP_1) | instskip(NEXT) | instid1(VALU_DEP_1)
	v_and_b32_e32 v5, 0x80000000, v5
	v_lshl_add_u32 v2, v2, 23, v5
	s_delay_alu instid0(VALU_DEP_1) | instskip(NEXT) | instid1(VALU_DEP_1)
	v_lshl_or_b32 v2, v8, 21, v2
                                        ; implicit-def: $vgpr8
	v_add_nc_u32_e32 v2, 0x38000000, v2
.LBB4_15551:                            ;   in Loop: Header=BB4_15177 Depth=3
	s_and_not1_saveexec_b32 s77, s77
; %bb.15552:                            ;   in Loop: Header=BB4_15177 Depth=3
	v_bfe_i32 v2, v11, 0, 8
	s_delay_alu instid0(VALU_DEP_1) | instskip(SKIP_2) | instid1(VALU_DEP_2)
	v_cmp_lt_i16_e32 vcc_lo, -1, v2
	v_cndmask_b32_e32 v2, 0xff800000, v48, vcc_lo
	v_cmp_eq_u32_e32 vcc_lo, 0, v8
	v_cndmask_b32_e32 v2, 0x7f800001, v2, vcc_lo
; %bb.15553:                            ;   in Loop: Header=BB4_15177 Depth=3
	s_or_b32 exec_lo, exec_lo, s77
.LBB4_15554:                            ;   in Loop: Header=BB4_15177 Depth=3
	s_delay_alu instid0(SALU_CYCLE_1)
	s_or_b32 exec_lo, exec_lo, s76
.LBB4_15555:                            ;   in Loop: Header=BB4_15177 Depth=3
	s_delay_alu instid0(SALU_CYCLE_1) | instskip(NEXT) | instid1(VALU_DEP_1)
	s_or_b32 exec_lo, exec_lo, s14
	v_dual_mul_f32 v5, s75, v2 :: v_dual_mov_b32 v17, v3
	v_mov_b32_e32 v9, v3
                                        ; implicit-def: $vgpr67
	s_mov_b32 s14, exec_lo
	s_delay_alu instid0(VALU_DEP_2) | instskip(SKIP_2) | instid1(VALU_DEP_3)
	v_and_b32_e32 v16, 0x7f800000, v5
	v_and_b32_e32 v8, 0x7fffff, v5
	v_lshrrev_b32_e32 v2, 24, v5
	v_cmpx_ne_u64_e32 0x7f800000, v[16:17]
	s_xor_b32 s76, exec_lo, s14
	s_cbranch_execz .LBB4_15569
; %bb.15556:                            ;   in Loop: Header=BB4_15177 Depth=3
	v_and_b32_e32 v16, 0x7fffffff, v5
	v_mov_b32_e32 v17, v3
	v_and_b32_e32 v2, 0x80, v2
                                        ; implicit-def: $vgpr67
	s_mov_b32 s14, exec_lo
	s_delay_alu instid0(VALU_DEP_2)
	v_cmpx_gt_u64_e32 0x47600001, v[16:17]
	s_xor_b32 s77, exec_lo, s14
	s_cbranch_execz .LBB4_15566
; %bb.15557:                            ;   in Loop: Header=BB4_15177 Depth=3
	v_mov_b32_e32 v67, 0
	s_mov_b32 s78, exec_lo
	v_cmpx_ne_u32_e32 0, v5
	s_cbranch_execz .LBB4_15565
; %bb.15558:                            ;   in Loop: Header=BB4_15177 Depth=3
	v_bfe_u32 v5, v5, 23, 8
	v_or_b32_e32 v19, 0x800000, v8
	s_delay_alu instid0(VALU_DEP_2) | instskip(SKIP_1) | instid1(VALU_DEP_2)
	v_sub_nc_u32_e32 v16, 0x71, v5
	v_cmp_gt_u32_e32 vcc_lo, 0x72, v5
	v_cndmask_b32_e32 v16, 0, v16, vcc_lo
	v_cmp_eq_u32_e32 vcc_lo, 0, v5
	s_delay_alu instid0(VALU_DEP_2) | instskip(NEXT) | instid1(VALU_DEP_1)
	v_cndmask_b32_e64 v18, v16, 0x70, vcc_lo
	v_dual_cndmask_b32 v8, v19, v8, vcc_lo :: v_dual_add_nc_u32 v16, 21, v18
	v_add_nc_u32_e32 v67, 20, v18
	s_delay_alu instid0(VALU_DEP_2) | instskip(NEXT) | instid1(VALU_DEP_2)
	v_lshlrev_b64_e64 v[16:17], v16, -1
	v_lshlrev_b64_e64 v[86:87], v67, 1
	s_delay_alu instid0(VALU_DEP_2) | instskip(SKIP_1) | instid1(VALU_DEP_4)
	v_bfi_b32 v16, v16, 0, v8
	v_lshrrev_b64 v[8:9], v18, v[8:9]
	v_bfi_b32 v17, v17, 0, 0
	s_delay_alu instid0(VALU_DEP_1) | instskip(NEXT) | instid1(VALU_DEP_3)
	v_cmp_eq_u64_e64 s14, v[16:17], v[86:87]
	v_mov_b64_e32 v[16:17], v[8:9]
	s_and_saveexec_b32 s79, s14
; %bb.15559:                            ;   in Loop: Header=BB4_15177 Depth=3
	v_bfe_u32 v16, v8, 21, 1
	v_mov_b32_e32 v17, v3
	s_delay_alu instid0(VALU_DEP_1) | instskip(NEXT) | instid1(VALU_DEP_1)
	v_add_nc_u64_e32 v[16:17], v[8:9], v[16:17]
	v_add_nc_u64_e32 v[16:17], -1, v[16:17]
; %bb.15560:                            ;   in Loop: Header=BB4_15177 Depth=3
	s_or_b32 exec_lo, exec_lo, s79
	v_add_nc_u32_e32 v5, 0xffffff81, v5
	v_lshrrev_b32_e32 v9, 23, v8
	s_mov_b32 s14, exec_lo
	s_delay_alu instid0(VALU_DEP_2) | instskip(NEXT) | instid1(VALU_DEP_1)
	v_cndmask_b32_e64 v5, v5, 0xffffff82, vcc_lo
	v_add3_u32 v17, v18, v5, v9
	v_and_b32_e32 v5, 0x1fffff, v16
	s_delay_alu instid0(VALU_DEP_2) | instskip(NEXT) | instid1(VALU_DEP_2)
	v_dual_mov_b32 v9, v3 :: v_dual_add_nc_u32 v16, 14, v17
	v_add_nc_u32_e32 v8, v5, v8
                                        ; implicit-def: $vgpr5
	s_delay_alu instid0(VALU_DEP_2)
	v_cmpx_ne_u32_e32 0, v16
	s_xor_b32 s14, exec_lo, s14
; %bb.15561:                            ;   in Loop: Header=BB4_15177 Depth=3
	s_delay_alu instid0(VALU_DEP_2) | instskip(SKIP_1) | instid1(VALU_DEP_1)
	v_cmp_lt_u64_e32 vcc_lo, 0xffffff, v[8:9]
	v_add_nc_u32_e32 v5, 15, v17
	v_cndmask_b32_e32 v5, v16, v5, vcc_lo
	v_cndmask_b32_e64 v16, 0, 1, vcc_lo
	s_delay_alu instid0(VALU_DEP_1)
	v_lshrrev_b64 v[8:9], v16, v[8:9]
; %bb.15562:                            ;   in Loop: Header=BB4_15177 Depth=3
	s_and_not1_saveexec_b32 s14, s14
; %bb.15563:                            ;   in Loop: Header=BB4_15177 Depth=3
	s_delay_alu instid0(VALU_DEP_1)
	v_bfe_u32 v5, v8, 23, 1
; %bb.15564:                            ;   in Loop: Header=BB4_15177 Depth=3
	s_or_b32 exec_lo, exec_lo, s14
	s_delay_alu instid0(VALU_DEP_2) | instskip(NEXT) | instid1(VALU_DEP_2)
	v_lshrrev_b64 v[8:9], 21, v[8:9]
	v_cmp_gt_i32_e32 vcc_lo, 32, v5
	v_min_i32_e32 v16, 31, v5
	v_cmp_eq_u32_e64 s14, 0, v5
	s_delay_alu instid0(VALU_DEP_4) | instskip(NEXT) | instid1(VALU_DEP_3)
	v_cndmask_b32_e32 v8, 3, v8, vcc_lo
	v_dual_cndmask_b32 v9, 0, v9 :: v_dual_lshlrev_b32 v16, 2, v16
	s_delay_alu instid0(VALU_DEP_1) | instskip(NEXT) | instid1(VALU_DEP_2)
	v_and_b32_e32 v16, 0xfc, v16
	v_cmp_eq_u64_e32 vcc_lo, 0, v[8:9]
	s_delay_alu instid0(VALU_DEP_2)
	v_and_or_b32 v5, v8, 3, v16
	s_and_b32 s14, s14, vcc_lo
	s_delay_alu instid0(VALU_DEP_1) | instid1(SALU_CYCLE_1)
	v_cndmask_b32_e64 v5, v5, 0, s14
	s_delay_alu instid0(VALU_DEP_1)
	v_or_b32_e32 v67, v5, v2
.LBB4_15565:                            ;   in Loop: Header=BB4_15177 Depth=3
	s_or_b32 exec_lo, exec_lo, s78
                                        ; implicit-def: $vgpr2
.LBB4_15566:                            ;   in Loop: Header=BB4_15177 Depth=3
	s_and_not1_saveexec_b32 s14, s77
; %bb.15567:                            ;   in Loop: Header=BB4_15177 Depth=3
	v_or_b32_e32 v67, 0x7b, v2
; %bb.15568:                            ;   in Loop: Header=BB4_15177 Depth=3
	s_or_b32 exec_lo, exec_lo, s14
                                        ; implicit-def: $vgpr5
                                        ; implicit-def: $vgpr8_vgpr9
                                        ; implicit-def: $vgpr2
.LBB4_15569:                            ;   in Loop: Header=BB4_15177 Depth=3
	s_and_not1_saveexec_b32 s14, s76
	s_cbranch_execz .LBB4_15575
; %bb.15570:                            ;   in Loop: Header=BB4_15177 Depth=3
	s_mov_b32 s76, exec_lo
                                        ; implicit-def: $vgpr67
	v_cmpx_ne_u64_e32 0, v[8:9]
	s_xor_b32 s76, exec_lo, s76
; %bb.15571:                            ;   in Loop: Header=BB4_15177 Depth=3
	v_or_b32_e32 v67, 0x7f, v2
                                        ; implicit-def: $vgpr5
; %bb.15572:                            ;   in Loop: Header=BB4_15177 Depth=3
	s_and_not1_saveexec_b32 s76, s76
; %bb.15573:                            ;   in Loop: Header=BB4_15177 Depth=3
	v_cmp_lt_i32_e32 vcc_lo, -1, v5
	v_cndmask_b32_e32 v67, 0xfc, v49, vcc_lo
; %bb.15574:                            ;   in Loop: Header=BB4_15177 Depth=3
	s_or_b32 exec_lo, exec_lo, s76
.LBB4_15575:                            ;   in Loop: Header=BB4_15177 Depth=3
	s_delay_alu instid0(SALU_CYCLE_1) | instskip(SKIP_3) | instid1(VALU_DEP_2)
	s_or_b32 exec_lo, exec_lo, s14
	v_lshrrev_b16 v8, 8, v4
	v_mov_b32_e32 v9, 0
	s_mov_b32 s14, exec_lo
	v_cmpx_ne_u16_e32 0, v8
	s_cbranch_execz .LBB4_15585
; %bb.15576:                            ;   in Loop: Header=BB4_15177 Depth=3
	v_bfrev_b32_e32 v9, 1
	s_mov_b32 s76, exec_lo
	v_cmpx_ne_u16_e32 0x80, v8
	s_cbranch_execz .LBB4_15584
; %bb.15577:                            ;   in Loop: Header=BB4_15177 Depth=3
	v_and_b32_e32 v5, 0xffff, v8
	s_delay_alu instid0(VALU_DEP_1) | instskip(SKIP_1) | instid1(VALU_DEP_2)
	v_and_b32_e32 v9, 0x7c, v5
	v_and_b32_e32 v2, 3, v5
	v_cmp_ne_u32_e32 vcc_lo, 0x7c, v9
                                        ; implicit-def: $vgpr9
	s_and_saveexec_b32 s77, vcc_lo
	s_delay_alu instid0(SALU_CYCLE_1)
	s_xor_b32 s77, exec_lo, s77
	s_cbranch_execz .LBB4_15581
; %bb.15578:                            ;   in Loop: Header=BB4_15177 Depth=3
	v_bfe_u32 v5, v5, 2, 5
	s_mov_b32 s78, exec_lo
	s_delay_alu instid0(VALU_DEP_1)
	v_cmpx_eq_u32_e32 0, v5
; %bb.15579:                            ;   in Loop: Header=BB4_15177 Depth=3
	v_clz_i32_u32_e32 v2, v2
	s_delay_alu instid0(VALU_DEP_1) | instskip(SKIP_1) | instid1(VALU_DEP_2)
	v_min_u32_e32 v2, 32, v2
	v_mov_b32_e32 v9, v3
	v_subrev_nc_u32_e32 v5, 29, v2
	s_delay_alu instid0(VALU_DEP_1) | instskip(NEXT) | instid1(VALU_DEP_1)
	v_lshlrev_b64_e32 v[8:9], v5, v[8:9]
	v_dual_sub_nc_u32 v5, 30, v2 :: v_dual_bitop2_b32 v2, 3, v8 bitop3:0x40
; %bb.15580:                            ;   in Loop: Header=BB4_15177 Depth=3
	s_or_b32 exec_lo, exec_lo, s78
	v_lshlrev_b32_e32 v4, 16, v4
	s_delay_alu instid0(VALU_DEP_1) | instskip(NEXT) | instid1(VALU_DEP_1)
	v_and_b32_e32 v4, 0x80000000, v4
	v_lshl_add_u32 v4, v5, 23, v4
	s_delay_alu instid0(VALU_DEP_1) | instskip(NEXT) | instid1(VALU_DEP_1)
	v_lshl_or_b32 v2, v2, 21, v4
                                        ; implicit-def: $vgpr4_vgpr5
	v_add_nc_u32_e32 v9, 0x38000000, v2
                                        ; implicit-def: $vgpr2
.LBB4_15581:                            ;   in Loop: Header=BB4_15177 Depth=3
	s_and_not1_saveexec_b32 s77, s77
; %bb.15582:                            ;   in Loop: Header=BB4_15177 Depth=3
	v_cmp_lt_i16_e32 vcc_lo, -1, v4
	v_cndmask_b32_e32 v4, 0xff800000, v48, vcc_lo
	v_cmp_eq_u32_e32 vcc_lo, 0, v2
	s_delay_alu instid0(VALU_DEP_2)
	v_cndmask_b32_e32 v9, 0x7f800001, v4, vcc_lo
; %bb.15583:                            ;   in Loop: Header=BB4_15177 Depth=3
	s_or_b32 exec_lo, exec_lo, s77
.LBB4_15584:                            ;   in Loop: Header=BB4_15177 Depth=3
	s_delay_alu instid0(SALU_CYCLE_1)
	s_or_b32 exec_lo, exec_lo, s76
.LBB4_15585:                            ;   in Loop: Header=BB4_15177 Depth=3
	s_delay_alu instid0(SALU_CYCLE_1) | instskip(NEXT) | instid1(VALU_DEP_1)
	s_or_b32 exec_lo, exec_lo, s14
	v_dual_mul_f32 v8, s75, v9 :: v_dual_mov_b32 v17, v3
	v_mov_b32_e32 v5, v3
                                        ; implicit-def: $vgpr103
	s_mov_b32 s14, exec_lo
	s_delay_alu instid0(VALU_DEP_2) | instskip(SKIP_2) | instid1(VALU_DEP_3)
	v_and_b32_e32 v16, 0x7f800000, v8
	v_and_b32_e32 v4, 0x7fffff, v8
	v_lshrrev_b32_e32 v2, 24, v8
	v_cmpx_ne_u64_e32 0x7f800000, v[16:17]
	s_xor_b32 s76, exec_lo, s14
	s_cbranch_execz .LBB4_15599
; %bb.15586:                            ;   in Loop: Header=BB4_15177 Depth=3
	v_and_b32_e32 v16, 0x7fffffff, v8
	v_mov_b32_e32 v17, v3
	v_and_b32_e32 v2, 0x80, v2
                                        ; implicit-def: $vgpr103
	s_mov_b32 s14, exec_lo
	s_delay_alu instid0(VALU_DEP_2)
	v_cmpx_gt_u64_e32 0x47600001, v[16:17]
	s_xor_b32 s77, exec_lo, s14
	s_cbranch_execz .LBB4_15596
; %bb.15587:                            ;   in Loop: Header=BB4_15177 Depth=3
	v_mov_b32_e32 v103, 0
	s_mov_b32 s78, exec_lo
	v_cmpx_ne_u32_e32 0, v8
	s_cbranch_execz .LBB4_15595
; %bb.15588:                            ;   in Loop: Header=BB4_15177 Depth=3
	v_bfe_u32 v16, v8, 23, 8
	v_or_b32_e32 v18, 0x800000, v4
	s_delay_alu instid0(VALU_DEP_2) | instskip(SKIP_1) | instid1(VALU_DEP_2)
	v_sub_nc_u32_e32 v8, 0x71, v16
	v_cmp_gt_u32_e32 vcc_lo, 0x72, v16
	v_cndmask_b32_e32 v8, 0, v8, vcc_lo
	v_cmp_eq_u32_e32 vcc_lo, 0, v16
	s_delay_alu instid0(VALU_DEP_2) | instskip(NEXT) | instid1(VALU_DEP_1)
	v_cndmask_b32_e64 v17, v8, 0x70, vcc_lo
	v_dual_cndmask_b32 v4, v18, v4, vcc_lo :: v_dual_add_nc_u32 v8, 21, v17
	v_add_nc_u32_e32 v19, 20, v17
	s_delay_alu instid0(VALU_DEP_2) | instskip(NEXT) | instid1(VALU_DEP_2)
	v_lshlrev_b64_e64 v[8:9], v8, -1
	v_lshlrev_b64_e64 v[18:19], v19, 1
	s_delay_alu instid0(VALU_DEP_2) | instskip(SKIP_1) | instid1(VALU_DEP_4)
	v_bfi_b32 v8, v8, 0, v4
	v_lshrrev_b64 v[4:5], v17, v[4:5]
	v_bfi_b32 v9, v9, 0, 0
	s_delay_alu instid0(VALU_DEP_1) | instskip(NEXT) | instid1(VALU_DEP_3)
	v_cmp_eq_u64_e64 s14, v[8:9], v[18:19]
	v_mov_b64_e32 v[8:9], v[4:5]
	s_and_saveexec_b32 s79, s14
; %bb.15589:                            ;   in Loop: Header=BB4_15177 Depth=3
	v_bfe_u32 v8, v4, 21, 1
	v_mov_b32_e32 v9, v3
	s_delay_alu instid0(VALU_DEP_1) | instskip(NEXT) | instid1(VALU_DEP_1)
	v_add_nc_u64_e32 v[8:9], v[4:5], v[8:9]
	v_add_nc_u64_e32 v[8:9], -1, v[8:9]
; %bb.15590:                            ;   in Loop: Header=BB4_15177 Depth=3
	s_or_b32 exec_lo, exec_lo, s79
	v_add_nc_u32_e32 v5, 0xffffff81, v16
	v_lshrrev_b32_e32 v9, 23, v4
	s_mov_b32 s14, exec_lo
	s_delay_alu instid0(VALU_DEP_2) | instskip(NEXT) | instid1(VALU_DEP_1)
	v_cndmask_b32_e64 v5, v5, 0xffffff82, vcc_lo
	v_add3_u32 v9, v17, v5, v9
	v_and_b32_e32 v5, 0x1fffff, v8
                                        ; implicit-def: $vgpr8
	s_delay_alu instid0(VALU_DEP_1) | instskip(SKIP_1) | instid1(VALU_DEP_2)
	v_dual_add_nc_u32 v16, 14, v9 :: v_dual_add_nc_u32 v4, v5, v4
	v_mov_b32_e32 v5, v3
	v_cmpx_ne_u32_e32 0, v16
	s_xor_b32 s14, exec_lo, s14
; %bb.15591:                            ;   in Loop: Header=BB4_15177 Depth=3
	s_delay_alu instid0(VALU_DEP_2) | instskip(SKIP_2) | instid1(VALU_DEP_2)
	v_cmp_lt_u64_e32 vcc_lo, 0xffffff, v[4:5]
	v_add_nc_u32_e32 v8, 15, v9
	v_cndmask_b32_e64 v9, 0, 1, vcc_lo
	v_cndmask_b32_e32 v8, v16, v8, vcc_lo
	s_delay_alu instid0(VALU_DEP_2)
	v_lshrrev_b64 v[4:5], v9, v[4:5]
; %bb.15592:                            ;   in Loop: Header=BB4_15177 Depth=3
	s_and_not1_saveexec_b32 s14, s14
; %bb.15593:                            ;   in Loop: Header=BB4_15177 Depth=3
	s_delay_alu instid0(VALU_DEP_1)
	v_bfe_u32 v8, v4, 23, 1
; %bb.15594:                            ;   in Loop: Header=BB4_15177 Depth=3
	s_or_b32 exec_lo, exec_lo, s14
	s_delay_alu instid0(VALU_DEP_2) | instskip(NEXT) | instid1(VALU_DEP_2)
	v_lshrrev_b64 v[4:5], 21, v[4:5]
	v_cmp_gt_i32_e32 vcc_lo, 32, v8
	v_min_i32_e32 v9, 31, v8
	v_cmp_eq_u32_e64 s14, 0, v8
	s_delay_alu instid0(VALU_DEP_4) | instskip(NEXT) | instid1(VALU_DEP_3)
	v_cndmask_b32_e32 v5, 0, v5, vcc_lo
	v_dual_cndmask_b32 v4, 3, v4 :: v_dual_lshlrev_b32 v9, 2, v9
	s_delay_alu instid0(VALU_DEP_1) | instskip(NEXT) | instid1(VALU_DEP_2)
	v_and_b32_e32 v9, 0xfc, v9
	v_cmp_eq_u64_e32 vcc_lo, 0, v[4:5]
	s_delay_alu instid0(VALU_DEP_2)
	v_and_or_b32 v4, v4, 3, v9
	s_and_b32 s14, s14, vcc_lo
	s_delay_alu instid0(VALU_DEP_1) | instid1(SALU_CYCLE_1)
	v_cndmask_b32_e64 v4, v4, 0, s14
	s_delay_alu instid0(VALU_DEP_1)
	v_or_b32_e32 v103, v4, v2
.LBB4_15595:                            ;   in Loop: Header=BB4_15177 Depth=3
	s_or_b32 exec_lo, exec_lo, s78
                                        ; implicit-def: $vgpr2
.LBB4_15596:                            ;   in Loop: Header=BB4_15177 Depth=3
	s_and_not1_saveexec_b32 s14, s77
; %bb.15597:                            ;   in Loop: Header=BB4_15177 Depth=3
	v_or_b32_e32 v103, 0x7b, v2
; %bb.15598:                            ;   in Loop: Header=BB4_15177 Depth=3
	s_or_b32 exec_lo, exec_lo, s14
                                        ; implicit-def: $vgpr8
                                        ; implicit-def: $vgpr4_vgpr5
                                        ; implicit-def: $vgpr2
.LBB4_15599:                            ;   in Loop: Header=BB4_15177 Depth=3
	s_and_not1_saveexec_b32 s14, s76
	s_cbranch_execz .LBB4_15605
; %bb.15600:                            ;   in Loop: Header=BB4_15177 Depth=3
	s_mov_b32 s76, exec_lo
                                        ; implicit-def: $vgpr103
	v_cmpx_ne_u64_e32 0, v[4:5]
	s_xor_b32 s76, exec_lo, s76
; %bb.15601:                            ;   in Loop: Header=BB4_15177 Depth=3
	v_or_b32_e32 v103, 0x7f, v2
                                        ; implicit-def: $vgpr8
; %bb.15602:                            ;   in Loop: Header=BB4_15177 Depth=3
	s_and_not1_saveexec_b32 s76, s76
; %bb.15603:                            ;   in Loop: Header=BB4_15177 Depth=3
	v_cmp_lt_i32_e32 vcc_lo, -1, v8
	v_cndmask_b32_e32 v103, 0xfc, v49, vcc_lo
; %bb.15604:                            ;   in Loop: Header=BB4_15177 Depth=3
	s_or_b32 exec_lo, exec_lo, s76
.LBB4_15605:                            ;   in Loop: Header=BB4_15177 Depth=3
	s_delay_alu instid0(SALU_CYCLE_1) | instskip(SKIP_2) | instid1(VALU_DEP_1)
	s_or_b32 exec_lo, exec_lo, s14
	v_dual_lshrrev_b32 v2, 16, v11 :: v_dual_mov_b32 v4, 0
	s_mov_b32 s14, exec_lo
	v_and_b32_e32 v5, 0xff, v2
	s_delay_alu instid0(VALU_DEP_1)
	v_cmpx_ne_u16_e32 0, v5
	s_cbranch_execz .LBB4_15615
; %bb.15606:                            ;   in Loop: Header=BB4_15177 Depth=3
	v_bfrev_b32_e32 v4, 1
	s_mov_b32 s76, exec_lo
	v_cmpx_ne_u16_e32 0x80, v5
	s_cbranch_execz .LBB4_15614
; %bb.15607:                            ;   in Loop: Header=BB4_15177 Depth=3
	v_and_b32_e32 v4, 0x7c0000, v11
	v_bfe_u32 v5, v11, 16, 2
	s_delay_alu instid0(VALU_DEP_2) | instskip(SKIP_1) | instid1(SALU_CYCLE_1)
	v_cmp_ne_u32_e32 vcc_lo, 0x7c0000, v4
                                        ; implicit-def: $vgpr4
	s_and_saveexec_b32 s77, vcc_lo
	s_xor_b32 s77, exec_lo, s77
	s_cbranch_execz .LBB4_15611
; %bb.15608:                            ;   in Loop: Header=BB4_15177 Depth=3
	v_bfe_u32 v4, v11, 18, 5
	s_mov_b32 s78, exec_lo
	s_delay_alu instid0(VALU_DEP_1)
	v_cmpx_eq_u32_e32 0, v4
; %bb.15609:                            ;   in Loop: Header=BB4_15177 Depth=3
	v_clz_i32_u32_e32 v4, v5
	s_delay_alu instid0(VALU_DEP_1) | instskip(NEXT) | instid1(VALU_DEP_1)
	v_min_u32_e32 v4, 32, v4
	v_subrev_nc_u32_e32 v5, 29, v4
	v_sub_nc_u32_e32 v4, 30, v4
	s_delay_alu instid0(VALU_DEP_2) | instskip(NEXT) | instid1(VALU_DEP_1)
	v_lshlrev_b64_e32 v[8:9], v5, v[2:3]
	v_and_b32_e32 v5, 3, v8
; %bb.15610:                            ;   in Loop: Header=BB4_15177 Depth=3
	s_or_b32 exec_lo, exec_lo, s78
	v_lshlrev_b32_e32 v2, 24, v2
	s_delay_alu instid0(VALU_DEP_1) | instskip(NEXT) | instid1(VALU_DEP_1)
	v_and_b32_e32 v2, 0x80000000, v2
	v_lshl_add_u32 v2, v4, 23, v2
	s_delay_alu instid0(VALU_DEP_1) | instskip(NEXT) | instid1(VALU_DEP_1)
	v_lshl_or_b32 v2, v5, 21, v2
                                        ; implicit-def: $vgpr5
	v_add_nc_u32_e32 v4, 0x38000000, v2
                                        ; implicit-def: $vgpr2
.LBB4_15611:                            ;   in Loop: Header=BB4_15177 Depth=3
	s_and_not1_saveexec_b32 s77, s77
; %bb.15612:                            ;   in Loop: Header=BB4_15177 Depth=3
	v_bfe_i32 v2, v2, 0, 8
	s_delay_alu instid0(VALU_DEP_1) | instskip(SKIP_2) | instid1(VALU_DEP_2)
	v_cmp_lt_i16_e32 vcc_lo, -1, v2
	v_cndmask_b32_e32 v2, 0xff800000, v48, vcc_lo
	v_cmp_eq_u32_e32 vcc_lo, 0, v5
	v_cndmask_b32_e32 v4, 0x7f800001, v2, vcc_lo
; %bb.15613:                            ;   in Loop: Header=BB4_15177 Depth=3
	s_or_b32 exec_lo, exec_lo, s77
.LBB4_15614:                            ;   in Loop: Header=BB4_15177 Depth=3
	s_delay_alu instid0(SALU_CYCLE_1)
	s_or_b32 exec_lo, exec_lo, s76
.LBB4_15615:                            ;   in Loop: Header=BB4_15177 Depth=3
	s_delay_alu instid0(SALU_CYCLE_1) | instskip(NEXT) | instid1(VALU_DEP_1)
	s_or_b32 exec_lo, exec_lo, s14
	v_dual_mul_f32 v8, s75, v4 :: v_dual_mov_b32 v17, v3
	v_mov_b32_e32 v5, v3
                                        ; implicit-def: $vgpr115
	s_mov_b32 s14, exec_lo
	s_delay_alu instid0(VALU_DEP_2) | instskip(SKIP_2) | instid1(VALU_DEP_3)
	v_and_b32_e32 v16, 0x7f800000, v8
	v_and_b32_e32 v4, 0x7fffff, v8
	v_lshrrev_b32_e32 v2, 24, v8
	v_cmpx_ne_u64_e32 0x7f800000, v[16:17]
	s_xor_b32 s76, exec_lo, s14
	s_cbranch_execz .LBB4_15629
; %bb.15616:                            ;   in Loop: Header=BB4_15177 Depth=3
	v_and_b32_e32 v16, 0x7fffffff, v8
	v_mov_b32_e32 v17, v3
	v_and_b32_e32 v2, 0x80, v2
                                        ; implicit-def: $vgpr115
	s_mov_b32 s14, exec_lo
	s_delay_alu instid0(VALU_DEP_2)
	v_cmpx_gt_u64_e32 0x47600001, v[16:17]
	s_xor_b32 s77, exec_lo, s14
	s_cbranch_execz .LBB4_15626
; %bb.15617:                            ;   in Loop: Header=BB4_15177 Depth=3
	v_mov_b32_e32 v115, 0
	s_mov_b32 s78, exec_lo
	v_cmpx_ne_u32_e32 0, v8
	s_cbranch_execz .LBB4_15625
; %bb.15618:                            ;   in Loop: Header=BB4_15177 Depth=3
	v_bfe_u32 v16, v8, 23, 8
	v_or_b32_e32 v18, 0x800000, v4
	s_delay_alu instid0(VALU_DEP_2) | instskip(SKIP_1) | instid1(VALU_DEP_2)
	v_sub_nc_u32_e32 v8, 0x71, v16
	v_cmp_gt_u32_e32 vcc_lo, 0x72, v16
	v_cndmask_b32_e32 v8, 0, v8, vcc_lo
	v_cmp_eq_u32_e32 vcc_lo, 0, v16
	s_delay_alu instid0(VALU_DEP_2) | instskip(NEXT) | instid1(VALU_DEP_1)
	v_cndmask_b32_e64 v17, v8, 0x70, vcc_lo
	v_dual_cndmask_b32 v4, v18, v4, vcc_lo :: v_dual_add_nc_u32 v8, 21, v17
	v_add_nc_u32_e32 v19, 20, v17
	s_delay_alu instid0(VALU_DEP_2) | instskip(NEXT) | instid1(VALU_DEP_2)
	v_lshlrev_b64_e64 v[8:9], v8, -1
	v_lshlrev_b64_e64 v[18:19], v19, 1
	s_delay_alu instid0(VALU_DEP_2) | instskip(SKIP_1) | instid1(VALU_DEP_4)
	v_bfi_b32 v8, v8, 0, v4
	v_lshrrev_b64 v[4:5], v17, v[4:5]
	v_bfi_b32 v9, v9, 0, 0
	s_delay_alu instid0(VALU_DEP_1) | instskip(NEXT) | instid1(VALU_DEP_3)
	v_cmp_eq_u64_e64 s14, v[8:9], v[18:19]
	v_mov_b64_e32 v[8:9], v[4:5]
	s_and_saveexec_b32 s79, s14
; %bb.15619:                            ;   in Loop: Header=BB4_15177 Depth=3
	v_bfe_u32 v8, v4, 21, 1
	v_mov_b32_e32 v9, v3
	s_delay_alu instid0(VALU_DEP_1) | instskip(NEXT) | instid1(VALU_DEP_1)
	v_add_nc_u64_e32 v[8:9], v[4:5], v[8:9]
	v_add_nc_u64_e32 v[8:9], -1, v[8:9]
; %bb.15620:                            ;   in Loop: Header=BB4_15177 Depth=3
	s_or_b32 exec_lo, exec_lo, s79
	v_add_nc_u32_e32 v5, 0xffffff81, v16
	v_lshrrev_b32_e32 v9, 23, v4
	s_mov_b32 s14, exec_lo
	s_delay_alu instid0(VALU_DEP_2) | instskip(NEXT) | instid1(VALU_DEP_1)
	v_cndmask_b32_e64 v5, v5, 0xffffff82, vcc_lo
	v_add3_u32 v9, v17, v5, v9
	v_and_b32_e32 v5, 0x1fffff, v8
                                        ; implicit-def: $vgpr8
	s_delay_alu instid0(VALU_DEP_1) | instskip(SKIP_1) | instid1(VALU_DEP_2)
	v_dual_add_nc_u32 v16, 14, v9 :: v_dual_add_nc_u32 v4, v5, v4
	v_mov_b32_e32 v5, v3
	v_cmpx_ne_u32_e32 0, v16
	s_xor_b32 s14, exec_lo, s14
; %bb.15621:                            ;   in Loop: Header=BB4_15177 Depth=3
	s_delay_alu instid0(VALU_DEP_2) | instskip(SKIP_2) | instid1(VALU_DEP_2)
	v_cmp_lt_u64_e32 vcc_lo, 0xffffff, v[4:5]
	v_add_nc_u32_e32 v8, 15, v9
	v_cndmask_b32_e64 v9, 0, 1, vcc_lo
	v_cndmask_b32_e32 v8, v16, v8, vcc_lo
	s_delay_alu instid0(VALU_DEP_2)
	v_lshrrev_b64 v[4:5], v9, v[4:5]
; %bb.15622:                            ;   in Loop: Header=BB4_15177 Depth=3
	s_and_not1_saveexec_b32 s14, s14
; %bb.15623:                            ;   in Loop: Header=BB4_15177 Depth=3
	s_delay_alu instid0(VALU_DEP_1)
	v_bfe_u32 v8, v4, 23, 1
; %bb.15624:                            ;   in Loop: Header=BB4_15177 Depth=3
	s_or_b32 exec_lo, exec_lo, s14
	s_delay_alu instid0(VALU_DEP_2) | instskip(NEXT) | instid1(VALU_DEP_2)
	v_lshrrev_b64 v[4:5], 21, v[4:5]
	v_cmp_gt_i32_e32 vcc_lo, 32, v8
	v_min_i32_e32 v9, 31, v8
	v_cmp_eq_u32_e64 s14, 0, v8
	s_delay_alu instid0(VALU_DEP_4) | instskip(NEXT) | instid1(VALU_DEP_3)
	v_cndmask_b32_e32 v5, 0, v5, vcc_lo
	v_dual_cndmask_b32 v4, 3, v4 :: v_dual_lshlrev_b32 v9, 2, v9
	s_delay_alu instid0(VALU_DEP_1) | instskip(NEXT) | instid1(VALU_DEP_2)
	v_and_b32_e32 v9, 0xfc, v9
	v_cmp_eq_u64_e32 vcc_lo, 0, v[4:5]
	s_delay_alu instid0(VALU_DEP_2)
	v_and_or_b32 v4, v4, 3, v9
	s_and_b32 s14, s14, vcc_lo
	s_delay_alu instid0(VALU_DEP_1) | instid1(SALU_CYCLE_1)
	v_cndmask_b32_e64 v4, v4, 0, s14
	s_delay_alu instid0(VALU_DEP_1)
	v_or_b32_e32 v115, v4, v2
.LBB4_15625:                            ;   in Loop: Header=BB4_15177 Depth=3
	s_or_b32 exec_lo, exec_lo, s78
                                        ; implicit-def: $vgpr2
.LBB4_15626:                            ;   in Loop: Header=BB4_15177 Depth=3
	s_and_not1_saveexec_b32 s14, s77
; %bb.15627:                            ;   in Loop: Header=BB4_15177 Depth=3
	v_or_b32_e32 v115, 0x7b, v2
; %bb.15628:                            ;   in Loop: Header=BB4_15177 Depth=3
	s_or_b32 exec_lo, exec_lo, s14
                                        ; implicit-def: $vgpr8
                                        ; implicit-def: $vgpr4_vgpr5
                                        ; implicit-def: $vgpr2
.LBB4_15629:                            ;   in Loop: Header=BB4_15177 Depth=3
	s_and_not1_saveexec_b32 s14, s76
	s_cbranch_execz .LBB4_15635
; %bb.15630:                            ;   in Loop: Header=BB4_15177 Depth=3
	s_mov_b32 s76, exec_lo
                                        ; implicit-def: $vgpr115
	v_cmpx_ne_u64_e32 0, v[4:5]
	s_xor_b32 s76, exec_lo, s76
; %bb.15631:                            ;   in Loop: Header=BB4_15177 Depth=3
	v_or_b32_e32 v115, 0x7f, v2
                                        ; implicit-def: $vgpr8
; %bb.15632:                            ;   in Loop: Header=BB4_15177 Depth=3
	s_and_not1_saveexec_b32 s76, s76
; %bb.15633:                            ;   in Loop: Header=BB4_15177 Depth=3
	v_cmp_lt_i32_e32 vcc_lo, -1, v8
	v_cndmask_b32_e32 v115, 0xfc, v49, vcc_lo
; %bb.15634:                            ;   in Loop: Header=BB4_15177 Depth=3
	s_or_b32 exec_lo, exec_lo, s76
.LBB4_15635:                            ;   in Loop: Header=BB4_15177 Depth=3
	s_delay_alu instid0(SALU_CYCLE_1)
	s_or_b32 exec_lo, exec_lo, s14
	v_mov_b32_e32 v4, 0
	s_mov_b32 s14, exec_lo
	v_cmpx_lt_u64_e64 s[22:23], v[10:11]
	s_cbranch_execz .LBB4_15645
; %bb.15636:                            ;   in Loop: Header=BB4_15177 Depth=3
	v_lshrrev_b32_e32 v2, 24, v11
	v_bfrev_b32_e32 v4, 1
	s_mov_b32 s76, exec_lo
	s_delay_alu instid0(VALU_DEP_2)
	v_cmpx_ne_u32_e32 0x80, v2
	s_cbranch_execz .LBB4_15644
; %bb.15637:                            ;   in Loop: Header=BB4_15177 Depth=3
	v_and_b32_e32 v4, 0x7c000000, v11
	v_bfe_u32 v5, v11, 24, 2
	s_delay_alu instid0(VALU_DEP_2) | instskip(SKIP_1) | instid1(SALU_CYCLE_1)
	v_cmp_ne_u32_e32 vcc_lo, 0x7c000000, v4
                                        ; implicit-def: $vgpr4
	s_and_saveexec_b32 s77, vcc_lo
	s_xor_b32 s77, exec_lo, s77
	s_cbranch_execz .LBB4_15641
; %bb.15638:                            ;   in Loop: Header=BB4_15177 Depth=3
	v_bfe_u32 v4, v11, 26, 5
	s_mov_b32 s78, exec_lo
	s_delay_alu instid0(VALU_DEP_1)
	v_cmpx_eq_u32_e32 0, v4
; %bb.15639:                            ;   in Loop: Header=BB4_15177 Depth=3
	v_clz_i32_u32_e32 v4, v5
	s_delay_alu instid0(VALU_DEP_1) | instskip(NEXT) | instid1(VALU_DEP_1)
	v_min_u32_e32 v4, 32, v4
	v_subrev_nc_u32_e32 v5, 29, v4
	v_sub_nc_u32_e32 v4, 30, v4
	s_delay_alu instid0(VALU_DEP_2) | instskip(NEXT) | instid1(VALU_DEP_1)
	v_lshlrev_b64_e32 v[8:9], v5, v[2:3]
	v_and_b32_e32 v5, 3, v8
; %bb.15640:                            ;   in Loop: Header=BB4_15177 Depth=3
	s_or_b32 exec_lo, exec_lo, s78
	v_and_b32_e32 v2, 0x80000000, v11
                                        ; implicit-def: $vgpr10_vgpr11
	s_delay_alu instid0(VALU_DEP_1) | instskip(NEXT) | instid1(VALU_DEP_1)
	v_lshl_add_u32 v2, v4, 23, v2
	v_lshl_or_b32 v2, v5, 21, v2
                                        ; implicit-def: $vgpr5
	s_delay_alu instid0(VALU_DEP_1)
	v_add_nc_u32_e32 v4, 0x38000000, v2
.LBB4_15641:                            ;   in Loop: Header=BB4_15177 Depth=3
	s_and_not1_saveexec_b32 s77, s77
; %bb.15642:                            ;   in Loop: Header=BB4_15177 Depth=3
	v_cmp_lt_i64_e32 vcc_lo, -1, v[10:11]
	v_cndmask_b32_e32 v2, 0xff800000, v48, vcc_lo
	v_cmp_eq_u32_e32 vcc_lo, 0, v5
	s_delay_alu instid0(VALU_DEP_2)
	v_cndmask_b32_e32 v4, 0x7f800001, v2, vcc_lo
; %bb.15643:                            ;   in Loop: Header=BB4_15177 Depth=3
	s_or_b32 exec_lo, exec_lo, s77
.LBB4_15644:                            ;   in Loop: Header=BB4_15177 Depth=3
	s_delay_alu instid0(SALU_CYCLE_1)
	s_or_b32 exec_lo, exec_lo, s76
.LBB4_15645:                            ;   in Loop: Header=BB4_15177 Depth=3
	s_delay_alu instid0(SALU_CYCLE_1) | instskip(NEXT) | instid1(VALU_DEP_1)
	s_or_b32 exec_lo, exec_lo, s14
	v_dual_mul_f32 v8, s75, v4 :: v_dual_mov_b32 v11, v3
	v_mov_b32_e32 v5, v3
                                        ; implicit-def: $vgpr118
	s_mov_b32 s14, exec_lo
	s_delay_alu instid0(VALU_DEP_2) | instskip(SKIP_2) | instid1(VALU_DEP_3)
	v_and_b32_e32 v10, 0x7f800000, v8
	v_and_b32_e32 v4, 0x7fffff, v8
	v_lshrrev_b32_e32 v2, 24, v8
	v_cmpx_ne_u64_e32 0x7f800000, v[10:11]
	s_xor_b32 s75, exec_lo, s14
	s_cbranch_execz .LBB4_15659
; %bb.15646:                            ;   in Loop: Header=BB4_15177 Depth=3
	v_and_b32_e32 v10, 0x7fffffff, v8
	v_mov_b32_e32 v11, v3
	v_and_b32_e32 v2, 0x80, v2
                                        ; implicit-def: $vgpr118
	s_mov_b32 s14, exec_lo
	s_delay_alu instid0(VALU_DEP_2)
	v_cmpx_gt_u64_e32 0x47600001, v[10:11]
	s_xor_b32 s76, exec_lo, s14
	s_cbranch_execz .LBB4_15656
; %bb.15647:                            ;   in Loop: Header=BB4_15177 Depth=3
	v_mov_b32_e32 v118, 0
	s_mov_b32 s77, exec_lo
	v_cmpx_ne_u32_e32 0, v8
	s_cbranch_execz .LBB4_15655
; %bb.15648:                            ;   in Loop: Header=BB4_15177 Depth=3
	v_bfe_u32 v10, v8, 23, 8
	v_or_b32_e32 v16, 0x800000, v4
	s_delay_alu instid0(VALU_DEP_2) | instskip(SKIP_1) | instid1(VALU_DEP_2)
	v_sub_nc_u32_e32 v8, 0x71, v10
	v_cmp_gt_u32_e32 vcc_lo, 0x72, v10
	v_cndmask_b32_e32 v8, 0, v8, vcc_lo
	v_cmp_eq_u32_e32 vcc_lo, 0, v10
	s_delay_alu instid0(VALU_DEP_2) | instskip(NEXT) | instid1(VALU_DEP_1)
	v_cndmask_b32_e64 v11, v8, 0x70, vcc_lo
	v_dual_cndmask_b32 v4, v16, v4, vcc_lo :: v_dual_add_nc_u32 v8, 21, v11
	v_add_nc_u32_e32 v17, 20, v11
	s_delay_alu instid0(VALU_DEP_2) | instskip(NEXT) | instid1(VALU_DEP_2)
	v_lshlrev_b64_e64 v[8:9], v8, -1
	v_lshlrev_b64_e64 v[16:17], v17, 1
	s_delay_alu instid0(VALU_DEP_2) | instskip(SKIP_1) | instid1(VALU_DEP_4)
	v_bfi_b32 v8, v8, 0, v4
	v_lshrrev_b64 v[4:5], v11, v[4:5]
	v_bfi_b32 v9, v9, 0, 0
	s_delay_alu instid0(VALU_DEP_1) | instskip(NEXT) | instid1(VALU_DEP_3)
	v_cmp_eq_u64_e64 s14, v[8:9], v[16:17]
	v_mov_b64_e32 v[8:9], v[4:5]
	s_and_saveexec_b32 s78, s14
; %bb.15649:                            ;   in Loop: Header=BB4_15177 Depth=3
	v_bfe_u32 v8, v4, 21, 1
	v_mov_b32_e32 v9, v3
	s_delay_alu instid0(VALU_DEP_1) | instskip(NEXT) | instid1(VALU_DEP_1)
	v_add_nc_u64_e32 v[8:9], v[4:5], v[8:9]
	v_add_nc_u64_e32 v[8:9], -1, v[8:9]
; %bb.15650:                            ;   in Loop: Header=BB4_15177 Depth=3
	s_or_b32 exec_lo, exec_lo, s78
	v_add_nc_u32_e32 v5, 0xffffff81, v10
	v_lshrrev_b32_e32 v9, 23, v4
	s_mov_b32 s14, exec_lo
	s_delay_alu instid0(VALU_DEP_2) | instskip(NEXT) | instid1(VALU_DEP_1)
	v_cndmask_b32_e64 v5, v5, 0xffffff82, vcc_lo
	v_add3_u32 v9, v11, v5, v9
	v_and_b32_e32 v5, 0x1fffff, v8
                                        ; implicit-def: $vgpr8
	s_delay_alu instid0(VALU_DEP_1) | instskip(SKIP_1) | instid1(VALU_DEP_2)
	v_dual_add_nc_u32 v10, 14, v9 :: v_dual_add_nc_u32 v4, v5, v4
	v_mov_b32_e32 v5, v3
	v_cmpx_ne_u32_e32 0, v10
	s_xor_b32 s14, exec_lo, s14
; %bb.15651:                            ;   in Loop: Header=BB4_15177 Depth=3
	s_delay_alu instid0(VALU_DEP_2) | instskip(SKIP_2) | instid1(VALU_DEP_2)
	v_cmp_lt_u64_e32 vcc_lo, 0xffffff, v[4:5]
	v_add_nc_u32_e32 v8, 15, v9
	v_cndmask_b32_e64 v9, 0, 1, vcc_lo
	v_cndmask_b32_e32 v8, v10, v8, vcc_lo
	s_delay_alu instid0(VALU_DEP_2)
	v_lshrrev_b64 v[4:5], v9, v[4:5]
; %bb.15652:                            ;   in Loop: Header=BB4_15177 Depth=3
	s_and_not1_saveexec_b32 s14, s14
; %bb.15653:                            ;   in Loop: Header=BB4_15177 Depth=3
	s_delay_alu instid0(VALU_DEP_1)
	v_bfe_u32 v8, v4, 23, 1
; %bb.15654:                            ;   in Loop: Header=BB4_15177 Depth=3
	s_or_b32 exec_lo, exec_lo, s14
	s_delay_alu instid0(VALU_DEP_2) | instskip(NEXT) | instid1(VALU_DEP_2)
	v_lshrrev_b64 v[4:5], 21, v[4:5]
	v_cmp_gt_i32_e32 vcc_lo, 32, v8
	v_min_i32_e32 v9, 31, v8
	v_cmp_eq_u32_e64 s14, 0, v8
	s_delay_alu instid0(VALU_DEP_4) | instskip(NEXT) | instid1(VALU_DEP_3)
	v_cndmask_b32_e32 v5, 0, v5, vcc_lo
	v_dual_cndmask_b32 v4, 3, v4 :: v_dual_lshlrev_b32 v9, 2, v9
	s_delay_alu instid0(VALU_DEP_1) | instskip(NEXT) | instid1(VALU_DEP_2)
	v_and_b32_e32 v9, 0xfc, v9
	v_cmp_eq_u64_e32 vcc_lo, 0, v[4:5]
	s_delay_alu instid0(VALU_DEP_2)
	v_and_or_b32 v4, v4, 3, v9
	s_and_b32 s14, s14, vcc_lo
	s_delay_alu instid0(VALU_DEP_1) | instid1(SALU_CYCLE_1)
	v_cndmask_b32_e64 v4, v4, 0, s14
	s_delay_alu instid0(VALU_DEP_1)
	v_or_b32_e32 v118, v4, v2
.LBB4_15655:                            ;   in Loop: Header=BB4_15177 Depth=3
	s_or_b32 exec_lo, exec_lo, s77
                                        ; implicit-def: $vgpr2
.LBB4_15656:                            ;   in Loop: Header=BB4_15177 Depth=3
	s_and_not1_saveexec_b32 s14, s76
; %bb.15657:                            ;   in Loop: Header=BB4_15177 Depth=3
	v_or_b32_e32 v118, 0x7b, v2
; %bb.15658:                            ;   in Loop: Header=BB4_15177 Depth=3
	s_or_b32 exec_lo, exec_lo, s14
                                        ; implicit-def: $vgpr8
                                        ; implicit-def: $vgpr4_vgpr5
                                        ; implicit-def: $vgpr2
.LBB4_15659:                            ;   in Loop: Header=BB4_15177 Depth=3
	s_and_not1_saveexec_b32 s14, s75
	s_cbranch_execz .LBB4_15665
; %bb.15660:                            ;   in Loop: Header=BB4_15177 Depth=3
	s_mov_b32 s75, exec_lo
                                        ; implicit-def: $vgpr118
	v_cmpx_ne_u64_e32 0, v[4:5]
	s_xor_b32 s75, exec_lo, s75
; %bb.15661:                            ;   in Loop: Header=BB4_15177 Depth=3
	v_or_b32_e32 v118, 0x7f, v2
                                        ; implicit-def: $vgpr8
; %bb.15662:                            ;   in Loop: Header=BB4_15177 Depth=3
	s_and_not1_saveexec_b32 s75, s75
; %bb.15663:                            ;   in Loop: Header=BB4_15177 Depth=3
	v_cmp_lt_i32_e32 vcc_lo, -1, v8
	v_cndmask_b32_e32 v118, 0xfc, v49, vcc_lo
; %bb.15664:                            ;   in Loop: Header=BB4_15177 Depth=3
	s_or_b32 exec_lo, exec_lo, s75
.LBB4_15665:                            ;   in Loop: Header=BB4_15177 Depth=3
	s_delay_alu instid0(SALU_CYCLE_1)
	s_or_b32 exec_lo, exec_lo, s14
	global_load_b128 v[8:11], v[42:43], off th:TH_LOAD_NT
	v_lshl_or_b32 v2, v66, 8, v21
	v_dual_lshlrev_b32 v4, 16, v100 :: v_dual_lshlrev_b32 v5, 24, v113
	s_mov_b32 s14, exec_lo
	v_mov_b32_e32 v16, 0
	s_delay_alu instid0(VALU_DEP_2)
	v_or3_b32 v4, v4, v5, v2
	v_mov_b32_e32 v5, v3
	s_wait_xcnt 0x0
	v_cmpx_ne_u32_e32 0, v21
	s_cbranch_execz .LBB4_15675
; %bb.15666:                            ;   in Loop: Header=BB4_15177 Depth=3
	v_bfrev_b32_e32 v16, 1
	s_mov_b32 s75, exec_lo
	v_cmpx_ne_u32_e32 0x80, v21
	s_cbranch_execz .LBB4_15674
; %bb.15667:                            ;   in Loop: Header=BB4_15177 Depth=3
	v_and_b32_e32 v16, 0x7c, v21
	v_and_b32_e32 v17, 3, v21
	s_delay_alu instid0(VALU_DEP_2) | instskip(SKIP_1) | instid1(SALU_CYCLE_1)
	v_cmp_ne_u32_e32 vcc_lo, 0x7c, v16
                                        ; implicit-def: $vgpr16
	s_and_saveexec_b32 s76, vcc_lo
	s_xor_b32 s76, exec_lo, s76
	s_cbranch_execz .LBB4_15671
; %bb.15668:                            ;   in Loop: Header=BB4_15177 Depth=3
	v_bfe_u32 v16, v21, 2, 5
	s_mov_b32 s77, exec_lo
	s_delay_alu instid0(VALU_DEP_1)
	v_cmpx_eq_u32_e32 0, v16
; %bb.15669:                            ;   in Loop: Header=BB4_15177 Depth=3
	v_clz_i32_u32_e32 v16, v17
	s_delay_alu instid0(VALU_DEP_1) | instskip(NEXT) | instid1(VALU_DEP_1)
	v_min_u32_e32 v16, 32, v16
	v_subrev_nc_u32_e32 v17, 29, v16
	s_delay_alu instid0(VALU_DEP_1) | instskip(NEXT) | instid1(VALU_DEP_1)
	v_lshlrev_b64_e32 v[18:19], v17, v[4:5]
	v_dual_sub_nc_u32 v16, 30, v16 :: v_dual_bitop2_b32 v17, 3, v18 bitop3:0x40
; %bb.15670:                            ;   in Loop: Header=BB4_15177 Depth=3
	s_or_b32 exec_lo, exec_lo, s77
	v_lshlrev_b32_e32 v5, 24, v21
                                        ; implicit-def: $vgpr21
	s_delay_alu instid0(VALU_DEP_1) | instskip(NEXT) | instid1(VALU_DEP_1)
	v_and_b32_e32 v5, 0x80000000, v5
	v_lshl_add_u32 v5, v16, 23, v5
	s_delay_alu instid0(VALU_DEP_1) | instskip(NEXT) | instid1(VALU_DEP_1)
	v_lshl_or_b32 v5, v17, 21, v5
                                        ; implicit-def: $vgpr17
	v_add_nc_u32_e32 v16, 0x38000000, v5
.LBB4_15671:                            ;   in Loop: Header=BB4_15177 Depth=3
	s_and_not1_saveexec_b32 s76, s76
; %bb.15672:                            ;   in Loop: Header=BB4_15177 Depth=3
	v_and_b32_e32 v5, 0x80, v21
	s_delay_alu instid0(VALU_DEP_1) | instskip(SKIP_2) | instid1(VALU_DEP_2)
	v_cmp_eq_u32_e32 vcc_lo, 0, v5
	v_cndmask_b32_e32 v5, 0xff800000, v48, vcc_lo
	v_cmp_eq_u32_e32 vcc_lo, 0, v17
	v_cndmask_b32_e32 v16, 0x7f800001, v5, vcc_lo
; %bb.15673:                            ;   in Loop: Header=BB4_15177 Depth=3
	s_or_b32 exec_lo, exec_lo, s76
.LBB4_15674:                            ;   in Loop: Header=BB4_15177 Depth=3
	s_delay_alu instid0(SALU_CYCLE_1)
	s_or_b32 exec_lo, exec_lo, s75
.LBB4_15675:                            ;   in Loop: Header=BB4_15177 Depth=3
	s_delay_alu instid0(SALU_CYCLE_1) | instskip(SKIP_4) | instid1(VALU_DEP_1)
	s_or_b32 exec_lo, exec_lo, s14
	s_wait_loadcnt 0x0
	v_and_b32_e32 v17, 0xff, v8
	s_mov_b32 s75, 0
	s_mov_b32 s14, exec_lo
	v_cmpx_lt_i16_e32 0x7f, v17
	s_xor_b32 s14, exec_lo, s14
	s_cbranch_execz .LBB4_16216
; %bb.15676:                            ;   in Loop: Header=BB4_15177 Depth=3
	s_mov_b32 s75, -1
	s_mov_b32 s76, exec_lo
	v_cmpx_eq_u16_e32 0x80, v17
; %bb.15677:                            ;   in Loop: Header=BB4_15177 Depth=3
	s_xor_b32 s75, exec_lo, -1
; %bb.15678:                            ;   in Loop: Header=BB4_15177 Depth=3
	s_or_b32 exec_lo, exec_lo, s76
	s_delay_alu instid0(SALU_CYCLE_1)
	s_and_b32 s75, s75, exec_lo
                                        ; implicit-def: $vgpr17
	s_or_saveexec_b32 s14, s14
	v_bfrev_b32_e32 v5, 1
	s_xor_b32 exec_lo, exec_lo, s14
	s_cbranch_execnz .LBB4_16217
.LBB4_15679:                            ;   in Loop: Header=BB4_15177 Depth=3
	s_or_b32 exec_lo, exec_lo, s14
	s_and_saveexec_b32 s14, s75
	s_cbranch_execz .LBB4_15681
.LBB4_15680:                            ;   in Loop: Header=BB4_15177 Depth=3
	v_and_b32_e32 v5, 3, v8
	v_bfe_u32 v21, v8, 2, 5
	s_delay_alu instid0(VALU_DEP_2) | instskip(NEXT) | instid1(VALU_DEP_2)
	v_clz_i32_u32_e32 v17, v5
	v_cmp_eq_u32_e32 vcc_lo, 0, v21
	s_delay_alu instid0(VALU_DEP_2) | instskip(NEXT) | instid1(VALU_DEP_1)
	v_min_u32_e32 v17, 32, v17
	v_subrev_nc_u32_e32 v18, 29, v17
	s_delay_alu instid0(VALU_DEP_1) | instskip(SKIP_1) | instid1(VALU_DEP_1)
	v_lshlrev_b64_e32 v[18:19], v18, v[8:9]
	v_dual_lshlrev_b32 v19, 24, v8 :: v_dual_sub_nc_u32 v17, 30, v17
	v_and_b32_e32 v19, 0x80000000, v19
	s_delay_alu instid0(VALU_DEP_2) | instskip(SKIP_1) | instid1(VALU_DEP_2)
	v_dual_cndmask_b32 v17, v21, v17, vcc_lo :: v_dual_bitop2_b32 v18, 3, v18 bitop3:0x40
	v_bfe_i32 v21, v8, 0, 8
	v_cndmask_b32_e32 v18, v5, v18, vcc_lo
	s_delay_alu instid0(VALU_DEP_3) | instskip(NEXT) | instid1(VALU_DEP_3)
	v_lshl_add_u32 v17, v17, 23, v19
	v_cmp_lt_i16_e32 vcc_lo, -1, v21
	s_delay_alu instid0(VALU_DEP_2) | instskip(SKIP_3) | instid1(VALU_DEP_4)
	v_lshl_or_b32 v17, v18, 21, v17
	v_cndmask_b32_e32 v19, 0xff800000, v48, vcc_lo
	v_and_b32_e32 v18, 0x7c, v8
	v_cmp_eq_u32_e32 vcc_lo, 0, v5
	v_add_nc_u32_e32 v17, 0x38000000, v17
	s_delay_alu instid0(VALU_DEP_4) | instskip(NEXT) | instid1(VALU_DEP_4)
	v_cndmask_b32_e32 v5, 0x7f800001, v19, vcc_lo
	v_cmp_eq_u32_e32 vcc_lo, 0x7c, v18
	s_delay_alu instid0(VALU_DEP_2)
	v_cndmask_b32_e32 v5, v17, v5, vcc_lo
.LBB4_15681:                            ;   in Loop: Header=BB4_15177 Depth=3
	s_or_b32 exec_lo, exec_lo, s14
	s_delay_alu instid0(VALU_DEP_1) | instskip(SKIP_2) | instid1(VALU_DEP_2)
	v_dual_add_f32 v18, v16, v5 :: v_dual_mov_b32 v87, v3
	v_mov_b32_e32 v17, v3
                                        ; implicit-def: $vgpr66
	s_mov_b32 s14, exec_lo
	v_and_b32_e32 v86, 0x7f800000, v18
	v_and_b32_e32 v16, 0x7fffff, v18
	v_lshrrev_b32_e32 v5, 24, v18
	s_delay_alu instid0(VALU_DEP_3)
	v_cmpx_ne_u64_e32 0x7f800000, v[86:87]
	s_xor_b32 s75, exec_lo, s14
	s_cbranch_execz .LBB4_15695
; %bb.15682:                            ;   in Loop: Header=BB4_15177 Depth=3
	v_and_b32_e32 v86, 0x7fffffff, v18
	v_mov_b32_e32 v87, v3
	v_and_b32_e32 v5, 0x80, v5
                                        ; implicit-def: $vgpr66
	s_mov_b32 s14, exec_lo
	s_delay_alu instid0(VALU_DEP_2)
	v_cmpx_gt_u64_e32 0x47600001, v[86:87]
	s_xor_b32 s76, exec_lo, s14
	s_cbranch_execz .LBB4_15692
; %bb.15683:                            ;   in Loop: Header=BB4_15177 Depth=3
	v_mov_b32_e32 v66, 0
	s_mov_b32 s77, exec_lo
	v_cmpx_ne_u32_e32 0, v18
	s_cbranch_execz .LBB4_15691
; %bb.15684:                            ;   in Loop: Header=BB4_15177 Depth=3
	v_bfe_u32 v21, v18, 23, 8
	v_or_b32_e32 v86, 0x800000, v16
	s_delay_alu instid0(VALU_DEP_2) | instskip(SKIP_1) | instid1(VALU_DEP_2)
	v_sub_nc_u32_e32 v18, 0x71, v21
	v_cmp_gt_u32_e32 vcc_lo, 0x72, v21
	v_cndmask_b32_e32 v18, 0, v18, vcc_lo
	v_cmp_eq_u32_e32 vcc_lo, 0, v21
	v_cndmask_b32_e32 v16, v86, v16, vcc_lo
	s_delay_alu instid0(VALU_DEP_3) | instskip(NEXT) | instid1(VALU_DEP_1)
	v_cndmask_b32_e64 v66, v18, 0x70, vcc_lo
	v_dual_add_nc_u32 v18, 21, v66 :: v_dual_add_nc_u32 v87, 20, v66
	s_delay_alu instid0(VALU_DEP_1) | instskip(NEXT) | instid1(VALU_DEP_2)
	v_lshlrev_b64_e64 v[18:19], v18, -1
	v_lshlrev_b64_e64 v[86:87], v87, 1
	s_delay_alu instid0(VALU_DEP_2) | instskip(SKIP_1) | instid1(VALU_DEP_4)
	v_bfi_b32 v18, v18, 0, v16
	v_lshrrev_b64 v[16:17], v66, v[16:17]
	v_bfi_b32 v19, v19, 0, 0
	s_delay_alu instid0(VALU_DEP_1) | instskip(NEXT) | instid1(VALU_DEP_3)
	v_cmp_eq_u64_e64 s14, v[18:19], v[86:87]
	v_mov_b64_e32 v[18:19], v[16:17]
	s_and_saveexec_b32 s78, s14
; %bb.15685:                            ;   in Loop: Header=BB4_15177 Depth=3
	v_bfe_u32 v18, v16, 21, 1
	v_mov_b32_e32 v19, v3
	s_delay_alu instid0(VALU_DEP_1) | instskip(NEXT) | instid1(VALU_DEP_1)
	v_add_nc_u64_e32 v[18:19], v[16:17], v[18:19]
	v_add_nc_u64_e32 v[18:19], -1, v[18:19]
; %bb.15686:                            ;   in Loop: Header=BB4_15177 Depth=3
	s_or_b32 exec_lo, exec_lo, s78
	v_add_nc_u32_e32 v17, 0xffffff81, v21
	v_lshrrev_b32_e32 v19, 23, v16
	s_mov_b32 s14, exec_lo
	s_delay_alu instid0(VALU_DEP_2) | instskip(NEXT) | instid1(VALU_DEP_1)
	v_cndmask_b32_e64 v17, v17, 0xffffff82, vcc_lo
	v_add3_u32 v19, v66, v17, v19
	v_and_b32_e32 v17, 0x1fffff, v18
                                        ; implicit-def: $vgpr18
	s_delay_alu instid0(VALU_DEP_1) | instskip(SKIP_1) | instid1(VALU_DEP_2)
	v_dual_add_nc_u32 v21, 14, v19 :: v_dual_add_nc_u32 v16, v17, v16
	v_mov_b32_e32 v17, v3
	v_cmpx_ne_u32_e32 0, v21
	s_xor_b32 s14, exec_lo, s14
; %bb.15687:                            ;   in Loop: Header=BB4_15177 Depth=3
	s_delay_alu instid0(VALU_DEP_2) | instskip(SKIP_2) | instid1(VALU_DEP_2)
	v_cmp_lt_u64_e32 vcc_lo, 0xffffff, v[16:17]
	v_add_nc_u32_e32 v18, 15, v19
	v_cndmask_b32_e64 v19, 0, 1, vcc_lo
	v_cndmask_b32_e32 v18, v21, v18, vcc_lo
	s_delay_alu instid0(VALU_DEP_2)
	v_lshrrev_b64 v[16:17], v19, v[16:17]
; %bb.15688:                            ;   in Loop: Header=BB4_15177 Depth=3
	s_and_not1_saveexec_b32 s14, s14
; %bb.15689:                            ;   in Loop: Header=BB4_15177 Depth=3
	s_delay_alu instid0(VALU_DEP_1)
	v_bfe_u32 v18, v16, 23, 1
; %bb.15690:                            ;   in Loop: Header=BB4_15177 Depth=3
	s_or_b32 exec_lo, exec_lo, s14
	s_delay_alu instid0(VALU_DEP_2) | instskip(NEXT) | instid1(VALU_DEP_2)
	v_lshrrev_b64 v[16:17], 21, v[16:17]
	v_cmp_gt_i32_e32 vcc_lo, 32, v18
	v_min_i32_e32 v19, 31, v18
	v_cmp_eq_u32_e64 s14, 0, v18
	s_delay_alu instid0(VALU_DEP_2) | instskip(SKIP_1) | instid1(VALU_DEP_2)
	v_dual_cndmask_b32 v17, 0, v17, vcc_lo :: v_dual_lshlrev_b32 v19, 2, v19
	v_cndmask_b32_e32 v16, 3, v16, vcc_lo
	v_and_b32_e32 v19, 0xfc, v19
	s_delay_alu instid0(VALU_DEP_2) | instskip(NEXT) | instid1(VALU_DEP_2)
	v_cmp_eq_u64_e32 vcc_lo, 0, v[16:17]
	v_and_or_b32 v16, v16, 3, v19
	s_and_b32 s14, s14, vcc_lo
	s_delay_alu instid0(VALU_DEP_1) | instid1(SALU_CYCLE_1)
	v_cndmask_b32_e64 v16, v16, 0, s14
	s_delay_alu instid0(VALU_DEP_1)
	v_or_b32_e32 v66, v16, v5
.LBB4_15691:                            ;   in Loop: Header=BB4_15177 Depth=3
	s_or_b32 exec_lo, exec_lo, s77
                                        ; implicit-def: $vgpr5
.LBB4_15692:                            ;   in Loop: Header=BB4_15177 Depth=3
	s_and_not1_saveexec_b32 s14, s76
; %bb.15693:                            ;   in Loop: Header=BB4_15177 Depth=3
	v_or_b32_e32 v66, 0x7b, v5
; %bb.15694:                            ;   in Loop: Header=BB4_15177 Depth=3
	s_or_b32 exec_lo, exec_lo, s14
                                        ; implicit-def: $vgpr18
                                        ; implicit-def: $vgpr16_vgpr17
                                        ; implicit-def: $vgpr5
.LBB4_15695:                            ;   in Loop: Header=BB4_15177 Depth=3
	s_and_not1_saveexec_b32 s14, s75
	s_cbranch_execz .LBB4_15701
; %bb.15696:                            ;   in Loop: Header=BB4_15177 Depth=3
	s_mov_b32 s75, exec_lo
                                        ; implicit-def: $vgpr66
	v_cmpx_ne_u64_e32 0, v[16:17]
	s_xor_b32 s75, exec_lo, s75
; %bb.15697:                            ;   in Loop: Header=BB4_15177 Depth=3
	v_or_b32_e32 v66, 0x7f, v5
                                        ; implicit-def: $vgpr18
; %bb.15698:                            ;   in Loop: Header=BB4_15177 Depth=3
	s_and_not1_saveexec_b32 s75, s75
; %bb.15699:                            ;   in Loop: Header=BB4_15177 Depth=3
	v_cmp_lt_i32_e32 vcc_lo, -1, v18
	v_cndmask_b32_e32 v66, 0xfc, v49, vcc_lo
; %bb.15700:                            ;   in Loop: Header=BB4_15177 Depth=3
	s_or_b32 exec_lo, exec_lo, s75
.LBB4_15701:                            ;   in Loop: Header=BB4_15177 Depth=3
	s_delay_alu instid0(SALU_CYCLE_1) | instskip(SKIP_3) | instid1(VALU_DEP_2)
	s_or_b32 exec_lo, exec_lo, s14
	v_lshrrev_b16 v16, 8, v2
	v_mov_b32_e32 v5, 0
	s_mov_b32 s14, exec_lo
	v_cmpx_ne_u16_e32 0, v16
	s_cbranch_execz .LBB4_15711
; %bb.15702:                            ;   in Loop: Header=BB4_15177 Depth=3
	v_bfrev_b32_e32 v5, 1
	s_mov_b32 s75, exec_lo
	v_cmpx_ne_u16_e32 0x80, v16
	s_cbranch_execz .LBB4_15710
; %bb.15703:                            ;   in Loop: Header=BB4_15177 Depth=3
	v_and_b32_e32 v18, 0xffff, v16
	s_delay_alu instid0(VALU_DEP_1) | instskip(SKIP_1) | instid1(VALU_DEP_2)
	v_and_b32_e32 v5, 0x7c, v18
	v_and_b32_e32 v17, 3, v18
	v_cmp_ne_u32_e32 vcc_lo, 0x7c, v5
                                        ; implicit-def: $vgpr5
	s_and_saveexec_b32 s76, vcc_lo
	s_delay_alu instid0(SALU_CYCLE_1)
	s_xor_b32 s76, exec_lo, s76
	s_cbranch_execz .LBB4_15707
; %bb.15704:                            ;   in Loop: Header=BB4_15177 Depth=3
	v_bfe_u32 v5, v18, 2, 5
	s_mov_b32 s77, exec_lo
	s_delay_alu instid0(VALU_DEP_1)
	v_cmpx_eq_u32_e32 0, v5
	s_cbranch_execz .LBB4_15706
; %bb.15705:                            ;   in Loop: Header=BB4_15177 Depth=3
	v_clz_i32_u32_e32 v5, v17
	s_delay_alu instid0(VALU_DEP_1) | instskip(SKIP_1) | instid1(VALU_DEP_2)
	v_min_u32_e32 v5, 32, v5
	v_mov_b32_e32 v17, v3
	v_subrev_nc_u32_e32 v18, 29, v5
	v_sub_nc_u32_e32 v5, 30, v5
	s_delay_alu instid0(VALU_DEP_2) | instskip(NEXT) | instid1(VALU_DEP_1)
	v_lshlrev_b64_e32 v[16:17], v18, v[16:17]
	v_and_b32_e32 v17, 3, v16
.LBB4_15706:                            ;   in Loop: Header=BB4_15177 Depth=3
	s_or_b32 exec_lo, exec_lo, s77
	v_lshlrev_b32_e32 v2, 16, v2
	s_delay_alu instid0(VALU_DEP_1) | instskip(NEXT) | instid1(VALU_DEP_1)
	v_and_b32_e32 v2, 0x80000000, v2
	v_lshl_add_u32 v2, v5, 23, v2
	s_delay_alu instid0(VALU_DEP_1) | instskip(NEXT) | instid1(VALU_DEP_1)
	v_lshl_or_b32 v2, v17, 21, v2
                                        ; implicit-def: $vgpr17
	v_add_nc_u32_e32 v5, 0x38000000, v2
                                        ; implicit-def: $vgpr2
.LBB4_15707:                            ;   in Loop: Header=BB4_15177 Depth=3
	s_and_not1_saveexec_b32 s76, s76
; %bb.15708:                            ;   in Loop: Header=BB4_15177 Depth=3
	v_cmp_lt_i16_e32 vcc_lo, -1, v2
	v_cndmask_b32_e32 v2, 0xff800000, v48, vcc_lo
	v_cmp_eq_u32_e32 vcc_lo, 0, v17
	s_delay_alu instid0(VALU_DEP_2)
	v_cndmask_b32_e32 v5, 0x7f800001, v2, vcc_lo
; %bb.15709:                            ;   in Loop: Header=BB4_15177 Depth=3
	s_or_b32 exec_lo, exec_lo, s76
.LBB4_15710:                            ;   in Loop: Header=BB4_15177 Depth=3
	s_delay_alu instid0(SALU_CYCLE_1)
	s_or_b32 exec_lo, exec_lo, s75
.LBB4_15711:                            ;   in Loop: Header=BB4_15177 Depth=3
	s_delay_alu instid0(SALU_CYCLE_1) | instskip(SKIP_3) | instid1(VALU_DEP_1)
	s_or_b32 exec_lo, exec_lo, s14
	v_lshrrev_b16 v16, 8, v8
	s_mov_b32 s75, 0
	s_mov_b32 s14, exec_lo
	v_cmpx_lt_i16_e32 0x7f, v16
	s_xor_b32 s14, exec_lo, s14
	s_cbranch_execz .LBB4_16218
; %bb.15712:                            ;   in Loop: Header=BB4_15177 Depth=3
	s_mov_b32 s75, -1
	s_mov_b32 s76, exec_lo
	v_cmpx_eq_u16_e32 0x80, v16
; %bb.15713:                            ;   in Loop: Header=BB4_15177 Depth=3
	s_xor_b32 s75, exec_lo, -1
; %bb.15714:                            ;   in Loop: Header=BB4_15177 Depth=3
	s_or_b32 exec_lo, exec_lo, s76
	s_delay_alu instid0(SALU_CYCLE_1)
	s_and_b32 s75, s75, exec_lo
	s_or_saveexec_b32 s14, s14
	v_bfrev_b32_e32 v2, 1
	s_xor_b32 exec_lo, exec_lo, s14
	s_cbranch_execnz .LBB4_16219
.LBB4_15715:                            ;   in Loop: Header=BB4_15177 Depth=3
	s_or_b32 exec_lo, exec_lo, s14
	s_and_saveexec_b32 s14, s75
	s_cbranch_execz .LBB4_15717
.LBB4_15716:                            ;   in Loop: Header=BB4_15177 Depth=3
	v_and_b32_e32 v2, 0xffff, v16
	s_delay_alu instid0(VALU_DEP_1) | instskip(NEXT) | instid1(VALU_DEP_1)
	v_and_b32_e32 v21, 3, v2
	v_clz_i32_u32_e32 v17, v21
	s_delay_alu instid0(VALU_DEP_1) | instskip(SKIP_1) | instid1(VALU_DEP_2)
	v_min_u32_e32 v86, 32, v17
	v_mov_b32_e32 v17, v3
	v_subrev_nc_u32_e32 v18, 29, v86
	s_delay_alu instid0(VALU_DEP_1) | instskip(SKIP_3) | instid1(VALU_DEP_3)
	v_lshlrev_b64_e32 v[18:19], v18, v[16:17]
	v_bfe_u32 v17, v2, 2, 5
	v_dual_lshlrev_b32 v16, 24, v16 :: v_dual_sub_nc_u32 v19, 30, v86
	v_and_b32_e32 v2, 0x7c, v2
	v_cmp_eq_u32_e32 vcc_lo, 0, v17
	s_delay_alu instid0(VALU_DEP_3) | instskip(NEXT) | instid1(VALU_DEP_4)
	v_and_b32_e32 v16, 0x80000000, v16
	v_dual_cndmask_b32 v17, v17, v19, vcc_lo :: v_dual_bitop2_b32 v18, 3, v18 bitop3:0x40
	s_delay_alu instid0(VALU_DEP_1) | instskip(SKIP_1) | instid1(VALU_DEP_3)
	v_cndmask_b32_e32 v18, v21, v18, vcc_lo
	v_cmp_lt_i16_e32 vcc_lo, -1, v8
	v_lshl_add_u32 v16, v17, 23, v16
	v_cndmask_b32_e32 v17, 0xff800000, v48, vcc_lo
	v_cmp_eq_u32_e32 vcc_lo, 0, v21
	s_delay_alu instid0(VALU_DEP_3) | instskip(NEXT) | instid1(VALU_DEP_3)
	v_lshl_or_b32 v16, v18, 21, v16
	v_cndmask_b32_e32 v17, 0x7f800001, v17, vcc_lo
	s_delay_alu instid0(VALU_DEP_2) | instskip(SKIP_1) | instid1(VALU_DEP_2)
	v_add_nc_u32_e32 v16, 0x38000000, v16
	v_cmp_eq_u32_e32 vcc_lo, 0x7c, v2
	v_cndmask_b32_e32 v2, v16, v17, vcc_lo
.LBB4_15717:                            ;   in Loop: Header=BB4_15177 Depth=3
	s_or_b32 exec_lo, exec_lo, s14
	s_delay_alu instid0(VALU_DEP_1) | instskip(SKIP_2) | instid1(VALU_DEP_2)
	v_dual_add_f32 v5, v5, v2 :: v_dual_mov_b32 v19, v3
	v_mov_b32_e32 v17, v3
                                        ; implicit-def: $vgpr100
	s_mov_b32 s14, exec_lo
	v_and_b32_e32 v18, 0x7f800000, v5
	v_and_b32_e32 v16, 0x7fffff, v5
	v_lshrrev_b32_e32 v2, 24, v5
	s_delay_alu instid0(VALU_DEP_3)
	v_cmpx_ne_u64_e32 0x7f800000, v[18:19]
	s_xor_b32 s75, exec_lo, s14
	s_cbranch_execz .LBB4_15731
; %bb.15718:                            ;   in Loop: Header=BB4_15177 Depth=3
	v_and_b32_e32 v18, 0x7fffffff, v5
	v_mov_b32_e32 v19, v3
	v_and_b32_e32 v2, 0x80, v2
                                        ; implicit-def: $vgpr100
	s_mov_b32 s14, exec_lo
	s_delay_alu instid0(VALU_DEP_2)
	v_cmpx_gt_u64_e32 0x47600001, v[18:19]
	s_xor_b32 s76, exec_lo, s14
	s_cbranch_execz .LBB4_15728
; %bb.15719:                            ;   in Loop: Header=BB4_15177 Depth=3
	v_mov_b32_e32 v100, 0
	s_mov_b32 s77, exec_lo
	v_cmpx_ne_u32_e32 0, v5
	s_cbranch_execz .LBB4_15727
; %bb.15720:                            ;   in Loop: Header=BB4_15177 Depth=3
	v_bfe_u32 v5, v5, 23, 8
	v_or_b32_e32 v86, 0x800000, v16
	s_delay_alu instid0(VALU_DEP_2) | instskip(SKIP_1) | instid1(VALU_DEP_2)
	v_sub_nc_u32_e32 v18, 0x71, v5
	v_cmp_gt_u32_e32 vcc_lo, 0x72, v5
	v_cndmask_b32_e32 v18, 0, v18, vcc_lo
	v_cmp_eq_u32_e32 vcc_lo, 0, v5
	s_delay_alu instid0(VALU_DEP_2) | instskip(NEXT) | instid1(VALU_DEP_1)
	v_cndmask_b32_e64 v21, v18, 0x70, vcc_lo
	v_dual_cndmask_b32 v16, v86, v16, vcc_lo :: v_dual_add_nc_u32 v18, 21, v21
	v_add_nc_u32_e32 v87, 20, v21
	s_delay_alu instid0(VALU_DEP_2) | instskip(NEXT) | instid1(VALU_DEP_2)
	v_lshlrev_b64_e64 v[18:19], v18, -1
	v_lshlrev_b64_e64 v[86:87], v87, 1
	s_delay_alu instid0(VALU_DEP_2) | instskip(SKIP_1) | instid1(VALU_DEP_4)
	v_bfi_b32 v18, v18, 0, v16
	v_lshrrev_b64 v[16:17], v21, v[16:17]
	v_bfi_b32 v19, v19, 0, 0
	s_delay_alu instid0(VALU_DEP_1) | instskip(NEXT) | instid1(VALU_DEP_3)
	v_cmp_eq_u64_e64 s14, v[18:19], v[86:87]
	v_mov_b64_e32 v[18:19], v[16:17]
	s_and_saveexec_b32 s78, s14
; %bb.15721:                            ;   in Loop: Header=BB4_15177 Depth=3
	v_bfe_u32 v18, v16, 21, 1
	v_mov_b32_e32 v19, v3
	s_delay_alu instid0(VALU_DEP_1) | instskip(NEXT) | instid1(VALU_DEP_1)
	v_add_nc_u64_e32 v[18:19], v[16:17], v[18:19]
	v_add_nc_u64_e32 v[18:19], -1, v[18:19]
; %bb.15722:                            ;   in Loop: Header=BB4_15177 Depth=3
	s_or_b32 exec_lo, exec_lo, s78
	v_add_nc_u32_e32 v5, 0xffffff81, v5
	v_lshrrev_b32_e32 v17, 23, v16
	s_mov_b32 s14, exec_lo
	s_delay_alu instid0(VALU_DEP_2) | instskip(NEXT) | instid1(VALU_DEP_1)
	v_cndmask_b32_e64 v5, v5, 0xffffff82, vcc_lo
	v_add3_u32 v19, v21, v5, v17
	v_and_b32_e32 v5, 0x1fffff, v18
	s_delay_alu instid0(VALU_DEP_2) | instskip(NEXT) | instid1(VALU_DEP_2)
	v_dual_mov_b32 v17, v3 :: v_dual_add_nc_u32 v18, 14, v19
	v_add_nc_u32_e32 v16, v5, v16
                                        ; implicit-def: $vgpr5
	s_delay_alu instid0(VALU_DEP_2)
	v_cmpx_ne_u32_e32 0, v18
	s_xor_b32 s14, exec_lo, s14
; %bb.15723:                            ;   in Loop: Header=BB4_15177 Depth=3
	s_delay_alu instid0(VALU_DEP_2) | instskip(SKIP_1) | instid1(VALU_DEP_1)
	v_cmp_lt_u64_e32 vcc_lo, 0xffffff, v[16:17]
	v_add_nc_u32_e32 v5, 15, v19
	v_cndmask_b32_e32 v5, v18, v5, vcc_lo
	v_cndmask_b32_e64 v18, 0, 1, vcc_lo
	s_delay_alu instid0(VALU_DEP_1)
	v_lshrrev_b64 v[16:17], v18, v[16:17]
; %bb.15724:                            ;   in Loop: Header=BB4_15177 Depth=3
	s_and_not1_saveexec_b32 s14, s14
; %bb.15725:                            ;   in Loop: Header=BB4_15177 Depth=3
	s_delay_alu instid0(VALU_DEP_1)
	v_bfe_u32 v5, v16, 23, 1
; %bb.15726:                            ;   in Loop: Header=BB4_15177 Depth=3
	s_or_b32 exec_lo, exec_lo, s14
	s_delay_alu instid0(VALU_DEP_2) | instskip(NEXT) | instid1(VALU_DEP_2)
	v_lshrrev_b64 v[16:17], 21, v[16:17]
	v_cmp_gt_i32_e32 vcc_lo, 32, v5
	v_min_i32_e32 v18, 31, v5
	v_cmp_eq_u32_e64 s14, 0, v5
	s_delay_alu instid0(VALU_DEP_2) | instskip(SKIP_1) | instid1(VALU_DEP_2)
	v_dual_cndmask_b32 v16, 3, v16, vcc_lo :: v_dual_lshlrev_b32 v18, 2, v18
	v_cndmask_b32_e32 v17, 0, v17, vcc_lo
	v_and_b32_e32 v18, 0xfc, v18
	s_delay_alu instid0(VALU_DEP_2) | instskip(NEXT) | instid1(VALU_DEP_2)
	v_cmp_eq_u64_e32 vcc_lo, 0, v[16:17]
	v_and_or_b32 v5, v16, 3, v18
	s_and_b32 s14, s14, vcc_lo
	s_delay_alu instid0(VALU_DEP_1) | instid1(SALU_CYCLE_1)
	v_cndmask_b32_e64 v5, v5, 0, s14
	s_delay_alu instid0(VALU_DEP_1)
	v_or_b32_e32 v100, v5, v2
.LBB4_15727:                            ;   in Loop: Header=BB4_15177 Depth=3
	s_or_b32 exec_lo, exec_lo, s77
                                        ; implicit-def: $vgpr2
.LBB4_15728:                            ;   in Loop: Header=BB4_15177 Depth=3
	s_and_not1_saveexec_b32 s14, s76
; %bb.15729:                            ;   in Loop: Header=BB4_15177 Depth=3
	v_or_b32_e32 v100, 0x7b, v2
; %bb.15730:                            ;   in Loop: Header=BB4_15177 Depth=3
	s_or_b32 exec_lo, exec_lo, s14
                                        ; implicit-def: $vgpr5
                                        ; implicit-def: $vgpr16_vgpr17
                                        ; implicit-def: $vgpr2
.LBB4_15731:                            ;   in Loop: Header=BB4_15177 Depth=3
	s_and_not1_saveexec_b32 s14, s75
	s_cbranch_execz .LBB4_15737
; %bb.15732:                            ;   in Loop: Header=BB4_15177 Depth=3
	s_mov_b32 s75, exec_lo
                                        ; implicit-def: $vgpr100
	v_cmpx_ne_u64_e32 0, v[16:17]
	s_xor_b32 s75, exec_lo, s75
; %bb.15733:                            ;   in Loop: Header=BB4_15177 Depth=3
	v_or_b32_e32 v100, 0x7f, v2
                                        ; implicit-def: $vgpr5
; %bb.15734:                            ;   in Loop: Header=BB4_15177 Depth=3
	s_and_not1_saveexec_b32 s75, s75
; %bb.15735:                            ;   in Loop: Header=BB4_15177 Depth=3
	v_cmp_lt_i32_e32 vcc_lo, -1, v5
	v_cndmask_b32_e32 v100, 0xfc, v49, vcc_lo
; %bb.15736:                            ;   in Loop: Header=BB4_15177 Depth=3
	s_or_b32 exec_lo, exec_lo, s75
.LBB4_15737:                            ;   in Loop: Header=BB4_15177 Depth=3
	s_delay_alu instid0(SALU_CYCLE_1) | instskip(SKIP_2) | instid1(VALU_DEP_1)
	s_or_b32 exec_lo, exec_lo, s14
	v_dual_mov_b32 v5, 0 :: v_dual_lshrrev_b32 v2, 16, v4
	s_mov_b32 s14, exec_lo
	v_and_b32_e32 v16, 0xff, v2
	s_delay_alu instid0(VALU_DEP_1)
	v_cmpx_ne_u16_e32 0, v16
	s_cbranch_execz .LBB4_15747
; %bb.15738:                            ;   in Loop: Header=BB4_15177 Depth=3
	v_bfrev_b32_e32 v5, 1
	s_mov_b32 s75, exec_lo
	v_cmpx_ne_u16_e32 0x80, v16
	s_cbranch_execz .LBB4_15746
; %bb.15739:                            ;   in Loop: Header=BB4_15177 Depth=3
	v_and_b32_e32 v5, 0x7c0000, v4
	v_bfe_u32 v16, v4, 16, 2
	s_delay_alu instid0(VALU_DEP_2) | instskip(SKIP_1) | instid1(SALU_CYCLE_1)
	v_cmp_ne_u32_e32 vcc_lo, 0x7c0000, v5
                                        ; implicit-def: $vgpr5
	s_and_saveexec_b32 s76, vcc_lo
	s_xor_b32 s76, exec_lo, s76
	s_cbranch_execz .LBB4_15743
; %bb.15740:                            ;   in Loop: Header=BB4_15177 Depth=3
	v_bfe_u32 v5, v4, 18, 5
	v_lshrrev_b32_e32 v2, 16, v4
	s_mov_b32 s77, exec_lo
	s_delay_alu instid0(VALU_DEP_2)
	v_cmpx_eq_u32_e32 0, v5
; %bb.15741:                            ;   in Loop: Header=BB4_15177 Depth=3
	v_clz_i32_u32_e32 v5, v16
	s_delay_alu instid0(VALU_DEP_1) | instskip(NEXT) | instid1(VALU_DEP_1)
	v_min_u32_e32 v5, 32, v5
	v_subrev_nc_u32_e32 v16, 29, v5
	s_delay_alu instid0(VALU_DEP_1) | instskip(NEXT) | instid1(VALU_DEP_1)
	v_lshlrev_b64_e32 v[16:17], v16, v[2:3]
	v_dual_sub_nc_u32 v5, 30, v5 :: v_dual_bitop2_b32 v16, 3, v16 bitop3:0x40
; %bb.15742:                            ;   in Loop: Header=BB4_15177 Depth=3
	s_or_b32 exec_lo, exec_lo, s77
	v_lshlrev_b32_e32 v2, 24, v2
	s_delay_alu instid0(VALU_DEP_1) | instskip(NEXT) | instid1(VALU_DEP_1)
	v_and_b32_e32 v2, 0x80000000, v2
	v_lshl_add_u32 v2, v5, 23, v2
	s_delay_alu instid0(VALU_DEP_1) | instskip(NEXT) | instid1(VALU_DEP_1)
	v_lshl_or_b32 v2, v16, 21, v2
                                        ; implicit-def: $vgpr16
	v_add_nc_u32_e32 v5, 0x38000000, v2
                                        ; implicit-def: $vgpr2
.LBB4_15743:                            ;   in Loop: Header=BB4_15177 Depth=3
	s_and_not1_saveexec_b32 s76, s76
; %bb.15744:                            ;   in Loop: Header=BB4_15177 Depth=3
	v_bfe_i32 v2, v2, 0, 8
	s_delay_alu instid0(VALU_DEP_1) | instskip(SKIP_2) | instid1(VALU_DEP_2)
	v_cmp_lt_i16_e32 vcc_lo, -1, v2
	v_cndmask_b32_e32 v2, 0xff800000, v48, vcc_lo
	v_cmp_eq_u32_e32 vcc_lo, 0, v16
	v_cndmask_b32_e32 v5, 0x7f800001, v2, vcc_lo
; %bb.15745:                            ;   in Loop: Header=BB4_15177 Depth=3
	s_or_b32 exec_lo, exec_lo, s76
.LBB4_15746:                            ;   in Loop: Header=BB4_15177 Depth=3
	s_delay_alu instid0(SALU_CYCLE_1)
	s_or_b32 exec_lo, exec_lo, s75
.LBB4_15747:                            ;   in Loop: Header=BB4_15177 Depth=3
	s_delay_alu instid0(SALU_CYCLE_1) | instskip(SKIP_3) | instid1(VALU_DEP_1)
	s_or_b32 exec_lo, exec_lo, s14
	v_lshrrev_b32_e32 v2, 16, v8
	s_mov_b32 s75, 0
	s_mov_b32 s14, exec_lo
	v_and_b32_e32 v17, 0xff, v2
	s_delay_alu instid0(VALU_DEP_1)
	v_cmpx_lt_i16_e32 0x7f, v17
	s_xor_b32 s14, exec_lo, s14
	s_cbranch_execz .LBB4_16220
; %bb.15748:                            ;   in Loop: Header=BB4_15177 Depth=3
	s_mov_b32 s75, -1
	s_mov_b32 s76, exec_lo
	v_cmpx_eq_u16_e32 0x80, v17
; %bb.15749:                            ;   in Loop: Header=BB4_15177 Depth=3
	s_xor_b32 s75, exec_lo, -1
; %bb.15750:                            ;   in Loop: Header=BB4_15177 Depth=3
	s_or_b32 exec_lo, exec_lo, s76
	s_delay_alu instid0(SALU_CYCLE_1)
	s_and_b32 s75, s75, exec_lo
                                        ; implicit-def: $vgpr17
	s_or_saveexec_b32 s14, s14
	v_bfrev_b32_e32 v16, 1
	s_xor_b32 exec_lo, exec_lo, s14
	s_cbranch_execnz .LBB4_16221
.LBB4_15751:                            ;   in Loop: Header=BB4_15177 Depth=3
	s_or_b32 exec_lo, exec_lo, s14
	s_and_saveexec_b32 s14, s75
	s_cbranch_execz .LBB4_15753
.LBB4_15752:                            ;   in Loop: Header=BB4_15177 Depth=3
	v_and_b32_e32 v18, 3, v2
	v_bfe_u32 v21, v8, 18, 5
	s_delay_alu instid0(VALU_DEP_2) | instskip(NEXT) | instid1(VALU_DEP_2)
	v_clz_i32_u32_e32 v16, v18
	v_cmp_eq_u32_e32 vcc_lo, 0, v21
	s_delay_alu instid0(VALU_DEP_2) | instskip(NEXT) | instid1(VALU_DEP_1)
	v_min_u32_e32 v19, 32, v16
	v_subrev_nc_u32_e32 v16, 29, v19
	s_delay_alu instid0(VALU_DEP_1) | instskip(SKIP_2) | instid1(VALU_DEP_2)
	v_lshlrev_b64_e32 v[16:17], v16, v[2:3]
	v_dual_lshlrev_b32 v17, 24, v2 :: v_dual_sub_nc_u32 v19, 30, v19
	v_bfe_i32 v2, v2, 0, 8
	v_and_b32_e32 v17, 0x80000000, v17
	s_delay_alu instid0(VALU_DEP_3) | instskip(NEXT) | instid1(VALU_DEP_1)
	v_dual_cndmask_b32 v19, v21, v19, vcc_lo :: v_dual_bitop2_b32 v16, 3, v16 bitop3:0x40
	v_cndmask_b32_e32 v16, v18, v16, vcc_lo
	s_delay_alu instid0(VALU_DEP_2) | instskip(SKIP_1) | instid1(VALU_DEP_2)
	v_lshl_add_u32 v17, v19, 23, v17
	v_cmp_lt_i16_e32 vcc_lo, -1, v2
	v_lshl_or_b32 v16, v16, 21, v17
	v_cndmask_b32_e32 v2, 0xff800000, v48, vcc_lo
	v_and_b32_e32 v17, 0x7c0000, v8
	v_cmp_eq_u32_e32 vcc_lo, 0, v18
	s_delay_alu instid0(VALU_DEP_4) | instskip(NEXT) | instid1(VALU_DEP_4)
	v_add_nc_u32_e32 v16, 0x38000000, v16
	v_cndmask_b32_e32 v2, 0x7f800001, v2, vcc_lo
	s_delay_alu instid0(VALU_DEP_4) | instskip(NEXT) | instid1(VALU_DEP_2)
	v_cmp_eq_u32_e32 vcc_lo, 0x7c0000, v17
	v_cndmask_b32_e32 v16, v16, v2, vcc_lo
.LBB4_15753:                            ;   in Loop: Header=BB4_15177 Depth=3
	s_or_b32 exec_lo, exec_lo, s14
	s_delay_alu instid0(VALU_DEP_1) | instskip(SKIP_2) | instid1(VALU_DEP_2)
	v_dual_add_f32 v5, v5, v16 :: v_dual_mov_b32 v19, v3
	v_mov_b32_e32 v17, v3
                                        ; implicit-def: $vgpr113
	s_mov_b32 s14, exec_lo
	v_and_b32_e32 v18, 0x7f800000, v5
	v_and_b32_e32 v16, 0x7fffff, v5
	v_lshrrev_b32_e32 v2, 24, v5
	s_delay_alu instid0(VALU_DEP_3)
	v_cmpx_ne_u64_e32 0x7f800000, v[18:19]
	s_xor_b32 s75, exec_lo, s14
	s_cbranch_execz .LBB4_15767
; %bb.15754:                            ;   in Loop: Header=BB4_15177 Depth=3
	v_and_b32_e32 v18, 0x7fffffff, v5
	v_mov_b32_e32 v19, v3
	v_and_b32_e32 v2, 0x80, v2
                                        ; implicit-def: $vgpr113
	s_mov_b32 s14, exec_lo
	s_delay_alu instid0(VALU_DEP_2)
	v_cmpx_gt_u64_e32 0x47600001, v[18:19]
	s_xor_b32 s76, exec_lo, s14
	s_cbranch_execz .LBB4_15764
; %bb.15755:                            ;   in Loop: Header=BB4_15177 Depth=3
	v_mov_b32_e32 v113, 0
	s_mov_b32 s77, exec_lo
	v_cmpx_ne_u32_e32 0, v5
	s_cbranch_execz .LBB4_15763
; %bb.15756:                            ;   in Loop: Header=BB4_15177 Depth=3
	v_bfe_u32 v5, v5, 23, 8
	v_or_b32_e32 v86, 0x800000, v16
	s_delay_alu instid0(VALU_DEP_2) | instskip(SKIP_1) | instid1(VALU_DEP_2)
	v_sub_nc_u32_e32 v18, 0x71, v5
	v_cmp_gt_u32_e32 vcc_lo, 0x72, v5
	v_cndmask_b32_e32 v18, 0, v18, vcc_lo
	v_cmp_eq_u32_e32 vcc_lo, 0, v5
	s_delay_alu instid0(VALU_DEP_2) | instskip(NEXT) | instid1(VALU_DEP_1)
	v_cndmask_b32_e64 v21, v18, 0x70, vcc_lo
	v_dual_cndmask_b32 v16, v86, v16, vcc_lo :: v_dual_add_nc_u32 v18, 21, v21
	v_add_nc_u32_e32 v87, 20, v21
	s_delay_alu instid0(VALU_DEP_2) | instskip(NEXT) | instid1(VALU_DEP_2)
	v_lshlrev_b64_e64 v[18:19], v18, -1
	v_lshlrev_b64_e64 v[86:87], v87, 1
	s_delay_alu instid0(VALU_DEP_2) | instskip(SKIP_1) | instid1(VALU_DEP_4)
	v_bfi_b32 v18, v18, 0, v16
	v_lshrrev_b64 v[16:17], v21, v[16:17]
	v_bfi_b32 v19, v19, 0, 0
	s_delay_alu instid0(VALU_DEP_1) | instskip(NEXT) | instid1(VALU_DEP_3)
	v_cmp_eq_u64_e64 s14, v[18:19], v[86:87]
	v_mov_b64_e32 v[18:19], v[16:17]
	s_and_saveexec_b32 s78, s14
; %bb.15757:                            ;   in Loop: Header=BB4_15177 Depth=3
	v_bfe_u32 v18, v16, 21, 1
	v_mov_b32_e32 v19, v3
	s_delay_alu instid0(VALU_DEP_1) | instskip(NEXT) | instid1(VALU_DEP_1)
	v_add_nc_u64_e32 v[18:19], v[16:17], v[18:19]
	v_add_nc_u64_e32 v[18:19], -1, v[18:19]
; %bb.15758:                            ;   in Loop: Header=BB4_15177 Depth=3
	s_or_b32 exec_lo, exec_lo, s78
	v_add_nc_u32_e32 v5, 0xffffff81, v5
	v_lshrrev_b32_e32 v17, 23, v16
	s_mov_b32 s14, exec_lo
	s_delay_alu instid0(VALU_DEP_2) | instskip(NEXT) | instid1(VALU_DEP_1)
	v_cndmask_b32_e64 v5, v5, 0xffffff82, vcc_lo
	v_add3_u32 v19, v21, v5, v17
	v_and_b32_e32 v5, 0x1fffff, v18
	s_delay_alu instid0(VALU_DEP_2) | instskip(NEXT) | instid1(VALU_DEP_2)
	v_dual_mov_b32 v17, v3 :: v_dual_add_nc_u32 v18, 14, v19
	v_add_nc_u32_e32 v16, v5, v16
                                        ; implicit-def: $vgpr5
	s_delay_alu instid0(VALU_DEP_2)
	v_cmpx_ne_u32_e32 0, v18
	s_xor_b32 s14, exec_lo, s14
; %bb.15759:                            ;   in Loop: Header=BB4_15177 Depth=3
	s_delay_alu instid0(VALU_DEP_2) | instskip(SKIP_1) | instid1(VALU_DEP_1)
	v_cmp_lt_u64_e32 vcc_lo, 0xffffff, v[16:17]
	v_add_nc_u32_e32 v5, 15, v19
	v_cndmask_b32_e32 v5, v18, v5, vcc_lo
	v_cndmask_b32_e64 v18, 0, 1, vcc_lo
	s_delay_alu instid0(VALU_DEP_1)
	v_lshrrev_b64 v[16:17], v18, v[16:17]
; %bb.15760:                            ;   in Loop: Header=BB4_15177 Depth=3
	s_and_not1_saveexec_b32 s14, s14
; %bb.15761:                            ;   in Loop: Header=BB4_15177 Depth=3
	s_delay_alu instid0(VALU_DEP_1)
	v_bfe_u32 v5, v16, 23, 1
; %bb.15762:                            ;   in Loop: Header=BB4_15177 Depth=3
	s_or_b32 exec_lo, exec_lo, s14
	s_delay_alu instid0(VALU_DEP_2) | instskip(NEXT) | instid1(VALU_DEP_2)
	v_lshrrev_b64 v[16:17], 21, v[16:17]
	v_cmp_gt_i32_e32 vcc_lo, 32, v5
	v_min_i32_e32 v18, 31, v5
	v_cmp_eq_u32_e64 s14, 0, v5
	s_delay_alu instid0(VALU_DEP_2) | instskip(SKIP_1) | instid1(VALU_DEP_2)
	v_dual_cndmask_b32 v16, 3, v16, vcc_lo :: v_dual_lshlrev_b32 v18, 2, v18
	v_cndmask_b32_e32 v17, 0, v17, vcc_lo
	v_and_b32_e32 v18, 0xfc, v18
	s_delay_alu instid0(VALU_DEP_2) | instskip(NEXT) | instid1(VALU_DEP_2)
	v_cmp_eq_u64_e32 vcc_lo, 0, v[16:17]
	v_and_or_b32 v5, v16, 3, v18
	s_and_b32 s14, s14, vcc_lo
	s_delay_alu instid0(VALU_DEP_1) | instid1(SALU_CYCLE_1)
	v_cndmask_b32_e64 v5, v5, 0, s14
	s_delay_alu instid0(VALU_DEP_1)
	v_or_b32_e32 v113, v5, v2
.LBB4_15763:                            ;   in Loop: Header=BB4_15177 Depth=3
	s_or_b32 exec_lo, exec_lo, s77
                                        ; implicit-def: $vgpr2
.LBB4_15764:                            ;   in Loop: Header=BB4_15177 Depth=3
	s_and_not1_saveexec_b32 s14, s76
; %bb.15765:                            ;   in Loop: Header=BB4_15177 Depth=3
	v_or_b32_e32 v113, 0x7b, v2
; %bb.15766:                            ;   in Loop: Header=BB4_15177 Depth=3
	s_or_b32 exec_lo, exec_lo, s14
                                        ; implicit-def: $vgpr5
                                        ; implicit-def: $vgpr16_vgpr17
                                        ; implicit-def: $vgpr2
.LBB4_15767:                            ;   in Loop: Header=BB4_15177 Depth=3
	s_and_not1_saveexec_b32 s14, s75
	s_cbranch_execz .LBB4_15773
; %bb.15768:                            ;   in Loop: Header=BB4_15177 Depth=3
	s_mov_b32 s75, exec_lo
                                        ; implicit-def: $vgpr113
	v_cmpx_ne_u64_e32 0, v[16:17]
	s_xor_b32 s75, exec_lo, s75
; %bb.15769:                            ;   in Loop: Header=BB4_15177 Depth=3
	v_or_b32_e32 v113, 0x7f, v2
                                        ; implicit-def: $vgpr5
; %bb.15770:                            ;   in Loop: Header=BB4_15177 Depth=3
	s_and_not1_saveexec_b32 s75, s75
; %bb.15771:                            ;   in Loop: Header=BB4_15177 Depth=3
	v_cmp_lt_i32_e32 vcc_lo, -1, v5
	v_cndmask_b32_e32 v113, 0xfc, v49, vcc_lo
; %bb.15772:                            ;   in Loop: Header=BB4_15177 Depth=3
	s_or_b32 exec_lo, exec_lo, s75
.LBB4_15773:                            ;   in Loop: Header=BB4_15177 Depth=3
	s_delay_alu instid0(SALU_CYCLE_1)
	s_or_b32 exec_lo, exec_lo, s14
	v_mov_b32_e32 v16, 0
	s_mov_b32 s14, exec_lo
	v_cmpx_lt_u32_e32 0xffffff, v4
	s_cbranch_execz .LBB4_15783
; %bb.15774:                            ;   in Loop: Header=BB4_15177 Depth=3
	v_lshrrev_b32_e32 v2, 24, v4
	v_bfrev_b32_e32 v16, 1
	s_mov_b32 s75, exec_lo
	s_delay_alu instid0(VALU_DEP_2)
	v_cmpx_ne_u32_e32 0x80, v2
	s_cbranch_execz .LBB4_15782
; %bb.15775:                            ;   in Loop: Header=BB4_15177 Depth=3
	v_and_b32_e32 v5, 0x7c000000, v4
	v_bfe_u32 v17, v4, 24, 2
	s_mov_b32 s76, exec_lo
                                        ; implicit-def: $vgpr16
	s_delay_alu instid0(VALU_DEP_2)
	v_cmpx_ne_u32_e32 0x7c000000, v5
	s_xor_b32 s76, exec_lo, s76
	s_cbranch_execz .LBB4_15779
; %bb.15776:                            ;   in Loop: Header=BB4_15177 Depth=3
	v_bfe_u32 v5, v4, 26, 5
	s_mov_b32 s77, exec_lo
	s_delay_alu instid0(VALU_DEP_1)
	v_cmpx_eq_u32_e32 0, v5
; %bb.15777:                            ;   in Loop: Header=BB4_15177 Depth=3
	v_clz_i32_u32_e32 v5, v17
	s_delay_alu instid0(VALU_DEP_1) | instskip(NEXT) | instid1(VALU_DEP_1)
	v_min_u32_e32 v5, 32, v5
	v_subrev_nc_u32_e32 v16, 29, v5
	s_delay_alu instid0(VALU_DEP_1) | instskip(NEXT) | instid1(VALU_DEP_1)
	v_lshlrev_b64_e32 v[16:17], v16, v[2:3]
	v_dual_sub_nc_u32 v5, 30, v5 :: v_dual_bitop2_b32 v17, 3, v16 bitop3:0x40
; %bb.15778:                            ;   in Loop: Header=BB4_15177 Depth=3
	s_or_b32 exec_lo, exec_lo, s77
	v_and_b32_e32 v2, 0x80000000, v4
	s_delay_alu instid0(VALU_DEP_1) | instskip(NEXT) | instid1(VALU_DEP_1)
	v_lshl_add_u32 v2, v5, 23, v2
                                        ; implicit-def: $vgpr4_vgpr5
	v_lshl_or_b32 v2, v17, 21, v2
                                        ; implicit-def: $vgpr17
	s_delay_alu instid0(VALU_DEP_1)
	v_add_nc_u32_e32 v16, 0x38000000, v2
.LBB4_15779:                            ;   in Loop: Header=BB4_15177 Depth=3
	s_and_not1_saveexec_b32 s76, s76
; %bb.15780:                            ;   in Loop: Header=BB4_15177 Depth=3
	v_cmp_lt_i32_e32 vcc_lo, -1, v4
	v_cndmask_b32_e32 v2, 0xff800000, v48, vcc_lo
	v_cmp_eq_u32_e32 vcc_lo, 0, v17
	s_delay_alu instid0(VALU_DEP_2)
	v_cndmask_b32_e32 v16, 0x7f800001, v2, vcc_lo
; %bb.15781:                            ;   in Loop: Header=BB4_15177 Depth=3
	s_or_b32 exec_lo, exec_lo, s76
.LBB4_15782:                            ;   in Loop: Header=BB4_15177 Depth=3
	s_delay_alu instid0(SALU_CYCLE_1)
	s_or_b32 exec_lo, exec_lo, s75
.LBB4_15783:                            ;   in Loop: Header=BB4_15177 Depth=3
	s_delay_alu instid0(SALU_CYCLE_1) | instskip(SKIP_3) | instid1(VALU_DEP_2)
	s_or_b32 exec_lo, exec_lo, s14
	v_bfe_u32 v17, v8, 24, 2
	v_bfe_u32 v19, v8, 26, 5
                                        ; implicit-def: $vgpr117
	s_mov_b32 s14, exec_lo
	v_clz_i32_u32_e32 v2, v17
	s_delay_alu instid0(VALU_DEP_2) | instskip(NEXT) | instid1(VALU_DEP_2)
	v_cmp_eq_u32_e32 vcc_lo, 0, v19
	v_min_u32_e32 v18, 32, v2
	v_lshrrev_b32_e32 v2, 24, v8
	s_delay_alu instid0(VALU_DEP_2) | instskip(NEXT) | instid1(VALU_DEP_1)
	v_subrev_nc_u32_e32 v4, 29, v18
	v_lshlrev_b64_e32 v[4:5], v4, v[2:3]
	v_sub_nc_u32_e32 v5, 30, v18
	v_and_b32_e32 v18, 0x80000000, v8
	s_delay_alu instid0(VALU_DEP_2) | instskip(SKIP_1) | instid1(VALU_DEP_2)
	v_dual_cndmask_b32 v5, v19, v5, vcc_lo :: v_dual_bitop2_b32 v4, 3, v4 bitop3:0x40
	v_mov_b32_e32 v19, v3
	v_lshl_add_u32 v5, v5, 23, v18
	s_delay_alu instid0(VALU_DEP_3) | instskip(SKIP_1) | instid1(VALU_DEP_2)
	v_cndmask_b32_e32 v4, v17, v4, vcc_lo
	v_cmp_lt_i32_e32 vcc_lo, -1, v8
	v_lshl_or_b32 v4, v4, 21, v5
	v_cndmask_b32_e32 v18, 0xff800000, v48, vcc_lo
	v_and_b32_e32 v5, 0x7c000000, v8
	v_cmp_eq_u32_e32 vcc_lo, 0, v17
	s_delay_alu instid0(VALU_DEP_4) | instskip(NEXT) | instid1(VALU_DEP_4)
	v_add_nc_u32_e32 v4, 0x38000000, v4
	v_cndmask_b32_e32 v17, 0x7f800001, v18, vcc_lo
	s_delay_alu instid0(VALU_DEP_4) | instskip(NEXT) | instid1(VALU_DEP_2)
	v_cmp_eq_u32_e32 vcc_lo, 0x7c000000, v5
	v_dual_mov_b32 v5, v3 :: v_dual_cndmask_b32 v4, v4, v17
	v_cmp_ne_u32_e32 vcc_lo, 0x80, v2
	s_delay_alu instid0(VALU_DEP_2) | instskip(SKIP_1) | instid1(VALU_DEP_2)
	v_cndmask_b32_e32 v2, 0x80000000, v4, vcc_lo
	v_cmp_lt_u32_e32 vcc_lo, 0xffffff, v8
	v_cndmask_b32_e32 v2, 0, v2, vcc_lo
	s_delay_alu instid0(VALU_DEP_1) | instskip(NEXT) | instid1(VALU_DEP_1)
	v_add_f32_e32 v16, v2, v16
	v_and_b32_e32 v18, 0x7f800000, v16
	v_and_b32_e32 v4, 0x7fffff, v16
	v_lshrrev_b32_e32 v2, 24, v16
	s_delay_alu instid0(VALU_DEP_3)
	v_cmpx_ne_u64_e32 0x7f800000, v[18:19]
	s_xor_b32 s75, exec_lo, s14
	s_cbranch_execz .LBB4_15797
; %bb.15784:                            ;   in Loop: Header=BB4_15177 Depth=3
	v_and_b32_e32 v18, 0x7fffffff, v16
	v_mov_b32_e32 v19, v3
	v_and_b32_e32 v2, 0x80, v2
                                        ; implicit-def: $vgpr117
	s_mov_b32 s14, exec_lo
	s_delay_alu instid0(VALU_DEP_2)
	v_cmpx_gt_u64_e32 0x47600001, v[18:19]
	s_xor_b32 s76, exec_lo, s14
	s_cbranch_execz .LBB4_15794
; %bb.15785:                            ;   in Loop: Header=BB4_15177 Depth=3
	v_mov_b32_e32 v117, 0
	s_mov_b32 s77, exec_lo
	v_cmpx_ne_u32_e32 0, v16
	s_cbranch_execz .LBB4_15793
; %bb.15786:                            ;   in Loop: Header=BB4_15177 Depth=3
	v_bfe_u32 v18, v16, 23, 8
	v_or_b32_e32 v21, 0x800000, v4
	s_delay_alu instid0(VALU_DEP_2) | instskip(SKIP_1) | instid1(VALU_DEP_2)
	v_sub_nc_u32_e32 v16, 0x71, v18
	v_cmp_gt_u32_e32 vcc_lo, 0x72, v18
	v_cndmask_b32_e32 v16, 0, v16, vcc_lo
	v_cmp_eq_u32_e32 vcc_lo, 0, v18
	s_delay_alu instid0(VALU_DEP_2) | instskip(NEXT) | instid1(VALU_DEP_1)
	v_cndmask_b32_e64 v19, v16, 0x70, vcc_lo
	v_dual_cndmask_b32 v4, v21, v4, vcc_lo :: v_dual_add_nc_u32 v16, 21, v19
	v_add_nc_u32_e32 v86, 20, v19
	s_delay_alu instid0(VALU_DEP_2) | instskip(NEXT) | instid1(VALU_DEP_2)
	v_lshlrev_b64_e64 v[16:17], v16, -1
	v_lshlrev_b64_e64 v[86:87], v86, 1
	s_delay_alu instid0(VALU_DEP_2) | instskip(SKIP_1) | instid1(VALU_DEP_4)
	v_bfi_b32 v16, v16, 0, v4
	v_lshrrev_b64 v[4:5], v19, v[4:5]
	v_bfi_b32 v17, v17, 0, 0
	s_delay_alu instid0(VALU_DEP_1) | instskip(NEXT) | instid1(VALU_DEP_3)
	v_cmp_eq_u64_e64 s14, v[16:17], v[86:87]
	v_mov_b64_e32 v[16:17], v[4:5]
	s_and_saveexec_b32 s78, s14
; %bb.15787:                            ;   in Loop: Header=BB4_15177 Depth=3
	v_bfe_u32 v16, v4, 21, 1
	v_mov_b32_e32 v17, v3
	s_delay_alu instid0(VALU_DEP_1) | instskip(NEXT) | instid1(VALU_DEP_1)
	v_add_nc_u64_e32 v[16:17], v[4:5], v[16:17]
	v_add_nc_u64_e32 v[16:17], -1, v[16:17]
; %bb.15788:                            ;   in Loop: Header=BB4_15177 Depth=3
	s_or_b32 exec_lo, exec_lo, s78
	v_add_nc_u32_e32 v5, 0xffffff81, v18
	v_lshrrev_b32_e32 v17, 23, v4
	s_mov_b32 s14, exec_lo
	s_delay_alu instid0(VALU_DEP_2) | instskip(NEXT) | instid1(VALU_DEP_1)
	v_cndmask_b32_e64 v5, v5, 0xffffff82, vcc_lo
	v_add3_u32 v17, v19, v5, v17
	v_and_b32_e32 v5, 0x1fffff, v16
                                        ; implicit-def: $vgpr16
	s_delay_alu instid0(VALU_DEP_1) | instskip(SKIP_1) | instid1(VALU_DEP_2)
	v_dual_add_nc_u32 v18, 14, v17 :: v_dual_add_nc_u32 v4, v5, v4
	v_mov_b32_e32 v5, v3
	v_cmpx_ne_u32_e32 0, v18
	s_xor_b32 s14, exec_lo, s14
; %bb.15789:                            ;   in Loop: Header=BB4_15177 Depth=3
	s_delay_alu instid0(VALU_DEP_2) | instskip(SKIP_2) | instid1(VALU_DEP_2)
	v_cmp_lt_u64_e32 vcc_lo, 0xffffff, v[4:5]
	v_add_nc_u32_e32 v16, 15, v17
	v_cndmask_b32_e64 v17, 0, 1, vcc_lo
	v_cndmask_b32_e32 v16, v18, v16, vcc_lo
	s_delay_alu instid0(VALU_DEP_2)
	v_lshrrev_b64 v[4:5], v17, v[4:5]
; %bb.15790:                            ;   in Loop: Header=BB4_15177 Depth=3
	s_and_not1_saveexec_b32 s14, s14
; %bb.15791:                            ;   in Loop: Header=BB4_15177 Depth=3
	s_delay_alu instid0(VALU_DEP_1)
	v_bfe_u32 v16, v4, 23, 1
; %bb.15792:                            ;   in Loop: Header=BB4_15177 Depth=3
	s_or_b32 exec_lo, exec_lo, s14
	s_delay_alu instid0(VALU_DEP_2) | instskip(NEXT) | instid1(VALU_DEP_2)
	v_lshrrev_b64 v[4:5], 21, v[4:5]
	v_cmp_gt_i32_e32 vcc_lo, 32, v16
	v_min_i32_e32 v17, 31, v16
	v_cmp_eq_u32_e64 s14, 0, v16
	s_delay_alu instid0(VALU_DEP_4) | instskip(NEXT) | instid1(VALU_DEP_3)
	v_cndmask_b32_e32 v5, 0, v5, vcc_lo
	v_dual_cndmask_b32 v4, 3, v4 :: v_dual_lshlrev_b32 v17, 2, v17
	s_delay_alu instid0(VALU_DEP_1) | instskip(NEXT) | instid1(VALU_DEP_2)
	v_and_b32_e32 v17, 0xfc, v17
	v_cmp_eq_u64_e32 vcc_lo, 0, v[4:5]
	s_delay_alu instid0(VALU_DEP_2)
	v_and_or_b32 v4, v4, 3, v17
	s_and_b32 s14, s14, vcc_lo
	s_delay_alu instid0(VALU_DEP_1) | instid1(SALU_CYCLE_1)
	v_cndmask_b32_e64 v4, v4, 0, s14
	s_delay_alu instid0(VALU_DEP_1)
	v_or_b32_e32 v117, v4, v2
.LBB4_15793:                            ;   in Loop: Header=BB4_15177 Depth=3
	s_or_b32 exec_lo, exec_lo, s77
                                        ; implicit-def: $vgpr2
.LBB4_15794:                            ;   in Loop: Header=BB4_15177 Depth=3
	s_and_not1_saveexec_b32 s14, s76
; %bb.15795:                            ;   in Loop: Header=BB4_15177 Depth=3
	v_or_b32_e32 v117, 0x7b, v2
; %bb.15796:                            ;   in Loop: Header=BB4_15177 Depth=3
	s_or_b32 exec_lo, exec_lo, s14
                                        ; implicit-def: $vgpr16
                                        ; implicit-def: $vgpr4_vgpr5
                                        ; implicit-def: $vgpr2
.LBB4_15797:                            ;   in Loop: Header=BB4_15177 Depth=3
	s_and_not1_saveexec_b32 s14, s75
	s_cbranch_execz .LBB4_15803
; %bb.15798:                            ;   in Loop: Header=BB4_15177 Depth=3
	s_mov_b32 s75, exec_lo
                                        ; implicit-def: $vgpr117
	v_cmpx_ne_u64_e32 0, v[4:5]
	s_xor_b32 s75, exec_lo, s75
; %bb.15799:                            ;   in Loop: Header=BB4_15177 Depth=3
	v_or_b32_e32 v117, 0x7f, v2
                                        ; implicit-def: $vgpr16
; %bb.15800:                            ;   in Loop: Header=BB4_15177 Depth=3
	s_and_not1_saveexec_b32 s75, s75
; %bb.15801:                            ;   in Loop: Header=BB4_15177 Depth=3
	v_cmp_lt_i32_e32 vcc_lo, -1, v16
	v_cndmask_b32_e32 v117, 0xfc, v49, vcc_lo
; %bb.15802:                            ;   in Loop: Header=BB4_15177 Depth=3
	s_or_b32 exec_lo, exec_lo, s75
.LBB4_15803:                            ;   in Loop: Header=BB4_15177 Depth=3
	s_delay_alu instid0(SALU_CYCLE_1) | instskip(SKIP_4) | instid1(VALU_DEP_2)
	s_or_b32 exec_lo, exec_lo, s14
	v_lshl_or_b32 v2, v40, 8, v20
	v_dual_lshlrev_b32 v4, 16, v44 :: v_dual_lshlrev_b32 v16, 24, v45
	v_dual_mov_b32 v5, v3 :: v_dual_mov_b32 v18, 0
	s_mov_b32 s14, exec_lo
	v_or3_b32 v4, v4, v16, v2
	v_cmpx_ne_u32_e32 0, v20
	s_cbranch_execz .LBB4_15813
; %bb.15804:                            ;   in Loop: Header=BB4_15177 Depth=3
	v_bfrev_b32_e32 v18, 1
	s_mov_b32 s75, exec_lo
	v_cmpx_ne_u32_e32 0x80, v20
	s_cbranch_execz .LBB4_15812
; %bb.15805:                            ;   in Loop: Header=BB4_15177 Depth=3
	v_and_b32_e32 v17, 0x7c, v20
	v_and_b32_e32 v16, 3, v20
	s_mov_b32 s76, exec_lo
                                        ; implicit-def: $vgpr18
	s_delay_alu instid0(VALU_DEP_2)
	v_cmpx_ne_u32_e32 0x7c, v17
	s_xor_b32 s76, exec_lo, s76
	s_cbranch_execz .LBB4_15809
; %bb.15806:                            ;   in Loop: Header=BB4_15177 Depth=3
	v_bfe_u32 v17, v20, 2, 5
	s_mov_b32 s77, exec_lo
	s_delay_alu instid0(VALU_DEP_1)
	v_cmpx_eq_u32_e32 0, v17
; %bb.15807:                            ;   in Loop: Header=BB4_15177 Depth=3
	v_clz_i32_u32_e32 v16, v16
	s_delay_alu instid0(VALU_DEP_1) | instskip(NEXT) | instid1(VALU_DEP_1)
	v_min_u32_e32 v18, 32, v16
	v_subrev_nc_u32_e32 v16, 29, v18
	s_delay_alu instid0(VALU_DEP_1) | instskip(NEXT) | instid1(VALU_DEP_1)
	v_lshlrev_b64_e32 v[16:17], v16, v[4:5]
	v_dual_sub_nc_u32 v17, 30, v18 :: v_dual_bitop2_b32 v16, 3, v16 bitop3:0x40
; %bb.15808:                            ;   in Loop: Header=BB4_15177 Depth=3
	s_or_b32 exec_lo, exec_lo, s77
	v_lshlrev_b32_e32 v5, 24, v20
                                        ; implicit-def: $vgpr20
	s_delay_alu instid0(VALU_DEP_1) | instskip(NEXT) | instid1(VALU_DEP_1)
	v_and_b32_e32 v5, 0x80000000, v5
	v_lshl_add_u32 v5, v17, 23, v5
	s_delay_alu instid0(VALU_DEP_1) | instskip(NEXT) | instid1(VALU_DEP_1)
	v_lshl_or_b32 v5, v16, 21, v5
                                        ; implicit-def: $vgpr16
	v_add_nc_u32_e32 v18, 0x38000000, v5
.LBB4_15809:                            ;   in Loop: Header=BB4_15177 Depth=3
	s_and_not1_saveexec_b32 s76, s76
; %bb.15810:                            ;   in Loop: Header=BB4_15177 Depth=3
	v_and_b32_e32 v5, 0x80, v20
	s_delay_alu instid0(VALU_DEP_1) | instskip(SKIP_2) | instid1(VALU_DEP_2)
	v_cmp_eq_u32_e32 vcc_lo, 0, v5
	v_cndmask_b32_e32 v5, 0xff800000, v48, vcc_lo
	v_cmp_eq_u32_e32 vcc_lo, 0, v16
	v_cndmask_b32_e32 v18, 0x7f800001, v5, vcc_lo
; %bb.15811:                            ;   in Loop: Header=BB4_15177 Depth=3
	s_or_b32 exec_lo, exec_lo, s76
.LBB4_15812:                            ;   in Loop: Header=BB4_15177 Depth=3
	s_delay_alu instid0(SALU_CYCLE_1)
	s_or_b32 exec_lo, exec_lo, s75
.LBB4_15813:                            ;   in Loop: Header=BB4_15177 Depth=3
	s_delay_alu instid0(SALU_CYCLE_1) | instskip(SKIP_4) | instid1(VALU_DEP_2)
	s_or_b32 exec_lo, exec_lo, s14
	v_and_b32_e32 v17, 0xff, v9
	v_mov_b32_e32 v16, v9
	s_mov_b32 s75, 0
	s_mov_b32 s14, exec_lo
	v_cmpx_lt_i16_e32 0x7f, v17
	s_xor_b32 s14, exec_lo, s14
	s_cbranch_execz .LBB4_16222
; %bb.15814:                            ;   in Loop: Header=BB4_15177 Depth=3
	s_mov_b32 s75, -1
	s_mov_b32 s76, exec_lo
	v_cmpx_eq_u16_e32 0x80, v17
; %bb.15815:                            ;   in Loop: Header=BB4_15177 Depth=3
	s_xor_b32 s75, exec_lo, -1
; %bb.15816:                            ;   in Loop: Header=BB4_15177 Depth=3
	s_or_b32 exec_lo, exec_lo, s76
	s_delay_alu instid0(SALU_CYCLE_1)
	s_and_b32 s75, s75, exec_lo
                                        ; implicit-def: $vgpr17
	s_or_saveexec_b32 s14, s14
	v_bfrev_b32_e32 v5, 1
	s_xor_b32 exec_lo, exec_lo, s14
	s_cbranch_execnz .LBB4_16223
.LBB4_15817:                            ;   in Loop: Header=BB4_15177 Depth=3
	s_or_b32 exec_lo, exec_lo, s14
	v_mov_b32_e32 v17, v3
	s_and_saveexec_b32 s14, s75
	s_cbranch_execz .LBB4_15819
.LBB4_15818:                            ;   in Loop: Header=BB4_15177 Depth=3
	v_and_b32_e32 v5, 3, v9
	s_delay_alu instid0(VALU_DEP_1) | instskip(NEXT) | instid1(VALU_DEP_1)
	v_clz_i32_u32_e32 v19, v5
	v_min_u32_e32 v19, 32, v19
	s_delay_alu instid0(VALU_DEP_1) | instskip(NEXT) | instid1(VALU_DEP_1)
	v_subrev_nc_u32_e32 v20, 29, v19
	v_lshlrev_b64_e32 v[20:21], v20, v[16:17]
	v_bfe_u32 v21, v9, 2, 5
	v_dual_lshlrev_b32 v17, 24, v9 :: v_dual_sub_nc_u32 v19, 30, v19
	s_delay_alu instid0(VALU_DEP_2) | instskip(NEXT) | instid1(VALU_DEP_2)
	v_cmp_eq_u32_e32 vcc_lo, 0, v21
	v_and_b32_e32 v17, 0x80000000, v17
	s_delay_alu instid0(VALU_DEP_3) | instskip(SKIP_1) | instid1(VALU_DEP_2)
	v_dual_cndmask_b32 v19, v21, v19, vcc_lo :: v_dual_bitop2_b32 v20, 3, v20 bitop3:0x40
	v_bfe_i32 v21, v9, 0, 8
	v_cndmask_b32_e32 v20, v5, v20, vcc_lo
	s_delay_alu instid0(VALU_DEP_3) | instskip(NEXT) | instid1(VALU_DEP_3)
	v_lshl_add_u32 v17, v19, 23, v17
	v_cmp_lt_i16_e32 vcc_lo, -1, v21
	s_delay_alu instid0(VALU_DEP_2) | instskip(SKIP_3) | instid1(VALU_DEP_4)
	v_lshl_or_b32 v17, v20, 21, v17
	v_cndmask_b32_e32 v19, 0xff800000, v48, vcc_lo
	v_and_b32_e32 v20, 0x7c, v9
	v_cmp_eq_u32_e32 vcc_lo, 0, v5
	v_add_nc_u32_e32 v17, 0x38000000, v17
	s_delay_alu instid0(VALU_DEP_4) | instskip(NEXT) | instid1(VALU_DEP_4)
	v_cndmask_b32_e32 v5, 0x7f800001, v19, vcc_lo
	v_cmp_eq_u32_e32 vcc_lo, 0x7c, v20
	s_delay_alu instid0(VALU_DEP_2)
	v_cndmask_b32_e32 v5, v17, v5, vcc_lo
.LBB4_15819:                            ;   in Loop: Header=BB4_15177 Depth=3
	s_or_b32 exec_lo, exec_lo, s14
	s_delay_alu instid0(VALU_DEP_1) | instskip(NEXT) | instid1(VALU_DEP_1)
	v_dual_add_f32 v17, v18, v5 :: v_dual_mov_b32 v21, v3
	v_dual_mov_b32 v19, v3 :: v_dual_lshrrev_b32 v5, 24, v17
	v_and_b32_e32 v20, 0x7f800000, v17
	v_and_b32_e32 v18, 0x7fffff, v17
	s_delay_alu instid0(VALU_DEP_2) | instskip(SKIP_1) | instid1(SALU_CYCLE_1)
	v_cmp_ne_u64_e32 vcc_lo, 0x7f800000, v[20:21]
                                        ; implicit-def: $vgpr20
	s_and_saveexec_b32 s14, vcc_lo
	s_xor_b32 s75, exec_lo, s14
	s_cbranch_execz .LBB4_15833
; %bb.15820:                            ;   in Loop: Header=BB4_15177 Depth=3
	v_and_b32_e32 v20, 0x7fffffff, v17
	v_mov_b32_e32 v21, v3
	v_and_b32_e32 v5, 0x80, v5
	s_delay_alu instid0(VALU_DEP_2) | instskip(SKIP_1) | instid1(SALU_CYCLE_1)
	v_cmp_gt_u64_e32 vcc_lo, 0x47600001, v[20:21]
                                        ; implicit-def: $vgpr20
	s_and_saveexec_b32 s14, vcc_lo
	s_xor_b32 s76, exec_lo, s14
	s_cbranch_execz .LBB4_15830
; %bb.15821:                            ;   in Loop: Header=BB4_15177 Depth=3
	v_mov_b32_e32 v20, 0
	s_mov_b32 s77, exec_lo
	v_cmpx_ne_u32_e32 0, v17
	s_cbranch_execz .LBB4_15829
; %bb.15822:                            ;   in Loop: Header=BB4_15177 Depth=3
	v_bfe_u32 v17, v17, 23, 8
	v_or_b32_e32 v87, 0x800000, v18
	s_delay_alu instid0(VALU_DEP_2) | instskip(SKIP_1) | instid1(VALU_DEP_2)
	v_sub_nc_u32_e32 v20, 0x71, v17
	v_cmp_gt_u32_e32 vcc_lo, 0x72, v17
	v_cndmask_b32_e32 v20, 0, v20, vcc_lo
	v_cmp_eq_u32_e32 vcc_lo, 0, v17
	s_delay_alu instid0(VALU_DEP_2) | instskip(SKIP_1) | instid1(VALU_DEP_2)
	v_cndmask_b32_e64 v86, v20, 0x70, vcc_lo
	v_cndmask_b32_e32 v18, v87, v18, vcc_lo
	v_dual_add_nc_u32 v20, 21, v86 :: v_dual_add_nc_u32 v96, 20, v86
	s_delay_alu instid0(VALU_DEP_1) | instskip(NEXT) | instid1(VALU_DEP_2)
	v_lshlrev_b64_e64 v[20:21], v20, -1
	v_lshlrev_b64_e64 v[96:97], v96, 1
	s_delay_alu instid0(VALU_DEP_2) | instskip(SKIP_1) | instid1(VALU_DEP_4)
	v_bfi_b32 v20, v20, 0, v18
	v_lshrrev_b64 v[18:19], v86, v[18:19]
	v_bfi_b32 v21, v21, 0, 0
	s_delay_alu instid0(VALU_DEP_1) | instskip(NEXT) | instid1(VALU_DEP_3)
	v_cmp_eq_u64_e64 s14, v[20:21], v[96:97]
	v_mov_b64_e32 v[20:21], v[18:19]
	s_and_saveexec_b32 s78, s14
; %bb.15823:                            ;   in Loop: Header=BB4_15177 Depth=3
	v_bfe_u32 v20, v18, 21, 1
	v_mov_b32_e32 v21, v3
	s_delay_alu instid0(VALU_DEP_1) | instskip(NEXT) | instid1(VALU_DEP_1)
	v_add_nc_u64_e32 v[20:21], v[18:19], v[20:21]
	v_add_nc_u64_e32 v[20:21], -1, v[20:21]
; %bb.15824:                            ;   in Loop: Header=BB4_15177 Depth=3
	s_or_b32 exec_lo, exec_lo, s78
	v_add_nc_u32_e32 v17, 0xffffff81, v17
	v_lshrrev_b32_e32 v19, 23, v18
	s_mov_b32 s14, exec_lo
	s_delay_alu instid0(VALU_DEP_2) | instskip(NEXT) | instid1(VALU_DEP_1)
	v_cndmask_b32_e64 v17, v17, 0xffffff82, vcc_lo
	v_add3_u32 v21, v86, v17, v19
	v_and_b32_e32 v17, 0x1fffff, v20
	s_delay_alu instid0(VALU_DEP_2) | instskip(NEXT) | instid1(VALU_DEP_2)
	v_dual_mov_b32 v19, v3 :: v_dual_add_nc_u32 v20, 14, v21
	v_add_nc_u32_e32 v18, v17, v18
                                        ; implicit-def: $vgpr17
	s_delay_alu instid0(VALU_DEP_2)
	v_cmpx_ne_u32_e32 0, v20
	s_xor_b32 s14, exec_lo, s14
; %bb.15825:                            ;   in Loop: Header=BB4_15177 Depth=3
	s_delay_alu instid0(VALU_DEP_2) | instskip(SKIP_1) | instid1(VALU_DEP_1)
	v_cmp_lt_u64_e32 vcc_lo, 0xffffff, v[18:19]
	v_add_nc_u32_e32 v17, 15, v21
	v_cndmask_b32_e32 v17, v20, v17, vcc_lo
	v_cndmask_b32_e64 v20, 0, 1, vcc_lo
	s_delay_alu instid0(VALU_DEP_1)
	v_lshrrev_b64 v[18:19], v20, v[18:19]
; %bb.15826:                            ;   in Loop: Header=BB4_15177 Depth=3
	s_and_not1_saveexec_b32 s14, s14
; %bb.15827:                            ;   in Loop: Header=BB4_15177 Depth=3
	s_delay_alu instid0(VALU_DEP_1)
	v_bfe_u32 v17, v18, 23, 1
; %bb.15828:                            ;   in Loop: Header=BB4_15177 Depth=3
	s_or_b32 exec_lo, exec_lo, s14
	s_delay_alu instid0(VALU_DEP_2) | instskip(NEXT) | instid1(VALU_DEP_2)
	v_lshrrev_b64 v[18:19], 21, v[18:19]
	v_cmp_gt_i32_e32 vcc_lo, 32, v17
	v_min_i32_e32 v20, 31, v17
	v_cmp_eq_u32_e64 s14, 0, v17
	s_delay_alu instid0(VALU_DEP_2) | instskip(SKIP_1) | instid1(VALU_DEP_2)
	v_dual_cndmask_b32 v19, 0, v19 :: v_dual_lshlrev_b32 v20, 2, v20
	v_cndmask_b32_e32 v18, 3, v18, vcc_lo
	v_and_b32_e32 v20, 0xfc, v20
	s_delay_alu instid0(VALU_DEP_2) | instskip(NEXT) | instid1(VALU_DEP_2)
	v_cmp_eq_u64_e32 vcc_lo, 0, v[18:19]
	v_and_or_b32 v17, v18, 3, v20
	s_and_b32 s14, s14, vcc_lo
	s_delay_alu instid0(VALU_DEP_1) | instid1(SALU_CYCLE_1)
	v_cndmask_b32_e64 v17, v17, 0, s14
	s_delay_alu instid0(VALU_DEP_1)
	v_or_b32_e32 v20, v17, v5
.LBB4_15829:                            ;   in Loop: Header=BB4_15177 Depth=3
	s_or_b32 exec_lo, exec_lo, s77
                                        ; implicit-def: $vgpr5
.LBB4_15830:                            ;   in Loop: Header=BB4_15177 Depth=3
	s_and_not1_saveexec_b32 s14, s76
; %bb.15831:                            ;   in Loop: Header=BB4_15177 Depth=3
	v_or_b32_e32 v20, 0x7b, v5
; %bb.15832:                            ;   in Loop: Header=BB4_15177 Depth=3
	s_or_b32 exec_lo, exec_lo, s14
                                        ; implicit-def: $vgpr17
                                        ; implicit-def: $vgpr18_vgpr19
                                        ; implicit-def: $vgpr5
.LBB4_15833:                            ;   in Loop: Header=BB4_15177 Depth=3
	s_and_not1_saveexec_b32 s14, s75
	s_cbranch_execz .LBB4_15839
; %bb.15834:                            ;   in Loop: Header=BB4_15177 Depth=3
	s_mov_b32 s75, exec_lo
                                        ; implicit-def: $vgpr20
	v_cmpx_ne_u64_e32 0, v[18:19]
	s_xor_b32 s75, exec_lo, s75
; %bb.15835:                            ;   in Loop: Header=BB4_15177 Depth=3
	v_or_b32_e32 v20, 0x7f, v5
                                        ; implicit-def: $vgpr17
; %bb.15836:                            ;   in Loop: Header=BB4_15177 Depth=3
	s_and_not1_saveexec_b32 s75, s75
; %bb.15837:                            ;   in Loop: Header=BB4_15177 Depth=3
	v_cmp_lt_i32_e32 vcc_lo, -1, v17
	v_cndmask_b32_e32 v20, 0xfc, v49, vcc_lo
; %bb.15838:                            ;   in Loop: Header=BB4_15177 Depth=3
	s_or_b32 exec_lo, exec_lo, s75
.LBB4_15839:                            ;   in Loop: Header=BB4_15177 Depth=3
	s_delay_alu instid0(SALU_CYCLE_1) | instskip(SKIP_3) | instid1(VALU_DEP_2)
	s_or_b32 exec_lo, exec_lo, s14
	v_lshrrev_b16 v18, 8, v2
	v_mov_b32_e32 v5, 0
	s_mov_b32 s14, exec_lo
	v_cmpx_ne_u16_e32 0, v18
	s_cbranch_execz .LBB4_15849
; %bb.15840:                            ;   in Loop: Header=BB4_15177 Depth=3
	v_bfrev_b32_e32 v5, 1
	s_mov_b32 s75, exec_lo
	v_cmpx_ne_u16_e32 0x80, v18
	s_cbranch_execz .LBB4_15848
; %bb.15841:                            ;   in Loop: Header=BB4_15177 Depth=3
	v_and_b32_e32 v19, 0xffff, v18
	s_delay_alu instid0(VALU_DEP_1) | instskip(SKIP_1) | instid1(VALU_DEP_2)
	v_and_b32_e32 v5, 0x7c, v19
	v_and_b32_e32 v17, 3, v19
	v_cmp_ne_u32_e32 vcc_lo, 0x7c, v5
                                        ; implicit-def: $vgpr5
	s_and_saveexec_b32 s76, vcc_lo
	s_delay_alu instid0(SALU_CYCLE_1)
	s_xor_b32 s76, exec_lo, s76
	s_cbranch_execz .LBB4_15845
; %bb.15842:                            ;   in Loop: Header=BB4_15177 Depth=3
	v_bfe_u32 v5, v19, 2, 5
	s_mov_b32 s77, exec_lo
	s_delay_alu instid0(VALU_DEP_1)
	v_cmpx_eq_u32_e32 0, v5
	s_cbranch_execz .LBB4_15844
; %bb.15843:                            ;   in Loop: Header=BB4_15177 Depth=3
	v_clz_i32_u32_e32 v5, v17
	s_delay_alu instid0(VALU_DEP_1) | instskip(SKIP_1) | instid1(VALU_DEP_2)
	v_min_u32_e32 v5, 32, v5
	v_mov_b32_e32 v19, v3
	v_subrev_nc_u32_e32 v17, 29, v5
	v_sub_nc_u32_e32 v5, 30, v5
	s_delay_alu instid0(VALU_DEP_2) | instskip(NEXT) | instid1(VALU_DEP_1)
	v_lshlrev_b64_e32 v[18:19], v17, v[18:19]
	v_and_b32_e32 v17, 3, v18
.LBB4_15844:                            ;   in Loop: Header=BB4_15177 Depth=3
	s_or_b32 exec_lo, exec_lo, s77
	v_lshlrev_b32_e32 v2, 16, v2
	s_delay_alu instid0(VALU_DEP_1) | instskip(NEXT) | instid1(VALU_DEP_1)
	v_and_b32_e32 v2, 0x80000000, v2
	v_lshl_add_u32 v2, v5, 23, v2
	s_delay_alu instid0(VALU_DEP_1) | instskip(NEXT) | instid1(VALU_DEP_1)
	v_lshl_or_b32 v2, v17, 21, v2
                                        ; implicit-def: $vgpr17
	v_add_nc_u32_e32 v5, 0x38000000, v2
                                        ; implicit-def: $vgpr2
.LBB4_15845:                            ;   in Loop: Header=BB4_15177 Depth=3
	s_and_not1_saveexec_b32 s76, s76
; %bb.15846:                            ;   in Loop: Header=BB4_15177 Depth=3
	v_cmp_lt_i16_e32 vcc_lo, -1, v2
	v_cndmask_b32_e32 v2, 0xff800000, v48, vcc_lo
	v_cmp_eq_u32_e32 vcc_lo, 0, v17
	s_delay_alu instid0(VALU_DEP_2)
	v_cndmask_b32_e32 v5, 0x7f800001, v2, vcc_lo
; %bb.15847:                            ;   in Loop: Header=BB4_15177 Depth=3
	s_or_b32 exec_lo, exec_lo, s76
.LBB4_15848:                            ;   in Loop: Header=BB4_15177 Depth=3
	s_delay_alu instid0(SALU_CYCLE_1)
	s_or_b32 exec_lo, exec_lo, s75
.LBB4_15849:                            ;   in Loop: Header=BB4_15177 Depth=3
	s_delay_alu instid0(SALU_CYCLE_1) | instskip(SKIP_3) | instid1(VALU_DEP_1)
	s_or_b32 exec_lo, exec_lo, s14
	v_lshrrev_b16 v18, 8, v16
	s_mov_b32 s75, 0
	s_mov_b32 s14, exec_lo
	v_cmpx_lt_i16_e32 0x7f, v18
	s_xor_b32 s14, exec_lo, s14
	s_cbranch_execz .LBB4_16224
; %bb.15850:                            ;   in Loop: Header=BB4_15177 Depth=3
	s_mov_b32 s75, -1
	s_mov_b32 s76, exec_lo
	v_cmpx_eq_u16_e32 0x80, v18
; %bb.15851:                            ;   in Loop: Header=BB4_15177 Depth=3
	s_xor_b32 s75, exec_lo, -1
; %bb.15852:                            ;   in Loop: Header=BB4_15177 Depth=3
	s_or_b32 exec_lo, exec_lo, s76
	s_delay_alu instid0(SALU_CYCLE_1)
	s_and_b32 s75, s75, exec_lo
	s_or_saveexec_b32 s14, s14
	v_bfrev_b32_e32 v2, 1
	s_xor_b32 exec_lo, exec_lo, s14
	s_cbranch_execnz .LBB4_16225
.LBB4_15853:                            ;   in Loop: Header=BB4_15177 Depth=3
	s_or_b32 exec_lo, exec_lo, s14
	s_and_saveexec_b32 s14, s75
	s_cbranch_execz .LBB4_15855
.LBB4_15854:                            ;   in Loop: Header=BB4_15177 Depth=3
	v_and_b32_e32 v2, 0xffff, v18
	s_delay_alu instid0(VALU_DEP_1) | instskip(NEXT) | instid1(VALU_DEP_1)
	v_and_b32_e32 v17, 3, v2
	v_clz_i32_u32_e32 v19, v17
	s_delay_alu instid0(VALU_DEP_1) | instskip(SKIP_1) | instid1(VALU_DEP_2)
	v_min_u32_e32 v21, 32, v19
	v_mov_b32_e32 v19, v3
	v_subrev_nc_u32_e32 v86, 29, v21
	v_sub_nc_u32_e32 v21, 30, v21
	s_delay_alu instid0(VALU_DEP_2) | instskip(SKIP_3) | instid1(VALU_DEP_3)
	v_lshlrev_b64_e32 v[86:87], v86, v[18:19]
	v_bfe_u32 v19, v2, 2, 5
	v_lshlrev_b32_e32 v18, 24, v18
	v_and_b32_e32 v2, 0x7c, v2
	v_cmp_eq_u32_e32 vcc_lo, 0, v19
	s_delay_alu instid0(VALU_DEP_3) | instskip(SKIP_1) | instid1(VALU_DEP_1)
	v_and_b32_e32 v18, 0x80000000, v18
	v_dual_cndmask_b32 v19, v19, v21, vcc_lo :: v_dual_bitop2_b32 v86, 3, v86 bitop3:0x40
	v_cndmask_b32_e32 v21, v17, v86, vcc_lo
	v_cmp_lt_i16_e32 vcc_lo, -1, v16
	s_delay_alu instid0(VALU_DEP_3) | instskip(SKIP_2) | instid1(VALU_DEP_3)
	v_lshl_add_u32 v18, v19, 23, v18
	v_cndmask_b32_e32 v16, 0xff800000, v48, vcc_lo
	v_cmp_eq_u32_e32 vcc_lo, 0, v17
	v_lshl_or_b32 v18, v21, 21, v18
	s_delay_alu instid0(VALU_DEP_3) | instskip(NEXT) | instid1(VALU_DEP_2)
	v_cndmask_b32_e32 v16, 0x7f800001, v16, vcc_lo
	v_add_nc_u32_e32 v17, 0x38000000, v18
	v_cmp_eq_u32_e32 vcc_lo, 0x7c, v2
	s_delay_alu instid0(VALU_DEP_2)
	v_cndmask_b32_e32 v2, v17, v16, vcc_lo
.LBB4_15855:                            ;   in Loop: Header=BB4_15177 Depth=3
	s_or_b32 exec_lo, exec_lo, s14
	s_delay_alu instid0(VALU_DEP_1) | instskip(SKIP_2) | instid1(VALU_DEP_2)
	v_dual_add_f32 v5, v5, v2 :: v_dual_mov_b32 v19, v3
	v_mov_b32_e32 v17, v3
                                        ; implicit-def: $vgpr21
	s_mov_b32 s14, exec_lo
	v_and_b32_e32 v18, 0x7f800000, v5
	v_and_b32_e32 v16, 0x7fffff, v5
	v_lshrrev_b32_e32 v2, 24, v5
	s_delay_alu instid0(VALU_DEP_3)
	v_cmpx_ne_u64_e32 0x7f800000, v[18:19]
	s_xor_b32 s75, exec_lo, s14
	s_cbranch_execz .LBB4_15869
; %bb.15856:                            ;   in Loop: Header=BB4_15177 Depth=3
	v_and_b32_e32 v18, 0x7fffffff, v5
	v_mov_b32_e32 v19, v3
	v_and_b32_e32 v2, 0x80, v2
                                        ; implicit-def: $vgpr21
	s_mov_b32 s14, exec_lo
	s_delay_alu instid0(VALU_DEP_2)
	v_cmpx_gt_u64_e32 0x47600001, v[18:19]
	s_xor_b32 s76, exec_lo, s14
	s_cbranch_execz .LBB4_15866
; %bb.15857:                            ;   in Loop: Header=BB4_15177 Depth=3
	v_mov_b32_e32 v21, 0
	s_mov_b32 s77, exec_lo
	v_cmpx_ne_u32_e32 0, v5
	s_cbranch_execz .LBB4_15865
; %bb.15858:                            ;   in Loop: Header=BB4_15177 Depth=3
	v_bfe_u32 v5, v5, 23, 8
	v_or_b32_e32 v86, 0x800000, v16
	s_delay_alu instid0(VALU_DEP_2) | instskip(SKIP_1) | instid1(VALU_DEP_2)
	v_sub_nc_u32_e32 v18, 0x71, v5
	v_cmp_gt_u32_e32 vcc_lo, 0x72, v5
	v_cndmask_b32_e32 v18, 0, v18, vcc_lo
	v_cmp_eq_u32_e32 vcc_lo, 0, v5
	s_delay_alu instid0(VALU_DEP_2) | instskip(NEXT) | instid1(VALU_DEP_1)
	v_cndmask_b32_e64 v21, v18, 0x70, vcc_lo
	v_dual_cndmask_b32 v16, v86, v16, vcc_lo :: v_dual_add_nc_u32 v18, 21, v21
	v_add_nc_u32_e32 v87, 20, v21
	s_delay_alu instid0(VALU_DEP_2) | instskip(NEXT) | instid1(VALU_DEP_2)
	v_lshlrev_b64_e64 v[18:19], v18, -1
	v_lshlrev_b64_e64 v[86:87], v87, 1
	s_delay_alu instid0(VALU_DEP_2) | instskip(SKIP_1) | instid1(VALU_DEP_4)
	v_bfi_b32 v18, v18, 0, v16
	v_lshrrev_b64 v[16:17], v21, v[16:17]
	v_bfi_b32 v19, v19, 0, 0
	s_delay_alu instid0(VALU_DEP_1) | instskip(NEXT) | instid1(VALU_DEP_3)
	v_cmp_eq_u64_e64 s14, v[18:19], v[86:87]
	v_mov_b64_e32 v[18:19], v[16:17]
	s_and_saveexec_b32 s78, s14
; %bb.15859:                            ;   in Loop: Header=BB4_15177 Depth=3
	v_bfe_u32 v18, v16, 21, 1
	v_mov_b32_e32 v19, v3
	s_delay_alu instid0(VALU_DEP_1) | instskip(NEXT) | instid1(VALU_DEP_1)
	v_add_nc_u64_e32 v[18:19], v[16:17], v[18:19]
	v_add_nc_u64_e32 v[18:19], -1, v[18:19]
; %bb.15860:                            ;   in Loop: Header=BB4_15177 Depth=3
	s_or_b32 exec_lo, exec_lo, s78
	v_add_nc_u32_e32 v5, 0xffffff81, v5
	v_lshrrev_b32_e32 v17, 23, v16
	s_mov_b32 s14, exec_lo
	s_delay_alu instid0(VALU_DEP_2) | instskip(NEXT) | instid1(VALU_DEP_1)
	v_cndmask_b32_e64 v5, v5, 0xffffff82, vcc_lo
	v_add3_u32 v19, v21, v5, v17
	v_and_b32_e32 v5, 0x1fffff, v18
	s_delay_alu instid0(VALU_DEP_2) | instskip(NEXT) | instid1(VALU_DEP_2)
	v_dual_mov_b32 v17, v3 :: v_dual_add_nc_u32 v18, 14, v19
	v_add_nc_u32_e32 v16, v5, v16
                                        ; implicit-def: $vgpr5
	s_delay_alu instid0(VALU_DEP_2)
	v_cmpx_ne_u32_e32 0, v18
	s_xor_b32 s14, exec_lo, s14
; %bb.15861:                            ;   in Loop: Header=BB4_15177 Depth=3
	s_delay_alu instid0(VALU_DEP_2) | instskip(SKIP_1) | instid1(VALU_DEP_1)
	v_cmp_lt_u64_e32 vcc_lo, 0xffffff, v[16:17]
	v_add_nc_u32_e32 v5, 15, v19
	v_cndmask_b32_e32 v5, v18, v5, vcc_lo
	v_cndmask_b32_e64 v18, 0, 1, vcc_lo
	s_delay_alu instid0(VALU_DEP_1)
	v_lshrrev_b64 v[16:17], v18, v[16:17]
; %bb.15862:                            ;   in Loop: Header=BB4_15177 Depth=3
	s_and_not1_saveexec_b32 s14, s14
; %bb.15863:                            ;   in Loop: Header=BB4_15177 Depth=3
	s_delay_alu instid0(VALU_DEP_1)
	v_bfe_u32 v5, v16, 23, 1
; %bb.15864:                            ;   in Loop: Header=BB4_15177 Depth=3
	s_or_b32 exec_lo, exec_lo, s14
	s_delay_alu instid0(VALU_DEP_2) | instskip(NEXT) | instid1(VALU_DEP_2)
	v_lshrrev_b64 v[16:17], 21, v[16:17]
	v_cmp_gt_i32_e32 vcc_lo, 32, v5
	v_min_i32_e32 v18, 31, v5
	v_cmp_eq_u32_e64 s14, 0, v5
	s_delay_alu instid0(VALU_DEP_2) | instskip(SKIP_1) | instid1(VALU_DEP_2)
	v_dual_cndmask_b32 v16, 3, v16, vcc_lo :: v_dual_lshlrev_b32 v18, 2, v18
	v_cndmask_b32_e32 v17, 0, v17, vcc_lo
	v_and_b32_e32 v18, 0xfc, v18
	s_delay_alu instid0(VALU_DEP_2) | instskip(NEXT) | instid1(VALU_DEP_2)
	v_cmp_eq_u64_e32 vcc_lo, 0, v[16:17]
	v_and_or_b32 v5, v16, 3, v18
	s_and_b32 s14, s14, vcc_lo
	s_delay_alu instid0(VALU_DEP_1) | instid1(SALU_CYCLE_1)
	v_cndmask_b32_e64 v5, v5, 0, s14
	s_delay_alu instid0(VALU_DEP_1)
	v_or_b32_e32 v21, v5, v2
.LBB4_15865:                            ;   in Loop: Header=BB4_15177 Depth=3
	s_or_b32 exec_lo, exec_lo, s77
                                        ; implicit-def: $vgpr2
.LBB4_15866:                            ;   in Loop: Header=BB4_15177 Depth=3
	s_and_not1_saveexec_b32 s14, s76
; %bb.15867:                            ;   in Loop: Header=BB4_15177 Depth=3
	v_or_b32_e32 v21, 0x7b, v2
; %bb.15868:                            ;   in Loop: Header=BB4_15177 Depth=3
	s_or_b32 exec_lo, exec_lo, s14
                                        ; implicit-def: $vgpr5
                                        ; implicit-def: $vgpr16_vgpr17
                                        ; implicit-def: $vgpr2
.LBB4_15869:                            ;   in Loop: Header=BB4_15177 Depth=3
	s_and_not1_saveexec_b32 s14, s75
	s_cbranch_execz .LBB4_15875
; %bb.15870:                            ;   in Loop: Header=BB4_15177 Depth=3
	s_mov_b32 s75, exec_lo
                                        ; implicit-def: $vgpr21
	v_cmpx_ne_u64_e32 0, v[16:17]
	s_xor_b32 s75, exec_lo, s75
; %bb.15871:                            ;   in Loop: Header=BB4_15177 Depth=3
	v_or_b32_e32 v21, 0x7f, v2
                                        ; implicit-def: $vgpr5
; %bb.15872:                            ;   in Loop: Header=BB4_15177 Depth=3
	s_and_not1_saveexec_b32 s75, s75
; %bb.15873:                            ;   in Loop: Header=BB4_15177 Depth=3
	v_cmp_lt_i32_e32 vcc_lo, -1, v5
	v_cndmask_b32_e32 v21, 0xfc, v49, vcc_lo
; %bb.15874:                            ;   in Loop: Header=BB4_15177 Depth=3
	s_or_b32 exec_lo, exec_lo, s75
.LBB4_15875:                            ;   in Loop: Header=BB4_15177 Depth=3
	s_delay_alu instid0(SALU_CYCLE_1) | instskip(SKIP_2) | instid1(VALU_DEP_1)
	s_or_b32 exec_lo, exec_lo, s14
	v_dual_mov_b32 v5, 0 :: v_dual_lshrrev_b32 v2, 16, v4
	s_mov_b32 s14, exec_lo
	v_and_b32_e32 v16, 0xff, v2
	s_delay_alu instid0(VALU_DEP_1)
	v_cmpx_ne_u16_e32 0, v16
	s_cbranch_execz .LBB4_15885
; %bb.15876:                            ;   in Loop: Header=BB4_15177 Depth=3
	v_bfrev_b32_e32 v5, 1
	s_mov_b32 s75, exec_lo
	v_cmpx_ne_u16_e32 0x80, v16
	s_cbranch_execz .LBB4_15884
; %bb.15877:                            ;   in Loop: Header=BB4_15177 Depth=3
	v_and_b32_e32 v5, 0x7c0000, v4
	v_bfe_u32 v16, v4, 16, 2
	s_delay_alu instid0(VALU_DEP_2) | instskip(SKIP_1) | instid1(SALU_CYCLE_1)
	v_cmp_ne_u32_e32 vcc_lo, 0x7c0000, v5
                                        ; implicit-def: $vgpr5
	s_and_saveexec_b32 s76, vcc_lo
	s_xor_b32 s76, exec_lo, s76
	s_cbranch_execz .LBB4_15881
; %bb.15878:                            ;   in Loop: Header=BB4_15177 Depth=3
	v_bfe_u32 v5, v4, 18, 5
	s_mov_b32 s77, exec_lo
	s_delay_alu instid0(VALU_DEP_1)
	v_cmpx_eq_u32_e32 0, v5
; %bb.15879:                            ;   in Loop: Header=BB4_15177 Depth=3
	v_clz_i32_u32_e32 v5, v16
	s_delay_alu instid0(VALU_DEP_1) | instskip(NEXT) | instid1(VALU_DEP_1)
	v_min_u32_e32 v5, 32, v5
	v_subrev_nc_u32_e32 v16, 29, v5
	s_delay_alu instid0(VALU_DEP_1) | instskip(NEXT) | instid1(VALU_DEP_1)
	v_lshlrev_b64_e32 v[16:17], v16, v[2:3]
	v_dual_sub_nc_u32 v5, 30, v5 :: v_dual_bitop2_b32 v16, 3, v16 bitop3:0x40
; %bb.15880:                            ;   in Loop: Header=BB4_15177 Depth=3
	s_or_b32 exec_lo, exec_lo, s77
	v_lshlrev_b32_e32 v2, 24, v2
	s_delay_alu instid0(VALU_DEP_1) | instskip(NEXT) | instid1(VALU_DEP_1)
	v_and_b32_e32 v2, 0x80000000, v2
	v_lshl_add_u32 v2, v5, 23, v2
	s_delay_alu instid0(VALU_DEP_1) | instskip(NEXT) | instid1(VALU_DEP_1)
	v_lshl_or_b32 v2, v16, 21, v2
                                        ; implicit-def: $vgpr16
	v_add_nc_u32_e32 v5, 0x38000000, v2
                                        ; implicit-def: $vgpr2
.LBB4_15881:                            ;   in Loop: Header=BB4_15177 Depth=3
	s_and_not1_saveexec_b32 s76, s76
; %bb.15882:                            ;   in Loop: Header=BB4_15177 Depth=3
	v_bfe_i32 v2, v2, 0, 8
	s_delay_alu instid0(VALU_DEP_1) | instskip(SKIP_2) | instid1(VALU_DEP_2)
	v_cmp_lt_i16_e32 vcc_lo, -1, v2
	v_cndmask_b32_e32 v2, 0xff800000, v48, vcc_lo
	v_cmp_eq_u32_e32 vcc_lo, 0, v16
	v_cndmask_b32_e32 v5, 0x7f800001, v2, vcc_lo
; %bb.15883:                            ;   in Loop: Header=BB4_15177 Depth=3
	s_or_b32 exec_lo, exec_lo, s76
.LBB4_15884:                            ;   in Loop: Header=BB4_15177 Depth=3
	s_delay_alu instid0(SALU_CYCLE_1)
	s_or_b32 exec_lo, exec_lo, s75
.LBB4_15885:                            ;   in Loop: Header=BB4_15177 Depth=3
	s_delay_alu instid0(SALU_CYCLE_1) | instskip(SKIP_3) | instid1(VALU_DEP_1)
	s_or_b32 exec_lo, exec_lo, s14
	v_lshrrev_b32_e32 v2, 16, v9
	s_mov_b32 s75, 0
	s_mov_b32 s14, exec_lo
	v_and_b32_e32 v17, 0xff, v2
	s_delay_alu instid0(VALU_DEP_1)
	v_cmpx_lt_i16_e32 0x7f, v17
	s_xor_b32 s14, exec_lo, s14
	s_cbranch_execz .LBB4_16226
; %bb.15886:                            ;   in Loop: Header=BB4_15177 Depth=3
	s_mov_b32 s75, -1
	s_mov_b32 s76, exec_lo
	v_cmpx_eq_u16_e32 0x80, v17
; %bb.15887:                            ;   in Loop: Header=BB4_15177 Depth=3
	s_xor_b32 s75, exec_lo, -1
; %bb.15888:                            ;   in Loop: Header=BB4_15177 Depth=3
	s_or_b32 exec_lo, exec_lo, s76
	s_delay_alu instid0(SALU_CYCLE_1)
	s_and_b32 s75, s75, exec_lo
                                        ; implicit-def: $vgpr17
	s_or_saveexec_b32 s14, s14
	v_bfrev_b32_e32 v16, 1
	s_xor_b32 exec_lo, exec_lo, s14
	s_cbranch_execnz .LBB4_16227
.LBB4_15889:                            ;   in Loop: Header=BB4_15177 Depth=3
	s_or_b32 exec_lo, exec_lo, s14
	s_and_saveexec_b32 s14, s75
	s_cbranch_execz .LBB4_15891
.LBB4_15890:                            ;   in Loop: Header=BB4_15177 Depth=3
	v_and_b32_e32 v18, 3, v2
	v_bfe_u32 v86, v9, 18, 5
	s_delay_alu instid0(VALU_DEP_2) | instskip(NEXT) | instid1(VALU_DEP_2)
	v_clz_i32_u32_e32 v16, v18
	v_cmp_eq_u32_e32 vcc_lo, 0, v86
	s_delay_alu instid0(VALU_DEP_2) | instskip(NEXT) | instid1(VALU_DEP_1)
	v_min_u32_e32 v19, 32, v16
	v_subrev_nc_u32_e32 v16, 29, v19
	s_delay_alu instid0(VALU_DEP_1) | instskip(SKIP_2) | instid1(VALU_DEP_2)
	v_lshlrev_b64_e32 v[16:17], v16, v[2:3]
	v_dual_lshlrev_b32 v17, 24, v2 :: v_dual_sub_nc_u32 v19, 30, v19
	v_bfe_i32 v2, v2, 0, 8
	v_and_b32_e32 v17, 0x80000000, v17
	s_delay_alu instid0(VALU_DEP_3) | instskip(NEXT) | instid1(VALU_DEP_1)
	v_dual_cndmask_b32 v19, v86, v19, vcc_lo :: v_dual_bitop2_b32 v16, 3, v16 bitop3:0x40
	v_cndmask_b32_e32 v16, v18, v16, vcc_lo
	s_delay_alu instid0(VALU_DEP_2) | instskip(SKIP_1) | instid1(VALU_DEP_2)
	v_lshl_add_u32 v17, v19, 23, v17
	v_cmp_lt_i16_e32 vcc_lo, -1, v2
	v_lshl_or_b32 v16, v16, 21, v17
	v_cndmask_b32_e32 v2, 0xff800000, v48, vcc_lo
	v_and_b32_e32 v17, 0x7c0000, v9
	v_cmp_eq_u32_e32 vcc_lo, 0, v18
	s_delay_alu instid0(VALU_DEP_4) | instskip(NEXT) | instid1(VALU_DEP_4)
	v_add_nc_u32_e32 v16, 0x38000000, v16
	v_cndmask_b32_e32 v2, 0x7f800001, v2, vcc_lo
	s_delay_alu instid0(VALU_DEP_4) | instskip(NEXT) | instid1(VALU_DEP_2)
	v_cmp_eq_u32_e32 vcc_lo, 0x7c0000, v17
	v_cndmask_b32_e32 v16, v16, v2, vcc_lo
.LBB4_15891:                            ;   in Loop: Header=BB4_15177 Depth=3
	s_or_b32 exec_lo, exec_lo, s14
	s_delay_alu instid0(VALU_DEP_1) | instskip(SKIP_2) | instid1(VALU_DEP_2)
	v_dual_add_f32 v5, v5, v16 :: v_dual_mov_b32 v19, v3
	v_mov_b32_e32 v17, v3
                                        ; implicit-def: $vgpr40
	s_mov_b32 s14, exec_lo
	v_and_b32_e32 v18, 0x7f800000, v5
	v_and_b32_e32 v16, 0x7fffff, v5
	v_lshrrev_b32_e32 v2, 24, v5
	s_delay_alu instid0(VALU_DEP_3)
	v_cmpx_ne_u64_e32 0x7f800000, v[18:19]
	s_xor_b32 s75, exec_lo, s14
	s_cbranch_execz .LBB4_15905
; %bb.15892:                            ;   in Loop: Header=BB4_15177 Depth=3
	v_and_b32_e32 v18, 0x7fffffff, v5
	v_mov_b32_e32 v19, v3
	v_and_b32_e32 v2, 0x80, v2
                                        ; implicit-def: $vgpr40
	s_mov_b32 s14, exec_lo
	s_delay_alu instid0(VALU_DEP_2)
	v_cmpx_gt_u64_e32 0x47600001, v[18:19]
	s_xor_b32 s76, exec_lo, s14
	s_cbranch_execz .LBB4_15902
; %bb.15893:                            ;   in Loop: Header=BB4_15177 Depth=3
	v_mov_b32_e32 v40, 0
	s_mov_b32 s77, exec_lo
	v_cmpx_ne_u32_e32 0, v5
	s_cbranch_execz .LBB4_15901
; %bb.15894:                            ;   in Loop: Header=BB4_15177 Depth=3
	v_bfe_u32 v5, v5, 23, 8
	v_or_b32_e32 v87, 0x800000, v16
	s_delay_alu instid0(VALU_DEP_2) | instskip(SKIP_1) | instid1(VALU_DEP_2)
	v_sub_nc_u32_e32 v18, 0x71, v5
	v_cmp_gt_u32_e32 vcc_lo, 0x72, v5
	v_cndmask_b32_e32 v18, 0, v18, vcc_lo
	v_cmp_eq_u32_e32 vcc_lo, 0, v5
	v_cndmask_b32_e32 v16, v87, v16, vcc_lo
	s_delay_alu instid0(VALU_DEP_3) | instskip(NEXT) | instid1(VALU_DEP_1)
	v_cndmask_b32_e64 v86, v18, 0x70, vcc_lo
	v_dual_add_nc_u32 v18, 21, v86 :: v_dual_add_nc_u32 v96, 20, v86
	s_delay_alu instid0(VALU_DEP_1) | instskip(NEXT) | instid1(VALU_DEP_2)
	v_lshlrev_b64_e64 v[18:19], v18, -1
	v_lshlrev_b64_e64 v[96:97], v96, 1
	s_delay_alu instid0(VALU_DEP_2) | instskip(SKIP_1) | instid1(VALU_DEP_4)
	v_bfi_b32 v18, v18, 0, v16
	v_lshrrev_b64 v[16:17], v86, v[16:17]
	v_bfi_b32 v19, v19, 0, 0
	s_delay_alu instid0(VALU_DEP_1) | instskip(NEXT) | instid1(VALU_DEP_3)
	v_cmp_eq_u64_e64 s14, v[18:19], v[96:97]
	v_mov_b64_e32 v[18:19], v[16:17]
	s_and_saveexec_b32 s78, s14
; %bb.15895:                            ;   in Loop: Header=BB4_15177 Depth=3
	v_bfe_u32 v18, v16, 21, 1
	v_mov_b32_e32 v19, v3
	s_delay_alu instid0(VALU_DEP_1) | instskip(NEXT) | instid1(VALU_DEP_1)
	v_add_nc_u64_e32 v[18:19], v[16:17], v[18:19]
	v_add_nc_u64_e32 v[18:19], -1, v[18:19]
; %bb.15896:                            ;   in Loop: Header=BB4_15177 Depth=3
	s_or_b32 exec_lo, exec_lo, s78
	v_add_nc_u32_e32 v5, 0xffffff81, v5
	v_lshrrev_b32_e32 v17, 23, v16
	s_mov_b32 s14, exec_lo
	s_delay_alu instid0(VALU_DEP_2) | instskip(NEXT) | instid1(VALU_DEP_1)
	v_cndmask_b32_e64 v5, v5, 0xffffff82, vcc_lo
	v_add3_u32 v19, v86, v5, v17
	v_and_b32_e32 v5, 0x1fffff, v18
	s_delay_alu instid0(VALU_DEP_2) | instskip(NEXT) | instid1(VALU_DEP_2)
	v_dual_mov_b32 v17, v3 :: v_dual_add_nc_u32 v18, 14, v19
	v_add_nc_u32_e32 v16, v5, v16
                                        ; implicit-def: $vgpr5
	s_delay_alu instid0(VALU_DEP_2)
	v_cmpx_ne_u32_e32 0, v18
	s_xor_b32 s14, exec_lo, s14
; %bb.15897:                            ;   in Loop: Header=BB4_15177 Depth=3
	s_delay_alu instid0(VALU_DEP_2) | instskip(SKIP_1) | instid1(VALU_DEP_1)
	v_cmp_lt_u64_e32 vcc_lo, 0xffffff, v[16:17]
	v_add_nc_u32_e32 v5, 15, v19
	v_cndmask_b32_e32 v5, v18, v5, vcc_lo
	v_cndmask_b32_e64 v18, 0, 1, vcc_lo
	s_delay_alu instid0(VALU_DEP_1)
	v_lshrrev_b64 v[16:17], v18, v[16:17]
; %bb.15898:                            ;   in Loop: Header=BB4_15177 Depth=3
	s_and_not1_saveexec_b32 s14, s14
; %bb.15899:                            ;   in Loop: Header=BB4_15177 Depth=3
	s_delay_alu instid0(VALU_DEP_1)
	v_bfe_u32 v5, v16, 23, 1
; %bb.15900:                            ;   in Loop: Header=BB4_15177 Depth=3
	s_or_b32 exec_lo, exec_lo, s14
	s_delay_alu instid0(VALU_DEP_2) | instskip(NEXT) | instid1(VALU_DEP_2)
	v_lshrrev_b64 v[16:17], 21, v[16:17]
	v_cmp_gt_i32_e32 vcc_lo, 32, v5
	v_min_i32_e32 v18, 31, v5
	v_cmp_eq_u32_e64 s14, 0, v5
	s_delay_alu instid0(VALU_DEP_2) | instskip(SKIP_1) | instid1(VALU_DEP_2)
	v_dual_cndmask_b32 v16, 3, v16, vcc_lo :: v_dual_lshlrev_b32 v18, 2, v18
	v_cndmask_b32_e32 v17, 0, v17, vcc_lo
	v_and_b32_e32 v18, 0xfc, v18
	s_delay_alu instid0(VALU_DEP_2) | instskip(NEXT) | instid1(VALU_DEP_2)
	v_cmp_eq_u64_e32 vcc_lo, 0, v[16:17]
	v_and_or_b32 v5, v16, 3, v18
	s_and_b32 s14, s14, vcc_lo
	s_delay_alu instid0(VALU_DEP_1) | instid1(SALU_CYCLE_1)
	v_cndmask_b32_e64 v5, v5, 0, s14
	s_delay_alu instid0(VALU_DEP_1)
	v_or_b32_e32 v40, v5, v2
.LBB4_15901:                            ;   in Loop: Header=BB4_15177 Depth=3
	s_or_b32 exec_lo, exec_lo, s77
                                        ; implicit-def: $vgpr2
.LBB4_15902:                            ;   in Loop: Header=BB4_15177 Depth=3
	s_and_not1_saveexec_b32 s14, s76
; %bb.15903:                            ;   in Loop: Header=BB4_15177 Depth=3
	v_or_b32_e32 v40, 0x7b, v2
; %bb.15904:                            ;   in Loop: Header=BB4_15177 Depth=3
	s_or_b32 exec_lo, exec_lo, s14
                                        ; implicit-def: $vgpr5
                                        ; implicit-def: $vgpr16_vgpr17
                                        ; implicit-def: $vgpr2
.LBB4_15905:                            ;   in Loop: Header=BB4_15177 Depth=3
	s_and_not1_saveexec_b32 s14, s75
	s_cbranch_execz .LBB4_15911
; %bb.15906:                            ;   in Loop: Header=BB4_15177 Depth=3
	s_mov_b32 s75, exec_lo
                                        ; implicit-def: $vgpr40
	v_cmpx_ne_u64_e32 0, v[16:17]
	s_xor_b32 s75, exec_lo, s75
; %bb.15907:                            ;   in Loop: Header=BB4_15177 Depth=3
	v_or_b32_e32 v40, 0x7f, v2
                                        ; implicit-def: $vgpr5
; %bb.15908:                            ;   in Loop: Header=BB4_15177 Depth=3
	s_and_not1_saveexec_b32 s75, s75
; %bb.15909:                            ;   in Loop: Header=BB4_15177 Depth=3
	v_cmp_lt_i32_e32 vcc_lo, -1, v5
	v_cndmask_b32_e32 v40, 0xfc, v49, vcc_lo
; %bb.15910:                            ;   in Loop: Header=BB4_15177 Depth=3
	s_or_b32 exec_lo, exec_lo, s75
.LBB4_15911:                            ;   in Loop: Header=BB4_15177 Depth=3
	s_delay_alu instid0(SALU_CYCLE_1)
	s_or_b32 exec_lo, exec_lo, s14
	v_mov_b32_e32 v16, 0
	s_mov_b32 s14, exec_lo
	v_cmpx_lt_u32_e32 0xffffff, v4
	s_cbranch_execz .LBB4_15921
; %bb.15912:                            ;   in Loop: Header=BB4_15177 Depth=3
	v_lshrrev_b32_e32 v2, 24, v4
	v_bfrev_b32_e32 v16, 1
	s_mov_b32 s75, exec_lo
	s_delay_alu instid0(VALU_DEP_2)
	v_cmpx_ne_u32_e32 0x80, v2
	s_cbranch_execz .LBB4_15920
; %bb.15913:                            ;   in Loop: Header=BB4_15177 Depth=3
	v_and_b32_e32 v5, 0x7c000000, v4
	v_bfe_u32 v17, v4, 24, 2
	s_mov_b32 s76, exec_lo
                                        ; implicit-def: $vgpr16
	s_delay_alu instid0(VALU_DEP_2)
	v_cmpx_ne_u32_e32 0x7c000000, v5
	s_xor_b32 s76, exec_lo, s76
	s_cbranch_execz .LBB4_15917
; %bb.15914:                            ;   in Loop: Header=BB4_15177 Depth=3
	v_bfe_u32 v5, v4, 26, 5
	s_mov_b32 s77, exec_lo
	s_delay_alu instid0(VALU_DEP_1)
	v_cmpx_eq_u32_e32 0, v5
; %bb.15915:                            ;   in Loop: Header=BB4_15177 Depth=3
	v_clz_i32_u32_e32 v5, v17
	s_delay_alu instid0(VALU_DEP_1) | instskip(NEXT) | instid1(VALU_DEP_1)
	v_min_u32_e32 v5, 32, v5
	v_subrev_nc_u32_e32 v16, 29, v5
	s_delay_alu instid0(VALU_DEP_1) | instskip(NEXT) | instid1(VALU_DEP_1)
	v_lshlrev_b64_e32 v[16:17], v16, v[2:3]
	v_dual_sub_nc_u32 v5, 30, v5 :: v_dual_bitop2_b32 v17, 3, v16 bitop3:0x40
; %bb.15916:                            ;   in Loop: Header=BB4_15177 Depth=3
	s_or_b32 exec_lo, exec_lo, s77
	v_and_b32_e32 v2, 0x80000000, v4
	s_delay_alu instid0(VALU_DEP_1) | instskip(NEXT) | instid1(VALU_DEP_1)
	v_lshl_add_u32 v2, v5, 23, v2
                                        ; implicit-def: $vgpr4_vgpr5
	v_lshl_or_b32 v2, v17, 21, v2
                                        ; implicit-def: $vgpr17
	s_delay_alu instid0(VALU_DEP_1)
	v_add_nc_u32_e32 v16, 0x38000000, v2
.LBB4_15917:                            ;   in Loop: Header=BB4_15177 Depth=3
	s_and_not1_saveexec_b32 s76, s76
; %bb.15918:                            ;   in Loop: Header=BB4_15177 Depth=3
	v_cmp_lt_i32_e32 vcc_lo, -1, v4
	v_cndmask_b32_e32 v2, 0xff800000, v48, vcc_lo
	v_cmp_eq_u32_e32 vcc_lo, 0, v17
	s_delay_alu instid0(VALU_DEP_2)
	v_cndmask_b32_e32 v16, 0x7f800001, v2, vcc_lo
; %bb.15919:                            ;   in Loop: Header=BB4_15177 Depth=3
	s_or_b32 exec_lo, exec_lo, s76
.LBB4_15920:                            ;   in Loop: Header=BB4_15177 Depth=3
	s_delay_alu instid0(SALU_CYCLE_1)
	s_or_b32 exec_lo, exec_lo, s75
.LBB4_15921:                            ;   in Loop: Header=BB4_15177 Depth=3
	s_delay_alu instid0(SALU_CYCLE_1) | instskip(SKIP_3) | instid1(VALU_DEP_2)
	s_or_b32 exec_lo, exec_lo, s14
	v_bfe_u32 v17, v9, 24, 2
	v_bfe_u32 v19, v9, 26, 5
                                        ; implicit-def: $vgpr44
	s_mov_b32 s14, exec_lo
	v_clz_i32_u32_e32 v2, v17
	s_delay_alu instid0(VALU_DEP_2) | instskip(NEXT) | instid1(VALU_DEP_2)
	v_cmp_eq_u32_e32 vcc_lo, 0, v19
	v_min_u32_e32 v18, 32, v2
	v_lshrrev_b32_e32 v2, 24, v9
	s_delay_alu instid0(VALU_DEP_2) | instskip(NEXT) | instid1(VALU_DEP_1)
	v_subrev_nc_u32_e32 v4, 29, v18
	v_lshlrev_b64_e32 v[4:5], v4, v[2:3]
	v_sub_nc_u32_e32 v5, 30, v18
	v_and_b32_e32 v18, 0x80000000, v9
	s_delay_alu instid0(VALU_DEP_2) | instskip(NEXT) | instid1(VALU_DEP_1)
	v_dual_cndmask_b32 v5, v19, v5, vcc_lo :: v_dual_bitop2_b32 v4, 3, v4 bitop3:0x40
	v_lshl_add_u32 v5, v5, 23, v18
	s_delay_alu instid0(VALU_DEP_2) | instskip(SKIP_1) | instid1(VALU_DEP_2)
	v_cndmask_b32_e32 v4, v17, v4, vcc_lo
	v_cmp_lt_i64_e32 vcc_lo, -1, v[8:9]
	v_lshl_or_b32 v4, v4, 21, v5
	v_and_b32_e32 v5, 0x7c000000, v9
	v_cndmask_b32_e32 v18, 0xff800000, v48, vcc_lo
	v_cmp_eq_u32_e32 vcc_lo, 0, v17
	s_delay_alu instid0(VALU_DEP_4) | instskip(NEXT) | instid1(VALU_DEP_3)
	v_add_nc_u32_e32 v4, 0x38000000, v4
	v_cndmask_b32_e32 v17, 0x7f800001, v18, vcc_lo
	v_cmp_eq_u32_e32 vcc_lo, 0x7c000000, v5
	s_delay_alu instid0(VALU_DEP_2) | instskip(SKIP_1) | instid1(VALU_DEP_2)
	v_dual_mov_b32 v5, v3 :: v_dual_cndmask_b32 v4, v4, v17
	v_cmp_ne_u32_e32 vcc_lo, 0x80, v2
	v_dual_mov_b32 v17, v3 :: v_dual_cndmask_b32 v2, 0x80000000, v4
	v_cmp_lt_u64_e32 vcc_lo, s[22:23], v[8:9]
	s_delay_alu instid0(VALU_DEP_2) | instskip(NEXT) | instid1(VALU_DEP_1)
	v_cndmask_b32_e32 v2, 0, v2, vcc_lo
	v_add_f32_e32 v8, v2, v16
	s_delay_alu instid0(VALU_DEP_1) | instskip(SKIP_2) | instid1(VALU_DEP_3)
	v_and_b32_e32 v16, 0x7f800000, v8
	v_and_b32_e32 v4, 0x7fffff, v8
	v_lshrrev_b32_e32 v2, 24, v8
	v_cmpx_ne_u64_e32 0x7f800000, v[16:17]
	s_xor_b32 s75, exec_lo, s14
	s_cbranch_execz .LBB4_15935
; %bb.15922:                            ;   in Loop: Header=BB4_15177 Depth=3
	v_and_b32_e32 v16, 0x7fffffff, v8
	v_mov_b32_e32 v17, v3
	v_and_b32_e32 v2, 0x80, v2
                                        ; implicit-def: $vgpr44
	s_mov_b32 s14, exec_lo
	s_delay_alu instid0(VALU_DEP_2)
	v_cmpx_gt_u64_e32 0x47600001, v[16:17]
	s_xor_b32 s76, exec_lo, s14
	s_cbranch_execz .LBB4_15932
; %bb.15923:                            ;   in Loop: Header=BB4_15177 Depth=3
	v_mov_b32_e32 v44, 0
	s_mov_b32 s77, exec_lo
	v_cmpx_ne_u32_e32 0, v8
	s_cbranch_execz .LBB4_15931
; %bb.15924:                            ;   in Loop: Header=BB4_15177 Depth=3
	v_bfe_u32 v16, v8, 23, 8
	v_or_b32_e32 v18, 0x800000, v4
	s_delay_alu instid0(VALU_DEP_2) | instskip(SKIP_1) | instid1(VALU_DEP_2)
	v_sub_nc_u32_e32 v8, 0x71, v16
	v_cmp_gt_u32_e32 vcc_lo, 0x72, v16
	v_cndmask_b32_e32 v8, 0, v8, vcc_lo
	v_cmp_eq_u32_e32 vcc_lo, 0, v16
	s_delay_alu instid0(VALU_DEP_2) | instskip(NEXT) | instid1(VALU_DEP_1)
	v_cndmask_b32_e64 v17, v8, 0x70, vcc_lo
	v_dual_cndmask_b32 v4, v18, v4, vcc_lo :: v_dual_add_nc_u32 v8, 21, v17
	v_add_nc_u32_e32 v19, 20, v17
	s_delay_alu instid0(VALU_DEP_2) | instskip(NEXT) | instid1(VALU_DEP_2)
	v_lshlrev_b64_e64 v[8:9], v8, -1
	v_lshlrev_b64_e64 v[18:19], v19, 1
	s_delay_alu instid0(VALU_DEP_2) | instskip(SKIP_1) | instid1(VALU_DEP_4)
	v_bfi_b32 v8, v8, 0, v4
	v_lshrrev_b64 v[4:5], v17, v[4:5]
	v_bfi_b32 v9, v9, 0, 0
	s_delay_alu instid0(VALU_DEP_1) | instskip(NEXT) | instid1(VALU_DEP_3)
	v_cmp_eq_u64_e64 s14, v[8:9], v[18:19]
	v_mov_b64_e32 v[8:9], v[4:5]
	s_and_saveexec_b32 s78, s14
; %bb.15925:                            ;   in Loop: Header=BB4_15177 Depth=3
	v_bfe_u32 v8, v4, 21, 1
	v_mov_b32_e32 v9, v3
	s_delay_alu instid0(VALU_DEP_1) | instskip(NEXT) | instid1(VALU_DEP_1)
	v_add_nc_u64_e32 v[8:9], v[4:5], v[8:9]
	v_add_nc_u64_e32 v[8:9], -1, v[8:9]
; %bb.15926:                            ;   in Loop: Header=BB4_15177 Depth=3
	s_or_b32 exec_lo, exec_lo, s78
	v_add_nc_u32_e32 v5, 0xffffff81, v16
	v_lshrrev_b32_e32 v9, 23, v4
	s_mov_b32 s14, exec_lo
	s_delay_alu instid0(VALU_DEP_2) | instskip(NEXT) | instid1(VALU_DEP_1)
	v_cndmask_b32_e64 v5, v5, 0xffffff82, vcc_lo
	v_add3_u32 v9, v17, v5, v9
	v_and_b32_e32 v5, 0x1fffff, v8
                                        ; implicit-def: $vgpr8
	s_delay_alu instid0(VALU_DEP_1) | instskip(SKIP_1) | instid1(VALU_DEP_2)
	v_dual_add_nc_u32 v16, 14, v9 :: v_dual_add_nc_u32 v4, v5, v4
	v_mov_b32_e32 v5, v3
	v_cmpx_ne_u32_e32 0, v16
	s_xor_b32 s14, exec_lo, s14
; %bb.15927:                            ;   in Loop: Header=BB4_15177 Depth=3
	s_delay_alu instid0(VALU_DEP_2) | instskip(SKIP_2) | instid1(VALU_DEP_2)
	v_cmp_lt_u64_e32 vcc_lo, 0xffffff, v[4:5]
	v_add_nc_u32_e32 v8, 15, v9
	v_cndmask_b32_e64 v9, 0, 1, vcc_lo
	v_cndmask_b32_e32 v8, v16, v8, vcc_lo
	s_delay_alu instid0(VALU_DEP_2)
	v_lshrrev_b64 v[4:5], v9, v[4:5]
; %bb.15928:                            ;   in Loop: Header=BB4_15177 Depth=3
	s_and_not1_saveexec_b32 s14, s14
; %bb.15929:                            ;   in Loop: Header=BB4_15177 Depth=3
	s_delay_alu instid0(VALU_DEP_1)
	v_bfe_u32 v8, v4, 23, 1
; %bb.15930:                            ;   in Loop: Header=BB4_15177 Depth=3
	s_or_b32 exec_lo, exec_lo, s14
	s_delay_alu instid0(VALU_DEP_2) | instskip(NEXT) | instid1(VALU_DEP_2)
	v_lshrrev_b64 v[4:5], 21, v[4:5]
	v_cmp_gt_i32_e32 vcc_lo, 32, v8
	v_min_i32_e32 v9, 31, v8
	v_cmp_eq_u32_e64 s14, 0, v8
	s_delay_alu instid0(VALU_DEP_4) | instskip(NEXT) | instid1(VALU_DEP_3)
	v_cndmask_b32_e32 v5, 0, v5, vcc_lo
	v_dual_cndmask_b32 v4, 3, v4 :: v_dual_lshlrev_b32 v9, 2, v9
	s_delay_alu instid0(VALU_DEP_1) | instskip(NEXT) | instid1(VALU_DEP_2)
	v_and_b32_e32 v9, 0xfc, v9
	v_cmp_eq_u64_e32 vcc_lo, 0, v[4:5]
	s_delay_alu instid0(VALU_DEP_2)
	v_and_or_b32 v4, v4, 3, v9
	s_and_b32 s14, s14, vcc_lo
	s_delay_alu instid0(VALU_DEP_1) | instid1(SALU_CYCLE_1)
	v_cndmask_b32_e64 v4, v4, 0, s14
	s_delay_alu instid0(VALU_DEP_1)
	v_or_b32_e32 v44, v4, v2
.LBB4_15931:                            ;   in Loop: Header=BB4_15177 Depth=3
	s_or_b32 exec_lo, exec_lo, s77
                                        ; implicit-def: $vgpr2
.LBB4_15932:                            ;   in Loop: Header=BB4_15177 Depth=3
	s_and_not1_saveexec_b32 s14, s76
; %bb.15933:                            ;   in Loop: Header=BB4_15177 Depth=3
	v_or_b32_e32 v44, 0x7b, v2
; %bb.15934:                            ;   in Loop: Header=BB4_15177 Depth=3
	s_or_b32 exec_lo, exec_lo, s14
                                        ; implicit-def: $vgpr8
                                        ; implicit-def: $vgpr4_vgpr5
                                        ; implicit-def: $vgpr2
.LBB4_15935:                            ;   in Loop: Header=BB4_15177 Depth=3
	s_and_not1_saveexec_b32 s14, s75
	s_cbranch_execz .LBB4_15941
; %bb.15936:                            ;   in Loop: Header=BB4_15177 Depth=3
	s_mov_b32 s75, exec_lo
                                        ; implicit-def: $vgpr44
	v_cmpx_ne_u64_e32 0, v[4:5]
	s_xor_b32 s75, exec_lo, s75
; %bb.15937:                            ;   in Loop: Header=BB4_15177 Depth=3
	v_or_b32_e32 v44, 0x7f, v2
                                        ; implicit-def: $vgpr8
; %bb.15938:                            ;   in Loop: Header=BB4_15177 Depth=3
	s_and_not1_saveexec_b32 s75, s75
; %bb.15939:                            ;   in Loop: Header=BB4_15177 Depth=3
	v_cmp_lt_i32_e32 vcc_lo, -1, v8
	v_cndmask_b32_e32 v44, 0xfc, v49, vcc_lo
; %bb.15940:                            ;   in Loop: Header=BB4_15177 Depth=3
	s_or_b32 exec_lo, exec_lo, s75
.LBB4_15941:                            ;   in Loop: Header=BB4_15177 Depth=3
	s_delay_alu instid0(SALU_CYCLE_1) | instskip(SKIP_4) | instid1(VALU_DEP_2)
	s_or_b32 exec_lo, exec_lo, s14
	v_lshl_or_b32 v2, v116, 8, v101
	v_dual_lshlrev_b32 v4, 16, v119 :: v_dual_lshlrev_b32 v8, 24, v41
	v_mov_b32_e32 v5, v3
	s_mov_b32 s14, exec_lo
	v_or3_b32 v4, v4, v8, v2
	v_mov_b32_e32 v8, 0
	v_cmpx_ne_u32_e32 0, v101
	s_cbranch_execz .LBB4_15951
; %bb.15942:                            ;   in Loop: Header=BB4_15177 Depth=3
	v_bfrev_b32_e32 v8, 1
	s_mov_b32 s75, exec_lo
	v_cmpx_ne_u32_e32 0x80, v101
	s_cbranch_execz .LBB4_15950
; %bb.15943:                            ;   in Loop: Header=BB4_15177 Depth=3
	v_and_b32_e32 v8, 0x7c, v101
	v_and_b32_e32 v9, 3, v101
	s_delay_alu instid0(VALU_DEP_2) | instskip(SKIP_1) | instid1(SALU_CYCLE_1)
	v_cmp_ne_u32_e32 vcc_lo, 0x7c, v8
                                        ; implicit-def: $vgpr8
	s_and_saveexec_b32 s76, vcc_lo
	s_xor_b32 s76, exec_lo, s76
	s_cbranch_execz .LBB4_15947
; %bb.15944:                            ;   in Loop: Header=BB4_15177 Depth=3
	v_bfe_u32 v8, v101, 2, 5
	s_mov_b32 s77, exec_lo
	s_delay_alu instid0(VALU_DEP_1)
	v_cmpx_eq_u32_e32 0, v8
; %bb.15945:                            ;   in Loop: Header=BB4_15177 Depth=3
	v_clz_i32_u32_e32 v8, v9
	s_delay_alu instid0(VALU_DEP_1) | instskip(NEXT) | instid1(VALU_DEP_1)
	v_min_u32_e32 v8, 32, v8
	v_subrev_nc_u32_e32 v9, 29, v8
	v_sub_nc_u32_e32 v8, 30, v8
	s_delay_alu instid0(VALU_DEP_2) | instskip(NEXT) | instid1(VALU_DEP_1)
	v_lshlrev_b64_e32 v[16:17], v9, v[4:5]
	v_and_b32_e32 v9, 3, v16
; %bb.15946:                            ;   in Loop: Header=BB4_15177 Depth=3
	s_or_b32 exec_lo, exec_lo, s77
	v_lshlrev_b32_e32 v5, 24, v101
                                        ; implicit-def: $vgpr101
	s_delay_alu instid0(VALU_DEP_1) | instskip(NEXT) | instid1(VALU_DEP_1)
	v_and_b32_e32 v5, 0x80000000, v5
	v_lshl_add_u32 v5, v8, 23, v5
	s_delay_alu instid0(VALU_DEP_1) | instskip(NEXT) | instid1(VALU_DEP_1)
	v_lshl_or_b32 v5, v9, 21, v5
                                        ; implicit-def: $vgpr9
	v_add_nc_u32_e32 v8, 0x38000000, v5
.LBB4_15947:                            ;   in Loop: Header=BB4_15177 Depth=3
	s_and_not1_saveexec_b32 s76, s76
; %bb.15948:                            ;   in Loop: Header=BB4_15177 Depth=3
	v_and_b32_e32 v5, 0x80, v101
	s_delay_alu instid0(VALU_DEP_1) | instskip(SKIP_2) | instid1(VALU_DEP_2)
	v_cmp_eq_u32_e32 vcc_lo, 0, v5
	v_cndmask_b32_e32 v5, 0xff800000, v48, vcc_lo
	v_cmp_eq_u32_e32 vcc_lo, 0, v9
	v_cndmask_b32_e32 v8, 0x7f800001, v5, vcc_lo
; %bb.15949:                            ;   in Loop: Header=BB4_15177 Depth=3
	s_or_b32 exec_lo, exec_lo, s76
.LBB4_15950:                            ;   in Loop: Header=BB4_15177 Depth=3
	s_delay_alu instid0(SALU_CYCLE_1)
	s_or_b32 exec_lo, exec_lo, s75
.LBB4_15951:                            ;   in Loop: Header=BB4_15177 Depth=3
	s_delay_alu instid0(SALU_CYCLE_1) | instskip(SKIP_3) | instid1(VALU_DEP_1)
	s_or_b32 exec_lo, exec_lo, s14
	v_and_b32_e32 v9, 0xff, v10
	s_mov_b32 s75, 0
	s_mov_b32 s14, exec_lo
	v_cmpx_lt_i16_e32 0x7f, v9
	s_xor_b32 s14, exec_lo, s14
	s_cbranch_execz .LBB4_16228
; %bb.15952:                            ;   in Loop: Header=BB4_15177 Depth=3
	s_mov_b32 s75, -1
	s_mov_b32 s76, exec_lo
	v_cmpx_eq_u16_e32 0x80, v9
; %bb.15953:                            ;   in Loop: Header=BB4_15177 Depth=3
	s_xor_b32 s75, exec_lo, -1
; %bb.15954:                            ;   in Loop: Header=BB4_15177 Depth=3
	s_or_b32 exec_lo, exec_lo, s76
	s_delay_alu instid0(SALU_CYCLE_1)
	s_and_b32 s75, s75, exec_lo
                                        ; implicit-def: $vgpr9
	s_or_saveexec_b32 s14, s14
	v_bfrev_b32_e32 v5, 1
	s_xor_b32 exec_lo, exec_lo, s14
	s_cbranch_execnz .LBB4_16229
.LBB4_15955:                            ;   in Loop: Header=BB4_15177 Depth=3
	s_or_b32 exec_lo, exec_lo, s14
	s_and_saveexec_b32 s14, s75
	s_cbranch_execz .LBB4_15957
.LBB4_15956:                            ;   in Loop: Header=BB4_15177 Depth=3
	v_and_b32_e32 v5, 3, v10
	v_bfe_u32 v18, v10, 2, 5
	s_delay_alu instid0(VALU_DEP_2) | instskip(NEXT) | instid1(VALU_DEP_2)
	v_clz_i32_u32_e32 v9, v5
	v_cmp_eq_u32_e32 vcc_lo, 0, v18
	s_delay_alu instid0(VALU_DEP_2) | instskip(NEXT) | instid1(VALU_DEP_1)
	v_min_u32_e32 v9, 32, v9
	v_subrev_nc_u32_e32 v16, 29, v9
	s_delay_alu instid0(VALU_DEP_1) | instskip(SKIP_1) | instid1(VALU_DEP_1)
	v_lshlrev_b64_e32 v[16:17], v16, v[10:11]
	v_dual_lshlrev_b32 v17, 24, v10 :: v_dual_sub_nc_u32 v9, 30, v9
	v_and_b32_e32 v17, 0x80000000, v17
	s_delay_alu instid0(VALU_DEP_2) | instskip(SKIP_1) | instid1(VALU_DEP_2)
	v_dual_cndmask_b32 v9, v18, v9, vcc_lo :: v_dual_bitop2_b32 v16, 3, v16 bitop3:0x40
	v_bfe_i32 v18, v10, 0, 8
	v_cndmask_b32_e32 v16, v5, v16, vcc_lo
	s_delay_alu instid0(VALU_DEP_3) | instskip(NEXT) | instid1(VALU_DEP_3)
	v_lshl_add_u32 v9, v9, 23, v17
	v_cmp_lt_i16_e32 vcc_lo, -1, v18
	s_delay_alu instid0(VALU_DEP_2) | instskip(SKIP_3) | instid1(VALU_DEP_4)
	v_lshl_or_b32 v9, v16, 21, v9
	v_cndmask_b32_e32 v17, 0xff800000, v48, vcc_lo
	v_and_b32_e32 v16, 0x7c, v10
	v_cmp_eq_u32_e32 vcc_lo, 0, v5
	v_add_nc_u32_e32 v9, 0x38000000, v9
	s_delay_alu instid0(VALU_DEP_4) | instskip(NEXT) | instid1(VALU_DEP_4)
	v_cndmask_b32_e32 v5, 0x7f800001, v17, vcc_lo
	v_cmp_eq_u32_e32 vcc_lo, 0x7c, v16
	s_delay_alu instid0(VALU_DEP_2)
	v_cndmask_b32_e32 v5, v9, v5, vcc_lo
.LBB4_15957:                            ;   in Loop: Header=BB4_15177 Depth=3
	s_or_b32 exec_lo, exec_lo, s14
	s_delay_alu instid0(VALU_DEP_1) | instskip(SKIP_2) | instid1(VALU_DEP_2)
	v_dual_add_f32 v16, v8, v5 :: v_dual_mov_b32 v19, v3
	v_mov_b32_e32 v9, v3
                                        ; implicit-def: $vgpr101
	s_mov_b32 s14, exec_lo
	v_and_b32_e32 v18, 0x7f800000, v16
	v_and_b32_e32 v8, 0x7fffff, v16
	v_lshrrev_b32_e32 v5, 24, v16
	s_delay_alu instid0(VALU_DEP_3)
	v_cmpx_ne_u64_e32 0x7f800000, v[18:19]
	s_xor_b32 s75, exec_lo, s14
	s_cbranch_execz .LBB4_15971
; %bb.15958:                            ;   in Loop: Header=BB4_15177 Depth=3
	v_and_b32_e32 v18, 0x7fffffff, v16
	v_mov_b32_e32 v19, v3
	v_and_b32_e32 v5, 0x80, v5
                                        ; implicit-def: $vgpr101
	s_mov_b32 s14, exec_lo
	s_delay_alu instid0(VALU_DEP_2)
	v_cmpx_gt_u64_e32 0x47600001, v[18:19]
	s_xor_b32 s76, exec_lo, s14
	s_cbranch_execz .LBB4_15968
; %bb.15959:                            ;   in Loop: Header=BB4_15177 Depth=3
	v_mov_b32_e32 v101, 0
	s_mov_b32 s77, exec_lo
	v_cmpx_ne_u32_e32 0, v16
	s_cbranch_execz .LBB4_15967
; %bb.15960:                            ;   in Loop: Header=BB4_15177 Depth=3
	v_bfe_u32 v18, v16, 23, 8
	v_or_b32_e32 v86, 0x800000, v8
	s_delay_alu instid0(VALU_DEP_2) | instskip(SKIP_1) | instid1(VALU_DEP_2)
	v_sub_nc_u32_e32 v16, 0x71, v18
	v_cmp_gt_u32_e32 vcc_lo, 0x72, v18
	v_cndmask_b32_e32 v16, 0, v16, vcc_lo
	v_cmp_eq_u32_e32 vcc_lo, 0, v18
	s_delay_alu instid0(VALU_DEP_2) | instskip(NEXT) | instid1(VALU_DEP_1)
	v_cndmask_b32_e64 v19, v16, 0x70, vcc_lo
	v_dual_cndmask_b32 v8, v86, v8, vcc_lo :: v_dual_add_nc_u32 v16, 21, v19
	v_add_nc_u32_e32 v87, 20, v19
	s_delay_alu instid0(VALU_DEP_2) | instskip(NEXT) | instid1(VALU_DEP_2)
	v_lshlrev_b64_e64 v[16:17], v16, -1
	v_lshlrev_b64_e64 v[86:87], v87, 1
	s_delay_alu instid0(VALU_DEP_2) | instskip(SKIP_1) | instid1(VALU_DEP_4)
	v_bfi_b32 v16, v16, 0, v8
	v_lshrrev_b64 v[8:9], v19, v[8:9]
	v_bfi_b32 v17, v17, 0, 0
	s_delay_alu instid0(VALU_DEP_1) | instskip(NEXT) | instid1(VALU_DEP_3)
	v_cmp_eq_u64_e64 s14, v[16:17], v[86:87]
	v_mov_b64_e32 v[16:17], v[8:9]
	s_and_saveexec_b32 s78, s14
; %bb.15961:                            ;   in Loop: Header=BB4_15177 Depth=3
	v_bfe_u32 v16, v8, 21, 1
	v_mov_b32_e32 v17, v3
	s_delay_alu instid0(VALU_DEP_1) | instskip(NEXT) | instid1(VALU_DEP_1)
	v_add_nc_u64_e32 v[16:17], v[8:9], v[16:17]
	v_add_nc_u64_e32 v[16:17], -1, v[16:17]
; %bb.15962:                            ;   in Loop: Header=BB4_15177 Depth=3
	s_or_b32 exec_lo, exec_lo, s78
	v_add_nc_u32_e32 v9, 0xffffff81, v18
	v_lshrrev_b32_e32 v17, 23, v8
	s_mov_b32 s14, exec_lo
	s_delay_alu instid0(VALU_DEP_2) | instskip(NEXT) | instid1(VALU_DEP_1)
	v_cndmask_b32_e64 v9, v9, 0xffffff82, vcc_lo
	v_add3_u32 v17, v19, v9, v17
	v_and_b32_e32 v9, 0x1fffff, v16
                                        ; implicit-def: $vgpr16
	s_delay_alu instid0(VALU_DEP_1) | instskip(SKIP_1) | instid1(VALU_DEP_2)
	v_dual_add_nc_u32 v18, 14, v17 :: v_dual_add_nc_u32 v8, v9, v8
	v_mov_b32_e32 v9, v3
	v_cmpx_ne_u32_e32 0, v18
	s_xor_b32 s14, exec_lo, s14
; %bb.15963:                            ;   in Loop: Header=BB4_15177 Depth=3
	s_delay_alu instid0(VALU_DEP_2) | instskip(SKIP_2) | instid1(VALU_DEP_2)
	v_cmp_lt_u64_e32 vcc_lo, 0xffffff, v[8:9]
	v_add_nc_u32_e32 v16, 15, v17
	v_cndmask_b32_e64 v17, 0, 1, vcc_lo
	v_cndmask_b32_e32 v16, v18, v16, vcc_lo
	s_delay_alu instid0(VALU_DEP_2)
	v_lshrrev_b64 v[8:9], v17, v[8:9]
; %bb.15964:                            ;   in Loop: Header=BB4_15177 Depth=3
	s_and_not1_saveexec_b32 s14, s14
; %bb.15965:                            ;   in Loop: Header=BB4_15177 Depth=3
	s_delay_alu instid0(VALU_DEP_1)
	v_bfe_u32 v16, v8, 23, 1
; %bb.15966:                            ;   in Loop: Header=BB4_15177 Depth=3
	s_or_b32 exec_lo, exec_lo, s14
	s_delay_alu instid0(VALU_DEP_2) | instskip(NEXT) | instid1(VALU_DEP_2)
	v_lshrrev_b64 v[8:9], 21, v[8:9]
	v_cmp_gt_i32_e32 vcc_lo, 32, v16
	v_min_i32_e32 v17, 31, v16
	v_cmp_eq_u32_e64 s14, 0, v16
	s_delay_alu instid0(VALU_DEP_4) | instskip(NEXT) | instid1(VALU_DEP_3)
	v_cndmask_b32_e32 v9, 0, v9, vcc_lo
	v_dual_cndmask_b32 v8, 3, v8 :: v_dual_lshlrev_b32 v17, 2, v17
	s_delay_alu instid0(VALU_DEP_1) | instskip(NEXT) | instid1(VALU_DEP_2)
	v_and_b32_e32 v17, 0xfc, v17
	v_cmp_eq_u64_e32 vcc_lo, 0, v[8:9]
	s_delay_alu instid0(VALU_DEP_2)
	v_and_or_b32 v8, v8, 3, v17
	s_and_b32 s14, s14, vcc_lo
	s_delay_alu instid0(VALU_DEP_1) | instid1(SALU_CYCLE_1)
	v_cndmask_b32_e64 v8, v8, 0, s14
	s_delay_alu instid0(VALU_DEP_1)
	v_or_b32_e32 v101, v8, v5
.LBB4_15967:                            ;   in Loop: Header=BB4_15177 Depth=3
	s_or_b32 exec_lo, exec_lo, s77
                                        ; implicit-def: $vgpr5
.LBB4_15968:                            ;   in Loop: Header=BB4_15177 Depth=3
	s_and_not1_saveexec_b32 s14, s76
; %bb.15969:                            ;   in Loop: Header=BB4_15177 Depth=3
	v_or_b32_e32 v101, 0x7b, v5
; %bb.15970:                            ;   in Loop: Header=BB4_15177 Depth=3
	s_or_b32 exec_lo, exec_lo, s14
                                        ; implicit-def: $vgpr16
                                        ; implicit-def: $vgpr8_vgpr9
                                        ; implicit-def: $vgpr5
.LBB4_15971:                            ;   in Loop: Header=BB4_15177 Depth=3
	s_and_not1_saveexec_b32 s14, s75
	s_cbranch_execz .LBB4_15977
; %bb.15972:                            ;   in Loop: Header=BB4_15177 Depth=3
	s_mov_b32 s75, exec_lo
                                        ; implicit-def: $vgpr101
	v_cmpx_ne_u64_e32 0, v[8:9]
	s_xor_b32 s75, exec_lo, s75
; %bb.15973:                            ;   in Loop: Header=BB4_15177 Depth=3
	v_or_b32_e32 v101, 0x7f, v5
                                        ; implicit-def: $vgpr16
; %bb.15974:                            ;   in Loop: Header=BB4_15177 Depth=3
	s_and_not1_saveexec_b32 s75, s75
; %bb.15975:                            ;   in Loop: Header=BB4_15177 Depth=3
	v_cmp_lt_i32_e32 vcc_lo, -1, v16
	v_cndmask_b32_e32 v101, 0xfc, v49, vcc_lo
; %bb.15976:                            ;   in Loop: Header=BB4_15177 Depth=3
	s_or_b32 exec_lo, exec_lo, s75
.LBB4_15977:                            ;   in Loop: Header=BB4_15177 Depth=3
	s_delay_alu instid0(SALU_CYCLE_1) | instskip(SKIP_3) | instid1(VALU_DEP_2)
	s_or_b32 exec_lo, exec_lo, s14
	v_lshrrev_b16 v8, 8, v2
	v_mov_b32_e32 v5, 0
	s_mov_b32 s14, exec_lo
	v_cmpx_ne_u16_e32 0, v8
	s_cbranch_execz .LBB4_15987
; %bb.15978:                            ;   in Loop: Header=BB4_15177 Depth=3
	v_bfrev_b32_e32 v5, 1
	s_mov_b32 s75, exec_lo
	v_cmpx_ne_u16_e32 0x80, v8
	s_cbranch_execz .LBB4_15986
; %bb.15979:                            ;   in Loop: Header=BB4_15177 Depth=3
	v_and_b32_e32 v16, 0xffff, v8
	s_delay_alu instid0(VALU_DEP_1) | instskip(SKIP_1) | instid1(VALU_DEP_2)
	v_and_b32_e32 v5, 0x7c, v16
	v_and_b32_e32 v9, 3, v16
	v_cmp_ne_u32_e32 vcc_lo, 0x7c, v5
                                        ; implicit-def: $vgpr5
	s_and_saveexec_b32 s76, vcc_lo
	s_delay_alu instid0(SALU_CYCLE_1)
	s_xor_b32 s76, exec_lo, s76
	s_cbranch_execz .LBB4_15983
; %bb.15980:                            ;   in Loop: Header=BB4_15177 Depth=3
	v_bfe_u32 v5, v16, 2, 5
	s_mov_b32 s77, exec_lo
	s_delay_alu instid0(VALU_DEP_1)
	v_cmpx_eq_u32_e32 0, v5
	s_cbranch_execz .LBB4_15982
; %bb.15981:                            ;   in Loop: Header=BB4_15177 Depth=3
	v_clz_i32_u32_e32 v5, v9
	s_delay_alu instid0(VALU_DEP_1) | instskip(SKIP_1) | instid1(VALU_DEP_2)
	v_min_u32_e32 v5, 32, v5
	v_mov_b32_e32 v9, v3
	v_subrev_nc_u32_e32 v16, 29, v5
	v_sub_nc_u32_e32 v5, 30, v5
	s_delay_alu instid0(VALU_DEP_2) | instskip(NEXT) | instid1(VALU_DEP_1)
	v_lshlrev_b64_e32 v[8:9], v16, v[8:9]
	v_and_b32_e32 v9, 3, v8
.LBB4_15982:                            ;   in Loop: Header=BB4_15177 Depth=3
	s_or_b32 exec_lo, exec_lo, s77
	v_lshlrev_b32_e32 v2, 16, v2
	s_delay_alu instid0(VALU_DEP_1) | instskip(NEXT) | instid1(VALU_DEP_1)
	v_and_b32_e32 v2, 0x80000000, v2
	v_lshl_add_u32 v2, v5, 23, v2
	s_delay_alu instid0(VALU_DEP_1) | instskip(NEXT) | instid1(VALU_DEP_1)
	v_lshl_or_b32 v2, v9, 21, v2
                                        ; implicit-def: $vgpr9
	v_add_nc_u32_e32 v5, 0x38000000, v2
                                        ; implicit-def: $vgpr2
.LBB4_15983:                            ;   in Loop: Header=BB4_15177 Depth=3
	s_and_not1_saveexec_b32 s76, s76
; %bb.15984:                            ;   in Loop: Header=BB4_15177 Depth=3
	v_cmp_lt_i16_e32 vcc_lo, -1, v2
	v_cndmask_b32_e32 v2, 0xff800000, v48, vcc_lo
	v_cmp_eq_u32_e32 vcc_lo, 0, v9
	s_delay_alu instid0(VALU_DEP_2)
	v_cndmask_b32_e32 v5, 0x7f800001, v2, vcc_lo
; %bb.15985:                            ;   in Loop: Header=BB4_15177 Depth=3
	s_or_b32 exec_lo, exec_lo, s76
.LBB4_15986:                            ;   in Loop: Header=BB4_15177 Depth=3
	s_delay_alu instid0(SALU_CYCLE_1)
	s_or_b32 exec_lo, exec_lo, s75
.LBB4_15987:                            ;   in Loop: Header=BB4_15177 Depth=3
	s_delay_alu instid0(SALU_CYCLE_1) | instskip(SKIP_3) | instid1(VALU_DEP_1)
	s_or_b32 exec_lo, exec_lo, s14
	v_lshrrev_b16 v8, 8, v10
	s_mov_b32 s75, 0
	s_mov_b32 s14, exec_lo
	v_cmpx_lt_i16_e32 0x7f, v8
	s_xor_b32 s14, exec_lo, s14
	s_cbranch_execz .LBB4_16230
; %bb.15988:                            ;   in Loop: Header=BB4_15177 Depth=3
	s_mov_b32 s75, -1
	s_mov_b32 s76, exec_lo
	v_cmpx_eq_u16_e32 0x80, v8
; %bb.15989:                            ;   in Loop: Header=BB4_15177 Depth=3
	s_xor_b32 s75, exec_lo, -1
; %bb.15990:                            ;   in Loop: Header=BB4_15177 Depth=3
	s_or_b32 exec_lo, exec_lo, s76
	s_delay_alu instid0(SALU_CYCLE_1)
	s_and_b32 s75, s75, exec_lo
	s_or_saveexec_b32 s14, s14
	v_bfrev_b32_e32 v2, 1
	s_xor_b32 exec_lo, exec_lo, s14
	s_cbranch_execnz .LBB4_16231
.LBB4_15991:                            ;   in Loop: Header=BB4_15177 Depth=3
	s_or_b32 exec_lo, exec_lo, s14
	s_and_saveexec_b32 s14, s75
	s_cbranch_execz .LBB4_15993
.LBB4_15992:                            ;   in Loop: Header=BB4_15177 Depth=3
	v_and_b32_e32 v2, 0xffff, v8
	s_delay_alu instid0(VALU_DEP_1) | instskip(NEXT) | instid1(VALU_DEP_1)
	v_and_b32_e32 v18, 3, v2
	v_clz_i32_u32_e32 v9, v18
	s_delay_alu instid0(VALU_DEP_1) | instskip(SKIP_1) | instid1(VALU_DEP_2)
	v_min_u32_e32 v19, 32, v9
	v_mov_b32_e32 v9, v3
	v_subrev_nc_u32_e32 v16, 29, v19
	s_delay_alu instid0(VALU_DEP_1) | instskip(SKIP_3) | instid1(VALU_DEP_3)
	v_lshlrev_b64_e32 v[16:17], v16, v[8:9]
	v_bfe_u32 v9, v2, 2, 5
	v_dual_lshlrev_b32 v8, 24, v8 :: v_dual_sub_nc_u32 v17, 30, v19
	v_and_b32_e32 v2, 0x7c, v2
	v_cmp_eq_u32_e32 vcc_lo, 0, v9
	s_delay_alu instid0(VALU_DEP_3) | instskip(NEXT) | instid1(VALU_DEP_4)
	v_and_b32_e32 v8, 0x80000000, v8
	v_dual_cndmask_b32 v9, v9, v17, vcc_lo :: v_dual_bitop2_b32 v16, 3, v16 bitop3:0x40
	s_delay_alu instid0(VALU_DEP_1) | instskip(SKIP_1) | instid1(VALU_DEP_3)
	v_cndmask_b32_e32 v16, v18, v16, vcc_lo
	v_cmp_lt_i16_e32 vcc_lo, -1, v10
	v_lshl_add_u32 v8, v9, 23, v8
	v_cndmask_b32_e32 v9, 0xff800000, v48, vcc_lo
	v_cmp_eq_u32_e32 vcc_lo, 0, v18
	s_delay_alu instid0(VALU_DEP_3) | instskip(NEXT) | instid1(VALU_DEP_3)
	v_lshl_or_b32 v8, v16, 21, v8
	v_cndmask_b32_e32 v9, 0x7f800001, v9, vcc_lo
	s_delay_alu instid0(VALU_DEP_2) | instskip(SKIP_1) | instid1(VALU_DEP_2)
	v_add_nc_u32_e32 v8, 0x38000000, v8
	v_cmp_eq_u32_e32 vcc_lo, 0x7c, v2
	v_cndmask_b32_e32 v2, v8, v9, vcc_lo
.LBB4_15993:                            ;   in Loop: Header=BB4_15177 Depth=3
	s_or_b32 exec_lo, exec_lo, s14
	s_delay_alu instid0(VALU_DEP_1) | instskip(SKIP_2) | instid1(VALU_DEP_2)
	v_dual_add_f32 v5, v5, v2 :: v_dual_mov_b32 v17, v3
	v_mov_b32_e32 v9, v3
                                        ; implicit-def: $vgpr116
	s_mov_b32 s14, exec_lo
	v_and_b32_e32 v16, 0x7f800000, v5
	v_and_b32_e32 v8, 0x7fffff, v5
	v_lshrrev_b32_e32 v2, 24, v5
	s_delay_alu instid0(VALU_DEP_3)
	v_cmpx_ne_u64_e32 0x7f800000, v[16:17]
	s_xor_b32 s75, exec_lo, s14
	s_cbranch_execz .LBB4_16007
; %bb.15994:                            ;   in Loop: Header=BB4_15177 Depth=3
	v_and_b32_e32 v16, 0x7fffffff, v5
	v_mov_b32_e32 v17, v3
	v_and_b32_e32 v2, 0x80, v2
                                        ; implicit-def: $vgpr116
	s_mov_b32 s14, exec_lo
	s_delay_alu instid0(VALU_DEP_2)
	v_cmpx_gt_u64_e32 0x47600001, v[16:17]
	s_xor_b32 s76, exec_lo, s14
	s_cbranch_execz .LBB4_16004
; %bb.15995:                            ;   in Loop: Header=BB4_15177 Depth=3
	v_mov_b32_e32 v116, 0
	s_mov_b32 s77, exec_lo
	v_cmpx_ne_u32_e32 0, v5
	s_cbranch_execz .LBB4_16003
; %bb.15996:                            ;   in Loop: Header=BB4_15177 Depth=3
	v_bfe_u32 v5, v5, 23, 8
	v_or_b32_e32 v19, 0x800000, v8
	s_delay_alu instid0(VALU_DEP_2) | instskip(SKIP_1) | instid1(VALU_DEP_2)
	v_sub_nc_u32_e32 v16, 0x71, v5
	v_cmp_gt_u32_e32 vcc_lo, 0x72, v5
	v_cndmask_b32_e32 v16, 0, v16, vcc_lo
	v_cmp_eq_u32_e32 vcc_lo, 0, v5
	s_delay_alu instid0(VALU_DEP_2) | instskip(NEXT) | instid1(VALU_DEP_1)
	v_cndmask_b32_e64 v18, v16, 0x70, vcc_lo
	v_dual_cndmask_b32 v8, v19, v8, vcc_lo :: v_dual_add_nc_u32 v16, 21, v18
	v_add_nc_u32_e32 v86, 20, v18
	s_delay_alu instid0(VALU_DEP_2) | instskip(NEXT) | instid1(VALU_DEP_2)
	v_lshlrev_b64_e64 v[16:17], v16, -1
	v_lshlrev_b64_e64 v[86:87], v86, 1
	s_delay_alu instid0(VALU_DEP_2) | instskip(SKIP_1) | instid1(VALU_DEP_4)
	v_bfi_b32 v16, v16, 0, v8
	v_lshrrev_b64 v[8:9], v18, v[8:9]
	v_bfi_b32 v17, v17, 0, 0
	s_delay_alu instid0(VALU_DEP_1) | instskip(NEXT) | instid1(VALU_DEP_3)
	v_cmp_eq_u64_e64 s14, v[16:17], v[86:87]
	v_mov_b64_e32 v[16:17], v[8:9]
	s_and_saveexec_b32 s78, s14
; %bb.15997:                            ;   in Loop: Header=BB4_15177 Depth=3
	v_bfe_u32 v16, v8, 21, 1
	v_mov_b32_e32 v17, v3
	s_delay_alu instid0(VALU_DEP_1) | instskip(NEXT) | instid1(VALU_DEP_1)
	v_add_nc_u64_e32 v[16:17], v[8:9], v[16:17]
	v_add_nc_u64_e32 v[16:17], -1, v[16:17]
; %bb.15998:                            ;   in Loop: Header=BB4_15177 Depth=3
	s_or_b32 exec_lo, exec_lo, s78
	v_add_nc_u32_e32 v5, 0xffffff81, v5
	v_lshrrev_b32_e32 v9, 23, v8
	s_mov_b32 s14, exec_lo
	s_delay_alu instid0(VALU_DEP_2) | instskip(NEXT) | instid1(VALU_DEP_1)
	v_cndmask_b32_e64 v5, v5, 0xffffff82, vcc_lo
	v_add3_u32 v17, v18, v5, v9
	v_and_b32_e32 v5, 0x1fffff, v16
	s_delay_alu instid0(VALU_DEP_2) | instskip(NEXT) | instid1(VALU_DEP_2)
	v_dual_mov_b32 v9, v3 :: v_dual_add_nc_u32 v16, 14, v17
	v_add_nc_u32_e32 v8, v5, v8
                                        ; implicit-def: $vgpr5
	s_delay_alu instid0(VALU_DEP_2)
	v_cmpx_ne_u32_e32 0, v16
	s_xor_b32 s14, exec_lo, s14
; %bb.15999:                            ;   in Loop: Header=BB4_15177 Depth=3
	s_delay_alu instid0(VALU_DEP_2) | instskip(SKIP_1) | instid1(VALU_DEP_1)
	v_cmp_lt_u64_e32 vcc_lo, 0xffffff, v[8:9]
	v_add_nc_u32_e32 v5, 15, v17
	v_cndmask_b32_e32 v5, v16, v5, vcc_lo
	v_cndmask_b32_e64 v16, 0, 1, vcc_lo
	s_delay_alu instid0(VALU_DEP_1)
	v_lshrrev_b64 v[8:9], v16, v[8:9]
; %bb.16000:                            ;   in Loop: Header=BB4_15177 Depth=3
	s_and_not1_saveexec_b32 s14, s14
; %bb.16001:                            ;   in Loop: Header=BB4_15177 Depth=3
	s_delay_alu instid0(VALU_DEP_1)
	v_bfe_u32 v5, v8, 23, 1
; %bb.16002:                            ;   in Loop: Header=BB4_15177 Depth=3
	s_or_b32 exec_lo, exec_lo, s14
	s_delay_alu instid0(VALU_DEP_2) | instskip(NEXT) | instid1(VALU_DEP_2)
	v_lshrrev_b64 v[8:9], 21, v[8:9]
	v_cmp_gt_i32_e32 vcc_lo, 32, v5
	v_min_i32_e32 v16, 31, v5
	v_cmp_eq_u32_e64 s14, 0, v5
	s_delay_alu instid0(VALU_DEP_4) | instskip(NEXT) | instid1(VALU_DEP_3)
	v_cndmask_b32_e32 v8, 3, v8, vcc_lo
	v_dual_cndmask_b32 v9, 0, v9 :: v_dual_lshlrev_b32 v16, 2, v16
	s_delay_alu instid0(VALU_DEP_1) | instskip(NEXT) | instid1(VALU_DEP_2)
	v_and_b32_e32 v16, 0xfc, v16
	v_cmp_eq_u64_e32 vcc_lo, 0, v[8:9]
	s_delay_alu instid0(VALU_DEP_2)
	v_and_or_b32 v5, v8, 3, v16
	s_and_b32 s14, s14, vcc_lo
	s_delay_alu instid0(VALU_DEP_1) | instid1(SALU_CYCLE_1)
	v_cndmask_b32_e64 v5, v5, 0, s14
	s_delay_alu instid0(VALU_DEP_1)
	v_or_b32_e32 v116, v5, v2
.LBB4_16003:                            ;   in Loop: Header=BB4_15177 Depth=3
	s_or_b32 exec_lo, exec_lo, s77
                                        ; implicit-def: $vgpr2
.LBB4_16004:                            ;   in Loop: Header=BB4_15177 Depth=3
	s_and_not1_saveexec_b32 s14, s76
; %bb.16005:                            ;   in Loop: Header=BB4_15177 Depth=3
	v_or_b32_e32 v116, 0x7b, v2
; %bb.16006:                            ;   in Loop: Header=BB4_15177 Depth=3
	s_or_b32 exec_lo, exec_lo, s14
                                        ; implicit-def: $vgpr5
                                        ; implicit-def: $vgpr8_vgpr9
                                        ; implicit-def: $vgpr2
.LBB4_16007:                            ;   in Loop: Header=BB4_15177 Depth=3
	s_and_not1_saveexec_b32 s14, s75
	s_cbranch_execz .LBB4_16013
; %bb.16008:                            ;   in Loop: Header=BB4_15177 Depth=3
	s_mov_b32 s75, exec_lo
                                        ; implicit-def: $vgpr116
	v_cmpx_ne_u64_e32 0, v[8:9]
	s_xor_b32 s75, exec_lo, s75
; %bb.16009:                            ;   in Loop: Header=BB4_15177 Depth=3
	v_or_b32_e32 v116, 0x7f, v2
                                        ; implicit-def: $vgpr5
; %bb.16010:                            ;   in Loop: Header=BB4_15177 Depth=3
	s_and_not1_saveexec_b32 s75, s75
; %bb.16011:                            ;   in Loop: Header=BB4_15177 Depth=3
	v_cmp_lt_i32_e32 vcc_lo, -1, v5
	v_cndmask_b32_e32 v116, 0xfc, v49, vcc_lo
; %bb.16012:                            ;   in Loop: Header=BB4_15177 Depth=3
	s_or_b32 exec_lo, exec_lo, s75
.LBB4_16013:                            ;   in Loop: Header=BB4_15177 Depth=3
	s_delay_alu instid0(SALU_CYCLE_1) | instskip(SKIP_2) | instid1(VALU_DEP_1)
	s_or_b32 exec_lo, exec_lo, s14
	v_dual_mov_b32 v5, 0 :: v_dual_lshrrev_b32 v2, 16, v4
	s_mov_b32 s14, exec_lo
	v_and_b32_e32 v8, 0xff, v2
	s_delay_alu instid0(VALU_DEP_1)
	v_cmpx_ne_u16_e32 0, v8
	s_cbranch_execz .LBB4_16023
; %bb.16014:                            ;   in Loop: Header=BB4_15177 Depth=3
	v_bfrev_b32_e32 v5, 1
	s_mov_b32 s75, exec_lo
	v_cmpx_ne_u16_e32 0x80, v8
	s_cbranch_execz .LBB4_16022
; %bb.16015:                            ;   in Loop: Header=BB4_15177 Depth=3
	v_and_b32_e32 v5, 0x7c0000, v4
	v_bfe_u32 v8, v4, 16, 2
	s_delay_alu instid0(VALU_DEP_2) | instskip(SKIP_1) | instid1(SALU_CYCLE_1)
	v_cmp_ne_u32_e32 vcc_lo, 0x7c0000, v5
                                        ; implicit-def: $vgpr5
	s_and_saveexec_b32 s76, vcc_lo
	s_xor_b32 s76, exec_lo, s76
	s_cbranch_execz .LBB4_16019
; %bb.16016:                            ;   in Loop: Header=BB4_15177 Depth=3
	v_bfe_u32 v5, v4, 18, 5
	s_mov_b32 s77, exec_lo
	s_delay_alu instid0(VALU_DEP_1)
	v_cmpx_eq_u32_e32 0, v5
; %bb.16017:                            ;   in Loop: Header=BB4_15177 Depth=3
	v_clz_i32_u32_e32 v5, v8
	s_delay_alu instid0(VALU_DEP_1) | instskip(NEXT) | instid1(VALU_DEP_1)
	v_min_u32_e32 v5, 32, v5
	v_subrev_nc_u32_e32 v8, 29, v5
	s_delay_alu instid0(VALU_DEP_1) | instskip(NEXT) | instid1(VALU_DEP_1)
	v_lshlrev_b64_e32 v[8:9], v8, v[2:3]
	v_dual_sub_nc_u32 v5, 30, v5 :: v_dual_bitop2_b32 v8, 3, v8 bitop3:0x40
; %bb.16018:                            ;   in Loop: Header=BB4_15177 Depth=3
	s_or_b32 exec_lo, exec_lo, s77
	v_lshlrev_b32_e32 v2, 24, v2
	s_delay_alu instid0(VALU_DEP_1) | instskip(NEXT) | instid1(VALU_DEP_1)
	v_and_b32_e32 v2, 0x80000000, v2
	v_lshl_add_u32 v2, v5, 23, v2
	s_delay_alu instid0(VALU_DEP_1) | instskip(NEXT) | instid1(VALU_DEP_1)
	v_lshl_or_b32 v2, v8, 21, v2
                                        ; implicit-def: $vgpr8
	v_add_nc_u32_e32 v5, 0x38000000, v2
                                        ; implicit-def: $vgpr2
.LBB4_16019:                            ;   in Loop: Header=BB4_15177 Depth=3
	s_and_not1_saveexec_b32 s76, s76
; %bb.16020:                            ;   in Loop: Header=BB4_15177 Depth=3
	v_bfe_i32 v2, v2, 0, 8
	s_delay_alu instid0(VALU_DEP_1) | instskip(SKIP_2) | instid1(VALU_DEP_2)
	v_cmp_lt_i16_e32 vcc_lo, -1, v2
	v_cndmask_b32_e32 v2, 0xff800000, v48, vcc_lo
	v_cmp_eq_u32_e32 vcc_lo, 0, v8
	v_cndmask_b32_e32 v5, 0x7f800001, v2, vcc_lo
; %bb.16021:                            ;   in Loop: Header=BB4_15177 Depth=3
	s_or_b32 exec_lo, exec_lo, s76
.LBB4_16022:                            ;   in Loop: Header=BB4_15177 Depth=3
	s_delay_alu instid0(SALU_CYCLE_1)
	s_or_b32 exec_lo, exec_lo, s75
.LBB4_16023:                            ;   in Loop: Header=BB4_15177 Depth=3
	s_delay_alu instid0(SALU_CYCLE_1) | instskip(SKIP_3) | instid1(VALU_DEP_1)
	s_or_b32 exec_lo, exec_lo, s14
	v_lshrrev_b32_e32 v2, 16, v10
	s_mov_b32 s75, 0
	s_mov_b32 s14, exec_lo
	v_and_b32_e32 v9, 0xff, v2
	s_delay_alu instid0(VALU_DEP_1)
	v_cmpx_lt_i16_e32 0x7f, v9
	s_xor_b32 s14, exec_lo, s14
	s_cbranch_execz .LBB4_16232
; %bb.16024:                            ;   in Loop: Header=BB4_15177 Depth=3
	s_mov_b32 s75, -1
	s_mov_b32 s76, exec_lo
	v_cmpx_eq_u16_e32 0x80, v9
; %bb.16025:                            ;   in Loop: Header=BB4_15177 Depth=3
	s_xor_b32 s75, exec_lo, -1
; %bb.16026:                            ;   in Loop: Header=BB4_15177 Depth=3
	s_or_b32 exec_lo, exec_lo, s76
	s_delay_alu instid0(SALU_CYCLE_1)
	s_and_b32 s75, s75, exec_lo
                                        ; implicit-def: $vgpr9
	s_or_saveexec_b32 s14, s14
	v_bfrev_b32_e32 v8, 1
	s_xor_b32 exec_lo, exec_lo, s14
	s_cbranch_execnz .LBB4_16233
.LBB4_16027:                            ;   in Loop: Header=BB4_15177 Depth=3
	s_or_b32 exec_lo, exec_lo, s14
	s_and_saveexec_b32 s14, s75
	s_cbranch_execz .LBB4_16029
.LBB4_16028:                            ;   in Loop: Header=BB4_15177 Depth=3
	v_and_b32_e32 v16, 3, v2
	v_bfe_u32 v18, v10, 18, 5
	s_delay_alu instid0(VALU_DEP_2) | instskip(NEXT) | instid1(VALU_DEP_2)
	v_clz_i32_u32_e32 v8, v16
	v_cmp_eq_u32_e32 vcc_lo, 0, v18
	s_delay_alu instid0(VALU_DEP_2) | instskip(NEXT) | instid1(VALU_DEP_1)
	v_min_u32_e32 v17, 32, v8
	v_subrev_nc_u32_e32 v8, 29, v17
	s_delay_alu instid0(VALU_DEP_1) | instskip(SKIP_2) | instid1(VALU_DEP_2)
	v_lshlrev_b64_e32 v[8:9], v8, v[2:3]
	v_dual_lshlrev_b32 v9, 24, v2 :: v_dual_sub_nc_u32 v17, 30, v17
	v_bfe_i32 v2, v2, 0, 8
	v_and_b32_e32 v9, 0x80000000, v9
	s_delay_alu instid0(VALU_DEP_3) | instskip(NEXT) | instid1(VALU_DEP_1)
	v_dual_cndmask_b32 v17, v18, v17, vcc_lo :: v_dual_bitop2_b32 v8, 3, v8 bitop3:0x40
	v_cndmask_b32_e32 v8, v16, v8, vcc_lo
	s_delay_alu instid0(VALU_DEP_2) | instskip(SKIP_1) | instid1(VALU_DEP_2)
	v_lshl_add_u32 v9, v17, 23, v9
	v_cmp_lt_i16_e32 vcc_lo, -1, v2
	v_lshl_or_b32 v8, v8, 21, v9
	v_cndmask_b32_e32 v2, 0xff800000, v48, vcc_lo
	v_and_b32_e32 v9, 0x7c0000, v10
	v_cmp_eq_u32_e32 vcc_lo, 0, v16
	s_delay_alu instid0(VALU_DEP_4) | instskip(NEXT) | instid1(VALU_DEP_4)
	v_add_nc_u32_e32 v8, 0x38000000, v8
	v_cndmask_b32_e32 v2, 0x7f800001, v2, vcc_lo
	s_delay_alu instid0(VALU_DEP_4) | instskip(NEXT) | instid1(VALU_DEP_2)
	v_cmp_eq_u32_e32 vcc_lo, 0x7c0000, v9
	v_cndmask_b32_e32 v8, v8, v2, vcc_lo
.LBB4_16029:                            ;   in Loop: Header=BB4_15177 Depth=3
	s_or_b32 exec_lo, exec_lo, s14
	s_delay_alu instid0(VALU_DEP_1) | instskip(SKIP_2) | instid1(VALU_DEP_2)
	v_dual_add_f32 v5, v5, v8 :: v_dual_mov_b32 v17, v3
	v_mov_b32_e32 v9, v3
                                        ; implicit-def: $vgpr119
	s_mov_b32 s14, exec_lo
	v_and_b32_e32 v16, 0x7f800000, v5
	v_and_b32_e32 v8, 0x7fffff, v5
	v_lshrrev_b32_e32 v2, 24, v5
	s_delay_alu instid0(VALU_DEP_3)
	v_cmpx_ne_u64_e32 0x7f800000, v[16:17]
	s_xor_b32 s75, exec_lo, s14
	s_cbranch_execz .LBB4_16043
; %bb.16030:                            ;   in Loop: Header=BB4_15177 Depth=3
	v_and_b32_e32 v16, 0x7fffffff, v5
	v_mov_b32_e32 v17, v3
	v_and_b32_e32 v2, 0x80, v2
                                        ; implicit-def: $vgpr119
	s_mov_b32 s14, exec_lo
	s_delay_alu instid0(VALU_DEP_2)
	v_cmpx_gt_u64_e32 0x47600001, v[16:17]
	s_xor_b32 s76, exec_lo, s14
	s_cbranch_execz .LBB4_16040
; %bb.16031:                            ;   in Loop: Header=BB4_15177 Depth=3
	v_mov_b32_e32 v119, 0
	s_mov_b32 s77, exec_lo
	v_cmpx_ne_u32_e32 0, v5
	s_cbranch_execz .LBB4_16039
; %bb.16032:                            ;   in Loop: Header=BB4_15177 Depth=3
	v_bfe_u32 v5, v5, 23, 8
	v_or_b32_e32 v19, 0x800000, v8
	s_delay_alu instid0(VALU_DEP_2) | instskip(SKIP_1) | instid1(VALU_DEP_2)
	v_sub_nc_u32_e32 v16, 0x71, v5
	v_cmp_gt_u32_e32 vcc_lo, 0x72, v5
	v_cndmask_b32_e32 v16, 0, v16, vcc_lo
	v_cmp_eq_u32_e32 vcc_lo, 0, v5
	s_delay_alu instid0(VALU_DEP_2) | instskip(NEXT) | instid1(VALU_DEP_1)
	v_cndmask_b32_e64 v18, v16, 0x70, vcc_lo
	v_dual_cndmask_b32 v8, v19, v8, vcc_lo :: v_dual_add_nc_u32 v16, 21, v18
	v_add_nc_u32_e32 v86, 20, v18
	s_delay_alu instid0(VALU_DEP_2) | instskip(NEXT) | instid1(VALU_DEP_2)
	v_lshlrev_b64_e64 v[16:17], v16, -1
	v_lshlrev_b64_e64 v[86:87], v86, 1
	s_delay_alu instid0(VALU_DEP_2) | instskip(SKIP_1) | instid1(VALU_DEP_4)
	v_bfi_b32 v16, v16, 0, v8
	v_lshrrev_b64 v[8:9], v18, v[8:9]
	v_bfi_b32 v17, v17, 0, 0
	s_delay_alu instid0(VALU_DEP_1) | instskip(NEXT) | instid1(VALU_DEP_3)
	v_cmp_eq_u64_e64 s14, v[16:17], v[86:87]
	v_mov_b64_e32 v[16:17], v[8:9]
	s_and_saveexec_b32 s78, s14
; %bb.16033:                            ;   in Loop: Header=BB4_15177 Depth=3
	v_bfe_u32 v16, v8, 21, 1
	v_mov_b32_e32 v17, v3
	s_delay_alu instid0(VALU_DEP_1) | instskip(NEXT) | instid1(VALU_DEP_1)
	v_add_nc_u64_e32 v[16:17], v[8:9], v[16:17]
	v_add_nc_u64_e32 v[16:17], -1, v[16:17]
; %bb.16034:                            ;   in Loop: Header=BB4_15177 Depth=3
	s_or_b32 exec_lo, exec_lo, s78
	v_add_nc_u32_e32 v5, 0xffffff81, v5
	v_lshrrev_b32_e32 v9, 23, v8
	s_mov_b32 s14, exec_lo
	s_delay_alu instid0(VALU_DEP_2) | instskip(NEXT) | instid1(VALU_DEP_1)
	v_cndmask_b32_e64 v5, v5, 0xffffff82, vcc_lo
	v_add3_u32 v17, v18, v5, v9
	v_and_b32_e32 v5, 0x1fffff, v16
	s_delay_alu instid0(VALU_DEP_2) | instskip(NEXT) | instid1(VALU_DEP_2)
	v_dual_mov_b32 v9, v3 :: v_dual_add_nc_u32 v16, 14, v17
	v_add_nc_u32_e32 v8, v5, v8
                                        ; implicit-def: $vgpr5
	s_delay_alu instid0(VALU_DEP_2)
	v_cmpx_ne_u32_e32 0, v16
	s_xor_b32 s14, exec_lo, s14
; %bb.16035:                            ;   in Loop: Header=BB4_15177 Depth=3
	s_delay_alu instid0(VALU_DEP_2) | instskip(SKIP_1) | instid1(VALU_DEP_1)
	v_cmp_lt_u64_e32 vcc_lo, 0xffffff, v[8:9]
	v_add_nc_u32_e32 v5, 15, v17
	v_cndmask_b32_e32 v5, v16, v5, vcc_lo
	v_cndmask_b32_e64 v16, 0, 1, vcc_lo
	s_delay_alu instid0(VALU_DEP_1)
	v_lshrrev_b64 v[8:9], v16, v[8:9]
; %bb.16036:                            ;   in Loop: Header=BB4_15177 Depth=3
	s_and_not1_saveexec_b32 s14, s14
; %bb.16037:                            ;   in Loop: Header=BB4_15177 Depth=3
	s_delay_alu instid0(VALU_DEP_1)
	v_bfe_u32 v5, v8, 23, 1
; %bb.16038:                            ;   in Loop: Header=BB4_15177 Depth=3
	s_or_b32 exec_lo, exec_lo, s14
	s_delay_alu instid0(VALU_DEP_2) | instskip(NEXT) | instid1(VALU_DEP_2)
	v_lshrrev_b64 v[8:9], 21, v[8:9]
	v_cmp_gt_i32_e32 vcc_lo, 32, v5
	v_min_i32_e32 v16, 31, v5
	v_cmp_eq_u32_e64 s14, 0, v5
	s_delay_alu instid0(VALU_DEP_4) | instskip(NEXT) | instid1(VALU_DEP_3)
	v_cndmask_b32_e32 v8, 3, v8, vcc_lo
	v_dual_cndmask_b32 v9, 0, v9 :: v_dual_lshlrev_b32 v16, 2, v16
	s_delay_alu instid0(VALU_DEP_1) | instskip(NEXT) | instid1(VALU_DEP_2)
	v_and_b32_e32 v16, 0xfc, v16
	v_cmp_eq_u64_e32 vcc_lo, 0, v[8:9]
	s_delay_alu instid0(VALU_DEP_2)
	v_and_or_b32 v5, v8, 3, v16
	s_and_b32 s14, s14, vcc_lo
	s_delay_alu instid0(VALU_DEP_1) | instid1(SALU_CYCLE_1)
	v_cndmask_b32_e64 v5, v5, 0, s14
	s_delay_alu instid0(VALU_DEP_1)
	v_or_b32_e32 v119, v5, v2
.LBB4_16039:                            ;   in Loop: Header=BB4_15177 Depth=3
	s_or_b32 exec_lo, exec_lo, s77
                                        ; implicit-def: $vgpr2
.LBB4_16040:                            ;   in Loop: Header=BB4_15177 Depth=3
	s_and_not1_saveexec_b32 s14, s76
; %bb.16041:                            ;   in Loop: Header=BB4_15177 Depth=3
	v_or_b32_e32 v119, 0x7b, v2
; %bb.16042:                            ;   in Loop: Header=BB4_15177 Depth=3
	s_or_b32 exec_lo, exec_lo, s14
                                        ; implicit-def: $vgpr5
                                        ; implicit-def: $vgpr8_vgpr9
                                        ; implicit-def: $vgpr2
.LBB4_16043:                            ;   in Loop: Header=BB4_15177 Depth=3
	s_and_not1_saveexec_b32 s14, s75
	s_cbranch_execz .LBB4_16049
; %bb.16044:                            ;   in Loop: Header=BB4_15177 Depth=3
	s_mov_b32 s75, exec_lo
                                        ; implicit-def: $vgpr119
	v_cmpx_ne_u64_e32 0, v[8:9]
	s_xor_b32 s75, exec_lo, s75
; %bb.16045:                            ;   in Loop: Header=BB4_15177 Depth=3
	v_or_b32_e32 v119, 0x7f, v2
                                        ; implicit-def: $vgpr5
; %bb.16046:                            ;   in Loop: Header=BB4_15177 Depth=3
	s_and_not1_saveexec_b32 s75, s75
; %bb.16047:                            ;   in Loop: Header=BB4_15177 Depth=3
	v_cmp_lt_i32_e32 vcc_lo, -1, v5
	v_cndmask_b32_e32 v119, 0xfc, v49, vcc_lo
; %bb.16048:                            ;   in Loop: Header=BB4_15177 Depth=3
	s_or_b32 exec_lo, exec_lo, s75
.LBB4_16049:                            ;   in Loop: Header=BB4_15177 Depth=3
	s_delay_alu instid0(SALU_CYCLE_1)
	s_or_b32 exec_lo, exec_lo, s14
	v_mov_b32_e32 v8, 0
	s_mov_b32 s14, exec_lo
	v_cmpx_lt_u32_e32 0xffffff, v4
	s_cbranch_execz .LBB4_16059
; %bb.16050:                            ;   in Loop: Header=BB4_15177 Depth=3
	v_lshrrev_b32_e32 v2, 24, v4
	v_bfrev_b32_e32 v8, 1
	s_mov_b32 s75, exec_lo
	s_delay_alu instid0(VALU_DEP_2)
	v_cmpx_ne_u32_e32 0x80, v2
	s_cbranch_execz .LBB4_16058
; %bb.16051:                            ;   in Loop: Header=BB4_15177 Depth=3
	v_and_b32_e32 v5, 0x7c000000, v4
	v_bfe_u32 v9, v4, 24, 2
	s_mov_b32 s76, exec_lo
                                        ; implicit-def: $vgpr8
	s_delay_alu instid0(VALU_DEP_2)
	v_cmpx_ne_u32_e32 0x7c000000, v5
	s_xor_b32 s76, exec_lo, s76
	s_cbranch_execz .LBB4_16055
; %bb.16052:                            ;   in Loop: Header=BB4_15177 Depth=3
	v_bfe_u32 v5, v4, 26, 5
	s_mov_b32 s77, exec_lo
	s_delay_alu instid0(VALU_DEP_1)
	v_cmpx_eq_u32_e32 0, v5
; %bb.16053:                            ;   in Loop: Header=BB4_15177 Depth=3
	v_clz_i32_u32_e32 v5, v9
	s_delay_alu instid0(VALU_DEP_1) | instskip(NEXT) | instid1(VALU_DEP_1)
	v_min_u32_e32 v5, 32, v5
	v_subrev_nc_u32_e32 v8, 29, v5
	s_delay_alu instid0(VALU_DEP_1) | instskip(NEXT) | instid1(VALU_DEP_1)
	v_lshlrev_b64_e32 v[8:9], v8, v[2:3]
	v_dual_sub_nc_u32 v5, 30, v5 :: v_dual_bitop2_b32 v9, 3, v8 bitop3:0x40
; %bb.16054:                            ;   in Loop: Header=BB4_15177 Depth=3
	s_or_b32 exec_lo, exec_lo, s77
	v_and_b32_e32 v2, 0x80000000, v4
	s_delay_alu instid0(VALU_DEP_1) | instskip(NEXT) | instid1(VALU_DEP_1)
	v_lshl_add_u32 v2, v5, 23, v2
                                        ; implicit-def: $vgpr4_vgpr5
	v_lshl_or_b32 v2, v9, 21, v2
                                        ; implicit-def: $vgpr9
	s_delay_alu instid0(VALU_DEP_1)
	v_add_nc_u32_e32 v8, 0x38000000, v2
.LBB4_16055:                            ;   in Loop: Header=BB4_15177 Depth=3
	s_and_not1_saveexec_b32 s76, s76
; %bb.16056:                            ;   in Loop: Header=BB4_15177 Depth=3
	v_cmp_lt_i32_e32 vcc_lo, -1, v4
	v_cndmask_b32_e32 v2, 0xff800000, v48, vcc_lo
	v_cmp_eq_u32_e32 vcc_lo, 0, v9
	s_delay_alu instid0(VALU_DEP_2)
	v_cndmask_b32_e32 v8, 0x7f800001, v2, vcc_lo
; %bb.16057:                            ;   in Loop: Header=BB4_15177 Depth=3
	s_or_b32 exec_lo, exec_lo, s76
.LBB4_16058:                            ;   in Loop: Header=BB4_15177 Depth=3
	s_delay_alu instid0(SALU_CYCLE_1)
	s_or_b32 exec_lo, exec_lo, s75
.LBB4_16059:                            ;   in Loop: Header=BB4_15177 Depth=3
	s_delay_alu instid0(SALU_CYCLE_1) | instskip(SKIP_3) | instid1(VALU_DEP_2)
	s_or_b32 exec_lo, exec_lo, s14
	v_bfe_u32 v9, v10, 24, 2
	v_bfe_u32 v17, v10, 26, 5
                                        ; implicit-def: $vgpr41
	s_mov_b32 s14, exec_lo
	v_clz_i32_u32_e32 v2, v9
	s_delay_alu instid0(VALU_DEP_2) | instskip(NEXT) | instid1(VALU_DEP_2)
	v_cmp_eq_u32_e32 vcc_lo, 0, v17
	v_min_u32_e32 v16, 32, v2
	v_lshrrev_b32_e32 v2, 24, v10
	s_delay_alu instid0(VALU_DEP_2) | instskip(NEXT) | instid1(VALU_DEP_1)
	v_subrev_nc_u32_e32 v4, 29, v16
	v_lshlrev_b64_e32 v[4:5], v4, v[2:3]
	v_sub_nc_u32_e32 v5, 30, v16
	v_and_b32_e32 v16, 0x80000000, v10
	s_delay_alu instid0(VALU_DEP_2) | instskip(SKIP_1) | instid1(VALU_DEP_2)
	v_dual_cndmask_b32 v5, v17, v5, vcc_lo :: v_dual_bitop2_b32 v4, 3, v4 bitop3:0x40
	v_mov_b32_e32 v17, v3
	v_lshl_add_u32 v5, v5, 23, v16
	s_delay_alu instid0(VALU_DEP_3) | instskip(SKIP_1) | instid1(VALU_DEP_2)
	v_cndmask_b32_e32 v4, v9, v4, vcc_lo
	v_cmp_lt_i32_e32 vcc_lo, -1, v10
	v_lshl_or_b32 v4, v4, 21, v5
	v_cndmask_b32_e32 v16, 0xff800000, v48, vcc_lo
	v_and_b32_e32 v5, 0x7c000000, v10
	v_cmp_eq_u32_e32 vcc_lo, 0, v9
	s_delay_alu instid0(VALU_DEP_4) | instskip(NEXT) | instid1(VALU_DEP_4)
	v_add_nc_u32_e32 v4, 0x38000000, v4
	v_cndmask_b32_e32 v9, 0x7f800001, v16, vcc_lo
	s_delay_alu instid0(VALU_DEP_4) | instskip(NEXT) | instid1(VALU_DEP_2)
	v_cmp_eq_u32_e32 vcc_lo, 0x7c000000, v5
	v_dual_mov_b32 v5, v3 :: v_dual_cndmask_b32 v4, v4, v9
	v_cmp_ne_u32_e32 vcc_lo, 0x80, v2
	s_delay_alu instid0(VALU_DEP_2) | instskip(SKIP_1) | instid1(VALU_DEP_2)
	v_cndmask_b32_e32 v2, 0x80000000, v4, vcc_lo
	v_cmp_lt_u32_e32 vcc_lo, 0xffffff, v10
	v_cndmask_b32_e32 v2, 0, v2, vcc_lo
	s_delay_alu instid0(VALU_DEP_1) | instskip(NEXT) | instid1(VALU_DEP_1)
	v_add_f32_e32 v8, v2, v8
	v_and_b32_e32 v16, 0x7f800000, v8
	v_and_b32_e32 v4, 0x7fffff, v8
	v_lshrrev_b32_e32 v2, 24, v8
	s_delay_alu instid0(VALU_DEP_3)
	v_cmpx_ne_u64_e32 0x7f800000, v[16:17]
	s_xor_b32 s75, exec_lo, s14
	s_cbranch_execz .LBB4_16073
; %bb.16060:                            ;   in Loop: Header=BB4_15177 Depth=3
	v_and_b32_e32 v16, 0x7fffffff, v8
	v_mov_b32_e32 v17, v3
	v_and_b32_e32 v2, 0x80, v2
                                        ; implicit-def: $vgpr41
	s_mov_b32 s14, exec_lo
	s_delay_alu instid0(VALU_DEP_2)
	v_cmpx_gt_u64_e32 0x47600001, v[16:17]
	s_xor_b32 s76, exec_lo, s14
	s_cbranch_execz .LBB4_16070
; %bb.16061:                            ;   in Loop: Header=BB4_15177 Depth=3
	v_mov_b32_e32 v41, 0
	s_mov_b32 s77, exec_lo
	v_cmpx_ne_u32_e32 0, v8
	s_cbranch_execz .LBB4_16069
; %bb.16062:                            ;   in Loop: Header=BB4_15177 Depth=3
	v_bfe_u32 v16, v8, 23, 8
	v_or_b32_e32 v18, 0x800000, v4
	s_delay_alu instid0(VALU_DEP_2) | instskip(SKIP_1) | instid1(VALU_DEP_2)
	v_sub_nc_u32_e32 v8, 0x71, v16
	v_cmp_gt_u32_e32 vcc_lo, 0x72, v16
	v_cndmask_b32_e32 v8, 0, v8, vcc_lo
	v_cmp_eq_u32_e32 vcc_lo, 0, v16
	s_delay_alu instid0(VALU_DEP_2) | instskip(NEXT) | instid1(VALU_DEP_1)
	v_cndmask_b32_e64 v17, v8, 0x70, vcc_lo
	v_dual_cndmask_b32 v4, v18, v4, vcc_lo :: v_dual_add_nc_u32 v8, 21, v17
	v_add_nc_u32_e32 v19, 20, v17
	s_delay_alu instid0(VALU_DEP_2) | instskip(NEXT) | instid1(VALU_DEP_2)
	v_lshlrev_b64_e64 v[8:9], v8, -1
	v_lshlrev_b64_e64 v[18:19], v19, 1
	s_delay_alu instid0(VALU_DEP_2) | instskip(SKIP_1) | instid1(VALU_DEP_4)
	v_bfi_b32 v8, v8, 0, v4
	v_lshrrev_b64 v[4:5], v17, v[4:5]
	v_bfi_b32 v9, v9, 0, 0
	s_delay_alu instid0(VALU_DEP_1) | instskip(NEXT) | instid1(VALU_DEP_3)
	v_cmp_eq_u64_e64 s14, v[8:9], v[18:19]
	v_mov_b64_e32 v[8:9], v[4:5]
	s_and_saveexec_b32 s78, s14
; %bb.16063:                            ;   in Loop: Header=BB4_15177 Depth=3
	v_bfe_u32 v8, v4, 21, 1
	v_mov_b32_e32 v9, v3
	s_delay_alu instid0(VALU_DEP_1) | instskip(NEXT) | instid1(VALU_DEP_1)
	v_add_nc_u64_e32 v[8:9], v[4:5], v[8:9]
	v_add_nc_u64_e32 v[8:9], -1, v[8:9]
; %bb.16064:                            ;   in Loop: Header=BB4_15177 Depth=3
	s_or_b32 exec_lo, exec_lo, s78
	v_add_nc_u32_e32 v5, 0xffffff81, v16
	v_lshrrev_b32_e32 v9, 23, v4
	s_mov_b32 s14, exec_lo
	s_delay_alu instid0(VALU_DEP_2) | instskip(NEXT) | instid1(VALU_DEP_1)
	v_cndmask_b32_e64 v5, v5, 0xffffff82, vcc_lo
	v_add3_u32 v9, v17, v5, v9
	v_and_b32_e32 v5, 0x1fffff, v8
                                        ; implicit-def: $vgpr8
	s_delay_alu instid0(VALU_DEP_1) | instskip(SKIP_1) | instid1(VALU_DEP_2)
	v_dual_add_nc_u32 v16, 14, v9 :: v_dual_add_nc_u32 v4, v5, v4
	v_mov_b32_e32 v5, v3
	v_cmpx_ne_u32_e32 0, v16
	s_xor_b32 s14, exec_lo, s14
; %bb.16065:                            ;   in Loop: Header=BB4_15177 Depth=3
	s_delay_alu instid0(VALU_DEP_2) | instskip(SKIP_2) | instid1(VALU_DEP_2)
	v_cmp_lt_u64_e32 vcc_lo, 0xffffff, v[4:5]
	v_add_nc_u32_e32 v8, 15, v9
	v_cndmask_b32_e64 v9, 0, 1, vcc_lo
	v_cndmask_b32_e32 v8, v16, v8, vcc_lo
	s_delay_alu instid0(VALU_DEP_2)
	v_lshrrev_b64 v[4:5], v9, v[4:5]
; %bb.16066:                            ;   in Loop: Header=BB4_15177 Depth=3
	s_and_not1_saveexec_b32 s14, s14
; %bb.16067:                            ;   in Loop: Header=BB4_15177 Depth=3
	s_delay_alu instid0(VALU_DEP_1)
	v_bfe_u32 v8, v4, 23, 1
; %bb.16068:                            ;   in Loop: Header=BB4_15177 Depth=3
	s_or_b32 exec_lo, exec_lo, s14
	s_delay_alu instid0(VALU_DEP_2) | instskip(NEXT) | instid1(VALU_DEP_2)
	v_lshrrev_b64 v[4:5], 21, v[4:5]
	v_cmp_gt_i32_e32 vcc_lo, 32, v8
	v_min_i32_e32 v9, 31, v8
	v_cmp_eq_u32_e64 s14, 0, v8
	s_delay_alu instid0(VALU_DEP_4) | instskip(NEXT) | instid1(VALU_DEP_3)
	v_cndmask_b32_e32 v5, 0, v5, vcc_lo
	v_dual_cndmask_b32 v4, 3, v4 :: v_dual_lshlrev_b32 v9, 2, v9
	s_delay_alu instid0(VALU_DEP_1) | instskip(NEXT) | instid1(VALU_DEP_2)
	v_and_b32_e32 v9, 0xfc, v9
	v_cmp_eq_u64_e32 vcc_lo, 0, v[4:5]
	s_delay_alu instid0(VALU_DEP_2)
	v_and_or_b32 v4, v4, 3, v9
	s_and_b32 s14, s14, vcc_lo
	s_delay_alu instid0(VALU_DEP_1) | instid1(SALU_CYCLE_1)
	v_cndmask_b32_e64 v4, v4, 0, s14
	s_delay_alu instid0(VALU_DEP_1)
	v_or_b32_e32 v41, v4, v2
.LBB4_16069:                            ;   in Loop: Header=BB4_15177 Depth=3
	s_or_b32 exec_lo, exec_lo, s77
                                        ; implicit-def: $vgpr2
.LBB4_16070:                            ;   in Loop: Header=BB4_15177 Depth=3
	s_and_not1_saveexec_b32 s14, s76
; %bb.16071:                            ;   in Loop: Header=BB4_15177 Depth=3
	v_or_b32_e32 v41, 0x7b, v2
; %bb.16072:                            ;   in Loop: Header=BB4_15177 Depth=3
	s_or_b32 exec_lo, exec_lo, s14
                                        ; implicit-def: $vgpr8
                                        ; implicit-def: $vgpr4_vgpr5
                                        ; implicit-def: $vgpr2
.LBB4_16073:                            ;   in Loop: Header=BB4_15177 Depth=3
	s_and_not1_saveexec_b32 s14, s75
	s_cbranch_execz .LBB4_16079
; %bb.16074:                            ;   in Loop: Header=BB4_15177 Depth=3
	s_mov_b32 s75, exec_lo
                                        ; implicit-def: $vgpr41
	v_cmpx_ne_u64_e32 0, v[4:5]
	s_xor_b32 s75, exec_lo, s75
; %bb.16075:                            ;   in Loop: Header=BB4_15177 Depth=3
	v_or_b32_e32 v41, 0x7f, v2
                                        ; implicit-def: $vgpr8
; %bb.16076:                            ;   in Loop: Header=BB4_15177 Depth=3
	s_and_not1_saveexec_b32 s75, s75
; %bb.16077:                            ;   in Loop: Header=BB4_15177 Depth=3
	v_cmp_lt_i32_e32 vcc_lo, -1, v8
	v_cndmask_b32_e32 v41, 0xfc, v49, vcc_lo
; %bb.16078:                            ;   in Loop: Header=BB4_15177 Depth=3
	s_or_b32 exec_lo, exec_lo, s75
.LBB4_16079:                            ;   in Loop: Header=BB4_15177 Depth=3
	s_delay_alu instid0(SALU_CYCLE_1) | instskip(SKIP_4) | instid1(VALU_DEP_2)
	s_or_b32 exec_lo, exec_lo, s14
	v_dual_lshlrev_b32 v4, 24, v118 :: v_dual_lshlrev_b32 v8, 16, v115
	v_lshl_or_b32 v2, v103, 8, v67
	v_dual_mov_b32 v5, v3 :: v_dual_mov_b32 v16, 0
	s_mov_b32 s14, exec_lo
	v_or3_b32 v4, v8, v4, v2
	v_cmpx_ne_u32_e32 0, v67
	s_cbranch_execz .LBB4_16089
; %bb.16080:                            ;   in Loop: Header=BB4_15177 Depth=3
	v_bfrev_b32_e32 v16, 1
	s_mov_b32 s75, exec_lo
	v_cmpx_ne_u32_e32 0x80, v67
	s_cbranch_execz .LBB4_16088
; %bb.16081:                            ;   in Loop: Header=BB4_15177 Depth=3
	v_and_b32_e32 v9, 0x7c, v67
	v_and_b32_e32 v8, 3, v67
	s_mov_b32 s76, exec_lo
                                        ; implicit-def: $vgpr16
	s_delay_alu instid0(VALU_DEP_2)
	v_cmpx_ne_u32_e32 0x7c, v9
	s_xor_b32 s76, exec_lo, s76
	s_cbranch_execz .LBB4_16085
; %bb.16082:                            ;   in Loop: Header=BB4_15177 Depth=3
	v_bfe_u32 v9, v67, 2, 5
	s_mov_b32 s77, exec_lo
	s_delay_alu instid0(VALU_DEP_1)
	v_cmpx_eq_u32_e32 0, v9
; %bb.16083:                            ;   in Loop: Header=BB4_15177 Depth=3
	v_clz_i32_u32_e32 v8, v8
	s_delay_alu instid0(VALU_DEP_1) | instskip(NEXT) | instid1(VALU_DEP_1)
	v_min_u32_e32 v16, 32, v8
	v_subrev_nc_u32_e32 v8, 29, v16
	s_delay_alu instid0(VALU_DEP_1) | instskip(SKIP_1) | instid1(VALU_DEP_2)
	v_lshlrev_b64_e32 v[8:9], v8, v[4:5]
	v_sub_nc_u32_e32 v9, 30, v16
	v_and_b32_e32 v8, 3, v8
; %bb.16084:                            ;   in Loop: Header=BB4_15177 Depth=3
	s_or_b32 exec_lo, exec_lo, s77
	v_lshlrev_b32_e32 v5, 24, v67
                                        ; implicit-def: $vgpr67
	s_delay_alu instid0(VALU_DEP_1) | instskip(NEXT) | instid1(VALU_DEP_1)
	v_and_b32_e32 v5, 0x80000000, v5
	v_lshl_add_u32 v5, v9, 23, v5
	s_delay_alu instid0(VALU_DEP_1) | instskip(NEXT) | instid1(VALU_DEP_1)
	v_lshl_or_b32 v5, v8, 21, v5
                                        ; implicit-def: $vgpr8
	v_add_nc_u32_e32 v16, 0x38000000, v5
.LBB4_16085:                            ;   in Loop: Header=BB4_15177 Depth=3
	s_and_not1_saveexec_b32 s76, s76
; %bb.16086:                            ;   in Loop: Header=BB4_15177 Depth=3
	v_and_b32_e32 v5, 0x80, v67
	s_delay_alu instid0(VALU_DEP_1) | instskip(SKIP_2) | instid1(VALU_DEP_2)
	v_cmp_eq_u32_e32 vcc_lo, 0, v5
	v_cndmask_b32_e32 v5, 0xff800000, v48, vcc_lo
	v_cmp_eq_u32_e32 vcc_lo, 0, v8
	v_cndmask_b32_e32 v16, 0x7f800001, v5, vcc_lo
; %bb.16087:                            ;   in Loop: Header=BB4_15177 Depth=3
	s_or_b32 exec_lo, exec_lo, s76
.LBB4_16088:                            ;   in Loop: Header=BB4_15177 Depth=3
	s_delay_alu instid0(SALU_CYCLE_1)
	s_or_b32 exec_lo, exec_lo, s75
.LBB4_16089:                            ;   in Loop: Header=BB4_15177 Depth=3
	s_delay_alu instid0(SALU_CYCLE_1) | instskip(SKIP_4) | instid1(VALU_DEP_2)
	s_or_b32 exec_lo, exec_lo, s14
	v_and_b32_e32 v9, 0xff, v11
	v_mov_b32_e32 v8, v11
	s_mov_b32 s75, 0
	s_mov_b32 s14, exec_lo
	v_cmpx_lt_i16_e32 0x7f, v9
	s_xor_b32 s14, exec_lo, s14
	s_cbranch_execz .LBB4_16234
; %bb.16090:                            ;   in Loop: Header=BB4_15177 Depth=3
	s_mov_b32 s75, -1
	s_mov_b32 s76, exec_lo
	v_cmpx_eq_u16_e32 0x80, v9
; %bb.16091:                            ;   in Loop: Header=BB4_15177 Depth=3
	s_xor_b32 s75, exec_lo, -1
; %bb.16092:                            ;   in Loop: Header=BB4_15177 Depth=3
	s_or_b32 exec_lo, exec_lo, s76
	s_delay_alu instid0(SALU_CYCLE_1)
	s_and_b32 s75, s75, exec_lo
                                        ; implicit-def: $vgpr9
	s_or_saveexec_b32 s14, s14
	v_bfrev_b32_e32 v5, 1
	s_xor_b32 exec_lo, exec_lo, s14
	s_cbranch_execnz .LBB4_16235
.LBB4_16093:                            ;   in Loop: Header=BB4_15177 Depth=3
	s_or_b32 exec_lo, exec_lo, s14
	v_mov_b32_e32 v9, v3
	s_and_saveexec_b32 s14, s75
	s_cbranch_execz .LBB4_16095
.LBB4_16094:                            ;   in Loop: Header=BB4_15177 Depth=3
	v_and_b32_e32 v5, 3, v11
	s_delay_alu instid0(VALU_DEP_1) | instskip(NEXT) | instid1(VALU_DEP_1)
	v_clz_i32_u32_e32 v17, v5
	v_min_u32_e32 v17, 32, v17
	s_delay_alu instid0(VALU_DEP_1) | instskip(NEXT) | instid1(VALU_DEP_1)
	v_subrev_nc_u32_e32 v18, 29, v17
	v_lshlrev_b64_e32 v[18:19], v18, v[8:9]
	v_bfe_u32 v19, v11, 2, 5
	v_dual_lshlrev_b32 v9, 24, v11 :: v_dual_sub_nc_u32 v17, 30, v17
	s_delay_alu instid0(VALU_DEP_2) | instskip(NEXT) | instid1(VALU_DEP_2)
	v_cmp_eq_u32_e32 vcc_lo, 0, v19
	v_and_b32_e32 v9, 0x80000000, v9
	s_delay_alu instid0(VALU_DEP_3) | instskip(SKIP_1) | instid1(VALU_DEP_2)
	v_dual_cndmask_b32 v17, v19, v17, vcc_lo :: v_dual_bitop2_b32 v18, 3, v18 bitop3:0x40
	v_bfe_i32 v19, v11, 0, 8
	v_cndmask_b32_e32 v18, v5, v18, vcc_lo
	s_delay_alu instid0(VALU_DEP_3) | instskip(NEXT) | instid1(VALU_DEP_3)
	v_lshl_add_u32 v9, v17, 23, v9
	v_cmp_lt_i16_e32 vcc_lo, -1, v19
	s_delay_alu instid0(VALU_DEP_2) | instskip(SKIP_3) | instid1(VALU_DEP_4)
	v_lshl_or_b32 v9, v18, 21, v9
	v_cndmask_b32_e32 v17, 0xff800000, v48, vcc_lo
	v_and_b32_e32 v18, 0x7c, v11
	v_cmp_eq_u32_e32 vcc_lo, 0, v5
	v_add_nc_u32_e32 v9, 0x38000000, v9
	s_delay_alu instid0(VALU_DEP_4) | instskip(NEXT) | instid1(VALU_DEP_4)
	v_cndmask_b32_e32 v5, 0x7f800001, v17, vcc_lo
	v_cmp_eq_u32_e32 vcc_lo, 0x7c, v18
	s_delay_alu instid0(VALU_DEP_2)
	v_cndmask_b32_e32 v5, v9, v5, vcc_lo
.LBB4_16095:                            ;   in Loop: Header=BB4_15177 Depth=3
	s_or_b32 exec_lo, exec_lo, s14
	s_delay_alu instid0(VALU_DEP_1) | instskip(NEXT) | instid1(VALU_DEP_1)
	v_dual_add_f32 v9, v16, v5 :: v_dual_mov_b32 v19, v3
	v_dual_mov_b32 v17, v3 :: v_dual_lshrrev_b32 v5, 24, v9
	v_and_b32_e32 v18, 0x7f800000, v9
	v_and_b32_e32 v16, 0x7fffff, v9
	s_delay_alu instid0(VALU_DEP_2) | instskip(SKIP_1) | instid1(SALU_CYCLE_1)
	v_cmp_ne_u64_e32 vcc_lo, 0x7f800000, v[18:19]
                                        ; implicit-def: $vgpr18
	s_and_saveexec_b32 s14, vcc_lo
	s_xor_b32 s75, exec_lo, s14
	s_cbranch_execz .LBB4_16109
; %bb.16096:                            ;   in Loop: Header=BB4_15177 Depth=3
	v_and_b32_e32 v18, 0x7fffffff, v9
	v_mov_b32_e32 v19, v3
	v_and_b32_e32 v5, 0x80, v5
	s_delay_alu instid0(VALU_DEP_2) | instskip(SKIP_1) | instid1(SALU_CYCLE_1)
	v_cmp_gt_u64_e32 vcc_lo, 0x47600001, v[18:19]
                                        ; implicit-def: $vgpr18
	s_and_saveexec_b32 s14, vcc_lo
	s_xor_b32 s76, exec_lo, s14
	s_cbranch_execz .LBB4_16106
; %bb.16097:                            ;   in Loop: Header=BB4_15177 Depth=3
	v_mov_b32_e32 v18, 0
	s_mov_b32 s77, exec_lo
	v_cmpx_ne_u32_e32 0, v9
	s_cbranch_execz .LBB4_16105
; %bb.16098:                            ;   in Loop: Header=BB4_15177 Depth=3
	v_bfe_u32 v9, v9, 23, 8
	v_or_b32_e32 v86, 0x800000, v16
	s_delay_alu instid0(VALU_DEP_2) | instskip(SKIP_1) | instid1(VALU_DEP_2)
	v_sub_nc_u32_e32 v18, 0x71, v9
	v_cmp_gt_u32_e32 vcc_lo, 0x72, v9
	v_cndmask_b32_e32 v18, 0, v18, vcc_lo
	v_cmp_eq_u32_e32 vcc_lo, 0, v9
	s_delay_alu instid0(VALU_DEP_2) | instskip(NEXT) | instid1(VALU_DEP_1)
	v_cndmask_b32_e64 v67, v18, 0x70, vcc_lo
	v_dual_cndmask_b32 v16, v86, v16, vcc_lo :: v_dual_add_nc_u32 v18, 21, v67
	v_add_nc_u32_e32 v87, 20, v67
	s_delay_alu instid0(VALU_DEP_2) | instskip(NEXT) | instid1(VALU_DEP_2)
	v_lshlrev_b64_e64 v[18:19], v18, -1
	v_lshlrev_b64_e64 v[86:87], v87, 1
	s_delay_alu instid0(VALU_DEP_2) | instskip(SKIP_1) | instid1(VALU_DEP_4)
	v_bfi_b32 v18, v18, 0, v16
	v_lshrrev_b64 v[16:17], v67, v[16:17]
	v_bfi_b32 v19, v19, 0, 0
	s_delay_alu instid0(VALU_DEP_1) | instskip(NEXT) | instid1(VALU_DEP_3)
	v_cmp_eq_u64_e64 s14, v[18:19], v[86:87]
	v_mov_b64_e32 v[18:19], v[16:17]
	s_and_saveexec_b32 s78, s14
; %bb.16099:                            ;   in Loop: Header=BB4_15177 Depth=3
	v_bfe_u32 v18, v16, 21, 1
	v_mov_b32_e32 v19, v3
	s_delay_alu instid0(VALU_DEP_1) | instskip(NEXT) | instid1(VALU_DEP_1)
	v_add_nc_u64_e32 v[18:19], v[16:17], v[18:19]
	v_add_nc_u64_e32 v[18:19], -1, v[18:19]
; %bb.16100:                            ;   in Loop: Header=BB4_15177 Depth=3
	s_or_b32 exec_lo, exec_lo, s78
	v_add_nc_u32_e32 v9, 0xffffff81, v9
	v_lshrrev_b32_e32 v17, 23, v16
	s_mov_b32 s14, exec_lo
	s_delay_alu instid0(VALU_DEP_2) | instskip(NEXT) | instid1(VALU_DEP_1)
	v_cndmask_b32_e64 v9, v9, 0xffffff82, vcc_lo
	v_add3_u32 v19, v67, v9, v17
	v_and_b32_e32 v9, 0x1fffff, v18
	s_delay_alu instid0(VALU_DEP_2) | instskip(NEXT) | instid1(VALU_DEP_2)
	v_dual_mov_b32 v17, v3 :: v_dual_add_nc_u32 v18, 14, v19
	v_add_nc_u32_e32 v16, v9, v16
                                        ; implicit-def: $vgpr9
	s_delay_alu instid0(VALU_DEP_2)
	v_cmpx_ne_u32_e32 0, v18
	s_xor_b32 s14, exec_lo, s14
; %bb.16101:                            ;   in Loop: Header=BB4_15177 Depth=3
	s_delay_alu instid0(VALU_DEP_2) | instskip(SKIP_1) | instid1(VALU_DEP_1)
	v_cmp_lt_u64_e32 vcc_lo, 0xffffff, v[16:17]
	v_add_nc_u32_e32 v9, 15, v19
	v_cndmask_b32_e32 v9, v18, v9, vcc_lo
	v_cndmask_b32_e64 v18, 0, 1, vcc_lo
	s_delay_alu instid0(VALU_DEP_1)
	v_lshrrev_b64 v[16:17], v18, v[16:17]
; %bb.16102:                            ;   in Loop: Header=BB4_15177 Depth=3
	s_and_not1_saveexec_b32 s14, s14
; %bb.16103:                            ;   in Loop: Header=BB4_15177 Depth=3
	s_delay_alu instid0(VALU_DEP_1)
	v_bfe_u32 v9, v16, 23, 1
; %bb.16104:                            ;   in Loop: Header=BB4_15177 Depth=3
	s_or_b32 exec_lo, exec_lo, s14
	s_delay_alu instid0(VALU_DEP_2) | instskip(NEXT) | instid1(VALU_DEP_2)
	v_lshrrev_b64 v[16:17], 21, v[16:17]
	v_cmp_gt_i32_e32 vcc_lo, 32, v9
	v_min_i32_e32 v18, 31, v9
	v_cmp_eq_u32_e64 s14, 0, v9
	s_delay_alu instid0(VALU_DEP_2) | instskip(SKIP_1) | instid1(VALU_DEP_2)
	v_dual_cndmask_b32 v16, 3, v16, vcc_lo :: v_dual_lshlrev_b32 v18, 2, v18
	v_cndmask_b32_e32 v17, 0, v17, vcc_lo
	v_and_b32_e32 v18, 0xfc, v18
	s_delay_alu instid0(VALU_DEP_2) | instskip(NEXT) | instid1(VALU_DEP_2)
	v_cmp_eq_u64_e32 vcc_lo, 0, v[16:17]
	v_and_or_b32 v9, v16, 3, v18
	s_and_b32 s14, s14, vcc_lo
	s_delay_alu instid0(VALU_DEP_1) | instid1(SALU_CYCLE_1)
	v_cndmask_b32_e64 v9, v9, 0, s14
	s_delay_alu instid0(VALU_DEP_1)
	v_or_b32_e32 v18, v9, v5
.LBB4_16105:                            ;   in Loop: Header=BB4_15177 Depth=3
	s_or_b32 exec_lo, exec_lo, s77
                                        ; implicit-def: $vgpr5
.LBB4_16106:                            ;   in Loop: Header=BB4_15177 Depth=3
	s_and_not1_saveexec_b32 s14, s76
; %bb.16107:                            ;   in Loop: Header=BB4_15177 Depth=3
	v_or_b32_e32 v18, 0x7b, v5
; %bb.16108:                            ;   in Loop: Header=BB4_15177 Depth=3
	s_or_b32 exec_lo, exec_lo, s14
                                        ; implicit-def: $vgpr9
                                        ; implicit-def: $vgpr16_vgpr17
                                        ; implicit-def: $vgpr5
.LBB4_16109:                            ;   in Loop: Header=BB4_15177 Depth=3
	s_and_not1_saveexec_b32 s14, s75
	s_cbranch_execz .LBB4_16115
; %bb.16110:                            ;   in Loop: Header=BB4_15177 Depth=3
	s_mov_b32 s75, exec_lo
                                        ; implicit-def: $vgpr18
	v_cmpx_ne_u64_e32 0, v[16:17]
	s_xor_b32 s75, exec_lo, s75
; %bb.16111:                            ;   in Loop: Header=BB4_15177 Depth=3
	v_or_b32_e32 v18, 0x7f, v5
                                        ; implicit-def: $vgpr9
; %bb.16112:                            ;   in Loop: Header=BB4_15177 Depth=3
	s_and_not1_saveexec_b32 s75, s75
; %bb.16113:                            ;   in Loop: Header=BB4_15177 Depth=3
	v_cmp_lt_i32_e32 vcc_lo, -1, v9
	v_cndmask_b32_e32 v18, 0xfc, v49, vcc_lo
; %bb.16114:                            ;   in Loop: Header=BB4_15177 Depth=3
	s_or_b32 exec_lo, exec_lo, s75
.LBB4_16115:                            ;   in Loop: Header=BB4_15177 Depth=3
	s_delay_alu instid0(SALU_CYCLE_1) | instskip(SKIP_3) | instid1(VALU_DEP_2)
	s_or_b32 exec_lo, exec_lo, s14
	v_lshrrev_b16 v16, 8, v2
	v_mov_b32_e32 v5, 0
	s_mov_b32 s14, exec_lo
	v_cmpx_ne_u16_e32 0, v16
	s_cbranch_execz .LBB4_16125
; %bb.16116:                            ;   in Loop: Header=BB4_15177 Depth=3
	v_bfrev_b32_e32 v5, 1
	s_mov_b32 s75, exec_lo
	v_cmpx_ne_u16_e32 0x80, v16
	s_cbranch_execz .LBB4_16124
; %bb.16117:                            ;   in Loop: Header=BB4_15177 Depth=3
	v_and_b32_e32 v17, 0xffff, v16
	s_delay_alu instid0(VALU_DEP_1) | instskip(SKIP_1) | instid1(VALU_DEP_2)
	v_and_b32_e32 v5, 0x7c, v17
	v_and_b32_e32 v9, 3, v17
	v_cmp_ne_u32_e32 vcc_lo, 0x7c, v5
                                        ; implicit-def: $vgpr5
	s_and_saveexec_b32 s76, vcc_lo
	s_delay_alu instid0(SALU_CYCLE_1)
	s_xor_b32 s76, exec_lo, s76
	s_cbranch_execz .LBB4_16121
; %bb.16118:                            ;   in Loop: Header=BB4_15177 Depth=3
	v_bfe_u32 v5, v17, 2, 5
	s_mov_b32 s77, exec_lo
	s_delay_alu instid0(VALU_DEP_1)
	v_cmpx_eq_u32_e32 0, v5
	s_cbranch_execz .LBB4_16120
; %bb.16119:                            ;   in Loop: Header=BB4_15177 Depth=3
	v_clz_i32_u32_e32 v5, v9
	s_delay_alu instid0(VALU_DEP_1) | instskip(SKIP_1) | instid1(VALU_DEP_2)
	v_min_u32_e32 v5, 32, v5
	v_mov_b32_e32 v17, v3
	v_subrev_nc_u32_e32 v9, 29, v5
	v_sub_nc_u32_e32 v5, 30, v5
	s_delay_alu instid0(VALU_DEP_2) | instskip(NEXT) | instid1(VALU_DEP_1)
	v_lshlrev_b64_e32 v[16:17], v9, v[16:17]
	v_and_b32_e32 v9, 3, v16
.LBB4_16120:                            ;   in Loop: Header=BB4_15177 Depth=3
	s_or_b32 exec_lo, exec_lo, s77
	v_lshlrev_b32_e32 v2, 16, v2
	s_delay_alu instid0(VALU_DEP_1) | instskip(NEXT) | instid1(VALU_DEP_1)
	v_and_b32_e32 v2, 0x80000000, v2
	v_lshl_add_u32 v2, v5, 23, v2
	s_delay_alu instid0(VALU_DEP_1) | instskip(NEXT) | instid1(VALU_DEP_1)
	v_lshl_or_b32 v2, v9, 21, v2
                                        ; implicit-def: $vgpr9
	v_add_nc_u32_e32 v5, 0x38000000, v2
                                        ; implicit-def: $vgpr2
.LBB4_16121:                            ;   in Loop: Header=BB4_15177 Depth=3
	s_and_not1_saveexec_b32 s76, s76
; %bb.16122:                            ;   in Loop: Header=BB4_15177 Depth=3
	v_cmp_lt_i16_e32 vcc_lo, -1, v2
	v_cndmask_b32_e32 v2, 0xff800000, v48, vcc_lo
	v_cmp_eq_u32_e32 vcc_lo, 0, v9
	s_delay_alu instid0(VALU_DEP_2)
	v_cndmask_b32_e32 v5, 0x7f800001, v2, vcc_lo
; %bb.16123:                            ;   in Loop: Header=BB4_15177 Depth=3
	s_or_b32 exec_lo, exec_lo, s76
.LBB4_16124:                            ;   in Loop: Header=BB4_15177 Depth=3
	s_delay_alu instid0(SALU_CYCLE_1)
	s_or_b32 exec_lo, exec_lo, s75
.LBB4_16125:                            ;   in Loop: Header=BB4_15177 Depth=3
	s_delay_alu instid0(SALU_CYCLE_1) | instskip(SKIP_3) | instid1(VALU_DEP_1)
	s_or_b32 exec_lo, exec_lo, s14
	v_lshrrev_b16 v16, 8, v8
	s_mov_b32 s75, 0
	s_mov_b32 s14, exec_lo
	v_cmpx_lt_i16_e32 0x7f, v16
	s_xor_b32 s14, exec_lo, s14
	s_cbranch_execz .LBB4_16236
; %bb.16126:                            ;   in Loop: Header=BB4_15177 Depth=3
	s_mov_b32 s75, -1
	s_mov_b32 s76, exec_lo
	v_cmpx_eq_u16_e32 0x80, v16
; %bb.16127:                            ;   in Loop: Header=BB4_15177 Depth=3
	s_xor_b32 s75, exec_lo, -1
; %bb.16128:                            ;   in Loop: Header=BB4_15177 Depth=3
	s_or_b32 exec_lo, exec_lo, s76
	s_delay_alu instid0(SALU_CYCLE_1)
	s_and_b32 s75, s75, exec_lo
	s_or_saveexec_b32 s14, s14
	v_bfrev_b32_e32 v2, 1
	s_xor_b32 exec_lo, exec_lo, s14
	s_cbranch_execnz .LBB4_16237
.LBB4_16129:                            ;   in Loop: Header=BB4_15177 Depth=3
	s_or_b32 exec_lo, exec_lo, s14
	s_and_saveexec_b32 s14, s75
	s_cbranch_execz .LBB4_16131
.LBB4_16130:                            ;   in Loop: Header=BB4_15177 Depth=3
	v_and_b32_e32 v2, 0xffff, v16
	s_delay_alu instid0(VALU_DEP_1) | instskip(NEXT) | instid1(VALU_DEP_1)
	v_and_b32_e32 v9, 3, v2
	v_clz_i32_u32_e32 v17, v9
	s_delay_alu instid0(VALU_DEP_1) | instskip(SKIP_1) | instid1(VALU_DEP_2)
	v_min_u32_e32 v19, 32, v17
	v_mov_b32_e32 v17, v3
	v_subrev_nc_u32_e32 v67, 29, v19
	v_sub_nc_u32_e32 v19, 30, v19
	s_delay_alu instid0(VALU_DEP_2) | instskip(SKIP_3) | instid1(VALU_DEP_3)
	v_lshlrev_b64_e32 v[86:87], v67, v[16:17]
	v_bfe_u32 v17, v2, 2, 5
	v_lshlrev_b32_e32 v16, 24, v16
	v_and_b32_e32 v2, 0x7c, v2
	v_cmp_eq_u32_e32 vcc_lo, 0, v17
	s_delay_alu instid0(VALU_DEP_3) | instskip(SKIP_1) | instid1(VALU_DEP_1)
	v_and_b32_e32 v16, 0x80000000, v16
	v_dual_cndmask_b32 v17, v17, v19, vcc_lo :: v_dual_bitop2_b32 v67, 3, v86 bitop3:0x40
	v_cndmask_b32_e32 v19, v9, v67, vcc_lo
	v_cmp_lt_i16_e32 vcc_lo, -1, v8
	s_delay_alu instid0(VALU_DEP_3) | instskip(SKIP_2) | instid1(VALU_DEP_3)
	v_lshl_add_u32 v16, v17, 23, v16
	v_cndmask_b32_e32 v8, 0xff800000, v48, vcc_lo
	v_cmp_eq_u32_e32 vcc_lo, 0, v9
	v_lshl_or_b32 v16, v19, 21, v16
	s_delay_alu instid0(VALU_DEP_3) | instskip(NEXT) | instid1(VALU_DEP_2)
	v_cndmask_b32_e32 v8, 0x7f800001, v8, vcc_lo
	v_add_nc_u32_e32 v9, 0x38000000, v16
	v_cmp_eq_u32_e32 vcc_lo, 0x7c, v2
	s_delay_alu instid0(VALU_DEP_2)
	v_cndmask_b32_e32 v2, v9, v8, vcc_lo
.LBB4_16131:                            ;   in Loop: Header=BB4_15177 Depth=3
	s_or_b32 exec_lo, exec_lo, s14
	s_delay_alu instid0(VALU_DEP_1) | instskip(SKIP_2) | instid1(VALU_DEP_2)
	v_dual_add_f32 v5, v5, v2 :: v_dual_mov_b32 v17, v3
	v_mov_b32_e32 v9, v3
                                        ; implicit-def: $vgpr19
	s_mov_b32 s14, exec_lo
	v_and_b32_e32 v16, 0x7f800000, v5
	v_and_b32_e32 v8, 0x7fffff, v5
	v_lshrrev_b32_e32 v2, 24, v5
	s_delay_alu instid0(VALU_DEP_3)
	v_cmpx_ne_u64_e32 0x7f800000, v[16:17]
	s_xor_b32 s75, exec_lo, s14
	s_cbranch_execz .LBB4_16145
; %bb.16132:                            ;   in Loop: Header=BB4_15177 Depth=3
	v_and_b32_e32 v16, 0x7fffffff, v5
	v_mov_b32_e32 v17, v3
	v_and_b32_e32 v2, 0x80, v2
                                        ; implicit-def: $vgpr19
	s_mov_b32 s14, exec_lo
	s_delay_alu instid0(VALU_DEP_2)
	v_cmpx_gt_u64_e32 0x47600001, v[16:17]
	s_xor_b32 s76, exec_lo, s14
	s_cbranch_execz .LBB4_16142
; %bb.16133:                            ;   in Loop: Header=BB4_15177 Depth=3
	v_mov_b32_e32 v19, 0
	s_mov_b32 s77, exec_lo
	v_cmpx_ne_u32_e32 0, v5
	s_cbranch_execz .LBB4_16141
; %bb.16134:                            ;   in Loop: Header=BB4_15177 Depth=3
	v_bfe_u32 v5, v5, 23, 8
	v_or_b32_e32 v67, 0x800000, v8
	s_delay_alu instid0(VALU_DEP_2) | instskip(SKIP_1) | instid1(VALU_DEP_2)
	v_sub_nc_u32_e32 v16, 0x71, v5
	v_cmp_gt_u32_e32 vcc_lo, 0x72, v5
	v_cndmask_b32_e32 v16, 0, v16, vcc_lo
	v_cmp_eq_u32_e32 vcc_lo, 0, v5
	s_delay_alu instid0(VALU_DEP_2) | instskip(NEXT) | instid1(VALU_DEP_1)
	v_cndmask_b32_e64 v19, v16, 0x70, vcc_lo
	v_dual_cndmask_b32 v8, v67, v8, vcc_lo :: v_dual_add_nc_u32 v16, 21, v19
	v_add_nc_u32_e32 v86, 20, v19
	s_delay_alu instid0(VALU_DEP_2) | instskip(NEXT) | instid1(VALU_DEP_2)
	v_lshlrev_b64_e64 v[16:17], v16, -1
	v_lshlrev_b64_e64 v[86:87], v86, 1
	s_delay_alu instid0(VALU_DEP_2) | instskip(SKIP_1) | instid1(VALU_DEP_4)
	v_bfi_b32 v16, v16, 0, v8
	v_lshrrev_b64 v[8:9], v19, v[8:9]
	v_bfi_b32 v17, v17, 0, 0
	s_delay_alu instid0(VALU_DEP_1) | instskip(NEXT) | instid1(VALU_DEP_3)
	v_cmp_eq_u64_e64 s14, v[16:17], v[86:87]
	v_mov_b64_e32 v[16:17], v[8:9]
	s_and_saveexec_b32 s78, s14
; %bb.16135:                            ;   in Loop: Header=BB4_15177 Depth=3
	v_bfe_u32 v16, v8, 21, 1
	v_mov_b32_e32 v17, v3
	s_delay_alu instid0(VALU_DEP_1) | instskip(NEXT) | instid1(VALU_DEP_1)
	v_add_nc_u64_e32 v[16:17], v[8:9], v[16:17]
	v_add_nc_u64_e32 v[16:17], -1, v[16:17]
; %bb.16136:                            ;   in Loop: Header=BB4_15177 Depth=3
	s_or_b32 exec_lo, exec_lo, s78
	v_add_nc_u32_e32 v5, 0xffffff81, v5
	v_lshrrev_b32_e32 v9, 23, v8
	s_mov_b32 s14, exec_lo
	s_delay_alu instid0(VALU_DEP_2) | instskip(NEXT) | instid1(VALU_DEP_1)
	v_cndmask_b32_e64 v5, v5, 0xffffff82, vcc_lo
	v_add3_u32 v17, v19, v5, v9
	v_and_b32_e32 v5, 0x1fffff, v16
	s_delay_alu instid0(VALU_DEP_2) | instskip(NEXT) | instid1(VALU_DEP_2)
	v_dual_mov_b32 v9, v3 :: v_dual_add_nc_u32 v16, 14, v17
	v_add_nc_u32_e32 v8, v5, v8
                                        ; implicit-def: $vgpr5
	s_delay_alu instid0(VALU_DEP_2)
	v_cmpx_ne_u32_e32 0, v16
	s_xor_b32 s14, exec_lo, s14
; %bb.16137:                            ;   in Loop: Header=BB4_15177 Depth=3
	s_delay_alu instid0(VALU_DEP_2) | instskip(SKIP_1) | instid1(VALU_DEP_1)
	v_cmp_lt_u64_e32 vcc_lo, 0xffffff, v[8:9]
	v_add_nc_u32_e32 v5, 15, v17
	v_cndmask_b32_e32 v5, v16, v5, vcc_lo
	v_cndmask_b32_e64 v16, 0, 1, vcc_lo
	s_delay_alu instid0(VALU_DEP_1)
	v_lshrrev_b64 v[8:9], v16, v[8:9]
; %bb.16138:                            ;   in Loop: Header=BB4_15177 Depth=3
	s_and_not1_saveexec_b32 s14, s14
; %bb.16139:                            ;   in Loop: Header=BB4_15177 Depth=3
	s_delay_alu instid0(VALU_DEP_1)
	v_bfe_u32 v5, v8, 23, 1
; %bb.16140:                            ;   in Loop: Header=BB4_15177 Depth=3
	s_or_b32 exec_lo, exec_lo, s14
	s_delay_alu instid0(VALU_DEP_2) | instskip(NEXT) | instid1(VALU_DEP_2)
	v_lshrrev_b64 v[8:9], 21, v[8:9]
	v_cmp_gt_i32_e32 vcc_lo, 32, v5
	v_min_i32_e32 v16, 31, v5
	v_cmp_eq_u32_e64 s14, 0, v5
	s_delay_alu instid0(VALU_DEP_4) | instskip(NEXT) | instid1(VALU_DEP_3)
	v_cndmask_b32_e32 v8, 3, v8, vcc_lo
	v_dual_cndmask_b32 v9, 0, v9 :: v_dual_lshlrev_b32 v16, 2, v16
	s_delay_alu instid0(VALU_DEP_1) | instskip(NEXT) | instid1(VALU_DEP_2)
	v_and_b32_e32 v16, 0xfc, v16
	v_cmp_eq_u64_e32 vcc_lo, 0, v[8:9]
	s_delay_alu instid0(VALU_DEP_2)
	v_and_or_b32 v5, v8, 3, v16
	s_and_b32 s14, s14, vcc_lo
	s_delay_alu instid0(VALU_DEP_1) | instid1(SALU_CYCLE_1)
	v_cndmask_b32_e64 v5, v5, 0, s14
	s_delay_alu instid0(VALU_DEP_1)
	v_or_b32_e32 v19, v5, v2
.LBB4_16141:                            ;   in Loop: Header=BB4_15177 Depth=3
	s_or_b32 exec_lo, exec_lo, s77
                                        ; implicit-def: $vgpr2
.LBB4_16142:                            ;   in Loop: Header=BB4_15177 Depth=3
	s_and_not1_saveexec_b32 s14, s76
; %bb.16143:                            ;   in Loop: Header=BB4_15177 Depth=3
	v_or_b32_e32 v19, 0x7b, v2
; %bb.16144:                            ;   in Loop: Header=BB4_15177 Depth=3
	s_or_b32 exec_lo, exec_lo, s14
                                        ; implicit-def: $vgpr5
                                        ; implicit-def: $vgpr8_vgpr9
                                        ; implicit-def: $vgpr2
.LBB4_16145:                            ;   in Loop: Header=BB4_15177 Depth=3
	s_and_not1_saveexec_b32 s14, s75
	s_cbranch_execz .LBB4_16151
; %bb.16146:                            ;   in Loop: Header=BB4_15177 Depth=3
	s_mov_b32 s75, exec_lo
                                        ; implicit-def: $vgpr19
	v_cmpx_ne_u64_e32 0, v[8:9]
	s_xor_b32 s75, exec_lo, s75
; %bb.16147:                            ;   in Loop: Header=BB4_15177 Depth=3
	v_or_b32_e32 v19, 0x7f, v2
                                        ; implicit-def: $vgpr5
; %bb.16148:                            ;   in Loop: Header=BB4_15177 Depth=3
	s_and_not1_saveexec_b32 s75, s75
; %bb.16149:                            ;   in Loop: Header=BB4_15177 Depth=3
	v_cmp_lt_i32_e32 vcc_lo, -1, v5
	v_cndmask_b32_e32 v19, 0xfc, v49, vcc_lo
; %bb.16150:                            ;   in Loop: Header=BB4_15177 Depth=3
	s_or_b32 exec_lo, exec_lo, s75
.LBB4_16151:                            ;   in Loop: Header=BB4_15177 Depth=3
	s_delay_alu instid0(SALU_CYCLE_1) | instskip(SKIP_2) | instid1(VALU_DEP_1)
	s_or_b32 exec_lo, exec_lo, s14
	v_dual_mov_b32 v5, 0 :: v_dual_lshrrev_b32 v2, 16, v4
	s_mov_b32 s14, exec_lo
	v_and_b32_e32 v8, 0xff, v2
	s_delay_alu instid0(VALU_DEP_1)
	v_cmpx_ne_u16_e32 0, v8
	s_cbranch_execz .LBB4_16161
; %bb.16152:                            ;   in Loop: Header=BB4_15177 Depth=3
	v_bfrev_b32_e32 v5, 1
	s_mov_b32 s75, exec_lo
	v_cmpx_ne_u16_e32 0x80, v8
	s_cbranch_execz .LBB4_16160
; %bb.16153:                            ;   in Loop: Header=BB4_15177 Depth=3
	v_and_b32_e32 v5, 0x7c0000, v4
	v_bfe_u32 v8, v4, 16, 2
	s_delay_alu instid0(VALU_DEP_2) | instskip(SKIP_1) | instid1(SALU_CYCLE_1)
	v_cmp_ne_u32_e32 vcc_lo, 0x7c0000, v5
                                        ; implicit-def: $vgpr5
	s_and_saveexec_b32 s76, vcc_lo
	s_xor_b32 s76, exec_lo, s76
	s_cbranch_execz .LBB4_16157
; %bb.16154:                            ;   in Loop: Header=BB4_15177 Depth=3
	v_bfe_u32 v5, v4, 18, 5
	s_mov_b32 s77, exec_lo
	s_delay_alu instid0(VALU_DEP_1)
	v_cmpx_eq_u32_e32 0, v5
; %bb.16155:                            ;   in Loop: Header=BB4_15177 Depth=3
	v_clz_i32_u32_e32 v5, v8
	s_delay_alu instid0(VALU_DEP_1) | instskip(NEXT) | instid1(VALU_DEP_1)
	v_min_u32_e32 v5, 32, v5
	v_subrev_nc_u32_e32 v8, 29, v5
	s_delay_alu instid0(VALU_DEP_1) | instskip(NEXT) | instid1(VALU_DEP_1)
	v_lshlrev_b64_e32 v[8:9], v8, v[2:3]
	v_dual_sub_nc_u32 v5, 30, v5 :: v_dual_bitop2_b32 v8, 3, v8 bitop3:0x40
; %bb.16156:                            ;   in Loop: Header=BB4_15177 Depth=3
	s_or_b32 exec_lo, exec_lo, s77
	v_lshlrev_b32_e32 v2, 24, v2
	s_delay_alu instid0(VALU_DEP_1) | instskip(NEXT) | instid1(VALU_DEP_1)
	v_and_b32_e32 v2, 0x80000000, v2
	v_lshl_add_u32 v2, v5, 23, v2
	s_delay_alu instid0(VALU_DEP_1) | instskip(NEXT) | instid1(VALU_DEP_1)
	v_lshl_or_b32 v2, v8, 21, v2
                                        ; implicit-def: $vgpr8
	v_add_nc_u32_e32 v5, 0x38000000, v2
                                        ; implicit-def: $vgpr2
.LBB4_16157:                            ;   in Loop: Header=BB4_15177 Depth=3
	s_and_not1_saveexec_b32 s76, s76
; %bb.16158:                            ;   in Loop: Header=BB4_15177 Depth=3
	v_bfe_i32 v2, v2, 0, 8
	s_delay_alu instid0(VALU_DEP_1) | instskip(SKIP_2) | instid1(VALU_DEP_2)
	v_cmp_lt_i16_e32 vcc_lo, -1, v2
	v_cndmask_b32_e32 v2, 0xff800000, v48, vcc_lo
	v_cmp_eq_u32_e32 vcc_lo, 0, v8
	v_cndmask_b32_e32 v5, 0x7f800001, v2, vcc_lo
; %bb.16159:                            ;   in Loop: Header=BB4_15177 Depth=3
	s_or_b32 exec_lo, exec_lo, s76
.LBB4_16160:                            ;   in Loop: Header=BB4_15177 Depth=3
	s_delay_alu instid0(SALU_CYCLE_1)
	s_or_b32 exec_lo, exec_lo, s75
.LBB4_16161:                            ;   in Loop: Header=BB4_15177 Depth=3
	s_delay_alu instid0(SALU_CYCLE_1) | instskip(SKIP_3) | instid1(VALU_DEP_1)
	s_or_b32 exec_lo, exec_lo, s14
	v_lshrrev_b32_e32 v2, 16, v11
	s_mov_b32 s75, 0
	s_mov_b32 s14, exec_lo
	v_and_b32_e32 v9, 0xff, v2
	s_delay_alu instid0(VALU_DEP_1)
	v_cmpx_lt_i16_e32 0x7f, v9
	s_xor_b32 s14, exec_lo, s14
	s_cbranch_execz .LBB4_16238
; %bb.16162:                            ;   in Loop: Header=BB4_15177 Depth=3
	s_mov_b32 s75, -1
	s_mov_b32 s76, exec_lo
	v_cmpx_eq_u16_e32 0x80, v9
; %bb.16163:                            ;   in Loop: Header=BB4_15177 Depth=3
	s_xor_b32 s75, exec_lo, -1
; %bb.16164:                            ;   in Loop: Header=BB4_15177 Depth=3
	s_or_b32 exec_lo, exec_lo, s76
	s_delay_alu instid0(SALU_CYCLE_1)
	s_and_b32 s75, s75, exec_lo
                                        ; implicit-def: $vgpr9
	s_or_saveexec_b32 s14, s14
	v_bfrev_b32_e32 v8, 1
	s_xor_b32 exec_lo, exec_lo, s14
	s_cbranch_execnz .LBB4_16239
.LBB4_16165:                            ;   in Loop: Header=BB4_15177 Depth=3
	s_or_b32 exec_lo, exec_lo, s14
	s_and_saveexec_b32 s14, s75
	s_cbranch_execz .LBB4_16167
.LBB4_16166:                            ;   in Loop: Header=BB4_15177 Depth=3
	v_and_b32_e32 v16, 3, v2
	v_bfe_u32 v67, v11, 18, 5
	s_delay_alu instid0(VALU_DEP_2) | instskip(NEXT) | instid1(VALU_DEP_2)
	v_clz_i32_u32_e32 v8, v16
	v_cmp_eq_u32_e32 vcc_lo, 0, v67
	s_delay_alu instid0(VALU_DEP_2) | instskip(NEXT) | instid1(VALU_DEP_1)
	v_min_u32_e32 v17, 32, v8
	v_subrev_nc_u32_e32 v8, 29, v17
	s_delay_alu instid0(VALU_DEP_1) | instskip(SKIP_2) | instid1(VALU_DEP_2)
	v_lshlrev_b64_e32 v[8:9], v8, v[2:3]
	v_dual_lshlrev_b32 v9, 24, v2 :: v_dual_sub_nc_u32 v17, 30, v17
	v_bfe_i32 v2, v2, 0, 8
	v_and_b32_e32 v9, 0x80000000, v9
	s_delay_alu instid0(VALU_DEP_3) | instskip(NEXT) | instid1(VALU_DEP_1)
	v_dual_cndmask_b32 v17, v67, v17, vcc_lo :: v_dual_bitop2_b32 v8, 3, v8 bitop3:0x40
	v_cndmask_b32_e32 v8, v16, v8, vcc_lo
	s_delay_alu instid0(VALU_DEP_2) | instskip(SKIP_1) | instid1(VALU_DEP_2)
	v_lshl_add_u32 v9, v17, 23, v9
	v_cmp_lt_i16_e32 vcc_lo, -1, v2
	v_lshl_or_b32 v8, v8, 21, v9
	v_cndmask_b32_e32 v2, 0xff800000, v48, vcc_lo
	v_and_b32_e32 v9, 0x7c0000, v11
	v_cmp_eq_u32_e32 vcc_lo, 0, v16
	s_delay_alu instid0(VALU_DEP_4) | instskip(NEXT) | instid1(VALU_DEP_4)
	v_add_nc_u32_e32 v8, 0x38000000, v8
	v_cndmask_b32_e32 v2, 0x7f800001, v2, vcc_lo
	s_delay_alu instid0(VALU_DEP_4) | instskip(NEXT) | instid1(VALU_DEP_2)
	v_cmp_eq_u32_e32 vcc_lo, 0x7c0000, v9
	v_cndmask_b32_e32 v8, v8, v2, vcc_lo
.LBB4_16167:                            ;   in Loop: Header=BB4_15177 Depth=3
	s_or_b32 exec_lo, exec_lo, s14
	s_delay_alu instid0(VALU_DEP_1) | instskip(NEXT) | instid1(VALU_DEP_1)
	v_dual_add_f32 v5, v5, v8 :: v_dual_mov_b32 v17, v3
	v_dual_mov_b32 v9, v3 :: v_dual_lshrrev_b32 v2, 24, v5
	v_and_b32_e32 v16, 0x7f800000, v5
	v_and_b32_e32 v8, 0x7fffff, v5
	s_delay_alu instid0(VALU_DEP_2) | instskip(SKIP_1) | instid1(SALU_CYCLE_1)
	v_cmp_ne_u64_e32 vcc_lo, 0x7f800000, v[16:17]
                                        ; implicit-def: $vgpr16
	s_and_saveexec_b32 s14, vcc_lo
	s_xor_b32 s75, exec_lo, s14
	s_cbranch_execz .LBB4_16181
; %bb.16168:                            ;   in Loop: Header=BB4_15177 Depth=3
	v_and_b32_e32 v16, 0x7fffffff, v5
	v_mov_b32_e32 v17, v3
	v_and_b32_e32 v2, 0x80, v2
	s_delay_alu instid0(VALU_DEP_2) | instskip(SKIP_1) | instid1(SALU_CYCLE_1)
	v_cmp_gt_u64_e32 vcc_lo, 0x47600001, v[16:17]
                                        ; implicit-def: $vgpr16
	s_and_saveexec_b32 s14, vcc_lo
	s_xor_b32 s76, exec_lo, s14
	s_cbranch_execz .LBB4_16178
; %bb.16169:                            ;   in Loop: Header=BB4_15177 Depth=3
	v_mov_b32_e32 v16, 0
	s_mov_b32 s77, exec_lo
	v_cmpx_ne_u32_e32 0, v5
	s_cbranch_execz .LBB4_16177
; %bb.16170:                            ;   in Loop: Header=BB4_15177 Depth=3
	v_bfe_u32 v5, v5, 23, 8
	v_or_b32_e32 v86, 0x800000, v8
	s_delay_alu instid0(VALU_DEP_2) | instskip(SKIP_1) | instid1(VALU_DEP_2)
	v_sub_nc_u32_e32 v16, 0x71, v5
	v_cmp_gt_u32_e32 vcc_lo, 0x72, v5
	v_cndmask_b32_e32 v16, 0, v16, vcc_lo
	v_cmp_eq_u32_e32 vcc_lo, 0, v5
	s_delay_alu instid0(VALU_DEP_2) | instskip(NEXT) | instid1(VALU_DEP_1)
	v_cndmask_b32_e64 v67, v16, 0x70, vcc_lo
	v_dual_cndmask_b32 v8, v86, v8, vcc_lo :: v_dual_add_nc_u32 v16, 21, v67
	v_add_nc_u32_e32 v87, 20, v67
	s_delay_alu instid0(VALU_DEP_2) | instskip(NEXT) | instid1(VALU_DEP_2)
	v_lshlrev_b64_e64 v[16:17], v16, -1
	v_lshlrev_b64_e64 v[86:87], v87, 1
	s_delay_alu instid0(VALU_DEP_2) | instskip(SKIP_1) | instid1(VALU_DEP_4)
	v_bfi_b32 v16, v16, 0, v8
	v_lshrrev_b64 v[8:9], v67, v[8:9]
	v_bfi_b32 v17, v17, 0, 0
	s_delay_alu instid0(VALU_DEP_1) | instskip(NEXT) | instid1(VALU_DEP_3)
	v_cmp_eq_u64_e64 s14, v[16:17], v[86:87]
	v_mov_b64_e32 v[16:17], v[8:9]
	s_and_saveexec_b32 s78, s14
; %bb.16171:                            ;   in Loop: Header=BB4_15177 Depth=3
	v_bfe_u32 v16, v8, 21, 1
	v_mov_b32_e32 v17, v3
	s_delay_alu instid0(VALU_DEP_1) | instskip(NEXT) | instid1(VALU_DEP_1)
	v_add_nc_u64_e32 v[16:17], v[8:9], v[16:17]
	v_add_nc_u64_e32 v[16:17], -1, v[16:17]
; %bb.16172:                            ;   in Loop: Header=BB4_15177 Depth=3
	s_or_b32 exec_lo, exec_lo, s78
	v_add_nc_u32_e32 v5, 0xffffff81, v5
	v_lshrrev_b32_e32 v9, 23, v8
	s_mov_b32 s14, exec_lo
	s_delay_alu instid0(VALU_DEP_2) | instskip(NEXT) | instid1(VALU_DEP_1)
	v_cndmask_b32_e64 v5, v5, 0xffffff82, vcc_lo
	v_add3_u32 v17, v67, v5, v9
	v_and_b32_e32 v5, 0x1fffff, v16
	s_delay_alu instid0(VALU_DEP_2) | instskip(NEXT) | instid1(VALU_DEP_2)
	v_dual_mov_b32 v9, v3 :: v_dual_add_nc_u32 v16, 14, v17
	v_add_nc_u32_e32 v8, v5, v8
                                        ; implicit-def: $vgpr5
	s_delay_alu instid0(VALU_DEP_2)
	v_cmpx_ne_u32_e32 0, v16
	s_xor_b32 s14, exec_lo, s14
; %bb.16173:                            ;   in Loop: Header=BB4_15177 Depth=3
	s_delay_alu instid0(VALU_DEP_2) | instskip(SKIP_1) | instid1(VALU_DEP_1)
	v_cmp_lt_u64_e32 vcc_lo, 0xffffff, v[8:9]
	v_add_nc_u32_e32 v5, 15, v17
	v_cndmask_b32_e32 v5, v16, v5, vcc_lo
	v_cndmask_b32_e64 v16, 0, 1, vcc_lo
	s_delay_alu instid0(VALU_DEP_1)
	v_lshrrev_b64 v[8:9], v16, v[8:9]
; %bb.16174:                            ;   in Loop: Header=BB4_15177 Depth=3
	s_and_not1_saveexec_b32 s14, s14
; %bb.16175:                            ;   in Loop: Header=BB4_15177 Depth=3
	s_delay_alu instid0(VALU_DEP_1)
	v_bfe_u32 v5, v8, 23, 1
; %bb.16176:                            ;   in Loop: Header=BB4_15177 Depth=3
	s_or_b32 exec_lo, exec_lo, s14
	s_delay_alu instid0(VALU_DEP_2) | instskip(NEXT) | instid1(VALU_DEP_2)
	v_lshrrev_b64 v[8:9], 21, v[8:9]
	v_cmp_gt_i32_e32 vcc_lo, 32, v5
	v_min_i32_e32 v16, 31, v5
	v_cmp_eq_u32_e64 s14, 0, v5
	s_delay_alu instid0(VALU_DEP_4) | instskip(NEXT) | instid1(VALU_DEP_3)
	v_cndmask_b32_e32 v8, 3, v8, vcc_lo
	v_dual_cndmask_b32 v9, 0, v9 :: v_dual_lshlrev_b32 v16, 2, v16
	s_delay_alu instid0(VALU_DEP_1) | instskip(NEXT) | instid1(VALU_DEP_2)
	v_and_b32_e32 v16, 0xfc, v16
	v_cmp_eq_u64_e32 vcc_lo, 0, v[8:9]
	s_delay_alu instid0(VALU_DEP_2)
	v_and_or_b32 v5, v8, 3, v16
	s_and_b32 s14, s14, vcc_lo
	s_delay_alu instid0(VALU_DEP_1) | instid1(SALU_CYCLE_1)
	v_cndmask_b32_e64 v5, v5, 0, s14
	s_delay_alu instid0(VALU_DEP_1)
	v_or_b32_e32 v16, v5, v2
.LBB4_16177:                            ;   in Loop: Header=BB4_15177 Depth=3
	s_or_b32 exec_lo, exec_lo, s77
                                        ; implicit-def: $vgpr2
.LBB4_16178:                            ;   in Loop: Header=BB4_15177 Depth=3
	s_and_not1_saveexec_b32 s14, s76
; %bb.16179:                            ;   in Loop: Header=BB4_15177 Depth=3
	v_or_b32_e32 v16, 0x7b, v2
; %bb.16180:                            ;   in Loop: Header=BB4_15177 Depth=3
	s_or_b32 exec_lo, exec_lo, s14
                                        ; implicit-def: $vgpr5
                                        ; implicit-def: $vgpr8_vgpr9
                                        ; implicit-def: $vgpr2
.LBB4_16181:                            ;   in Loop: Header=BB4_15177 Depth=3
	s_and_not1_saveexec_b32 s14, s75
	s_cbranch_execz .LBB4_16187
; %bb.16182:                            ;   in Loop: Header=BB4_15177 Depth=3
	s_mov_b32 s75, exec_lo
                                        ; implicit-def: $vgpr16
	v_cmpx_ne_u64_e32 0, v[8:9]
	s_xor_b32 s75, exec_lo, s75
; %bb.16183:                            ;   in Loop: Header=BB4_15177 Depth=3
	v_or_b32_e32 v16, 0x7f, v2
                                        ; implicit-def: $vgpr5
; %bb.16184:                            ;   in Loop: Header=BB4_15177 Depth=3
	s_and_not1_saveexec_b32 s75, s75
; %bb.16185:                            ;   in Loop: Header=BB4_15177 Depth=3
	v_cmp_lt_i32_e32 vcc_lo, -1, v5
	v_cndmask_b32_e32 v16, 0xfc, v49, vcc_lo
; %bb.16186:                            ;   in Loop: Header=BB4_15177 Depth=3
	s_or_b32 exec_lo, exec_lo, s75
.LBB4_16187:                            ;   in Loop: Header=BB4_15177 Depth=3
	s_delay_alu instid0(SALU_CYCLE_1)
	s_or_b32 exec_lo, exec_lo, s14
	v_mov_b32_e32 v8, 0
	s_mov_b32 s14, exec_lo
	v_cmpx_lt_u32_e32 0xffffff, v4
	s_cbranch_execz .LBB4_16197
; %bb.16188:                            ;   in Loop: Header=BB4_15177 Depth=3
	v_lshrrev_b32_e32 v2, 24, v4
	v_bfrev_b32_e32 v8, 1
	s_mov_b32 s75, exec_lo
	s_delay_alu instid0(VALU_DEP_2)
	v_cmpx_ne_u32_e32 0x80, v2
	s_cbranch_execz .LBB4_16196
; %bb.16189:                            ;   in Loop: Header=BB4_15177 Depth=3
	v_and_b32_e32 v5, 0x7c000000, v4
	v_bfe_u32 v9, v4, 24, 2
	s_mov_b32 s76, exec_lo
                                        ; implicit-def: $vgpr8
	s_delay_alu instid0(VALU_DEP_2)
	v_cmpx_ne_u32_e32 0x7c000000, v5
	s_xor_b32 s76, exec_lo, s76
	s_cbranch_execz .LBB4_16193
; %bb.16190:                            ;   in Loop: Header=BB4_15177 Depth=3
	v_bfe_u32 v5, v4, 26, 5
	s_mov_b32 s77, exec_lo
	s_delay_alu instid0(VALU_DEP_1)
	v_cmpx_eq_u32_e32 0, v5
; %bb.16191:                            ;   in Loop: Header=BB4_15177 Depth=3
	v_clz_i32_u32_e32 v5, v9
	s_delay_alu instid0(VALU_DEP_1) | instskip(NEXT) | instid1(VALU_DEP_1)
	v_min_u32_e32 v5, 32, v5
	v_subrev_nc_u32_e32 v8, 29, v5
	s_delay_alu instid0(VALU_DEP_1) | instskip(NEXT) | instid1(VALU_DEP_1)
	v_lshlrev_b64_e32 v[8:9], v8, v[2:3]
	v_dual_sub_nc_u32 v5, 30, v5 :: v_dual_bitop2_b32 v9, 3, v8 bitop3:0x40
; %bb.16192:                            ;   in Loop: Header=BB4_15177 Depth=3
	s_or_b32 exec_lo, exec_lo, s77
	v_and_b32_e32 v2, 0x80000000, v4
	s_delay_alu instid0(VALU_DEP_1) | instskip(NEXT) | instid1(VALU_DEP_1)
	v_lshl_add_u32 v2, v5, 23, v2
                                        ; implicit-def: $vgpr4_vgpr5
	v_lshl_or_b32 v2, v9, 21, v2
                                        ; implicit-def: $vgpr9
	s_delay_alu instid0(VALU_DEP_1)
	v_add_nc_u32_e32 v8, 0x38000000, v2
.LBB4_16193:                            ;   in Loop: Header=BB4_15177 Depth=3
	s_and_not1_saveexec_b32 s76, s76
; %bb.16194:                            ;   in Loop: Header=BB4_15177 Depth=3
	v_cmp_lt_i32_e32 vcc_lo, -1, v4
	v_cndmask_b32_e32 v2, 0xff800000, v48, vcc_lo
	v_cmp_eq_u32_e32 vcc_lo, 0, v9
	s_delay_alu instid0(VALU_DEP_2)
	v_cndmask_b32_e32 v8, 0x7f800001, v2, vcc_lo
; %bb.16195:                            ;   in Loop: Header=BB4_15177 Depth=3
	s_or_b32 exec_lo, exec_lo, s76
.LBB4_16196:                            ;   in Loop: Header=BB4_15177 Depth=3
	s_delay_alu instid0(SALU_CYCLE_1)
	s_or_b32 exec_lo, exec_lo, s75
.LBB4_16197:                            ;   in Loop: Header=BB4_15177 Depth=3
	s_delay_alu instid0(SALU_CYCLE_1) | instskip(SKIP_3) | instid1(VALU_DEP_2)
	s_or_b32 exec_lo, exec_lo, s14
	v_bfe_u32 v9, v11, 24, 2
	v_bfe_u32 v67, v11, 26, 5
	s_mov_b32 s14, exec_lo
	v_clz_i32_u32_e32 v2, v9
	s_delay_alu instid0(VALU_DEP_2) | instskip(NEXT) | instid1(VALU_DEP_2)
	v_cmp_eq_u32_e32 vcc_lo, 0, v67
	v_min_u32_e32 v17, 32, v2
	v_lshrrev_b32_e32 v2, 24, v11
	s_delay_alu instid0(VALU_DEP_2) | instskip(NEXT) | instid1(VALU_DEP_1)
	v_subrev_nc_u32_e32 v4, 29, v17
	v_lshlrev_b64_e32 v[4:5], v4, v[2:3]
	v_sub_nc_u32_e32 v5, 30, v17
	v_and_b32_e32 v17, 0x80000000, v11
	s_delay_alu instid0(VALU_DEP_2) | instskip(NEXT) | instid1(VALU_DEP_1)
	v_dual_cndmask_b32 v5, v67, v5, vcc_lo :: v_dual_bitop2_b32 v4, 3, v4 bitop3:0x40
	v_lshl_add_u32 v5, v5, 23, v17
	s_delay_alu instid0(VALU_DEP_2) | instskip(SKIP_1) | instid1(VALU_DEP_2)
	v_cndmask_b32_e32 v4, v9, v4, vcc_lo
	v_cmp_lt_i64_e32 vcc_lo, -1, v[10:11]
	v_lshl_or_b32 v4, v4, 21, v5
	v_and_b32_e32 v5, 0x7c000000, v11
	v_cndmask_b32_e32 v17, 0xff800000, v48, vcc_lo
	v_cmp_eq_u32_e32 vcc_lo, 0, v9
	s_delay_alu instid0(VALU_DEP_4) | instskip(NEXT) | instid1(VALU_DEP_3)
	v_add_nc_u32_e32 v4, 0x38000000, v4
	v_cndmask_b32_e32 v9, 0x7f800001, v17, vcc_lo
	v_cmp_eq_u32_e32 vcc_lo, 0x7c000000, v5
	s_delay_alu instid0(VALU_DEP_2) | instskip(SKIP_1) | instid1(VALU_DEP_2)
	v_dual_mov_b32 v5, v3 :: v_dual_cndmask_b32 v4, v4, v9
	v_cmp_ne_u32_e32 vcc_lo, 0x80, v2
	v_cndmask_b32_e32 v2, 0x80000000, v4, vcc_lo
	v_cmp_lt_u64_e32 vcc_lo, s[22:23], v[10:11]
	s_delay_alu instid0(VALU_DEP_2) | instskip(NEXT) | instid1(VALU_DEP_1)
	v_dual_mov_b32 v11, v3 :: v_dual_cndmask_b32 v2, 0, v2
	v_add_f32_e32 v9, v2, v8
                                        ; implicit-def: $vgpr8
	s_delay_alu instid0(VALU_DEP_1) | instskip(SKIP_2) | instid1(VALU_DEP_3)
	v_and_b32_e32 v10, 0x7f800000, v9
	v_and_b32_e32 v4, 0x7fffff, v9
	v_lshrrev_b32_e32 v2, 24, v9
	v_cmpx_ne_u64_e32 0x7f800000, v[10:11]
	s_xor_b32 s75, exec_lo, s14
	s_cbranch_execz .LBB4_16211
; %bb.16198:                            ;   in Loop: Header=BB4_15177 Depth=3
	v_and_b32_e32 v10, 0x7fffffff, v9
	v_mov_b32_e32 v11, v3
	v_and_b32_e32 v2, 0x80, v2
                                        ; implicit-def: $vgpr8
	s_mov_b32 s14, exec_lo
	s_delay_alu instid0(VALU_DEP_2)
	v_cmpx_gt_u64_e32 0x47600001, v[10:11]
	s_xor_b32 s76, exec_lo, s14
	s_cbranch_execz .LBB4_16208
; %bb.16199:                            ;   in Loop: Header=BB4_15177 Depth=3
	v_mov_b32_e32 v8, 0
	s_mov_b32 s77, exec_lo
	v_cmpx_ne_u32_e32 0, v9
	s_cbranch_execz .LBB4_16207
; %bb.16200:                            ;   in Loop: Header=BB4_15177 Depth=3
	v_bfe_u32 v10, v9, 23, 8
	v_or_b32_e32 v17, 0x800000, v4
	s_delay_alu instid0(VALU_DEP_2) | instskip(SKIP_1) | instid1(VALU_DEP_2)
	v_sub_nc_u32_e32 v8, 0x71, v10
	v_cmp_gt_u32_e32 vcc_lo, 0x72, v10
	v_cndmask_b32_e32 v8, 0, v8, vcc_lo
	v_cmp_eq_u32_e32 vcc_lo, 0, v10
	s_delay_alu instid0(VALU_DEP_2) | instskip(NEXT) | instid1(VALU_DEP_1)
	v_cndmask_b32_e64 v11, v8, 0x70, vcc_lo
	v_dual_cndmask_b32 v4, v17, v4, vcc_lo :: v_dual_add_nc_u32 v8, 21, v11
	v_add_nc_u32_e32 v67, 20, v11
	s_delay_alu instid0(VALU_DEP_2) | instskip(NEXT) | instid1(VALU_DEP_2)
	v_lshlrev_b64_e64 v[8:9], v8, -1
	v_lshlrev_b64_e64 v[86:87], v67, 1
	s_delay_alu instid0(VALU_DEP_2) | instskip(SKIP_1) | instid1(VALU_DEP_4)
	v_bfi_b32 v8, v8, 0, v4
	v_lshrrev_b64 v[4:5], v11, v[4:5]
	v_bfi_b32 v9, v9, 0, 0
	s_delay_alu instid0(VALU_DEP_1) | instskip(NEXT) | instid1(VALU_DEP_3)
	v_cmp_eq_u64_e64 s14, v[8:9], v[86:87]
	v_mov_b64_e32 v[8:9], v[4:5]
	s_and_saveexec_b32 s78, s14
; %bb.16201:                            ;   in Loop: Header=BB4_15177 Depth=3
	v_bfe_u32 v8, v4, 21, 1
	v_mov_b32_e32 v9, v3
	s_delay_alu instid0(VALU_DEP_1) | instskip(NEXT) | instid1(VALU_DEP_1)
	v_add_nc_u64_e32 v[8:9], v[4:5], v[8:9]
	v_add_nc_u64_e32 v[8:9], -1, v[8:9]
; %bb.16202:                            ;   in Loop: Header=BB4_15177 Depth=3
	s_or_b32 exec_lo, exec_lo, s78
	v_add_nc_u32_e32 v5, 0xffffff81, v10
	v_lshrrev_b32_e32 v9, 23, v4
	s_mov_b32 s14, exec_lo
	s_delay_alu instid0(VALU_DEP_2) | instskip(NEXT) | instid1(VALU_DEP_1)
	v_cndmask_b32_e64 v5, v5, 0xffffff82, vcc_lo
	v_add3_u32 v9, v11, v5, v9
	v_and_b32_e32 v5, 0x1fffff, v8
                                        ; implicit-def: $vgpr8
	s_delay_alu instid0(VALU_DEP_1) | instskip(SKIP_1) | instid1(VALU_DEP_2)
	v_dual_add_nc_u32 v10, 14, v9 :: v_dual_add_nc_u32 v4, v5, v4
	v_mov_b32_e32 v5, v3
	v_cmpx_ne_u32_e32 0, v10
	s_xor_b32 s14, exec_lo, s14
; %bb.16203:                            ;   in Loop: Header=BB4_15177 Depth=3
	s_delay_alu instid0(VALU_DEP_2) | instskip(SKIP_2) | instid1(VALU_DEP_2)
	v_cmp_lt_u64_e32 vcc_lo, 0xffffff, v[4:5]
	v_add_nc_u32_e32 v8, 15, v9
	v_cndmask_b32_e64 v9, 0, 1, vcc_lo
	v_cndmask_b32_e32 v8, v10, v8, vcc_lo
	s_delay_alu instid0(VALU_DEP_2)
	v_lshrrev_b64 v[4:5], v9, v[4:5]
; %bb.16204:                            ;   in Loop: Header=BB4_15177 Depth=3
	s_and_not1_saveexec_b32 s14, s14
; %bb.16205:                            ;   in Loop: Header=BB4_15177 Depth=3
	s_delay_alu instid0(VALU_DEP_1)
	v_bfe_u32 v8, v4, 23, 1
; %bb.16206:                            ;   in Loop: Header=BB4_15177 Depth=3
	s_or_b32 exec_lo, exec_lo, s14
	s_delay_alu instid0(VALU_DEP_2) | instskip(NEXT) | instid1(VALU_DEP_2)
	v_lshrrev_b64 v[4:5], 21, v[4:5]
	v_cmp_gt_i32_e32 vcc_lo, 32, v8
	v_min_i32_e32 v9, 31, v8
	v_cmp_eq_u32_e64 s14, 0, v8
	s_delay_alu instid0(VALU_DEP_4) | instskip(NEXT) | instid1(VALU_DEP_3)
	v_cndmask_b32_e32 v5, 0, v5, vcc_lo
	v_dual_cndmask_b32 v4, 3, v4 :: v_dual_lshlrev_b32 v9, 2, v9
	s_delay_alu instid0(VALU_DEP_1) | instskip(NEXT) | instid1(VALU_DEP_2)
	v_and_b32_e32 v9, 0xfc, v9
	v_cmp_eq_u64_e32 vcc_lo, 0, v[4:5]
	s_delay_alu instid0(VALU_DEP_2)
	v_and_or_b32 v4, v4, 3, v9
	s_and_b32 s14, s14, vcc_lo
	s_delay_alu instid0(VALU_DEP_1) | instid1(SALU_CYCLE_1)
	v_cndmask_b32_e64 v4, v4, 0, s14
	s_delay_alu instid0(VALU_DEP_1)
	v_or_b32_e32 v8, v4, v2
.LBB4_16207:                            ;   in Loop: Header=BB4_15177 Depth=3
	s_or_b32 exec_lo, exec_lo, s77
                                        ; implicit-def: $vgpr2
.LBB4_16208:                            ;   in Loop: Header=BB4_15177 Depth=3
	s_and_not1_saveexec_b32 s14, s76
; %bb.16209:                            ;   in Loop: Header=BB4_15177 Depth=3
	v_or_b32_e32 v8, 0x7b, v2
; %bb.16210:                            ;   in Loop: Header=BB4_15177 Depth=3
	s_or_b32 exec_lo, exec_lo, s14
                                        ; implicit-def: $vgpr9
                                        ; implicit-def: $vgpr4_vgpr5
                                        ; implicit-def: $vgpr2
.LBB4_16211:                            ;   in Loop: Header=BB4_15177 Depth=3
	s_and_not1_saveexec_b32 s14, s75
	s_cbranch_execz .LBB4_15176
; %bb.16212:                            ;   in Loop: Header=BB4_15177 Depth=3
	s_mov_b32 s75, exec_lo
                                        ; implicit-def: $vgpr8
	v_cmpx_ne_u64_e32 0, v[4:5]
	s_xor_b32 s75, exec_lo, s75
; %bb.16213:                            ;   in Loop: Header=BB4_15177 Depth=3
	v_or_b32_e32 v8, 0x7f, v2
                                        ; implicit-def: $vgpr9
; %bb.16214:                            ;   in Loop: Header=BB4_15177 Depth=3
	s_and_not1_saveexec_b32 s75, s75
	s_cbranch_execz .LBB4_15175
; %bb.16215:                            ;   in Loop: Header=BB4_15177 Depth=3
	v_cmp_lt_i32_e32 vcc_lo, -1, v9
	v_cndmask_b32_e32 v8, 0xfc, v49, vcc_lo
	s_branch .LBB4_15175
.LBB4_16216:                            ;   in Loop: Header=BB4_15177 Depth=3
	s_or_saveexec_b32 s14, s14
	v_bfrev_b32_e32 v5, 1
	s_xor_b32 exec_lo, exec_lo, s14
	s_cbranch_execz .LBB4_15679
.LBB4_16217:                            ;   in Loop: Header=BB4_15177 Depth=3
	v_cmp_ne_u16_e32 vcc_lo, 0, v17
	v_mov_b32_e32 v5, 0
	s_and_not1_b32 s75, s75, exec_lo
	s_and_b32 s76, vcc_lo, exec_lo
	s_delay_alu instid0(SALU_CYCLE_1)
	s_or_b32 s75, s75, s76
	s_or_b32 exec_lo, exec_lo, s14
	s_and_saveexec_b32 s14, s75
	s_cbranch_execnz .LBB4_15680
	s_branch .LBB4_15681
.LBB4_16218:                            ;   in Loop: Header=BB4_15177 Depth=3
	s_or_saveexec_b32 s14, s14
	v_bfrev_b32_e32 v2, 1
	s_xor_b32 exec_lo, exec_lo, s14
	s_cbranch_execz .LBB4_15715
.LBB4_16219:                            ;   in Loop: Header=BB4_15177 Depth=3
	v_cmp_ne_u16_e32 vcc_lo, 0, v16
	v_mov_b32_e32 v2, 0
	s_and_not1_b32 s75, s75, exec_lo
	s_and_b32 s76, vcc_lo, exec_lo
	s_delay_alu instid0(SALU_CYCLE_1)
	s_or_b32 s75, s75, s76
	s_or_b32 exec_lo, exec_lo, s14
	s_and_saveexec_b32 s14, s75
	s_cbranch_execnz .LBB4_15716
	s_branch .LBB4_15717
.LBB4_16220:                            ;   in Loop: Header=BB4_15177 Depth=3
	s_or_saveexec_b32 s14, s14
	v_bfrev_b32_e32 v16, 1
	s_xor_b32 exec_lo, exec_lo, s14
	s_cbranch_execz .LBB4_15751
.LBB4_16221:                            ;   in Loop: Header=BB4_15177 Depth=3
	v_cmp_ne_u16_e32 vcc_lo, 0, v17
	v_mov_b32_e32 v16, 0
	s_and_not1_b32 s75, s75, exec_lo
	s_and_b32 s76, vcc_lo, exec_lo
	s_delay_alu instid0(SALU_CYCLE_1)
	s_or_b32 s75, s75, s76
	s_or_b32 exec_lo, exec_lo, s14
	s_and_saveexec_b32 s14, s75
	s_cbranch_execnz .LBB4_15752
	s_branch .LBB4_15753
.LBB4_16222:                            ;   in Loop: Header=BB4_15177 Depth=3
	s_or_saveexec_b32 s14, s14
	v_bfrev_b32_e32 v5, 1
	s_xor_b32 exec_lo, exec_lo, s14
	s_cbranch_execz .LBB4_15817
.LBB4_16223:                            ;   in Loop: Header=BB4_15177 Depth=3
	v_cmp_ne_u16_e32 vcc_lo, 0, v17
	v_mov_b32_e32 v5, 0
	s_and_not1_b32 s75, s75, exec_lo
	s_and_b32 s76, vcc_lo, exec_lo
	s_delay_alu instid0(SALU_CYCLE_1)
	s_or_b32 s75, s75, s76
	s_or_b32 exec_lo, exec_lo, s14
	v_mov_b32_e32 v17, v3
	s_and_saveexec_b32 s14, s75
	s_cbranch_execnz .LBB4_15818
	s_branch .LBB4_15819
.LBB4_16224:                            ;   in Loop: Header=BB4_15177 Depth=3
	s_or_saveexec_b32 s14, s14
	v_bfrev_b32_e32 v2, 1
	s_xor_b32 exec_lo, exec_lo, s14
	s_cbranch_execz .LBB4_15853
.LBB4_16225:                            ;   in Loop: Header=BB4_15177 Depth=3
	v_cmp_ne_u16_e32 vcc_lo, 0, v18
	v_mov_b32_e32 v2, 0
	s_and_not1_b32 s75, s75, exec_lo
	s_and_b32 s76, vcc_lo, exec_lo
	s_delay_alu instid0(SALU_CYCLE_1)
	s_or_b32 s75, s75, s76
	s_or_b32 exec_lo, exec_lo, s14
	s_and_saveexec_b32 s14, s75
	s_cbranch_execnz .LBB4_15854
	s_branch .LBB4_15855
.LBB4_16226:                            ;   in Loop: Header=BB4_15177 Depth=3
	s_or_saveexec_b32 s14, s14
	v_bfrev_b32_e32 v16, 1
	s_xor_b32 exec_lo, exec_lo, s14
	s_cbranch_execz .LBB4_15889
.LBB4_16227:                            ;   in Loop: Header=BB4_15177 Depth=3
	v_cmp_ne_u16_e32 vcc_lo, 0, v17
	v_mov_b32_e32 v16, 0
	s_and_not1_b32 s75, s75, exec_lo
	s_and_b32 s76, vcc_lo, exec_lo
	s_delay_alu instid0(SALU_CYCLE_1)
	s_or_b32 s75, s75, s76
	s_or_b32 exec_lo, exec_lo, s14
	s_and_saveexec_b32 s14, s75
	s_cbranch_execnz .LBB4_15890
	s_branch .LBB4_15891
.LBB4_16228:                            ;   in Loop: Header=BB4_15177 Depth=3
	s_or_saveexec_b32 s14, s14
	v_bfrev_b32_e32 v5, 1
	s_xor_b32 exec_lo, exec_lo, s14
	s_cbranch_execz .LBB4_15955
.LBB4_16229:                            ;   in Loop: Header=BB4_15177 Depth=3
	v_cmp_ne_u16_e32 vcc_lo, 0, v9
	v_mov_b32_e32 v5, 0
	s_and_not1_b32 s75, s75, exec_lo
	s_and_b32 s76, vcc_lo, exec_lo
	s_delay_alu instid0(SALU_CYCLE_1)
	s_or_b32 s75, s75, s76
	s_or_b32 exec_lo, exec_lo, s14
	s_and_saveexec_b32 s14, s75
	s_cbranch_execnz .LBB4_15956
	s_branch .LBB4_15957
.LBB4_16230:                            ;   in Loop: Header=BB4_15177 Depth=3
	s_or_saveexec_b32 s14, s14
	v_bfrev_b32_e32 v2, 1
	s_xor_b32 exec_lo, exec_lo, s14
	s_cbranch_execz .LBB4_15991
.LBB4_16231:                            ;   in Loop: Header=BB4_15177 Depth=3
	v_cmp_ne_u16_e32 vcc_lo, 0, v8
	v_mov_b32_e32 v2, 0
	s_and_not1_b32 s75, s75, exec_lo
	s_and_b32 s76, vcc_lo, exec_lo
	s_delay_alu instid0(SALU_CYCLE_1)
	s_or_b32 s75, s75, s76
	s_or_b32 exec_lo, exec_lo, s14
	s_and_saveexec_b32 s14, s75
	s_cbranch_execnz .LBB4_15992
	s_branch .LBB4_15993
.LBB4_16232:                            ;   in Loop: Header=BB4_15177 Depth=3
	s_or_saveexec_b32 s14, s14
	v_bfrev_b32_e32 v8, 1
	s_xor_b32 exec_lo, exec_lo, s14
	s_cbranch_execz .LBB4_16027
.LBB4_16233:                            ;   in Loop: Header=BB4_15177 Depth=3
	v_cmp_ne_u16_e32 vcc_lo, 0, v9
	v_mov_b32_e32 v8, 0
	s_and_not1_b32 s75, s75, exec_lo
	s_and_b32 s76, vcc_lo, exec_lo
	s_delay_alu instid0(SALU_CYCLE_1)
	s_or_b32 s75, s75, s76
	s_or_b32 exec_lo, exec_lo, s14
	s_and_saveexec_b32 s14, s75
	s_cbranch_execnz .LBB4_16028
	s_branch .LBB4_16029
.LBB4_16234:                            ;   in Loop: Header=BB4_15177 Depth=3
	s_or_saveexec_b32 s14, s14
	v_bfrev_b32_e32 v5, 1
	s_xor_b32 exec_lo, exec_lo, s14
	s_cbranch_execz .LBB4_16093
.LBB4_16235:                            ;   in Loop: Header=BB4_15177 Depth=3
	v_cmp_ne_u16_e32 vcc_lo, 0, v9
	v_mov_b32_e32 v5, 0
	s_and_not1_b32 s75, s75, exec_lo
	s_and_b32 s76, vcc_lo, exec_lo
	s_delay_alu instid0(SALU_CYCLE_1)
	s_or_b32 s75, s75, s76
	s_or_b32 exec_lo, exec_lo, s14
	v_mov_b32_e32 v9, v3
	s_and_saveexec_b32 s14, s75
	s_cbranch_execnz .LBB4_16094
	s_branch .LBB4_16095
.LBB4_16236:                            ;   in Loop: Header=BB4_15177 Depth=3
	s_or_saveexec_b32 s14, s14
	v_bfrev_b32_e32 v2, 1
	s_xor_b32 exec_lo, exec_lo, s14
	s_cbranch_execz .LBB4_16129
.LBB4_16237:                            ;   in Loop: Header=BB4_15177 Depth=3
	v_cmp_ne_u16_e32 vcc_lo, 0, v16
	v_mov_b32_e32 v2, 0
	s_and_not1_b32 s75, s75, exec_lo
	s_and_b32 s76, vcc_lo, exec_lo
	s_delay_alu instid0(SALU_CYCLE_1)
	s_or_b32 s75, s75, s76
	s_or_b32 exec_lo, exec_lo, s14
	s_and_saveexec_b32 s14, s75
	s_cbranch_execnz .LBB4_16130
	s_branch .LBB4_16131
.LBB4_16238:                            ;   in Loop: Header=BB4_15177 Depth=3
	s_or_saveexec_b32 s14, s14
	v_bfrev_b32_e32 v8, 1
	s_xor_b32 exec_lo, exec_lo, s14
	s_cbranch_execz .LBB4_16165
.LBB4_16239:                            ;   in Loop: Header=BB4_15177 Depth=3
	v_cmp_ne_u16_e32 vcc_lo, 0, v9
	v_mov_b32_e32 v8, 0
	s_and_not1_b32 s75, s75, exec_lo
	s_and_b32 s76, vcc_lo, exec_lo
	s_delay_alu instid0(SALU_CYCLE_1)
	s_or_b32 s75, s75, s76
	s_or_b32 exec_lo, exec_lo, s14
	s_and_saveexec_b32 s14, s75
	s_cbranch_execnz .LBB4_16166
	s_branch .LBB4_16167
.LBB4_16240:                            ;   in Loop: Header=BB4_8155 Depth=2
	s_or_b32 exec_lo, exec_lo, s43
.LBB4_16241:                            ;   in Loop: Header=BB4_8155 Depth=2
	s_delay_alu instid0(SALU_CYCLE_1) | instskip(NEXT) | instid1(VALU_DEP_2)
	s_or_b32 exec_lo, exec_lo, s42
	v_cmp_lt_i32_e32 vcc_lo, 0, v64
	v_dual_cndmask_b32 v5, 0, v36, vcc_lo :: v_dual_bitop2_b32 v2, 15, v47 bitop3:0x40
	s_delay_alu instid0(VALU_DEP_1) | instskip(NEXT) | instid1(VALU_DEP_1)
	v_dual_sub_nc_u32 v4, v51, v2 :: v_dual_cndmask_b32 v66, v51, v2, s13
	v_cndmask_b32_e64 v2, 0, v4, s13
	s_delay_alu instid0(VALU_DEP_3) | instskip(NEXT) | instid1(VALU_DEP_3)
	v_sub_nc_u32_e32 v4, v5, v64
	v_cmp_ne_u32_e32 vcc_lo, 0, v66
	s_delay_alu instid0(VALU_DEP_3) | instskip(NEXT) | instid1(VALU_DEP_3)
	v_add3_u32 v2, v50, v30, v2
	v_lshl_add_u32 v67, v4, 5, v31
	s_and_b32 s13, vcc_lo, exec_lo
.LBB4_16242:                            ;   in Loop: Header=BB4_8155 Depth=2
	s_or_b32 exec_lo, exec_lo, s15
	s_and_saveexec_b32 s42, s13
	s_cbranch_execz .LBB4_17593
.LBB4_16243:                            ;   in Loop: Header=BB4_8155 Depth=2
	v_dual_ashrrev_i32 v4, 31, v67 :: v_dual_ashrrev_i32 v5, 31, v66
	s_mov_b32 s43, exec_lo
	s_delay_alu instid0(VALU_DEP_1) | instskip(NEXT) | instid1(VALU_DEP_1)
	v_dual_lshrrev_b32 v4, 27, v4 :: v_dual_lshrrev_b32 v5, 23, v5
	v_dual_add_nc_u32 v4, v67, v4 :: v_dual_add_nc_u32 v5, v66, v5
	s_delay_alu instid0(VALU_DEP_1) | instskip(NEXT) | instid1(VALU_DEP_1)
	v_dual_ashrrev_i32 v103, 5, v4 :: v_dual_ashrrev_i32 v115, 9, v5
	v_sub_nc_u32_e32 v113, v115, v103
	s_delay_alu instid0(VALU_DEP_1)
	v_cmpx_lt_i32_e32 0, v113
	s_cbranch_execz .LBB4_17503
; %bb.16244:                            ;   in Loop: Header=BB4_8155 Depth=2
	v_and_b32_e32 v8, 0xffffffe0, v4
	v_lshlrev_b32_e32 v9, 9, v103
	s_trap 2
	ds_load_b64 v[4:5], v0
	s_mov_b32 s73, 0
	v_sub_nc_u32_e32 v8, v67, v8
	s_delay_alu instid0(VALU_DEP_1) | instskip(SKIP_3) | instid1(VALU_DEP_1)
	v_add3_u32 v12, v2, v8, v9
	scratch_load_b64 v[8:9], off, s33 offset:228 th:TH_LOAD_LU ; 8-byte Folded Reload
	v_ashrrev_i32_e32 v13, 31, v12
	s_wait_dscnt 0x0
	v_add_nc_u64_e32 v[10:11], v[4:5], v[12:13]
	s_wait_loadcnt 0x0
	v_add_nc_u64_e32 v[14:15], 0x1e0, v[8:9]
	scratch_load_b64 v[8:9], off, s33 offset:220 th:TH_LOAD_LU ; 8-byte Folded Reload
	s_wait_loadcnt 0x0
	v_add_nc_u64_e32 v[8:9], v[12:13], v[8:9]
	v_add_nc_u64_e32 v[12:13], v[14:15], v[12:13]
	s_branch .LBB4_16247
.LBB4_16245:                            ;   in Loop: Header=BB4_16247 Depth=3
	s_or_b32 exec_lo, exec_lo, s14
.LBB4_16246:                            ;   in Loop: Header=BB4_16247 Depth=3
	s_delay_alu instid0(SALU_CYCLE_1)
	s_or_b32 exec_lo, exec_lo, s13
	v_sub_nc_u32_e32 v113, v113, v36
	s_clause 0xf
	flat_store_b8 v[12:13], v120 offset:-480 th:TH_STORE_NT
	flat_store_b8 v[12:13], v104 offset:-448 th:TH_STORE_NT
	flat_store_b8 v[12:13], v116 offset:-416 th:TH_STORE_NT
	flat_store_b8 v[12:13], v100 offset:-384 th:TH_STORE_NT
	flat_store_b8 v[12:13], v101 offset:-352 th:TH_STORE_NT
	flat_store_b8 v[12:13], v50 offset:-320 th:TH_STORE_NT
	flat_store_b8 v[12:13], v51 offset:-288 th:TH_STORE_NT
	flat_store_b8 v[12:13], v30 offset:-256 th:TH_STORE_NT
	flat_store_b8 v[12:13], v20 offset:-224 th:TH_STORE_NT
	flat_store_b8 v[12:13], v18 offset:-192 th:TH_STORE_NT
	flat_store_b8 v[12:13], v19 offset:-160 th:TH_STORE_NT
	flat_store_b8 v[12:13], v21 offset:-128 th:TH_STORE_NT
	flat_store_b8 v[12:13], v31 offset:-96 th:TH_STORE_NT
	flat_store_b8 v[12:13], v64 offset:-64 th:TH_STORE_NT
	flat_store_b8 v[12:13], v16 offset:-32 th:TH_STORE_NT
	flat_store_b8 v[12:13], v14 th:TH_STORE_NT
	v_add_nc_u64_e32 v[8:9], v[8:9], v[54:55]
	v_add_nc_u64_e32 v[10:11], v[10:11], v[54:55]
	v_cmp_gt_i32_e32 vcc_lo, 1, v113
	s_wait_xcnt 0x0
	v_add_nc_u64_e32 v[12:13], v[12:13], v[54:55]
	s_or_b32 s73, vcc_lo, s73
	s_delay_alu instid0(SALU_CYCLE_1)
	s_and_not1_b32 exec_lo, exec_lo, s73
	s_cbranch_execz .LBB4_17502
.LBB4_16247:                            ;   Parent Loop BB4_47 Depth=1
                                        ;     Parent Loop BB4_8155 Depth=2
                                        ; =>    This Inner Loop Header: Depth=3
	s_trap 2
	ds_load_b64 v[4:5], v0
	s_mov_b32 s74, 0
	s_wait_dscnt 0x0
	v_and_b32_e32 v14, 0xff, v4
	v_readfirstlane_b32 s14, v4
	v_readfirstlane_b32 s15, v5
	s_delay_alu instid0(VALU_DEP_3)
	v_cmp_eq_u32_e32 vcc_lo, 0, v14
	s_cbranch_vccnz .LBB4_16255
; %bb.16248:                            ;   in Loop: Header=BB4_16247 Depth=3
	s_bfe_i32 s75, s14, 0x80000
	s_brev_b32 s74, 1
	s_and_b32 s13, 0xffff, s75
	s_delay_alu instid0(SALU_CYCLE_1)
	s_cmp_eq_u32 s13, 0xff80
	s_cbranch_scc1 .LBB4_16255
; %bb.16249:                            ;   in Loop: Header=BB4_16247 Depth=3
	s_and_b32 s74, s14, 0x7c
	s_and_b32 s13, s14, 3
	s_mov_b32 s76, -1
	s_cmp_lg_u32 s74, 0x7c
	s_sext_i32_i16 s75, s75
                                        ; implicit-def: $sgpr74
	s_cbranch_scc0 .LBB4_16253
; %bb.16250:                            ;   in Loop: Header=BB4_16247 Depth=3
	s_bfe_u32 s74, s14, 0x50002
	s_mov_b32 s76, s13
	s_cmp_lg_u32 s74, 0
	s_cbranch_scc1 .LBB4_16252
; %bb.16251:                            ;   in Loop: Header=BB4_16247 Depth=3
	s_clz_i32_u32 s74, s13
	s_delay_alu instid0(SALU_CYCLE_1) | instskip(NEXT) | instid1(SALU_CYCLE_1)
	s_min_u32 s74, s74, 32
	s_sub_co_i32 s76, s74, 29
	s_sub_co_i32 s74, 30, s74
	s_lshl_b64 s[14:15], s[14:15], s76
	s_delay_alu instid0(SALU_CYCLE_1)
	s_and_b32 s76, s14, 3
.LBB4_16252:                            ;   in Loop: Header=BB4_16247 Depth=3
	s_and_b32 s14, s75, 0x80000000
	s_lshl_b32 s15, s74, 23
	s_lshl_b32 s74, s76, 21
	s_add_co_i32 s15, s15, s14
	s_mov_b32 s76, 0
	s_or_b32 s14, s15, s74
	s_delay_alu instid0(SALU_CYCLE_1)
	s_add_co_i32 s74, s14, 0x38000000
.LBB4_16253:                            ;   in Loop: Header=BB4_16247 Depth=3
	s_and_b32 vcc_lo, exec_lo, s76
	s_cbranch_vccz .LBB4_16255
; %bb.16254:                            ;   in Loop: Header=BB4_16247 Depth=3
	s_cmp_gt_i32 s75, -1
	s_cselect_b32 s14, s47, 0xff800000
	s_cmp_eq_u32 s13, 0
	s_cselect_b32 s74, s14, 0x7f800001
.LBB4_16255:                            ;   in Loop: Header=BB4_16247 Depth=3
	flat_load_i8 v4, v[8:9] th:TH_LOAD_NT
	v_mov_b32_e32 v14, 0
	s_mov_b32 s13, exec_lo
	s_wait_loadcnt_dscnt 0x0
	v_cmpx_ne_u16_e32 0, v4
	s_cbranch_execz .LBB4_16265
; %bb.16256:                            ;   in Loop: Header=BB4_16247 Depth=3
	v_bfrev_b32_e32 v14, 1
	s_mov_b32 s14, exec_lo
	v_cmpx_ne_u16_e32 0xff80, v4
	s_cbranch_execz .LBB4_16264
; %bb.16257:                            ;   in Loop: Header=BB4_16247 Depth=3
	v_and_b32_e32 v14, 0x7c, v4
	v_and_b32_e32 v5, 3, v4
	s_delay_alu instid0(VALU_DEP_2) | instskip(SKIP_1) | instid1(SALU_CYCLE_1)
	v_cmp_ne_u32_e32 vcc_lo, 0x7c, v14
                                        ; implicit-def: $vgpr14
	s_and_saveexec_b32 s15, vcc_lo
	s_xor_b32 s15, exec_lo, s15
	s_cbranch_execz .LBB4_16261
; %bb.16258:                            ;   in Loop: Header=BB4_16247 Depth=3
	v_and_b32_e32 v14, 0xff, v4
	s_mov_b32 s75, exec_lo
	s_delay_alu instid0(VALU_DEP_1) | instskip(NEXT) | instid1(VALU_DEP_1)
	v_bfe_u32 v14, v14, 2, 5
	v_cmpx_eq_u32_e32 0, v14
	s_cbranch_execz .LBB4_16260
; %bb.16259:                            ;   in Loop: Header=BB4_16247 Depth=3
	v_clz_i32_u32_e32 v5, v5
	s_delay_alu instid0(VALU_DEP_1) | instskip(SKIP_1) | instid1(VALU_DEP_2)
	v_min_u32_e32 v14, 32, v5
	v_mov_b32_e32 v5, v3
	v_subrev_nc_u32_e32 v15, 29, v14
	v_sub_nc_u32_e32 v14, 30, v14
	s_delay_alu instid0(VALU_DEP_2) | instskip(NEXT) | instid1(VALU_DEP_1)
	v_lshlrev_b64_e32 v[16:17], v15, v[4:5]
	v_and_b32_e32 v5, 3, v16
.LBB4_16260:                            ;   in Loop: Header=BB4_16247 Depth=3
	s_or_b32 exec_lo, exec_lo, s75
	v_bfe_i32 v4, v4, 0, 16
	s_delay_alu instid0(VALU_DEP_1) | instskip(NEXT) | instid1(VALU_DEP_1)
	v_and_b32_e32 v4, 0x80000000, v4
	v_lshl_add_u32 v4, v14, 23, v4
	s_delay_alu instid0(VALU_DEP_1) | instskip(NEXT) | instid1(VALU_DEP_1)
	v_lshl_or_b32 v4, v5, 21, v4
                                        ; implicit-def: $vgpr5
	v_add_nc_u32_e32 v14, 0x38000000, v4
                                        ; implicit-def: $vgpr4
.LBB4_16261:                            ;   in Loop: Header=BB4_16247 Depth=3
	s_and_not1_saveexec_b32 s15, s15
; %bb.16262:                            ;   in Loop: Header=BB4_16247 Depth=3
	v_cmp_lt_i16_e32 vcc_lo, -1, v4
	v_cndmask_b32_e32 v4, 0xff800000, v48, vcc_lo
	v_cmp_eq_u32_e32 vcc_lo, 0, v5
	s_delay_alu instid0(VALU_DEP_2)
	v_cndmask_b32_e32 v14, 0x7f800001, v4, vcc_lo
; %bb.16263:                            ;   in Loop: Header=BB4_16247 Depth=3
	s_or_b32 exec_lo, exec_lo, s15
.LBB4_16264:                            ;   in Loop: Header=BB4_16247 Depth=3
	s_delay_alu instid0(SALU_CYCLE_1)
	s_or_b32 exec_lo, exec_lo, s14
.LBB4_16265:                            ;   in Loop: Header=BB4_16247 Depth=3
	s_delay_alu instid0(SALU_CYCLE_1) | instskip(NEXT) | instid1(VALU_DEP_1)
	s_or_b32 exec_lo, exec_lo, s13
	v_dual_mul_f32 v14, s74, v14 :: v_dual_mov_b32 v5, v3
                                        ; implicit-def: $vgpr106
	s_delay_alu instid0(VALU_DEP_1) | instskip(NEXT) | instid1(VALU_DEP_1)
	v_and_b32_e32 v4, 0x7f800000, v14
	v_cmp_ne_u64_e32 vcc_lo, 0x7f800000, v[4:5]
	v_and_b32_e32 v4, 0x7fffff, v14
	s_and_saveexec_b32 s13, vcc_lo
	s_delay_alu instid0(SALU_CYCLE_1)
	s_xor_b32 s14, exec_lo, s13
	s_cbranch_execz .LBB4_16283
; %bb.16266:                            ;   in Loop: Header=BB4_16247 Depth=3
	v_and_b32_e32 v16, 0x7fffffff, v14
	v_dual_mov_b32 v17, v3 :: v_dual_lshrrev_b32 v15, 24, v14
                                        ; implicit-def: $vgpr106
	s_delay_alu instid0(VALU_DEP_1) | instskip(NEXT) | instid1(VALU_DEP_2)
	v_cmp_gt_u64_e32 vcc_lo, 0x47600001, v[16:17]
	v_and_b32_e32 v16, 0x80, v15
	s_and_saveexec_b32 s13, vcc_lo
	s_delay_alu instid0(SALU_CYCLE_1)
	s_xor_b32 s15, exec_lo, s13
	s_cbranch_execz .LBB4_16280
; %bb.16267:                            ;   in Loop: Header=BB4_16247 Depth=3
	v_mov_b32_e32 v106, 0
	s_mov_b32 s75, exec_lo
	v_cmpx_ne_u32_e32 0, v14
	s_cbranch_execz .LBB4_16279
; %bb.16268:                            ;   in Loop: Header=BB4_16247 Depth=3
	v_bfe_u32 v17, v14, 23, 8
	v_or_b32_e32 v19, 0x800000, v4
	s_delay_alu instid0(VALU_DEP_2) | instskip(SKIP_1) | instid1(VALU_DEP_2)
	v_sub_nc_u32_e32 v14, 0x71, v17
	v_cmp_gt_u32_e32 vcc_lo, 0x72, v17
	v_cndmask_b32_e32 v14, 0, v14, vcc_lo
	v_cmp_eq_u32_e32 vcc_lo, 0, v17
	v_cndmask_b32_e32 v4, v19, v4, vcc_lo
	s_delay_alu instid0(VALU_DEP_3) | instskip(NEXT) | instid1(VALU_DEP_1)
	v_cndmask_b32_e64 v18, v14, 0x70, vcc_lo
	v_dual_add_nc_u32 v14, 21, v18 :: v_dual_add_nc_u32 v20, 20, v18
	s_delay_alu instid0(VALU_DEP_1) | instskip(NEXT) | instid1(VALU_DEP_2)
	v_lshlrev_b64_e64 v[14:15], v14, -1
	v_lshlrev_b64_e64 v[20:21], v20, 1
	s_delay_alu instid0(VALU_DEP_2) | instskip(SKIP_1) | instid1(VALU_DEP_4)
	v_bfi_b32 v14, v14, 0, v4
	v_lshrrev_b64 v[4:5], v18, v[4:5]
	v_bfi_b32 v15, v15, 0, 0
	s_delay_alu instid0(VALU_DEP_1) | instskip(NEXT) | instid1(VALU_DEP_3)
	v_cmp_eq_u64_e64 s13, v[14:15], v[20:21]
	v_mov_b64_e32 v[14:15], v[4:5]
	s_and_saveexec_b32 s76, s13
; %bb.16269:                            ;   in Loop: Header=BB4_16247 Depth=3
	v_bfe_u32 v14, v4, 21, 1
	v_mov_b32_e32 v15, v3
	s_delay_alu instid0(VALU_DEP_1) | instskip(NEXT) | instid1(VALU_DEP_1)
	v_add_nc_u64_e32 v[14:15], v[4:5], v[14:15]
	v_add_nc_u64_e32 v[14:15], -1, v[14:15]
; %bb.16270:                            ;   in Loop: Header=BB4_16247 Depth=3
	s_or_b32 exec_lo, exec_lo, s76
	v_add_nc_u32_e32 v5, 0xffffff81, v17
	v_lshrrev_b32_e32 v15, 23, v4
	s_mov_b32 s13, exec_lo
	s_delay_alu instid0(VALU_DEP_2) | instskip(NEXT) | instid1(VALU_DEP_1)
	v_cndmask_b32_e64 v5, v5, 0xffffff82, vcc_lo
	v_add3_u32 v15, v18, v5, v15
	v_and_b32_e32 v5, 0x1fffff, v14
                                        ; implicit-def: $vgpr14
	s_delay_alu instid0(VALU_DEP_1) | instskip(SKIP_1) | instid1(VALU_DEP_2)
	v_dual_add_nc_u32 v17, 14, v15 :: v_dual_add_nc_u32 v4, v5, v4
	v_mov_b32_e32 v5, v3
	v_cmpx_ne_u32_e32 0, v17
	s_xor_b32 s13, exec_lo, s13
; %bb.16271:                            ;   in Loop: Header=BB4_16247 Depth=3
	s_delay_alu instid0(VALU_DEP_2) | instskip(SKIP_2) | instid1(VALU_DEP_2)
	v_cmp_lt_u64_e32 vcc_lo, 0xffffff, v[4:5]
	v_add_nc_u32_e32 v14, 15, v15
	v_cndmask_b32_e64 v15, 0, 1, vcc_lo
	v_cndmask_b32_e32 v14, v17, v14, vcc_lo
	s_delay_alu instid0(VALU_DEP_2)
	v_lshrrev_b64 v[4:5], v15, v[4:5]
; %bb.16272:                            ;   in Loop: Header=BB4_16247 Depth=3
	s_and_not1_saveexec_b32 s13, s13
; %bb.16273:                            ;   in Loop: Header=BB4_16247 Depth=3
	s_delay_alu instid0(VALU_DEP_1)
	v_bfe_u32 v14, v4, 23, 1
; %bb.16274:                            ;   in Loop: Header=BB4_16247 Depth=3
	s_or_b32 exec_lo, exec_lo, s13
	s_delay_alu instid0(VALU_DEP_2) | instskip(NEXT) | instid1(VALU_DEP_2)
	v_lshrrev_b64 v[4:5], 21, v[4:5]
	v_cmp_gt_i32_e32 vcc_lo, 32, v14
	v_cmp_ne_u32_e64 s13, 0, v14
                                        ; implicit-def: $vgpr106
	s_delay_alu instid0(VALU_DEP_3) | instskip(NEXT) | instid1(VALU_DEP_1)
	v_dual_cndmask_b32 v5, 0, v5 :: v_dual_cndmask_b32 v4, 3, v4
	v_cmp_ne_u64_e32 vcc_lo, 0, v[4:5]
	s_or_b32 s13, s13, vcc_lo
	s_delay_alu instid0(SALU_CYCLE_1) | instskip(NEXT) | instid1(SALU_CYCLE_1)
	s_and_saveexec_b32 s76, s13
	s_xor_b32 s13, exec_lo, s76
; %bb.16275:                            ;   in Loop: Header=BB4_16247 Depth=3
	v_min_i32_e32 v5, 31, v14
	s_delay_alu instid0(VALU_DEP_1) | instskip(NEXT) | instid1(VALU_DEP_1)
	v_lshl_or_b32 v5, v5, 2, v16
                                        ; implicit-def: $vgpr16
	v_and_or_b32 v106, v4, 3, v5
; %bb.16276:                            ;   in Loop: Header=BB4_16247 Depth=3
	s_and_not1_saveexec_b32 s13, s13
; %bb.16277:                            ;   in Loop: Header=BB4_16247 Depth=3
	v_mov_b32_e32 v106, v16
; %bb.16278:                            ;   in Loop: Header=BB4_16247 Depth=3
	s_or_b32 exec_lo, exec_lo, s13
.LBB4_16279:                            ;   in Loop: Header=BB4_16247 Depth=3
	s_delay_alu instid0(SALU_CYCLE_1)
	s_or_b32 exec_lo, exec_lo, s75
                                        ; implicit-def: $vgpr16
.LBB4_16280:                            ;   in Loop: Header=BB4_16247 Depth=3
	s_and_not1_saveexec_b32 s13, s15
; %bb.16281:                            ;   in Loop: Header=BB4_16247 Depth=3
	v_or_b32_e32 v106, 0x7b, v16
; %bb.16282:                            ;   in Loop: Header=BB4_16247 Depth=3
	s_or_b32 exec_lo, exec_lo, s13
                                        ; implicit-def: $vgpr14
                                        ; implicit-def: $vgpr4_vgpr5
.LBB4_16283:                            ;   in Loop: Header=BB4_16247 Depth=3
	s_and_not1_saveexec_b32 s13, s14
	s_cbranch_execz .LBB4_16289
; %bb.16284:                            ;   in Loop: Header=BB4_16247 Depth=3
	s_mov_b32 s14, exec_lo
                                        ; implicit-def: $vgpr106
	v_cmpx_ne_u64_e32 0, v[4:5]
	s_xor_b32 s14, exec_lo, s14
; %bb.16285:                            ;   in Loop: Header=BB4_16247 Depth=3
	v_lshrrev_b32_e32 v4, 24, v14
                                        ; implicit-def: $vgpr14
	s_delay_alu instid0(VALU_DEP_1)
	v_or_b32_e32 v106, 0x7f, v4
; %bb.16286:                            ;   in Loop: Header=BB4_16247 Depth=3
	s_and_not1_saveexec_b32 s14, s14
; %bb.16287:                            ;   in Loop: Header=BB4_16247 Depth=3
	v_cmp_lt_i32_e32 vcc_lo, -1, v14
	v_cndmask_b32_e64 v106, -4, 0x7c, vcc_lo
; %bb.16288:                            ;   in Loop: Header=BB4_16247 Depth=3
	s_or_b32 exec_lo, exec_lo, s14
.LBB4_16289:                            ;   in Loop: Header=BB4_16247 Depth=3
	s_delay_alu instid0(SALU_CYCLE_1)
	s_or_b32 exec_lo, exec_lo, s13
	flat_load_i8 v4, v[8:9] offset:32 th:TH_LOAD_NT
	v_mov_b32_e32 v14, 0
	s_mov_b32 s13, exec_lo
	s_wait_loadcnt_dscnt 0x0
	v_cmpx_ne_u16_e32 0, v4
	s_cbranch_execz .LBB4_16299
; %bb.16290:                            ;   in Loop: Header=BB4_16247 Depth=3
	v_bfrev_b32_e32 v14, 1
	s_mov_b32 s14, exec_lo
	v_cmpx_ne_u16_e32 0xff80, v4
	s_cbranch_execz .LBB4_16298
; %bb.16291:                            ;   in Loop: Header=BB4_16247 Depth=3
	v_and_b32_e32 v14, 0x7c, v4
	v_and_b32_e32 v5, 3, v4
	s_delay_alu instid0(VALU_DEP_2) | instskip(SKIP_1) | instid1(SALU_CYCLE_1)
	v_cmp_ne_u32_e32 vcc_lo, 0x7c, v14
                                        ; implicit-def: $vgpr14
	s_and_saveexec_b32 s15, vcc_lo
	s_xor_b32 s15, exec_lo, s15
	s_cbranch_execz .LBB4_16295
; %bb.16292:                            ;   in Loop: Header=BB4_16247 Depth=3
	v_and_b32_e32 v14, 0xff, v4
	s_mov_b32 s75, exec_lo
	s_delay_alu instid0(VALU_DEP_1) | instskip(NEXT) | instid1(VALU_DEP_1)
	v_bfe_u32 v14, v14, 2, 5
	v_cmpx_eq_u32_e32 0, v14
	s_cbranch_execz .LBB4_16294
; %bb.16293:                            ;   in Loop: Header=BB4_16247 Depth=3
	v_clz_i32_u32_e32 v5, v5
	s_delay_alu instid0(VALU_DEP_1) | instskip(SKIP_1) | instid1(VALU_DEP_2)
	v_min_u32_e32 v14, 32, v5
	v_mov_b32_e32 v5, v3
	v_subrev_nc_u32_e32 v15, 29, v14
	v_sub_nc_u32_e32 v14, 30, v14
	s_delay_alu instid0(VALU_DEP_2) | instskip(NEXT) | instid1(VALU_DEP_1)
	v_lshlrev_b64_e32 v[16:17], v15, v[4:5]
	v_and_b32_e32 v5, 3, v16
.LBB4_16294:                            ;   in Loop: Header=BB4_16247 Depth=3
	s_or_b32 exec_lo, exec_lo, s75
	v_bfe_i32 v4, v4, 0, 16
	s_delay_alu instid0(VALU_DEP_1) | instskip(NEXT) | instid1(VALU_DEP_1)
	v_and_b32_e32 v4, 0x80000000, v4
	v_lshl_add_u32 v4, v14, 23, v4
	s_delay_alu instid0(VALU_DEP_1) | instskip(NEXT) | instid1(VALU_DEP_1)
	v_lshl_or_b32 v4, v5, 21, v4
                                        ; implicit-def: $vgpr5
	v_add_nc_u32_e32 v14, 0x38000000, v4
                                        ; implicit-def: $vgpr4
.LBB4_16295:                            ;   in Loop: Header=BB4_16247 Depth=3
	s_and_not1_saveexec_b32 s15, s15
; %bb.16296:                            ;   in Loop: Header=BB4_16247 Depth=3
	v_cmp_lt_i16_e32 vcc_lo, -1, v4
	v_cndmask_b32_e32 v4, 0xff800000, v48, vcc_lo
	v_cmp_eq_u32_e32 vcc_lo, 0, v5
	s_delay_alu instid0(VALU_DEP_2)
	v_cndmask_b32_e32 v14, 0x7f800001, v4, vcc_lo
; %bb.16297:                            ;   in Loop: Header=BB4_16247 Depth=3
	s_or_b32 exec_lo, exec_lo, s15
.LBB4_16298:                            ;   in Loop: Header=BB4_16247 Depth=3
	s_delay_alu instid0(SALU_CYCLE_1)
	s_or_b32 exec_lo, exec_lo, s14
.LBB4_16299:                            ;   in Loop: Header=BB4_16247 Depth=3
	s_delay_alu instid0(SALU_CYCLE_1) | instskip(NEXT) | instid1(VALU_DEP_1)
	s_or_b32 exec_lo, exec_lo, s13
	v_dual_mul_f32 v14, s74, v14 :: v_dual_mov_b32 v5, v3
                                        ; implicit-def: $vgpr104
	s_delay_alu instid0(VALU_DEP_1) | instskip(NEXT) | instid1(VALU_DEP_1)
	v_and_b32_e32 v4, 0x7f800000, v14
	v_cmp_ne_u64_e32 vcc_lo, 0x7f800000, v[4:5]
	v_and_b32_e32 v4, 0x7fffff, v14
	s_and_saveexec_b32 s13, vcc_lo
	s_delay_alu instid0(SALU_CYCLE_1)
	s_xor_b32 s14, exec_lo, s13
	s_cbranch_execz .LBB4_16317
; %bb.16300:                            ;   in Loop: Header=BB4_16247 Depth=3
	v_and_b32_e32 v16, 0x7fffffff, v14
	v_dual_mov_b32 v17, v3 :: v_dual_lshrrev_b32 v15, 24, v14
                                        ; implicit-def: $vgpr104
	s_delay_alu instid0(VALU_DEP_1) | instskip(NEXT) | instid1(VALU_DEP_2)
	v_cmp_gt_u64_e32 vcc_lo, 0x47600001, v[16:17]
	v_and_b32_e32 v16, 0x80, v15
	s_and_saveexec_b32 s13, vcc_lo
	s_delay_alu instid0(SALU_CYCLE_1)
	s_xor_b32 s15, exec_lo, s13
	s_cbranch_execz .LBB4_16314
; %bb.16301:                            ;   in Loop: Header=BB4_16247 Depth=3
	v_mov_b32_e32 v104, 0
	s_mov_b32 s75, exec_lo
	v_cmpx_ne_u32_e32 0, v14
	s_cbranch_execz .LBB4_16313
; %bb.16302:                            ;   in Loop: Header=BB4_16247 Depth=3
	v_bfe_u32 v17, v14, 23, 8
	v_or_b32_e32 v19, 0x800000, v4
	s_delay_alu instid0(VALU_DEP_2) | instskip(SKIP_1) | instid1(VALU_DEP_2)
	v_sub_nc_u32_e32 v14, 0x71, v17
	v_cmp_gt_u32_e32 vcc_lo, 0x72, v17
	v_cndmask_b32_e32 v14, 0, v14, vcc_lo
	v_cmp_eq_u32_e32 vcc_lo, 0, v17
	v_cndmask_b32_e32 v4, v19, v4, vcc_lo
	s_delay_alu instid0(VALU_DEP_3) | instskip(NEXT) | instid1(VALU_DEP_1)
	v_cndmask_b32_e64 v18, v14, 0x70, vcc_lo
	v_dual_add_nc_u32 v14, 21, v18 :: v_dual_add_nc_u32 v20, 20, v18
	s_delay_alu instid0(VALU_DEP_1) | instskip(NEXT) | instid1(VALU_DEP_2)
	v_lshlrev_b64_e64 v[14:15], v14, -1
	v_lshlrev_b64_e64 v[20:21], v20, 1
	s_delay_alu instid0(VALU_DEP_2) | instskip(SKIP_1) | instid1(VALU_DEP_4)
	v_bfi_b32 v14, v14, 0, v4
	v_lshrrev_b64 v[4:5], v18, v[4:5]
	v_bfi_b32 v15, v15, 0, 0
	s_delay_alu instid0(VALU_DEP_1) | instskip(NEXT) | instid1(VALU_DEP_3)
	v_cmp_eq_u64_e64 s13, v[14:15], v[20:21]
	v_mov_b64_e32 v[14:15], v[4:5]
	s_and_saveexec_b32 s76, s13
; %bb.16303:                            ;   in Loop: Header=BB4_16247 Depth=3
	v_bfe_u32 v14, v4, 21, 1
	v_mov_b32_e32 v15, v3
	s_delay_alu instid0(VALU_DEP_1) | instskip(NEXT) | instid1(VALU_DEP_1)
	v_add_nc_u64_e32 v[14:15], v[4:5], v[14:15]
	v_add_nc_u64_e32 v[14:15], -1, v[14:15]
; %bb.16304:                            ;   in Loop: Header=BB4_16247 Depth=3
	s_or_b32 exec_lo, exec_lo, s76
	v_add_nc_u32_e32 v5, 0xffffff81, v17
	v_lshrrev_b32_e32 v15, 23, v4
	s_mov_b32 s13, exec_lo
	s_delay_alu instid0(VALU_DEP_2) | instskip(NEXT) | instid1(VALU_DEP_1)
	v_cndmask_b32_e64 v5, v5, 0xffffff82, vcc_lo
	v_add3_u32 v15, v18, v5, v15
	v_and_b32_e32 v5, 0x1fffff, v14
                                        ; implicit-def: $vgpr14
	s_delay_alu instid0(VALU_DEP_1) | instskip(SKIP_1) | instid1(VALU_DEP_2)
	v_dual_add_nc_u32 v17, 14, v15 :: v_dual_add_nc_u32 v4, v5, v4
	v_mov_b32_e32 v5, v3
	v_cmpx_ne_u32_e32 0, v17
	s_xor_b32 s13, exec_lo, s13
; %bb.16305:                            ;   in Loop: Header=BB4_16247 Depth=3
	s_delay_alu instid0(VALU_DEP_2) | instskip(SKIP_2) | instid1(VALU_DEP_2)
	v_cmp_lt_u64_e32 vcc_lo, 0xffffff, v[4:5]
	v_add_nc_u32_e32 v14, 15, v15
	v_cndmask_b32_e64 v15, 0, 1, vcc_lo
	v_cndmask_b32_e32 v14, v17, v14, vcc_lo
	s_delay_alu instid0(VALU_DEP_2)
	v_lshrrev_b64 v[4:5], v15, v[4:5]
; %bb.16306:                            ;   in Loop: Header=BB4_16247 Depth=3
	s_and_not1_saveexec_b32 s13, s13
; %bb.16307:                            ;   in Loop: Header=BB4_16247 Depth=3
	s_delay_alu instid0(VALU_DEP_1)
	v_bfe_u32 v14, v4, 23, 1
; %bb.16308:                            ;   in Loop: Header=BB4_16247 Depth=3
	s_or_b32 exec_lo, exec_lo, s13
	s_delay_alu instid0(VALU_DEP_2) | instskip(NEXT) | instid1(VALU_DEP_2)
	v_lshrrev_b64 v[4:5], 21, v[4:5]
	v_cmp_gt_i32_e32 vcc_lo, 32, v14
	v_cmp_ne_u32_e64 s13, 0, v14
                                        ; implicit-def: $vgpr104
	s_delay_alu instid0(VALU_DEP_3) | instskip(NEXT) | instid1(VALU_DEP_1)
	v_dual_cndmask_b32 v5, 0, v5 :: v_dual_cndmask_b32 v4, 3, v4
	v_cmp_ne_u64_e32 vcc_lo, 0, v[4:5]
	s_or_b32 s13, s13, vcc_lo
	s_delay_alu instid0(SALU_CYCLE_1) | instskip(NEXT) | instid1(SALU_CYCLE_1)
	s_and_saveexec_b32 s76, s13
	s_xor_b32 s13, exec_lo, s76
; %bb.16309:                            ;   in Loop: Header=BB4_16247 Depth=3
	v_min_i32_e32 v5, 31, v14
	s_delay_alu instid0(VALU_DEP_1) | instskip(NEXT) | instid1(VALU_DEP_1)
	v_lshl_or_b32 v5, v5, 2, v16
                                        ; implicit-def: $vgpr16
	v_and_or_b32 v104, v4, 3, v5
; %bb.16310:                            ;   in Loop: Header=BB4_16247 Depth=3
	s_and_not1_saveexec_b32 s13, s13
; %bb.16311:                            ;   in Loop: Header=BB4_16247 Depth=3
	v_mov_b32_e32 v104, v16
; %bb.16312:                            ;   in Loop: Header=BB4_16247 Depth=3
	s_or_b32 exec_lo, exec_lo, s13
.LBB4_16313:                            ;   in Loop: Header=BB4_16247 Depth=3
	s_delay_alu instid0(SALU_CYCLE_1)
	s_or_b32 exec_lo, exec_lo, s75
                                        ; implicit-def: $vgpr16
.LBB4_16314:                            ;   in Loop: Header=BB4_16247 Depth=3
	s_and_not1_saveexec_b32 s13, s15
; %bb.16315:                            ;   in Loop: Header=BB4_16247 Depth=3
	v_or_b32_e32 v104, 0x7b, v16
; %bb.16316:                            ;   in Loop: Header=BB4_16247 Depth=3
	s_or_b32 exec_lo, exec_lo, s13
                                        ; implicit-def: $vgpr14
                                        ; implicit-def: $vgpr4_vgpr5
.LBB4_16317:                            ;   in Loop: Header=BB4_16247 Depth=3
	s_and_not1_saveexec_b32 s13, s14
	s_cbranch_execz .LBB4_16323
; %bb.16318:                            ;   in Loop: Header=BB4_16247 Depth=3
	s_mov_b32 s14, exec_lo
                                        ; implicit-def: $vgpr104
	v_cmpx_ne_u64_e32 0, v[4:5]
	s_xor_b32 s14, exec_lo, s14
; %bb.16319:                            ;   in Loop: Header=BB4_16247 Depth=3
	v_lshrrev_b32_e32 v4, 24, v14
                                        ; implicit-def: $vgpr14
	s_delay_alu instid0(VALU_DEP_1)
	v_or_b32_e32 v104, 0x7f, v4
; %bb.16320:                            ;   in Loop: Header=BB4_16247 Depth=3
	s_and_not1_saveexec_b32 s14, s14
; %bb.16321:                            ;   in Loop: Header=BB4_16247 Depth=3
	v_cmp_lt_i32_e32 vcc_lo, -1, v14
	v_cndmask_b32_e64 v104, -4, 0x7c, vcc_lo
; %bb.16322:                            ;   in Loop: Header=BB4_16247 Depth=3
	s_or_b32 exec_lo, exec_lo, s14
.LBB4_16323:                            ;   in Loop: Header=BB4_16247 Depth=3
	s_delay_alu instid0(SALU_CYCLE_1)
	s_or_b32 exec_lo, exec_lo, s13
	flat_load_i8 v4, v[8:9] offset:64 th:TH_LOAD_NT
	v_mov_b32_e32 v14, 0
	s_mov_b32 s13, exec_lo
	s_wait_loadcnt_dscnt 0x0
	v_cmpx_ne_u16_e32 0, v4
	s_cbranch_execz .LBB4_16333
; %bb.16324:                            ;   in Loop: Header=BB4_16247 Depth=3
	v_bfrev_b32_e32 v14, 1
	s_mov_b32 s14, exec_lo
	v_cmpx_ne_u16_e32 0xff80, v4
	s_cbranch_execz .LBB4_16332
; %bb.16325:                            ;   in Loop: Header=BB4_16247 Depth=3
	v_and_b32_e32 v14, 0x7c, v4
	v_and_b32_e32 v5, 3, v4
	s_delay_alu instid0(VALU_DEP_2) | instskip(SKIP_1) | instid1(SALU_CYCLE_1)
	v_cmp_ne_u32_e32 vcc_lo, 0x7c, v14
                                        ; implicit-def: $vgpr14
	s_and_saveexec_b32 s15, vcc_lo
	s_xor_b32 s15, exec_lo, s15
	s_cbranch_execz .LBB4_16329
; %bb.16326:                            ;   in Loop: Header=BB4_16247 Depth=3
	v_and_b32_e32 v14, 0xff, v4
	s_mov_b32 s75, exec_lo
	s_delay_alu instid0(VALU_DEP_1) | instskip(NEXT) | instid1(VALU_DEP_1)
	v_bfe_u32 v14, v14, 2, 5
	v_cmpx_eq_u32_e32 0, v14
	s_cbranch_execz .LBB4_16328
; %bb.16327:                            ;   in Loop: Header=BB4_16247 Depth=3
	v_clz_i32_u32_e32 v5, v5
	s_delay_alu instid0(VALU_DEP_1) | instskip(SKIP_1) | instid1(VALU_DEP_2)
	v_min_u32_e32 v14, 32, v5
	v_mov_b32_e32 v5, v3
	v_subrev_nc_u32_e32 v15, 29, v14
	v_sub_nc_u32_e32 v14, 30, v14
	s_delay_alu instid0(VALU_DEP_2) | instskip(NEXT) | instid1(VALU_DEP_1)
	v_lshlrev_b64_e32 v[16:17], v15, v[4:5]
	v_and_b32_e32 v5, 3, v16
.LBB4_16328:                            ;   in Loop: Header=BB4_16247 Depth=3
	s_or_b32 exec_lo, exec_lo, s75
	v_bfe_i32 v4, v4, 0, 16
	s_delay_alu instid0(VALU_DEP_1) | instskip(NEXT) | instid1(VALU_DEP_1)
	v_and_b32_e32 v4, 0x80000000, v4
	v_lshl_add_u32 v4, v14, 23, v4
	s_delay_alu instid0(VALU_DEP_1) | instskip(NEXT) | instid1(VALU_DEP_1)
	v_lshl_or_b32 v4, v5, 21, v4
                                        ; implicit-def: $vgpr5
	v_add_nc_u32_e32 v14, 0x38000000, v4
                                        ; implicit-def: $vgpr4
.LBB4_16329:                            ;   in Loop: Header=BB4_16247 Depth=3
	s_and_not1_saveexec_b32 s15, s15
; %bb.16330:                            ;   in Loop: Header=BB4_16247 Depth=3
	v_cmp_lt_i16_e32 vcc_lo, -1, v4
	v_cndmask_b32_e32 v4, 0xff800000, v48, vcc_lo
	v_cmp_eq_u32_e32 vcc_lo, 0, v5
	s_delay_alu instid0(VALU_DEP_2)
	v_cndmask_b32_e32 v14, 0x7f800001, v4, vcc_lo
; %bb.16331:                            ;   in Loop: Header=BB4_16247 Depth=3
	s_or_b32 exec_lo, exec_lo, s15
.LBB4_16332:                            ;   in Loop: Header=BB4_16247 Depth=3
	s_delay_alu instid0(SALU_CYCLE_1)
	s_or_b32 exec_lo, exec_lo, s14
.LBB4_16333:                            ;   in Loop: Header=BB4_16247 Depth=3
	s_delay_alu instid0(SALU_CYCLE_1) | instskip(NEXT) | instid1(VALU_DEP_1)
	s_or_b32 exec_lo, exec_lo, s13
	v_dual_mul_f32 v14, s74, v14 :: v_dual_mov_b32 v5, v3
                                        ; implicit-def: $vgpr92
	s_delay_alu instid0(VALU_DEP_1) | instskip(NEXT) | instid1(VALU_DEP_1)
	v_and_b32_e32 v4, 0x7f800000, v14
	v_cmp_ne_u64_e32 vcc_lo, 0x7f800000, v[4:5]
	v_and_b32_e32 v4, 0x7fffff, v14
	s_and_saveexec_b32 s13, vcc_lo
	s_delay_alu instid0(SALU_CYCLE_1)
	s_xor_b32 s14, exec_lo, s13
	s_cbranch_execz .LBB4_16351
; %bb.16334:                            ;   in Loop: Header=BB4_16247 Depth=3
	v_and_b32_e32 v16, 0x7fffffff, v14
	v_dual_mov_b32 v17, v3 :: v_dual_lshrrev_b32 v15, 24, v14
                                        ; implicit-def: $vgpr92
	s_delay_alu instid0(VALU_DEP_1) | instskip(NEXT) | instid1(VALU_DEP_2)
	v_cmp_gt_u64_e32 vcc_lo, 0x47600001, v[16:17]
	v_and_b32_e32 v16, 0x80, v15
	s_and_saveexec_b32 s13, vcc_lo
	s_delay_alu instid0(SALU_CYCLE_1)
	s_xor_b32 s15, exec_lo, s13
	s_cbranch_execz .LBB4_16348
; %bb.16335:                            ;   in Loop: Header=BB4_16247 Depth=3
	v_mov_b32_e32 v92, 0
	s_mov_b32 s75, exec_lo
	v_cmpx_ne_u32_e32 0, v14
	s_cbranch_execz .LBB4_16347
; %bb.16336:                            ;   in Loop: Header=BB4_16247 Depth=3
	v_bfe_u32 v17, v14, 23, 8
	v_or_b32_e32 v19, 0x800000, v4
	s_delay_alu instid0(VALU_DEP_2) | instskip(SKIP_1) | instid1(VALU_DEP_2)
	v_sub_nc_u32_e32 v14, 0x71, v17
	v_cmp_gt_u32_e32 vcc_lo, 0x72, v17
	v_cndmask_b32_e32 v14, 0, v14, vcc_lo
	v_cmp_eq_u32_e32 vcc_lo, 0, v17
	v_cndmask_b32_e32 v4, v19, v4, vcc_lo
	s_delay_alu instid0(VALU_DEP_3) | instskip(NEXT) | instid1(VALU_DEP_1)
	v_cndmask_b32_e64 v18, v14, 0x70, vcc_lo
	v_dual_add_nc_u32 v14, 21, v18 :: v_dual_add_nc_u32 v20, 20, v18
	s_delay_alu instid0(VALU_DEP_1) | instskip(NEXT) | instid1(VALU_DEP_2)
	v_lshlrev_b64_e64 v[14:15], v14, -1
	v_lshlrev_b64_e64 v[20:21], v20, 1
	s_delay_alu instid0(VALU_DEP_2) | instskip(SKIP_1) | instid1(VALU_DEP_4)
	v_bfi_b32 v14, v14, 0, v4
	v_lshrrev_b64 v[4:5], v18, v[4:5]
	v_bfi_b32 v15, v15, 0, 0
	s_delay_alu instid0(VALU_DEP_1) | instskip(NEXT) | instid1(VALU_DEP_3)
	v_cmp_eq_u64_e64 s13, v[14:15], v[20:21]
	v_mov_b64_e32 v[14:15], v[4:5]
	s_and_saveexec_b32 s76, s13
; %bb.16337:                            ;   in Loop: Header=BB4_16247 Depth=3
	v_bfe_u32 v14, v4, 21, 1
	v_mov_b32_e32 v15, v3
	s_delay_alu instid0(VALU_DEP_1) | instskip(NEXT) | instid1(VALU_DEP_1)
	v_add_nc_u64_e32 v[14:15], v[4:5], v[14:15]
	v_add_nc_u64_e32 v[14:15], -1, v[14:15]
; %bb.16338:                            ;   in Loop: Header=BB4_16247 Depth=3
	s_or_b32 exec_lo, exec_lo, s76
	v_add_nc_u32_e32 v5, 0xffffff81, v17
	v_lshrrev_b32_e32 v15, 23, v4
	s_mov_b32 s13, exec_lo
	s_delay_alu instid0(VALU_DEP_2) | instskip(NEXT) | instid1(VALU_DEP_1)
	v_cndmask_b32_e64 v5, v5, 0xffffff82, vcc_lo
	v_add3_u32 v15, v18, v5, v15
	v_and_b32_e32 v5, 0x1fffff, v14
                                        ; implicit-def: $vgpr14
	s_delay_alu instid0(VALU_DEP_1) | instskip(SKIP_1) | instid1(VALU_DEP_2)
	v_dual_add_nc_u32 v17, 14, v15 :: v_dual_add_nc_u32 v4, v5, v4
	v_mov_b32_e32 v5, v3
	v_cmpx_ne_u32_e32 0, v17
	s_xor_b32 s13, exec_lo, s13
; %bb.16339:                            ;   in Loop: Header=BB4_16247 Depth=3
	s_delay_alu instid0(VALU_DEP_2) | instskip(SKIP_2) | instid1(VALU_DEP_2)
	v_cmp_lt_u64_e32 vcc_lo, 0xffffff, v[4:5]
	v_add_nc_u32_e32 v14, 15, v15
	v_cndmask_b32_e64 v15, 0, 1, vcc_lo
	v_cndmask_b32_e32 v14, v17, v14, vcc_lo
	s_delay_alu instid0(VALU_DEP_2)
	v_lshrrev_b64 v[4:5], v15, v[4:5]
; %bb.16340:                            ;   in Loop: Header=BB4_16247 Depth=3
	s_and_not1_saveexec_b32 s13, s13
; %bb.16341:                            ;   in Loop: Header=BB4_16247 Depth=3
	s_delay_alu instid0(VALU_DEP_1)
	v_bfe_u32 v14, v4, 23, 1
; %bb.16342:                            ;   in Loop: Header=BB4_16247 Depth=3
	s_or_b32 exec_lo, exec_lo, s13
	s_delay_alu instid0(VALU_DEP_2) | instskip(NEXT) | instid1(VALU_DEP_2)
	v_lshrrev_b64 v[4:5], 21, v[4:5]
	v_cmp_gt_i32_e32 vcc_lo, 32, v14
	v_cmp_ne_u32_e64 s13, 0, v14
                                        ; implicit-def: $vgpr92
	s_delay_alu instid0(VALU_DEP_3) | instskip(NEXT) | instid1(VALU_DEP_1)
	v_dual_cndmask_b32 v5, 0, v5 :: v_dual_cndmask_b32 v4, 3, v4
	v_cmp_ne_u64_e32 vcc_lo, 0, v[4:5]
	s_or_b32 s13, s13, vcc_lo
	s_delay_alu instid0(SALU_CYCLE_1) | instskip(NEXT) | instid1(SALU_CYCLE_1)
	s_and_saveexec_b32 s76, s13
	s_xor_b32 s13, exec_lo, s76
; %bb.16343:                            ;   in Loop: Header=BB4_16247 Depth=3
	v_min_i32_e32 v5, 31, v14
	s_delay_alu instid0(VALU_DEP_1) | instskip(NEXT) | instid1(VALU_DEP_1)
	v_lshl_or_b32 v5, v5, 2, v16
                                        ; implicit-def: $vgpr16
	v_and_or_b32 v92, v4, 3, v5
; %bb.16344:                            ;   in Loop: Header=BB4_16247 Depth=3
	s_and_not1_saveexec_b32 s13, s13
; %bb.16345:                            ;   in Loop: Header=BB4_16247 Depth=3
	v_mov_b32_e32 v92, v16
; %bb.16346:                            ;   in Loop: Header=BB4_16247 Depth=3
	s_or_b32 exec_lo, exec_lo, s13
.LBB4_16347:                            ;   in Loop: Header=BB4_16247 Depth=3
	s_delay_alu instid0(SALU_CYCLE_1)
	s_or_b32 exec_lo, exec_lo, s75
                                        ; implicit-def: $vgpr16
.LBB4_16348:                            ;   in Loop: Header=BB4_16247 Depth=3
	s_and_not1_saveexec_b32 s13, s15
; %bb.16349:                            ;   in Loop: Header=BB4_16247 Depth=3
	v_or_b32_e32 v92, 0x7b, v16
; %bb.16350:                            ;   in Loop: Header=BB4_16247 Depth=3
	s_or_b32 exec_lo, exec_lo, s13
                                        ; implicit-def: $vgpr14
                                        ; implicit-def: $vgpr4_vgpr5
.LBB4_16351:                            ;   in Loop: Header=BB4_16247 Depth=3
	s_and_not1_saveexec_b32 s13, s14
	s_cbranch_execz .LBB4_16357
; %bb.16352:                            ;   in Loop: Header=BB4_16247 Depth=3
	s_mov_b32 s14, exec_lo
                                        ; implicit-def: $vgpr92
	v_cmpx_ne_u64_e32 0, v[4:5]
	s_xor_b32 s14, exec_lo, s14
; %bb.16353:                            ;   in Loop: Header=BB4_16247 Depth=3
	v_lshrrev_b32_e32 v4, 24, v14
                                        ; implicit-def: $vgpr14
	s_delay_alu instid0(VALU_DEP_1)
	v_or_b32_e32 v92, 0x7f, v4
; %bb.16354:                            ;   in Loop: Header=BB4_16247 Depth=3
	s_and_not1_saveexec_b32 s14, s14
; %bb.16355:                            ;   in Loop: Header=BB4_16247 Depth=3
	v_cmp_lt_i32_e32 vcc_lo, -1, v14
	v_cndmask_b32_e64 v92, -4, 0x7c, vcc_lo
; %bb.16356:                            ;   in Loop: Header=BB4_16247 Depth=3
	s_or_b32 exec_lo, exec_lo, s14
.LBB4_16357:                            ;   in Loop: Header=BB4_16247 Depth=3
	s_delay_alu instid0(SALU_CYCLE_1)
	s_or_b32 exec_lo, exec_lo, s13
	flat_load_i8 v4, v[8:9] offset:96 th:TH_LOAD_NT
	v_mov_b32_e32 v14, 0
	s_mov_b32 s13, exec_lo
	s_wait_loadcnt_dscnt 0x0
	v_cmpx_ne_u16_e32 0, v4
	s_cbranch_execz .LBB4_16367
; %bb.16358:                            ;   in Loop: Header=BB4_16247 Depth=3
	v_bfrev_b32_e32 v14, 1
	s_mov_b32 s14, exec_lo
	v_cmpx_ne_u16_e32 0xff80, v4
	s_cbranch_execz .LBB4_16366
; %bb.16359:                            ;   in Loop: Header=BB4_16247 Depth=3
	v_and_b32_e32 v14, 0x7c, v4
	v_and_b32_e32 v5, 3, v4
	s_delay_alu instid0(VALU_DEP_2) | instskip(SKIP_1) | instid1(SALU_CYCLE_1)
	v_cmp_ne_u32_e32 vcc_lo, 0x7c, v14
                                        ; implicit-def: $vgpr14
	s_and_saveexec_b32 s15, vcc_lo
	s_xor_b32 s15, exec_lo, s15
	s_cbranch_execz .LBB4_16363
; %bb.16360:                            ;   in Loop: Header=BB4_16247 Depth=3
	v_and_b32_e32 v14, 0xff, v4
	s_mov_b32 s75, exec_lo
	s_delay_alu instid0(VALU_DEP_1) | instskip(NEXT) | instid1(VALU_DEP_1)
	v_bfe_u32 v14, v14, 2, 5
	v_cmpx_eq_u32_e32 0, v14
	s_cbranch_execz .LBB4_16362
; %bb.16361:                            ;   in Loop: Header=BB4_16247 Depth=3
	v_clz_i32_u32_e32 v5, v5
	s_delay_alu instid0(VALU_DEP_1) | instskip(SKIP_1) | instid1(VALU_DEP_2)
	v_min_u32_e32 v14, 32, v5
	v_mov_b32_e32 v5, v3
	v_subrev_nc_u32_e32 v15, 29, v14
	v_sub_nc_u32_e32 v14, 30, v14
	s_delay_alu instid0(VALU_DEP_2) | instskip(NEXT) | instid1(VALU_DEP_1)
	v_lshlrev_b64_e32 v[16:17], v15, v[4:5]
	v_and_b32_e32 v5, 3, v16
.LBB4_16362:                            ;   in Loop: Header=BB4_16247 Depth=3
	s_or_b32 exec_lo, exec_lo, s75
	v_bfe_i32 v4, v4, 0, 16
	s_delay_alu instid0(VALU_DEP_1) | instskip(NEXT) | instid1(VALU_DEP_1)
	v_and_b32_e32 v4, 0x80000000, v4
	v_lshl_add_u32 v4, v14, 23, v4
	s_delay_alu instid0(VALU_DEP_1) | instskip(NEXT) | instid1(VALU_DEP_1)
	v_lshl_or_b32 v4, v5, 21, v4
                                        ; implicit-def: $vgpr5
	v_add_nc_u32_e32 v14, 0x38000000, v4
                                        ; implicit-def: $vgpr4
.LBB4_16363:                            ;   in Loop: Header=BB4_16247 Depth=3
	s_and_not1_saveexec_b32 s15, s15
; %bb.16364:                            ;   in Loop: Header=BB4_16247 Depth=3
	v_cmp_lt_i16_e32 vcc_lo, -1, v4
	v_cndmask_b32_e32 v4, 0xff800000, v48, vcc_lo
	v_cmp_eq_u32_e32 vcc_lo, 0, v5
	s_delay_alu instid0(VALU_DEP_2)
	v_cndmask_b32_e32 v14, 0x7f800001, v4, vcc_lo
; %bb.16365:                            ;   in Loop: Header=BB4_16247 Depth=3
	s_or_b32 exec_lo, exec_lo, s15
.LBB4_16366:                            ;   in Loop: Header=BB4_16247 Depth=3
	s_delay_alu instid0(SALU_CYCLE_1)
	s_or_b32 exec_lo, exec_lo, s14
.LBB4_16367:                            ;   in Loop: Header=BB4_16247 Depth=3
	s_delay_alu instid0(SALU_CYCLE_1) | instskip(NEXT) | instid1(VALU_DEP_1)
	s_or_b32 exec_lo, exec_lo, s13
	v_dual_mul_f32 v14, s74, v14 :: v_dual_mov_b32 v5, v3
                                        ; implicit-def: $vgpr90
	s_delay_alu instid0(VALU_DEP_1) | instskip(NEXT) | instid1(VALU_DEP_1)
	v_and_b32_e32 v4, 0x7f800000, v14
	v_cmp_ne_u64_e32 vcc_lo, 0x7f800000, v[4:5]
	v_and_b32_e32 v4, 0x7fffff, v14
	s_and_saveexec_b32 s13, vcc_lo
	s_delay_alu instid0(SALU_CYCLE_1)
	s_xor_b32 s14, exec_lo, s13
	s_cbranch_execz .LBB4_16385
; %bb.16368:                            ;   in Loop: Header=BB4_16247 Depth=3
	v_and_b32_e32 v16, 0x7fffffff, v14
	v_dual_mov_b32 v17, v3 :: v_dual_lshrrev_b32 v15, 24, v14
                                        ; implicit-def: $vgpr90
	s_delay_alu instid0(VALU_DEP_1) | instskip(NEXT) | instid1(VALU_DEP_2)
	v_cmp_gt_u64_e32 vcc_lo, 0x47600001, v[16:17]
	v_and_b32_e32 v16, 0x80, v15
	s_and_saveexec_b32 s13, vcc_lo
	s_delay_alu instid0(SALU_CYCLE_1)
	s_xor_b32 s15, exec_lo, s13
	s_cbranch_execz .LBB4_16382
; %bb.16369:                            ;   in Loop: Header=BB4_16247 Depth=3
	v_mov_b32_e32 v90, 0
	s_mov_b32 s75, exec_lo
	v_cmpx_ne_u32_e32 0, v14
	s_cbranch_execz .LBB4_16381
; %bb.16370:                            ;   in Loop: Header=BB4_16247 Depth=3
	v_bfe_u32 v17, v14, 23, 8
	v_or_b32_e32 v19, 0x800000, v4
	s_delay_alu instid0(VALU_DEP_2) | instskip(SKIP_1) | instid1(VALU_DEP_2)
	v_sub_nc_u32_e32 v14, 0x71, v17
	v_cmp_gt_u32_e32 vcc_lo, 0x72, v17
	v_cndmask_b32_e32 v14, 0, v14, vcc_lo
	v_cmp_eq_u32_e32 vcc_lo, 0, v17
	v_cndmask_b32_e32 v4, v19, v4, vcc_lo
	s_delay_alu instid0(VALU_DEP_3) | instskip(NEXT) | instid1(VALU_DEP_1)
	v_cndmask_b32_e64 v18, v14, 0x70, vcc_lo
	v_dual_add_nc_u32 v14, 21, v18 :: v_dual_add_nc_u32 v20, 20, v18
	s_delay_alu instid0(VALU_DEP_1) | instskip(NEXT) | instid1(VALU_DEP_2)
	v_lshlrev_b64_e64 v[14:15], v14, -1
	v_lshlrev_b64_e64 v[20:21], v20, 1
	s_delay_alu instid0(VALU_DEP_2) | instskip(SKIP_1) | instid1(VALU_DEP_4)
	v_bfi_b32 v14, v14, 0, v4
	v_lshrrev_b64 v[4:5], v18, v[4:5]
	v_bfi_b32 v15, v15, 0, 0
	s_delay_alu instid0(VALU_DEP_1) | instskip(NEXT) | instid1(VALU_DEP_3)
	v_cmp_eq_u64_e64 s13, v[14:15], v[20:21]
	v_mov_b64_e32 v[14:15], v[4:5]
	s_and_saveexec_b32 s76, s13
; %bb.16371:                            ;   in Loop: Header=BB4_16247 Depth=3
	v_bfe_u32 v14, v4, 21, 1
	v_mov_b32_e32 v15, v3
	s_delay_alu instid0(VALU_DEP_1) | instskip(NEXT) | instid1(VALU_DEP_1)
	v_add_nc_u64_e32 v[14:15], v[4:5], v[14:15]
	v_add_nc_u64_e32 v[14:15], -1, v[14:15]
; %bb.16372:                            ;   in Loop: Header=BB4_16247 Depth=3
	s_or_b32 exec_lo, exec_lo, s76
	v_add_nc_u32_e32 v5, 0xffffff81, v17
	v_lshrrev_b32_e32 v15, 23, v4
	s_mov_b32 s13, exec_lo
	s_delay_alu instid0(VALU_DEP_2) | instskip(NEXT) | instid1(VALU_DEP_1)
	v_cndmask_b32_e64 v5, v5, 0xffffff82, vcc_lo
	v_add3_u32 v15, v18, v5, v15
	v_and_b32_e32 v5, 0x1fffff, v14
                                        ; implicit-def: $vgpr14
	s_delay_alu instid0(VALU_DEP_1) | instskip(SKIP_1) | instid1(VALU_DEP_2)
	v_dual_add_nc_u32 v17, 14, v15 :: v_dual_add_nc_u32 v4, v5, v4
	v_mov_b32_e32 v5, v3
	v_cmpx_ne_u32_e32 0, v17
	s_xor_b32 s13, exec_lo, s13
; %bb.16373:                            ;   in Loop: Header=BB4_16247 Depth=3
	s_delay_alu instid0(VALU_DEP_2) | instskip(SKIP_2) | instid1(VALU_DEP_2)
	v_cmp_lt_u64_e32 vcc_lo, 0xffffff, v[4:5]
	v_add_nc_u32_e32 v14, 15, v15
	v_cndmask_b32_e64 v15, 0, 1, vcc_lo
	v_cndmask_b32_e32 v14, v17, v14, vcc_lo
	s_delay_alu instid0(VALU_DEP_2)
	v_lshrrev_b64 v[4:5], v15, v[4:5]
; %bb.16374:                            ;   in Loop: Header=BB4_16247 Depth=3
	s_and_not1_saveexec_b32 s13, s13
; %bb.16375:                            ;   in Loop: Header=BB4_16247 Depth=3
	s_delay_alu instid0(VALU_DEP_1)
	v_bfe_u32 v14, v4, 23, 1
; %bb.16376:                            ;   in Loop: Header=BB4_16247 Depth=3
	s_or_b32 exec_lo, exec_lo, s13
	s_delay_alu instid0(VALU_DEP_2) | instskip(NEXT) | instid1(VALU_DEP_2)
	v_lshrrev_b64 v[4:5], 21, v[4:5]
	v_cmp_gt_i32_e32 vcc_lo, 32, v14
	v_cmp_ne_u32_e64 s13, 0, v14
                                        ; implicit-def: $vgpr90
	s_delay_alu instid0(VALU_DEP_3) | instskip(NEXT) | instid1(VALU_DEP_1)
	v_dual_cndmask_b32 v5, 0, v5 :: v_dual_cndmask_b32 v4, 3, v4
	v_cmp_ne_u64_e32 vcc_lo, 0, v[4:5]
	s_or_b32 s13, s13, vcc_lo
	s_delay_alu instid0(SALU_CYCLE_1) | instskip(NEXT) | instid1(SALU_CYCLE_1)
	s_and_saveexec_b32 s76, s13
	s_xor_b32 s13, exec_lo, s76
; %bb.16377:                            ;   in Loop: Header=BB4_16247 Depth=3
	v_min_i32_e32 v5, 31, v14
	s_delay_alu instid0(VALU_DEP_1) | instskip(NEXT) | instid1(VALU_DEP_1)
	v_lshl_or_b32 v5, v5, 2, v16
                                        ; implicit-def: $vgpr16
	v_and_or_b32 v90, v4, 3, v5
; %bb.16378:                            ;   in Loop: Header=BB4_16247 Depth=3
	s_and_not1_saveexec_b32 s13, s13
; %bb.16379:                            ;   in Loop: Header=BB4_16247 Depth=3
	v_mov_b32_e32 v90, v16
; %bb.16380:                            ;   in Loop: Header=BB4_16247 Depth=3
	s_or_b32 exec_lo, exec_lo, s13
.LBB4_16381:                            ;   in Loop: Header=BB4_16247 Depth=3
	s_delay_alu instid0(SALU_CYCLE_1)
	s_or_b32 exec_lo, exec_lo, s75
                                        ; implicit-def: $vgpr16
.LBB4_16382:                            ;   in Loop: Header=BB4_16247 Depth=3
	s_and_not1_saveexec_b32 s13, s15
; %bb.16383:                            ;   in Loop: Header=BB4_16247 Depth=3
	v_or_b32_e32 v90, 0x7b, v16
; %bb.16384:                            ;   in Loop: Header=BB4_16247 Depth=3
	s_or_b32 exec_lo, exec_lo, s13
                                        ; implicit-def: $vgpr14
                                        ; implicit-def: $vgpr4_vgpr5
.LBB4_16385:                            ;   in Loop: Header=BB4_16247 Depth=3
	s_and_not1_saveexec_b32 s13, s14
	s_cbranch_execz .LBB4_16391
; %bb.16386:                            ;   in Loop: Header=BB4_16247 Depth=3
	s_mov_b32 s14, exec_lo
                                        ; implicit-def: $vgpr90
	v_cmpx_ne_u64_e32 0, v[4:5]
	s_xor_b32 s14, exec_lo, s14
; %bb.16387:                            ;   in Loop: Header=BB4_16247 Depth=3
	v_lshrrev_b32_e32 v4, 24, v14
                                        ; implicit-def: $vgpr14
	s_delay_alu instid0(VALU_DEP_1)
	v_or_b32_e32 v90, 0x7f, v4
; %bb.16388:                            ;   in Loop: Header=BB4_16247 Depth=3
	s_and_not1_saveexec_b32 s14, s14
; %bb.16389:                            ;   in Loop: Header=BB4_16247 Depth=3
	v_cmp_lt_i32_e32 vcc_lo, -1, v14
	v_cndmask_b32_e64 v90, -4, 0x7c, vcc_lo
; %bb.16390:                            ;   in Loop: Header=BB4_16247 Depth=3
	s_or_b32 exec_lo, exec_lo, s14
.LBB4_16391:                            ;   in Loop: Header=BB4_16247 Depth=3
	s_delay_alu instid0(SALU_CYCLE_1)
	s_or_b32 exec_lo, exec_lo, s13
	flat_load_i8 v4, v[8:9] offset:128 th:TH_LOAD_NT
	v_mov_b32_e32 v14, 0
	s_mov_b32 s13, exec_lo
	s_wait_loadcnt_dscnt 0x0
	v_cmpx_ne_u16_e32 0, v4
	s_cbranch_execz .LBB4_16401
; %bb.16392:                            ;   in Loop: Header=BB4_16247 Depth=3
	v_bfrev_b32_e32 v14, 1
	s_mov_b32 s14, exec_lo
	v_cmpx_ne_u16_e32 0xff80, v4
	s_cbranch_execz .LBB4_16400
; %bb.16393:                            ;   in Loop: Header=BB4_16247 Depth=3
	v_and_b32_e32 v14, 0x7c, v4
	v_and_b32_e32 v5, 3, v4
	s_delay_alu instid0(VALU_DEP_2) | instskip(SKIP_1) | instid1(SALU_CYCLE_1)
	v_cmp_ne_u32_e32 vcc_lo, 0x7c, v14
                                        ; implicit-def: $vgpr14
	s_and_saveexec_b32 s15, vcc_lo
	s_xor_b32 s15, exec_lo, s15
	s_cbranch_execz .LBB4_16397
; %bb.16394:                            ;   in Loop: Header=BB4_16247 Depth=3
	v_and_b32_e32 v14, 0xff, v4
	s_mov_b32 s75, exec_lo
	s_delay_alu instid0(VALU_DEP_1) | instskip(NEXT) | instid1(VALU_DEP_1)
	v_bfe_u32 v14, v14, 2, 5
	v_cmpx_eq_u32_e32 0, v14
	s_cbranch_execz .LBB4_16396
; %bb.16395:                            ;   in Loop: Header=BB4_16247 Depth=3
	v_clz_i32_u32_e32 v5, v5
	s_delay_alu instid0(VALU_DEP_1) | instskip(SKIP_1) | instid1(VALU_DEP_2)
	v_min_u32_e32 v14, 32, v5
	v_mov_b32_e32 v5, v3
	v_subrev_nc_u32_e32 v15, 29, v14
	v_sub_nc_u32_e32 v14, 30, v14
	s_delay_alu instid0(VALU_DEP_2) | instskip(NEXT) | instid1(VALU_DEP_1)
	v_lshlrev_b64_e32 v[16:17], v15, v[4:5]
	v_and_b32_e32 v5, 3, v16
.LBB4_16396:                            ;   in Loop: Header=BB4_16247 Depth=3
	s_or_b32 exec_lo, exec_lo, s75
	v_bfe_i32 v4, v4, 0, 16
	s_delay_alu instid0(VALU_DEP_1) | instskip(NEXT) | instid1(VALU_DEP_1)
	v_and_b32_e32 v4, 0x80000000, v4
	v_lshl_add_u32 v4, v14, 23, v4
	s_delay_alu instid0(VALU_DEP_1) | instskip(NEXT) | instid1(VALU_DEP_1)
	v_lshl_or_b32 v4, v5, 21, v4
                                        ; implicit-def: $vgpr5
	v_add_nc_u32_e32 v14, 0x38000000, v4
                                        ; implicit-def: $vgpr4
.LBB4_16397:                            ;   in Loop: Header=BB4_16247 Depth=3
	s_and_not1_saveexec_b32 s15, s15
; %bb.16398:                            ;   in Loop: Header=BB4_16247 Depth=3
	v_cmp_lt_i16_e32 vcc_lo, -1, v4
	v_cndmask_b32_e32 v4, 0xff800000, v48, vcc_lo
	v_cmp_eq_u32_e32 vcc_lo, 0, v5
	s_delay_alu instid0(VALU_DEP_2)
	v_cndmask_b32_e32 v14, 0x7f800001, v4, vcc_lo
; %bb.16399:                            ;   in Loop: Header=BB4_16247 Depth=3
	s_or_b32 exec_lo, exec_lo, s15
.LBB4_16400:                            ;   in Loop: Header=BB4_16247 Depth=3
	s_delay_alu instid0(SALU_CYCLE_1)
	s_or_b32 exec_lo, exec_lo, s14
.LBB4_16401:                            ;   in Loop: Header=BB4_16247 Depth=3
	s_delay_alu instid0(SALU_CYCLE_1) | instskip(NEXT) | instid1(VALU_DEP_1)
	s_or_b32 exec_lo, exec_lo, s13
	v_dual_mul_f32 v14, s74, v14 :: v_dual_mov_b32 v5, v3
                                        ; implicit-def: $vgpr88
	s_delay_alu instid0(VALU_DEP_1) | instskip(NEXT) | instid1(VALU_DEP_1)
	v_and_b32_e32 v4, 0x7f800000, v14
	v_cmp_ne_u64_e32 vcc_lo, 0x7f800000, v[4:5]
	v_and_b32_e32 v4, 0x7fffff, v14
	s_and_saveexec_b32 s13, vcc_lo
	s_delay_alu instid0(SALU_CYCLE_1)
	s_xor_b32 s14, exec_lo, s13
	s_cbranch_execz .LBB4_16419
; %bb.16402:                            ;   in Loop: Header=BB4_16247 Depth=3
	v_and_b32_e32 v16, 0x7fffffff, v14
	v_dual_mov_b32 v17, v3 :: v_dual_lshrrev_b32 v15, 24, v14
                                        ; implicit-def: $vgpr88
	s_delay_alu instid0(VALU_DEP_1) | instskip(NEXT) | instid1(VALU_DEP_2)
	v_cmp_gt_u64_e32 vcc_lo, 0x47600001, v[16:17]
	v_and_b32_e32 v16, 0x80, v15
	s_and_saveexec_b32 s13, vcc_lo
	s_delay_alu instid0(SALU_CYCLE_1)
	s_xor_b32 s15, exec_lo, s13
	s_cbranch_execz .LBB4_16416
; %bb.16403:                            ;   in Loop: Header=BB4_16247 Depth=3
	v_mov_b32_e32 v88, 0
	s_mov_b32 s75, exec_lo
	v_cmpx_ne_u32_e32 0, v14
	s_cbranch_execz .LBB4_16415
; %bb.16404:                            ;   in Loop: Header=BB4_16247 Depth=3
	v_bfe_u32 v17, v14, 23, 8
	v_or_b32_e32 v19, 0x800000, v4
	s_delay_alu instid0(VALU_DEP_2) | instskip(SKIP_1) | instid1(VALU_DEP_2)
	v_sub_nc_u32_e32 v14, 0x71, v17
	v_cmp_gt_u32_e32 vcc_lo, 0x72, v17
	v_cndmask_b32_e32 v14, 0, v14, vcc_lo
	v_cmp_eq_u32_e32 vcc_lo, 0, v17
	v_cndmask_b32_e32 v4, v19, v4, vcc_lo
	s_delay_alu instid0(VALU_DEP_3) | instskip(NEXT) | instid1(VALU_DEP_1)
	v_cndmask_b32_e64 v18, v14, 0x70, vcc_lo
	v_dual_add_nc_u32 v14, 21, v18 :: v_dual_add_nc_u32 v20, 20, v18
	s_delay_alu instid0(VALU_DEP_1) | instskip(NEXT) | instid1(VALU_DEP_2)
	v_lshlrev_b64_e64 v[14:15], v14, -1
	v_lshlrev_b64_e64 v[20:21], v20, 1
	s_delay_alu instid0(VALU_DEP_2) | instskip(SKIP_1) | instid1(VALU_DEP_4)
	v_bfi_b32 v14, v14, 0, v4
	v_lshrrev_b64 v[4:5], v18, v[4:5]
	v_bfi_b32 v15, v15, 0, 0
	s_delay_alu instid0(VALU_DEP_1) | instskip(NEXT) | instid1(VALU_DEP_3)
	v_cmp_eq_u64_e64 s13, v[14:15], v[20:21]
	v_mov_b64_e32 v[14:15], v[4:5]
	s_and_saveexec_b32 s76, s13
; %bb.16405:                            ;   in Loop: Header=BB4_16247 Depth=3
	v_bfe_u32 v14, v4, 21, 1
	v_mov_b32_e32 v15, v3
	s_delay_alu instid0(VALU_DEP_1) | instskip(NEXT) | instid1(VALU_DEP_1)
	v_add_nc_u64_e32 v[14:15], v[4:5], v[14:15]
	v_add_nc_u64_e32 v[14:15], -1, v[14:15]
; %bb.16406:                            ;   in Loop: Header=BB4_16247 Depth=3
	s_or_b32 exec_lo, exec_lo, s76
	v_add_nc_u32_e32 v5, 0xffffff81, v17
	v_lshrrev_b32_e32 v15, 23, v4
	s_mov_b32 s13, exec_lo
	s_delay_alu instid0(VALU_DEP_2) | instskip(NEXT) | instid1(VALU_DEP_1)
	v_cndmask_b32_e64 v5, v5, 0xffffff82, vcc_lo
	v_add3_u32 v15, v18, v5, v15
	v_and_b32_e32 v5, 0x1fffff, v14
                                        ; implicit-def: $vgpr14
	s_delay_alu instid0(VALU_DEP_1) | instskip(SKIP_1) | instid1(VALU_DEP_2)
	v_dual_add_nc_u32 v17, 14, v15 :: v_dual_add_nc_u32 v4, v5, v4
	v_mov_b32_e32 v5, v3
	v_cmpx_ne_u32_e32 0, v17
	s_xor_b32 s13, exec_lo, s13
; %bb.16407:                            ;   in Loop: Header=BB4_16247 Depth=3
	s_delay_alu instid0(VALU_DEP_2) | instskip(SKIP_2) | instid1(VALU_DEP_2)
	v_cmp_lt_u64_e32 vcc_lo, 0xffffff, v[4:5]
	v_add_nc_u32_e32 v14, 15, v15
	v_cndmask_b32_e64 v15, 0, 1, vcc_lo
	v_cndmask_b32_e32 v14, v17, v14, vcc_lo
	s_delay_alu instid0(VALU_DEP_2)
	v_lshrrev_b64 v[4:5], v15, v[4:5]
; %bb.16408:                            ;   in Loop: Header=BB4_16247 Depth=3
	s_and_not1_saveexec_b32 s13, s13
; %bb.16409:                            ;   in Loop: Header=BB4_16247 Depth=3
	s_delay_alu instid0(VALU_DEP_1)
	v_bfe_u32 v14, v4, 23, 1
; %bb.16410:                            ;   in Loop: Header=BB4_16247 Depth=3
	s_or_b32 exec_lo, exec_lo, s13
	s_delay_alu instid0(VALU_DEP_2) | instskip(NEXT) | instid1(VALU_DEP_2)
	v_lshrrev_b64 v[4:5], 21, v[4:5]
	v_cmp_gt_i32_e32 vcc_lo, 32, v14
	v_cmp_ne_u32_e64 s13, 0, v14
                                        ; implicit-def: $vgpr88
	s_delay_alu instid0(VALU_DEP_3) | instskip(NEXT) | instid1(VALU_DEP_1)
	v_dual_cndmask_b32 v5, 0, v5 :: v_dual_cndmask_b32 v4, 3, v4
	v_cmp_ne_u64_e32 vcc_lo, 0, v[4:5]
	s_or_b32 s13, s13, vcc_lo
	s_delay_alu instid0(SALU_CYCLE_1) | instskip(NEXT) | instid1(SALU_CYCLE_1)
	s_and_saveexec_b32 s76, s13
	s_xor_b32 s13, exec_lo, s76
; %bb.16411:                            ;   in Loop: Header=BB4_16247 Depth=3
	v_min_i32_e32 v5, 31, v14
	s_delay_alu instid0(VALU_DEP_1) | instskip(NEXT) | instid1(VALU_DEP_1)
	v_lshl_or_b32 v5, v5, 2, v16
                                        ; implicit-def: $vgpr16
	v_and_or_b32 v88, v4, 3, v5
; %bb.16412:                            ;   in Loop: Header=BB4_16247 Depth=3
	s_and_not1_saveexec_b32 s13, s13
; %bb.16413:                            ;   in Loop: Header=BB4_16247 Depth=3
	v_mov_b32_e32 v88, v16
; %bb.16414:                            ;   in Loop: Header=BB4_16247 Depth=3
	s_or_b32 exec_lo, exec_lo, s13
.LBB4_16415:                            ;   in Loop: Header=BB4_16247 Depth=3
	s_delay_alu instid0(SALU_CYCLE_1)
	s_or_b32 exec_lo, exec_lo, s75
                                        ; implicit-def: $vgpr16
.LBB4_16416:                            ;   in Loop: Header=BB4_16247 Depth=3
	s_and_not1_saveexec_b32 s13, s15
; %bb.16417:                            ;   in Loop: Header=BB4_16247 Depth=3
	v_or_b32_e32 v88, 0x7b, v16
; %bb.16418:                            ;   in Loop: Header=BB4_16247 Depth=3
	s_or_b32 exec_lo, exec_lo, s13
                                        ; implicit-def: $vgpr14
                                        ; implicit-def: $vgpr4_vgpr5
.LBB4_16419:                            ;   in Loop: Header=BB4_16247 Depth=3
	s_and_not1_saveexec_b32 s13, s14
	s_cbranch_execz .LBB4_16425
; %bb.16420:                            ;   in Loop: Header=BB4_16247 Depth=3
	s_mov_b32 s14, exec_lo
                                        ; implicit-def: $vgpr88
	v_cmpx_ne_u64_e32 0, v[4:5]
	s_xor_b32 s14, exec_lo, s14
; %bb.16421:                            ;   in Loop: Header=BB4_16247 Depth=3
	v_lshrrev_b32_e32 v4, 24, v14
                                        ; implicit-def: $vgpr14
	s_delay_alu instid0(VALU_DEP_1)
	v_or_b32_e32 v88, 0x7f, v4
; %bb.16422:                            ;   in Loop: Header=BB4_16247 Depth=3
	s_and_not1_saveexec_b32 s14, s14
; %bb.16423:                            ;   in Loop: Header=BB4_16247 Depth=3
	v_cmp_lt_i32_e32 vcc_lo, -1, v14
	v_cndmask_b32_e64 v88, -4, 0x7c, vcc_lo
; %bb.16424:                            ;   in Loop: Header=BB4_16247 Depth=3
	s_or_b32 exec_lo, exec_lo, s14
.LBB4_16425:                            ;   in Loop: Header=BB4_16247 Depth=3
	s_delay_alu instid0(SALU_CYCLE_1)
	s_or_b32 exec_lo, exec_lo, s13
	flat_load_i8 v4, v[8:9] offset:160 th:TH_LOAD_NT
	v_mov_b32_e32 v14, 0
	s_mov_b32 s13, exec_lo
	s_wait_loadcnt_dscnt 0x0
	v_cmpx_ne_u16_e32 0, v4
	s_cbranch_execz .LBB4_16435
; %bb.16426:                            ;   in Loop: Header=BB4_16247 Depth=3
	v_bfrev_b32_e32 v14, 1
	s_mov_b32 s14, exec_lo
	v_cmpx_ne_u16_e32 0xff80, v4
	s_cbranch_execz .LBB4_16434
; %bb.16427:                            ;   in Loop: Header=BB4_16247 Depth=3
	v_and_b32_e32 v14, 0x7c, v4
	v_and_b32_e32 v5, 3, v4
	s_delay_alu instid0(VALU_DEP_2) | instskip(SKIP_1) | instid1(SALU_CYCLE_1)
	v_cmp_ne_u32_e32 vcc_lo, 0x7c, v14
                                        ; implicit-def: $vgpr14
	s_and_saveexec_b32 s15, vcc_lo
	s_xor_b32 s15, exec_lo, s15
	s_cbranch_execz .LBB4_16431
; %bb.16428:                            ;   in Loop: Header=BB4_16247 Depth=3
	v_and_b32_e32 v14, 0xff, v4
	s_mov_b32 s75, exec_lo
	s_delay_alu instid0(VALU_DEP_1) | instskip(NEXT) | instid1(VALU_DEP_1)
	v_bfe_u32 v14, v14, 2, 5
	v_cmpx_eq_u32_e32 0, v14
	s_cbranch_execz .LBB4_16430
; %bb.16429:                            ;   in Loop: Header=BB4_16247 Depth=3
	v_clz_i32_u32_e32 v5, v5
	s_delay_alu instid0(VALU_DEP_1) | instskip(SKIP_1) | instid1(VALU_DEP_2)
	v_min_u32_e32 v14, 32, v5
	v_mov_b32_e32 v5, v3
	v_subrev_nc_u32_e32 v15, 29, v14
	v_sub_nc_u32_e32 v14, 30, v14
	s_delay_alu instid0(VALU_DEP_2) | instskip(NEXT) | instid1(VALU_DEP_1)
	v_lshlrev_b64_e32 v[16:17], v15, v[4:5]
	v_and_b32_e32 v5, 3, v16
.LBB4_16430:                            ;   in Loop: Header=BB4_16247 Depth=3
	s_or_b32 exec_lo, exec_lo, s75
	v_bfe_i32 v4, v4, 0, 16
	s_delay_alu instid0(VALU_DEP_1) | instskip(NEXT) | instid1(VALU_DEP_1)
	v_and_b32_e32 v4, 0x80000000, v4
	v_lshl_add_u32 v4, v14, 23, v4
	s_delay_alu instid0(VALU_DEP_1) | instskip(NEXT) | instid1(VALU_DEP_1)
	v_lshl_or_b32 v4, v5, 21, v4
                                        ; implicit-def: $vgpr5
	v_add_nc_u32_e32 v14, 0x38000000, v4
                                        ; implicit-def: $vgpr4
.LBB4_16431:                            ;   in Loop: Header=BB4_16247 Depth=3
	s_and_not1_saveexec_b32 s15, s15
; %bb.16432:                            ;   in Loop: Header=BB4_16247 Depth=3
	v_cmp_lt_i16_e32 vcc_lo, -1, v4
	v_cndmask_b32_e32 v4, 0xff800000, v48, vcc_lo
	v_cmp_eq_u32_e32 vcc_lo, 0, v5
	s_delay_alu instid0(VALU_DEP_2)
	v_cndmask_b32_e32 v14, 0x7f800001, v4, vcc_lo
; %bb.16433:                            ;   in Loop: Header=BB4_16247 Depth=3
	s_or_b32 exec_lo, exec_lo, s15
.LBB4_16434:                            ;   in Loop: Header=BB4_16247 Depth=3
	s_delay_alu instid0(SALU_CYCLE_1)
	s_or_b32 exec_lo, exec_lo, s14
.LBB4_16435:                            ;   in Loop: Header=BB4_16247 Depth=3
	s_delay_alu instid0(SALU_CYCLE_1) | instskip(NEXT) | instid1(VALU_DEP_1)
	s_or_b32 exec_lo, exec_lo, s13
	v_dual_mul_f32 v14, s74, v14 :: v_dual_mov_b32 v5, v3
                                        ; implicit-def: $vgpr78
	s_delay_alu instid0(VALU_DEP_1) | instskip(NEXT) | instid1(VALU_DEP_1)
	v_and_b32_e32 v4, 0x7f800000, v14
	v_cmp_ne_u64_e32 vcc_lo, 0x7f800000, v[4:5]
	v_and_b32_e32 v4, 0x7fffff, v14
	s_and_saveexec_b32 s13, vcc_lo
	s_delay_alu instid0(SALU_CYCLE_1)
	s_xor_b32 s14, exec_lo, s13
	s_cbranch_execz .LBB4_16453
; %bb.16436:                            ;   in Loop: Header=BB4_16247 Depth=3
	v_and_b32_e32 v16, 0x7fffffff, v14
	v_dual_mov_b32 v17, v3 :: v_dual_lshrrev_b32 v15, 24, v14
                                        ; implicit-def: $vgpr78
	s_delay_alu instid0(VALU_DEP_1) | instskip(NEXT) | instid1(VALU_DEP_2)
	v_cmp_gt_u64_e32 vcc_lo, 0x47600001, v[16:17]
	v_and_b32_e32 v16, 0x80, v15
	s_and_saveexec_b32 s13, vcc_lo
	s_delay_alu instid0(SALU_CYCLE_1)
	s_xor_b32 s15, exec_lo, s13
	s_cbranch_execz .LBB4_16450
; %bb.16437:                            ;   in Loop: Header=BB4_16247 Depth=3
	v_mov_b32_e32 v78, 0
	s_mov_b32 s75, exec_lo
	v_cmpx_ne_u32_e32 0, v14
	s_cbranch_execz .LBB4_16449
; %bb.16438:                            ;   in Loop: Header=BB4_16247 Depth=3
	v_bfe_u32 v17, v14, 23, 8
	v_or_b32_e32 v19, 0x800000, v4
	s_delay_alu instid0(VALU_DEP_2) | instskip(SKIP_1) | instid1(VALU_DEP_2)
	v_sub_nc_u32_e32 v14, 0x71, v17
	v_cmp_gt_u32_e32 vcc_lo, 0x72, v17
	v_cndmask_b32_e32 v14, 0, v14, vcc_lo
	v_cmp_eq_u32_e32 vcc_lo, 0, v17
	v_cndmask_b32_e32 v4, v19, v4, vcc_lo
	s_delay_alu instid0(VALU_DEP_3) | instskip(NEXT) | instid1(VALU_DEP_1)
	v_cndmask_b32_e64 v18, v14, 0x70, vcc_lo
	v_dual_add_nc_u32 v14, 21, v18 :: v_dual_add_nc_u32 v20, 20, v18
	s_delay_alu instid0(VALU_DEP_1) | instskip(NEXT) | instid1(VALU_DEP_2)
	v_lshlrev_b64_e64 v[14:15], v14, -1
	v_lshlrev_b64_e64 v[20:21], v20, 1
	s_delay_alu instid0(VALU_DEP_2) | instskip(SKIP_1) | instid1(VALU_DEP_4)
	v_bfi_b32 v14, v14, 0, v4
	v_lshrrev_b64 v[4:5], v18, v[4:5]
	v_bfi_b32 v15, v15, 0, 0
	s_delay_alu instid0(VALU_DEP_1) | instskip(NEXT) | instid1(VALU_DEP_3)
	v_cmp_eq_u64_e64 s13, v[14:15], v[20:21]
	v_mov_b64_e32 v[14:15], v[4:5]
	s_and_saveexec_b32 s76, s13
; %bb.16439:                            ;   in Loop: Header=BB4_16247 Depth=3
	v_bfe_u32 v14, v4, 21, 1
	v_mov_b32_e32 v15, v3
	s_delay_alu instid0(VALU_DEP_1) | instskip(NEXT) | instid1(VALU_DEP_1)
	v_add_nc_u64_e32 v[14:15], v[4:5], v[14:15]
	v_add_nc_u64_e32 v[14:15], -1, v[14:15]
; %bb.16440:                            ;   in Loop: Header=BB4_16247 Depth=3
	s_or_b32 exec_lo, exec_lo, s76
	v_add_nc_u32_e32 v5, 0xffffff81, v17
	v_lshrrev_b32_e32 v15, 23, v4
	s_mov_b32 s13, exec_lo
	s_delay_alu instid0(VALU_DEP_2) | instskip(NEXT) | instid1(VALU_DEP_1)
	v_cndmask_b32_e64 v5, v5, 0xffffff82, vcc_lo
	v_add3_u32 v15, v18, v5, v15
	v_and_b32_e32 v5, 0x1fffff, v14
                                        ; implicit-def: $vgpr14
	s_delay_alu instid0(VALU_DEP_1) | instskip(SKIP_1) | instid1(VALU_DEP_2)
	v_dual_add_nc_u32 v17, 14, v15 :: v_dual_add_nc_u32 v4, v5, v4
	v_mov_b32_e32 v5, v3
	v_cmpx_ne_u32_e32 0, v17
	s_xor_b32 s13, exec_lo, s13
; %bb.16441:                            ;   in Loop: Header=BB4_16247 Depth=3
	s_delay_alu instid0(VALU_DEP_2) | instskip(SKIP_2) | instid1(VALU_DEP_2)
	v_cmp_lt_u64_e32 vcc_lo, 0xffffff, v[4:5]
	v_add_nc_u32_e32 v14, 15, v15
	v_cndmask_b32_e64 v15, 0, 1, vcc_lo
	v_cndmask_b32_e32 v14, v17, v14, vcc_lo
	s_delay_alu instid0(VALU_DEP_2)
	v_lshrrev_b64 v[4:5], v15, v[4:5]
; %bb.16442:                            ;   in Loop: Header=BB4_16247 Depth=3
	s_and_not1_saveexec_b32 s13, s13
; %bb.16443:                            ;   in Loop: Header=BB4_16247 Depth=3
	s_delay_alu instid0(VALU_DEP_1)
	v_bfe_u32 v14, v4, 23, 1
; %bb.16444:                            ;   in Loop: Header=BB4_16247 Depth=3
	s_or_b32 exec_lo, exec_lo, s13
	s_delay_alu instid0(VALU_DEP_2) | instskip(NEXT) | instid1(VALU_DEP_2)
	v_lshrrev_b64 v[4:5], 21, v[4:5]
	v_cmp_gt_i32_e32 vcc_lo, 32, v14
	v_cmp_ne_u32_e64 s13, 0, v14
                                        ; implicit-def: $vgpr78
	s_delay_alu instid0(VALU_DEP_3) | instskip(NEXT) | instid1(VALU_DEP_1)
	v_dual_cndmask_b32 v5, 0, v5 :: v_dual_cndmask_b32 v4, 3, v4
	v_cmp_ne_u64_e32 vcc_lo, 0, v[4:5]
	s_or_b32 s13, s13, vcc_lo
	s_delay_alu instid0(SALU_CYCLE_1) | instskip(NEXT) | instid1(SALU_CYCLE_1)
	s_and_saveexec_b32 s76, s13
	s_xor_b32 s13, exec_lo, s76
; %bb.16445:                            ;   in Loop: Header=BB4_16247 Depth=3
	v_min_i32_e32 v5, 31, v14
	s_delay_alu instid0(VALU_DEP_1) | instskip(NEXT) | instid1(VALU_DEP_1)
	v_lshl_or_b32 v5, v5, 2, v16
                                        ; implicit-def: $vgpr16
	v_and_or_b32 v78, v4, 3, v5
; %bb.16446:                            ;   in Loop: Header=BB4_16247 Depth=3
	s_and_not1_saveexec_b32 s13, s13
; %bb.16447:                            ;   in Loop: Header=BB4_16247 Depth=3
	v_mov_b32_e32 v78, v16
; %bb.16448:                            ;   in Loop: Header=BB4_16247 Depth=3
	s_or_b32 exec_lo, exec_lo, s13
.LBB4_16449:                            ;   in Loop: Header=BB4_16247 Depth=3
	s_delay_alu instid0(SALU_CYCLE_1)
	s_or_b32 exec_lo, exec_lo, s75
                                        ; implicit-def: $vgpr16
.LBB4_16450:                            ;   in Loop: Header=BB4_16247 Depth=3
	s_and_not1_saveexec_b32 s13, s15
; %bb.16451:                            ;   in Loop: Header=BB4_16247 Depth=3
	v_or_b32_e32 v78, 0x7b, v16
; %bb.16452:                            ;   in Loop: Header=BB4_16247 Depth=3
	s_or_b32 exec_lo, exec_lo, s13
                                        ; implicit-def: $vgpr14
                                        ; implicit-def: $vgpr4_vgpr5
.LBB4_16453:                            ;   in Loop: Header=BB4_16247 Depth=3
	s_and_not1_saveexec_b32 s13, s14
	s_cbranch_execz .LBB4_16459
; %bb.16454:                            ;   in Loop: Header=BB4_16247 Depth=3
	s_mov_b32 s14, exec_lo
                                        ; implicit-def: $vgpr78
	v_cmpx_ne_u64_e32 0, v[4:5]
	s_xor_b32 s14, exec_lo, s14
; %bb.16455:                            ;   in Loop: Header=BB4_16247 Depth=3
	v_lshrrev_b32_e32 v4, 24, v14
                                        ; implicit-def: $vgpr14
	s_delay_alu instid0(VALU_DEP_1)
	v_or_b32_e32 v78, 0x7f, v4
; %bb.16456:                            ;   in Loop: Header=BB4_16247 Depth=3
	s_and_not1_saveexec_b32 s14, s14
; %bb.16457:                            ;   in Loop: Header=BB4_16247 Depth=3
	v_cmp_lt_i32_e32 vcc_lo, -1, v14
	v_cndmask_b32_e64 v78, -4, 0x7c, vcc_lo
; %bb.16458:                            ;   in Loop: Header=BB4_16247 Depth=3
	s_or_b32 exec_lo, exec_lo, s14
.LBB4_16459:                            ;   in Loop: Header=BB4_16247 Depth=3
	s_delay_alu instid0(SALU_CYCLE_1)
	s_or_b32 exec_lo, exec_lo, s13
	flat_load_i8 v4, v[8:9] offset:192 th:TH_LOAD_NT
	v_mov_b32_e32 v14, 0
	s_mov_b32 s13, exec_lo
	s_wait_loadcnt_dscnt 0x0
	v_cmpx_ne_u16_e32 0, v4
	s_cbranch_execz .LBB4_16469
; %bb.16460:                            ;   in Loop: Header=BB4_16247 Depth=3
	v_bfrev_b32_e32 v14, 1
	s_mov_b32 s14, exec_lo
	v_cmpx_ne_u16_e32 0xff80, v4
	s_cbranch_execz .LBB4_16468
; %bb.16461:                            ;   in Loop: Header=BB4_16247 Depth=3
	v_and_b32_e32 v14, 0x7c, v4
	v_and_b32_e32 v5, 3, v4
	s_delay_alu instid0(VALU_DEP_2) | instskip(SKIP_1) | instid1(SALU_CYCLE_1)
	v_cmp_ne_u32_e32 vcc_lo, 0x7c, v14
                                        ; implicit-def: $vgpr14
	s_and_saveexec_b32 s15, vcc_lo
	s_xor_b32 s15, exec_lo, s15
	s_cbranch_execz .LBB4_16465
; %bb.16462:                            ;   in Loop: Header=BB4_16247 Depth=3
	v_and_b32_e32 v14, 0xff, v4
	s_mov_b32 s75, exec_lo
	s_delay_alu instid0(VALU_DEP_1) | instskip(NEXT) | instid1(VALU_DEP_1)
	v_bfe_u32 v14, v14, 2, 5
	v_cmpx_eq_u32_e32 0, v14
	s_cbranch_execz .LBB4_16464
; %bb.16463:                            ;   in Loop: Header=BB4_16247 Depth=3
	v_clz_i32_u32_e32 v5, v5
	s_delay_alu instid0(VALU_DEP_1) | instskip(SKIP_1) | instid1(VALU_DEP_2)
	v_min_u32_e32 v14, 32, v5
	v_mov_b32_e32 v5, v3
	v_subrev_nc_u32_e32 v15, 29, v14
	v_sub_nc_u32_e32 v14, 30, v14
	s_delay_alu instid0(VALU_DEP_2) | instskip(NEXT) | instid1(VALU_DEP_1)
	v_lshlrev_b64_e32 v[16:17], v15, v[4:5]
	v_and_b32_e32 v5, 3, v16
.LBB4_16464:                            ;   in Loop: Header=BB4_16247 Depth=3
	s_or_b32 exec_lo, exec_lo, s75
	v_bfe_i32 v4, v4, 0, 16
	s_delay_alu instid0(VALU_DEP_1) | instskip(NEXT) | instid1(VALU_DEP_1)
	v_and_b32_e32 v4, 0x80000000, v4
	v_lshl_add_u32 v4, v14, 23, v4
	s_delay_alu instid0(VALU_DEP_1) | instskip(NEXT) | instid1(VALU_DEP_1)
	v_lshl_or_b32 v4, v5, 21, v4
                                        ; implicit-def: $vgpr5
	v_add_nc_u32_e32 v14, 0x38000000, v4
                                        ; implicit-def: $vgpr4
.LBB4_16465:                            ;   in Loop: Header=BB4_16247 Depth=3
	s_and_not1_saveexec_b32 s15, s15
; %bb.16466:                            ;   in Loop: Header=BB4_16247 Depth=3
	v_cmp_lt_i16_e32 vcc_lo, -1, v4
	v_cndmask_b32_e32 v4, 0xff800000, v48, vcc_lo
	v_cmp_eq_u32_e32 vcc_lo, 0, v5
	s_delay_alu instid0(VALU_DEP_2)
	v_cndmask_b32_e32 v14, 0x7f800001, v4, vcc_lo
; %bb.16467:                            ;   in Loop: Header=BB4_16247 Depth=3
	s_or_b32 exec_lo, exec_lo, s15
.LBB4_16468:                            ;   in Loop: Header=BB4_16247 Depth=3
	s_delay_alu instid0(SALU_CYCLE_1)
	s_or_b32 exec_lo, exec_lo, s14
.LBB4_16469:                            ;   in Loop: Header=BB4_16247 Depth=3
	s_delay_alu instid0(SALU_CYCLE_1) | instskip(NEXT) | instid1(VALU_DEP_1)
	s_or_b32 exec_lo, exec_lo, s13
	v_dual_mul_f32 v14, s74, v14 :: v_dual_mov_b32 v5, v3
                                        ; implicit-def: $vgpr74
	s_delay_alu instid0(VALU_DEP_1) | instskip(NEXT) | instid1(VALU_DEP_1)
	v_and_b32_e32 v4, 0x7f800000, v14
	v_cmp_ne_u64_e32 vcc_lo, 0x7f800000, v[4:5]
	v_and_b32_e32 v4, 0x7fffff, v14
	s_and_saveexec_b32 s13, vcc_lo
	s_delay_alu instid0(SALU_CYCLE_1)
	s_xor_b32 s14, exec_lo, s13
	s_cbranch_execz .LBB4_16487
; %bb.16470:                            ;   in Loop: Header=BB4_16247 Depth=3
	v_and_b32_e32 v16, 0x7fffffff, v14
	v_dual_mov_b32 v17, v3 :: v_dual_lshrrev_b32 v15, 24, v14
                                        ; implicit-def: $vgpr74
	s_delay_alu instid0(VALU_DEP_1) | instskip(NEXT) | instid1(VALU_DEP_2)
	v_cmp_gt_u64_e32 vcc_lo, 0x47600001, v[16:17]
	v_and_b32_e32 v16, 0x80, v15
	s_and_saveexec_b32 s13, vcc_lo
	s_delay_alu instid0(SALU_CYCLE_1)
	s_xor_b32 s15, exec_lo, s13
	s_cbranch_execz .LBB4_16484
; %bb.16471:                            ;   in Loop: Header=BB4_16247 Depth=3
	v_mov_b32_e32 v74, 0
	s_mov_b32 s75, exec_lo
	v_cmpx_ne_u32_e32 0, v14
	s_cbranch_execz .LBB4_16483
; %bb.16472:                            ;   in Loop: Header=BB4_16247 Depth=3
	v_bfe_u32 v17, v14, 23, 8
	v_or_b32_e32 v19, 0x800000, v4
	s_delay_alu instid0(VALU_DEP_2) | instskip(SKIP_1) | instid1(VALU_DEP_2)
	v_sub_nc_u32_e32 v14, 0x71, v17
	v_cmp_gt_u32_e32 vcc_lo, 0x72, v17
	v_cndmask_b32_e32 v14, 0, v14, vcc_lo
	v_cmp_eq_u32_e32 vcc_lo, 0, v17
	v_cndmask_b32_e32 v4, v19, v4, vcc_lo
	s_delay_alu instid0(VALU_DEP_3) | instskip(NEXT) | instid1(VALU_DEP_1)
	v_cndmask_b32_e64 v18, v14, 0x70, vcc_lo
	v_dual_add_nc_u32 v14, 21, v18 :: v_dual_add_nc_u32 v20, 20, v18
	s_delay_alu instid0(VALU_DEP_1) | instskip(NEXT) | instid1(VALU_DEP_2)
	v_lshlrev_b64_e64 v[14:15], v14, -1
	v_lshlrev_b64_e64 v[20:21], v20, 1
	s_delay_alu instid0(VALU_DEP_2) | instskip(SKIP_1) | instid1(VALU_DEP_4)
	v_bfi_b32 v14, v14, 0, v4
	v_lshrrev_b64 v[4:5], v18, v[4:5]
	v_bfi_b32 v15, v15, 0, 0
	s_delay_alu instid0(VALU_DEP_1) | instskip(NEXT) | instid1(VALU_DEP_3)
	v_cmp_eq_u64_e64 s13, v[14:15], v[20:21]
	v_mov_b64_e32 v[14:15], v[4:5]
	s_and_saveexec_b32 s76, s13
; %bb.16473:                            ;   in Loop: Header=BB4_16247 Depth=3
	v_bfe_u32 v14, v4, 21, 1
	v_mov_b32_e32 v15, v3
	s_delay_alu instid0(VALU_DEP_1) | instskip(NEXT) | instid1(VALU_DEP_1)
	v_add_nc_u64_e32 v[14:15], v[4:5], v[14:15]
	v_add_nc_u64_e32 v[14:15], -1, v[14:15]
; %bb.16474:                            ;   in Loop: Header=BB4_16247 Depth=3
	s_or_b32 exec_lo, exec_lo, s76
	v_add_nc_u32_e32 v5, 0xffffff81, v17
	v_lshrrev_b32_e32 v15, 23, v4
	s_mov_b32 s13, exec_lo
	s_delay_alu instid0(VALU_DEP_2) | instskip(NEXT) | instid1(VALU_DEP_1)
	v_cndmask_b32_e64 v5, v5, 0xffffff82, vcc_lo
	v_add3_u32 v15, v18, v5, v15
	v_and_b32_e32 v5, 0x1fffff, v14
                                        ; implicit-def: $vgpr14
	s_delay_alu instid0(VALU_DEP_1) | instskip(SKIP_1) | instid1(VALU_DEP_2)
	v_dual_add_nc_u32 v17, 14, v15 :: v_dual_add_nc_u32 v4, v5, v4
	v_mov_b32_e32 v5, v3
	v_cmpx_ne_u32_e32 0, v17
	s_xor_b32 s13, exec_lo, s13
; %bb.16475:                            ;   in Loop: Header=BB4_16247 Depth=3
	s_delay_alu instid0(VALU_DEP_2) | instskip(SKIP_2) | instid1(VALU_DEP_2)
	v_cmp_lt_u64_e32 vcc_lo, 0xffffff, v[4:5]
	v_add_nc_u32_e32 v14, 15, v15
	v_cndmask_b32_e64 v15, 0, 1, vcc_lo
	v_cndmask_b32_e32 v14, v17, v14, vcc_lo
	s_delay_alu instid0(VALU_DEP_2)
	v_lshrrev_b64 v[4:5], v15, v[4:5]
; %bb.16476:                            ;   in Loop: Header=BB4_16247 Depth=3
	s_and_not1_saveexec_b32 s13, s13
; %bb.16477:                            ;   in Loop: Header=BB4_16247 Depth=3
	s_delay_alu instid0(VALU_DEP_1)
	v_bfe_u32 v14, v4, 23, 1
; %bb.16478:                            ;   in Loop: Header=BB4_16247 Depth=3
	s_or_b32 exec_lo, exec_lo, s13
	s_delay_alu instid0(VALU_DEP_2) | instskip(NEXT) | instid1(VALU_DEP_2)
	v_lshrrev_b64 v[4:5], 21, v[4:5]
	v_cmp_gt_i32_e32 vcc_lo, 32, v14
	v_cmp_ne_u32_e64 s13, 0, v14
                                        ; implicit-def: $vgpr74
	s_delay_alu instid0(VALU_DEP_3) | instskip(NEXT) | instid1(VALU_DEP_1)
	v_dual_cndmask_b32 v5, 0, v5 :: v_dual_cndmask_b32 v4, 3, v4
	v_cmp_ne_u64_e32 vcc_lo, 0, v[4:5]
	s_or_b32 s13, s13, vcc_lo
	s_delay_alu instid0(SALU_CYCLE_1) | instskip(NEXT) | instid1(SALU_CYCLE_1)
	s_and_saveexec_b32 s76, s13
	s_xor_b32 s13, exec_lo, s76
; %bb.16479:                            ;   in Loop: Header=BB4_16247 Depth=3
	v_min_i32_e32 v5, 31, v14
	s_delay_alu instid0(VALU_DEP_1) | instskip(NEXT) | instid1(VALU_DEP_1)
	v_lshl_or_b32 v5, v5, 2, v16
                                        ; implicit-def: $vgpr16
	v_and_or_b32 v74, v4, 3, v5
; %bb.16480:                            ;   in Loop: Header=BB4_16247 Depth=3
	s_and_not1_saveexec_b32 s13, s13
; %bb.16481:                            ;   in Loop: Header=BB4_16247 Depth=3
	v_mov_b32_e32 v74, v16
; %bb.16482:                            ;   in Loop: Header=BB4_16247 Depth=3
	s_or_b32 exec_lo, exec_lo, s13
.LBB4_16483:                            ;   in Loop: Header=BB4_16247 Depth=3
	s_delay_alu instid0(SALU_CYCLE_1)
	s_or_b32 exec_lo, exec_lo, s75
                                        ; implicit-def: $vgpr16
.LBB4_16484:                            ;   in Loop: Header=BB4_16247 Depth=3
	s_and_not1_saveexec_b32 s13, s15
; %bb.16485:                            ;   in Loop: Header=BB4_16247 Depth=3
	v_or_b32_e32 v74, 0x7b, v16
; %bb.16486:                            ;   in Loop: Header=BB4_16247 Depth=3
	s_or_b32 exec_lo, exec_lo, s13
                                        ; implicit-def: $vgpr14
                                        ; implicit-def: $vgpr4_vgpr5
.LBB4_16487:                            ;   in Loop: Header=BB4_16247 Depth=3
	s_and_not1_saveexec_b32 s13, s14
	s_cbranch_execz .LBB4_16493
; %bb.16488:                            ;   in Loop: Header=BB4_16247 Depth=3
	s_mov_b32 s14, exec_lo
                                        ; implicit-def: $vgpr74
	v_cmpx_ne_u64_e32 0, v[4:5]
	s_xor_b32 s14, exec_lo, s14
; %bb.16489:                            ;   in Loop: Header=BB4_16247 Depth=3
	v_lshrrev_b32_e32 v4, 24, v14
                                        ; implicit-def: $vgpr14
	s_delay_alu instid0(VALU_DEP_1)
	v_or_b32_e32 v74, 0x7f, v4
; %bb.16490:                            ;   in Loop: Header=BB4_16247 Depth=3
	s_and_not1_saveexec_b32 s14, s14
; %bb.16491:                            ;   in Loop: Header=BB4_16247 Depth=3
	v_cmp_lt_i32_e32 vcc_lo, -1, v14
	v_cndmask_b32_e64 v74, -4, 0x7c, vcc_lo
; %bb.16492:                            ;   in Loop: Header=BB4_16247 Depth=3
	s_or_b32 exec_lo, exec_lo, s14
.LBB4_16493:                            ;   in Loop: Header=BB4_16247 Depth=3
	s_delay_alu instid0(SALU_CYCLE_1)
	s_or_b32 exec_lo, exec_lo, s13
	flat_load_i8 v4, v[8:9] offset:224 th:TH_LOAD_NT
	v_mov_b32_e32 v14, 0
	s_mov_b32 s13, exec_lo
	s_wait_loadcnt_dscnt 0x0
	v_cmpx_ne_u16_e32 0, v4
	s_cbranch_execz .LBB4_16503
; %bb.16494:                            ;   in Loop: Header=BB4_16247 Depth=3
	v_bfrev_b32_e32 v14, 1
	s_mov_b32 s14, exec_lo
	v_cmpx_ne_u16_e32 0xff80, v4
	s_cbranch_execz .LBB4_16502
; %bb.16495:                            ;   in Loop: Header=BB4_16247 Depth=3
	v_and_b32_e32 v14, 0x7c, v4
	v_and_b32_e32 v5, 3, v4
	s_delay_alu instid0(VALU_DEP_2) | instskip(SKIP_1) | instid1(SALU_CYCLE_1)
	v_cmp_ne_u32_e32 vcc_lo, 0x7c, v14
                                        ; implicit-def: $vgpr14
	s_and_saveexec_b32 s15, vcc_lo
	s_xor_b32 s15, exec_lo, s15
	s_cbranch_execz .LBB4_16499
; %bb.16496:                            ;   in Loop: Header=BB4_16247 Depth=3
	v_and_b32_e32 v14, 0xff, v4
	s_mov_b32 s75, exec_lo
	s_delay_alu instid0(VALU_DEP_1) | instskip(NEXT) | instid1(VALU_DEP_1)
	v_bfe_u32 v14, v14, 2, 5
	v_cmpx_eq_u32_e32 0, v14
	s_cbranch_execz .LBB4_16498
; %bb.16497:                            ;   in Loop: Header=BB4_16247 Depth=3
	v_clz_i32_u32_e32 v5, v5
	s_delay_alu instid0(VALU_DEP_1) | instskip(SKIP_1) | instid1(VALU_DEP_2)
	v_min_u32_e32 v14, 32, v5
	v_mov_b32_e32 v5, v3
	v_subrev_nc_u32_e32 v15, 29, v14
	v_sub_nc_u32_e32 v14, 30, v14
	s_delay_alu instid0(VALU_DEP_2) | instskip(NEXT) | instid1(VALU_DEP_1)
	v_lshlrev_b64_e32 v[16:17], v15, v[4:5]
	v_and_b32_e32 v5, 3, v16
.LBB4_16498:                            ;   in Loop: Header=BB4_16247 Depth=3
	s_or_b32 exec_lo, exec_lo, s75
	v_bfe_i32 v4, v4, 0, 16
	s_delay_alu instid0(VALU_DEP_1) | instskip(NEXT) | instid1(VALU_DEP_1)
	v_and_b32_e32 v4, 0x80000000, v4
	v_lshl_add_u32 v4, v14, 23, v4
	s_delay_alu instid0(VALU_DEP_1) | instskip(NEXT) | instid1(VALU_DEP_1)
	v_lshl_or_b32 v4, v5, 21, v4
                                        ; implicit-def: $vgpr5
	v_add_nc_u32_e32 v14, 0x38000000, v4
                                        ; implicit-def: $vgpr4
.LBB4_16499:                            ;   in Loop: Header=BB4_16247 Depth=3
	s_and_not1_saveexec_b32 s15, s15
; %bb.16500:                            ;   in Loop: Header=BB4_16247 Depth=3
	v_cmp_lt_i16_e32 vcc_lo, -1, v4
	v_cndmask_b32_e32 v4, 0xff800000, v48, vcc_lo
	v_cmp_eq_u32_e32 vcc_lo, 0, v5
	s_delay_alu instid0(VALU_DEP_2)
	v_cndmask_b32_e32 v14, 0x7f800001, v4, vcc_lo
; %bb.16501:                            ;   in Loop: Header=BB4_16247 Depth=3
	s_or_b32 exec_lo, exec_lo, s15
.LBB4_16502:                            ;   in Loop: Header=BB4_16247 Depth=3
	s_delay_alu instid0(SALU_CYCLE_1)
	s_or_b32 exec_lo, exec_lo, s14
.LBB4_16503:                            ;   in Loop: Header=BB4_16247 Depth=3
	s_delay_alu instid0(SALU_CYCLE_1) | instskip(NEXT) | instid1(VALU_DEP_1)
	s_or_b32 exec_lo, exec_lo, s13
	v_dual_mul_f32 v14, s74, v14 :: v_dual_mov_b32 v5, v3
                                        ; implicit-def: $vgpr72
	s_delay_alu instid0(VALU_DEP_1) | instskip(NEXT) | instid1(VALU_DEP_1)
	v_and_b32_e32 v4, 0x7f800000, v14
	v_cmp_ne_u64_e32 vcc_lo, 0x7f800000, v[4:5]
	v_and_b32_e32 v4, 0x7fffff, v14
	s_and_saveexec_b32 s13, vcc_lo
	s_delay_alu instid0(SALU_CYCLE_1)
	s_xor_b32 s14, exec_lo, s13
	s_cbranch_execz .LBB4_16521
; %bb.16504:                            ;   in Loop: Header=BB4_16247 Depth=3
	v_and_b32_e32 v16, 0x7fffffff, v14
	v_dual_mov_b32 v17, v3 :: v_dual_lshrrev_b32 v15, 24, v14
                                        ; implicit-def: $vgpr72
	s_delay_alu instid0(VALU_DEP_1) | instskip(NEXT) | instid1(VALU_DEP_2)
	v_cmp_gt_u64_e32 vcc_lo, 0x47600001, v[16:17]
	v_and_b32_e32 v16, 0x80, v15
	s_and_saveexec_b32 s13, vcc_lo
	s_delay_alu instid0(SALU_CYCLE_1)
	s_xor_b32 s15, exec_lo, s13
	s_cbranch_execz .LBB4_16518
; %bb.16505:                            ;   in Loop: Header=BB4_16247 Depth=3
	v_mov_b32_e32 v72, 0
	s_mov_b32 s75, exec_lo
	v_cmpx_ne_u32_e32 0, v14
	s_cbranch_execz .LBB4_16517
; %bb.16506:                            ;   in Loop: Header=BB4_16247 Depth=3
	v_bfe_u32 v17, v14, 23, 8
	v_or_b32_e32 v19, 0x800000, v4
	s_delay_alu instid0(VALU_DEP_2) | instskip(SKIP_1) | instid1(VALU_DEP_2)
	v_sub_nc_u32_e32 v14, 0x71, v17
	v_cmp_gt_u32_e32 vcc_lo, 0x72, v17
	v_cndmask_b32_e32 v14, 0, v14, vcc_lo
	v_cmp_eq_u32_e32 vcc_lo, 0, v17
	v_cndmask_b32_e32 v4, v19, v4, vcc_lo
	s_delay_alu instid0(VALU_DEP_3) | instskip(NEXT) | instid1(VALU_DEP_1)
	v_cndmask_b32_e64 v18, v14, 0x70, vcc_lo
	v_dual_add_nc_u32 v14, 21, v18 :: v_dual_add_nc_u32 v20, 20, v18
	s_delay_alu instid0(VALU_DEP_1) | instskip(NEXT) | instid1(VALU_DEP_2)
	v_lshlrev_b64_e64 v[14:15], v14, -1
	v_lshlrev_b64_e64 v[20:21], v20, 1
	s_delay_alu instid0(VALU_DEP_2) | instskip(SKIP_1) | instid1(VALU_DEP_4)
	v_bfi_b32 v14, v14, 0, v4
	v_lshrrev_b64 v[4:5], v18, v[4:5]
	v_bfi_b32 v15, v15, 0, 0
	s_delay_alu instid0(VALU_DEP_1) | instskip(NEXT) | instid1(VALU_DEP_3)
	v_cmp_eq_u64_e64 s13, v[14:15], v[20:21]
	v_mov_b64_e32 v[14:15], v[4:5]
	s_and_saveexec_b32 s76, s13
; %bb.16507:                            ;   in Loop: Header=BB4_16247 Depth=3
	v_bfe_u32 v14, v4, 21, 1
	v_mov_b32_e32 v15, v3
	s_delay_alu instid0(VALU_DEP_1) | instskip(NEXT) | instid1(VALU_DEP_1)
	v_add_nc_u64_e32 v[14:15], v[4:5], v[14:15]
	v_add_nc_u64_e32 v[14:15], -1, v[14:15]
; %bb.16508:                            ;   in Loop: Header=BB4_16247 Depth=3
	s_or_b32 exec_lo, exec_lo, s76
	v_add_nc_u32_e32 v5, 0xffffff81, v17
	v_lshrrev_b32_e32 v15, 23, v4
	s_mov_b32 s13, exec_lo
	s_delay_alu instid0(VALU_DEP_2) | instskip(NEXT) | instid1(VALU_DEP_1)
	v_cndmask_b32_e64 v5, v5, 0xffffff82, vcc_lo
	v_add3_u32 v15, v18, v5, v15
	v_and_b32_e32 v5, 0x1fffff, v14
                                        ; implicit-def: $vgpr14
	s_delay_alu instid0(VALU_DEP_1) | instskip(SKIP_1) | instid1(VALU_DEP_2)
	v_dual_add_nc_u32 v17, 14, v15 :: v_dual_add_nc_u32 v4, v5, v4
	v_mov_b32_e32 v5, v3
	v_cmpx_ne_u32_e32 0, v17
	s_xor_b32 s13, exec_lo, s13
; %bb.16509:                            ;   in Loop: Header=BB4_16247 Depth=3
	s_delay_alu instid0(VALU_DEP_2) | instskip(SKIP_2) | instid1(VALU_DEP_2)
	v_cmp_lt_u64_e32 vcc_lo, 0xffffff, v[4:5]
	v_add_nc_u32_e32 v14, 15, v15
	v_cndmask_b32_e64 v15, 0, 1, vcc_lo
	v_cndmask_b32_e32 v14, v17, v14, vcc_lo
	s_delay_alu instid0(VALU_DEP_2)
	v_lshrrev_b64 v[4:5], v15, v[4:5]
; %bb.16510:                            ;   in Loop: Header=BB4_16247 Depth=3
	s_and_not1_saveexec_b32 s13, s13
; %bb.16511:                            ;   in Loop: Header=BB4_16247 Depth=3
	s_delay_alu instid0(VALU_DEP_1)
	v_bfe_u32 v14, v4, 23, 1
; %bb.16512:                            ;   in Loop: Header=BB4_16247 Depth=3
	s_or_b32 exec_lo, exec_lo, s13
	s_delay_alu instid0(VALU_DEP_2) | instskip(NEXT) | instid1(VALU_DEP_2)
	v_lshrrev_b64 v[4:5], 21, v[4:5]
	v_cmp_gt_i32_e32 vcc_lo, 32, v14
	v_cmp_ne_u32_e64 s13, 0, v14
                                        ; implicit-def: $vgpr72
	s_delay_alu instid0(VALU_DEP_3) | instskip(NEXT) | instid1(VALU_DEP_1)
	v_dual_cndmask_b32 v5, 0, v5 :: v_dual_cndmask_b32 v4, 3, v4
	v_cmp_ne_u64_e32 vcc_lo, 0, v[4:5]
	s_or_b32 s13, s13, vcc_lo
	s_delay_alu instid0(SALU_CYCLE_1) | instskip(NEXT) | instid1(SALU_CYCLE_1)
	s_and_saveexec_b32 s76, s13
	s_xor_b32 s13, exec_lo, s76
; %bb.16513:                            ;   in Loop: Header=BB4_16247 Depth=3
	v_min_i32_e32 v5, 31, v14
	s_delay_alu instid0(VALU_DEP_1) | instskip(NEXT) | instid1(VALU_DEP_1)
	v_lshl_or_b32 v5, v5, 2, v16
                                        ; implicit-def: $vgpr16
	v_and_or_b32 v72, v4, 3, v5
; %bb.16514:                            ;   in Loop: Header=BB4_16247 Depth=3
	s_and_not1_saveexec_b32 s13, s13
; %bb.16515:                            ;   in Loop: Header=BB4_16247 Depth=3
	v_mov_b32_e32 v72, v16
; %bb.16516:                            ;   in Loop: Header=BB4_16247 Depth=3
	s_or_b32 exec_lo, exec_lo, s13
.LBB4_16517:                            ;   in Loop: Header=BB4_16247 Depth=3
	s_delay_alu instid0(SALU_CYCLE_1)
	s_or_b32 exec_lo, exec_lo, s75
                                        ; implicit-def: $vgpr16
.LBB4_16518:                            ;   in Loop: Header=BB4_16247 Depth=3
	s_and_not1_saveexec_b32 s13, s15
; %bb.16519:                            ;   in Loop: Header=BB4_16247 Depth=3
	v_or_b32_e32 v72, 0x7b, v16
; %bb.16520:                            ;   in Loop: Header=BB4_16247 Depth=3
	s_or_b32 exec_lo, exec_lo, s13
                                        ; implicit-def: $vgpr14
                                        ; implicit-def: $vgpr4_vgpr5
.LBB4_16521:                            ;   in Loop: Header=BB4_16247 Depth=3
	s_and_not1_saveexec_b32 s13, s14
	s_cbranch_execz .LBB4_16527
; %bb.16522:                            ;   in Loop: Header=BB4_16247 Depth=3
	s_mov_b32 s14, exec_lo
                                        ; implicit-def: $vgpr72
	v_cmpx_ne_u64_e32 0, v[4:5]
	s_xor_b32 s14, exec_lo, s14
; %bb.16523:                            ;   in Loop: Header=BB4_16247 Depth=3
	v_lshrrev_b32_e32 v4, 24, v14
                                        ; implicit-def: $vgpr14
	s_delay_alu instid0(VALU_DEP_1)
	v_or_b32_e32 v72, 0x7f, v4
; %bb.16524:                            ;   in Loop: Header=BB4_16247 Depth=3
	s_and_not1_saveexec_b32 s14, s14
; %bb.16525:                            ;   in Loop: Header=BB4_16247 Depth=3
	v_cmp_lt_i32_e32 vcc_lo, -1, v14
	v_cndmask_b32_e64 v72, -4, 0x7c, vcc_lo
; %bb.16526:                            ;   in Loop: Header=BB4_16247 Depth=3
	s_or_b32 exec_lo, exec_lo, s14
.LBB4_16527:                            ;   in Loop: Header=BB4_16247 Depth=3
	s_delay_alu instid0(SALU_CYCLE_1)
	s_or_b32 exec_lo, exec_lo, s13
	flat_load_i8 v4, v[8:9] offset:256 th:TH_LOAD_NT
	v_mov_b32_e32 v14, 0
	s_mov_b32 s13, exec_lo
	s_wait_loadcnt_dscnt 0x0
	v_cmpx_ne_u16_e32 0, v4
	s_cbranch_execz .LBB4_16537
; %bb.16528:                            ;   in Loop: Header=BB4_16247 Depth=3
	v_bfrev_b32_e32 v14, 1
	s_mov_b32 s14, exec_lo
	v_cmpx_ne_u16_e32 0xff80, v4
	s_cbranch_execz .LBB4_16536
; %bb.16529:                            ;   in Loop: Header=BB4_16247 Depth=3
	v_and_b32_e32 v14, 0x7c, v4
	v_and_b32_e32 v5, 3, v4
	s_delay_alu instid0(VALU_DEP_2) | instskip(SKIP_1) | instid1(SALU_CYCLE_1)
	v_cmp_ne_u32_e32 vcc_lo, 0x7c, v14
                                        ; implicit-def: $vgpr14
	s_and_saveexec_b32 s15, vcc_lo
	s_xor_b32 s15, exec_lo, s15
	s_cbranch_execz .LBB4_16533
; %bb.16530:                            ;   in Loop: Header=BB4_16247 Depth=3
	v_and_b32_e32 v14, 0xff, v4
	s_mov_b32 s75, exec_lo
	s_delay_alu instid0(VALU_DEP_1) | instskip(NEXT) | instid1(VALU_DEP_1)
	v_bfe_u32 v14, v14, 2, 5
	v_cmpx_eq_u32_e32 0, v14
	s_cbranch_execz .LBB4_16532
; %bb.16531:                            ;   in Loop: Header=BB4_16247 Depth=3
	v_clz_i32_u32_e32 v5, v5
	s_delay_alu instid0(VALU_DEP_1) | instskip(SKIP_1) | instid1(VALU_DEP_2)
	v_min_u32_e32 v14, 32, v5
	v_mov_b32_e32 v5, v3
	v_subrev_nc_u32_e32 v15, 29, v14
	v_sub_nc_u32_e32 v14, 30, v14
	s_delay_alu instid0(VALU_DEP_2) | instskip(NEXT) | instid1(VALU_DEP_1)
	v_lshlrev_b64_e32 v[16:17], v15, v[4:5]
	v_and_b32_e32 v5, 3, v16
.LBB4_16532:                            ;   in Loop: Header=BB4_16247 Depth=3
	s_or_b32 exec_lo, exec_lo, s75
	v_bfe_i32 v4, v4, 0, 16
	s_delay_alu instid0(VALU_DEP_1) | instskip(NEXT) | instid1(VALU_DEP_1)
	v_and_b32_e32 v4, 0x80000000, v4
	v_lshl_add_u32 v4, v14, 23, v4
	s_delay_alu instid0(VALU_DEP_1) | instskip(NEXT) | instid1(VALU_DEP_1)
	v_lshl_or_b32 v4, v5, 21, v4
                                        ; implicit-def: $vgpr5
	v_add_nc_u32_e32 v14, 0x38000000, v4
                                        ; implicit-def: $vgpr4
.LBB4_16533:                            ;   in Loop: Header=BB4_16247 Depth=3
	s_and_not1_saveexec_b32 s15, s15
; %bb.16534:                            ;   in Loop: Header=BB4_16247 Depth=3
	v_cmp_lt_i16_e32 vcc_lo, -1, v4
	v_cndmask_b32_e32 v4, 0xff800000, v48, vcc_lo
	v_cmp_eq_u32_e32 vcc_lo, 0, v5
	s_delay_alu instid0(VALU_DEP_2)
	v_cndmask_b32_e32 v14, 0x7f800001, v4, vcc_lo
; %bb.16535:                            ;   in Loop: Header=BB4_16247 Depth=3
	s_or_b32 exec_lo, exec_lo, s15
.LBB4_16536:                            ;   in Loop: Header=BB4_16247 Depth=3
	s_delay_alu instid0(SALU_CYCLE_1)
	s_or_b32 exec_lo, exec_lo, s14
.LBB4_16537:                            ;   in Loop: Header=BB4_16247 Depth=3
	s_delay_alu instid0(SALU_CYCLE_1) | instskip(NEXT) | instid1(VALU_DEP_1)
	s_or_b32 exec_lo, exec_lo, s13
	v_dual_mul_f32 v14, s74, v14 :: v_dual_mov_b32 v5, v3
                                        ; implicit-def: $vgpr62
	s_delay_alu instid0(VALU_DEP_1) | instskip(NEXT) | instid1(VALU_DEP_1)
	v_and_b32_e32 v4, 0x7f800000, v14
	v_cmp_ne_u64_e32 vcc_lo, 0x7f800000, v[4:5]
	v_and_b32_e32 v4, 0x7fffff, v14
	s_and_saveexec_b32 s13, vcc_lo
	s_delay_alu instid0(SALU_CYCLE_1)
	s_xor_b32 s14, exec_lo, s13
	s_cbranch_execz .LBB4_16555
; %bb.16538:                            ;   in Loop: Header=BB4_16247 Depth=3
	v_and_b32_e32 v16, 0x7fffffff, v14
	v_dual_mov_b32 v17, v3 :: v_dual_lshrrev_b32 v15, 24, v14
                                        ; implicit-def: $vgpr62
	s_delay_alu instid0(VALU_DEP_1) | instskip(NEXT) | instid1(VALU_DEP_2)
	v_cmp_gt_u64_e32 vcc_lo, 0x47600001, v[16:17]
	v_and_b32_e32 v16, 0x80, v15
	s_and_saveexec_b32 s13, vcc_lo
	s_delay_alu instid0(SALU_CYCLE_1)
	s_xor_b32 s15, exec_lo, s13
	s_cbranch_execz .LBB4_16552
; %bb.16539:                            ;   in Loop: Header=BB4_16247 Depth=3
	v_mov_b32_e32 v62, 0
	s_mov_b32 s75, exec_lo
	v_cmpx_ne_u32_e32 0, v14
	s_cbranch_execz .LBB4_16551
; %bb.16540:                            ;   in Loop: Header=BB4_16247 Depth=3
	v_bfe_u32 v17, v14, 23, 8
	v_or_b32_e32 v19, 0x800000, v4
	s_delay_alu instid0(VALU_DEP_2) | instskip(SKIP_1) | instid1(VALU_DEP_2)
	v_sub_nc_u32_e32 v14, 0x71, v17
	v_cmp_gt_u32_e32 vcc_lo, 0x72, v17
	v_cndmask_b32_e32 v14, 0, v14, vcc_lo
	v_cmp_eq_u32_e32 vcc_lo, 0, v17
	v_cndmask_b32_e32 v4, v19, v4, vcc_lo
	s_delay_alu instid0(VALU_DEP_3) | instskip(NEXT) | instid1(VALU_DEP_1)
	v_cndmask_b32_e64 v18, v14, 0x70, vcc_lo
	v_dual_add_nc_u32 v14, 21, v18 :: v_dual_add_nc_u32 v20, 20, v18
	s_delay_alu instid0(VALU_DEP_1) | instskip(NEXT) | instid1(VALU_DEP_2)
	v_lshlrev_b64_e64 v[14:15], v14, -1
	v_lshlrev_b64_e64 v[20:21], v20, 1
	s_delay_alu instid0(VALU_DEP_2) | instskip(SKIP_1) | instid1(VALU_DEP_4)
	v_bfi_b32 v14, v14, 0, v4
	v_lshrrev_b64 v[4:5], v18, v[4:5]
	v_bfi_b32 v15, v15, 0, 0
	s_delay_alu instid0(VALU_DEP_1) | instskip(NEXT) | instid1(VALU_DEP_3)
	v_cmp_eq_u64_e64 s13, v[14:15], v[20:21]
	v_mov_b64_e32 v[14:15], v[4:5]
	s_and_saveexec_b32 s76, s13
; %bb.16541:                            ;   in Loop: Header=BB4_16247 Depth=3
	v_bfe_u32 v14, v4, 21, 1
	v_mov_b32_e32 v15, v3
	s_delay_alu instid0(VALU_DEP_1) | instskip(NEXT) | instid1(VALU_DEP_1)
	v_add_nc_u64_e32 v[14:15], v[4:5], v[14:15]
	v_add_nc_u64_e32 v[14:15], -1, v[14:15]
; %bb.16542:                            ;   in Loop: Header=BB4_16247 Depth=3
	s_or_b32 exec_lo, exec_lo, s76
	v_add_nc_u32_e32 v5, 0xffffff81, v17
	v_lshrrev_b32_e32 v15, 23, v4
	s_mov_b32 s13, exec_lo
	s_delay_alu instid0(VALU_DEP_2) | instskip(NEXT) | instid1(VALU_DEP_1)
	v_cndmask_b32_e64 v5, v5, 0xffffff82, vcc_lo
	v_add3_u32 v15, v18, v5, v15
	v_and_b32_e32 v5, 0x1fffff, v14
                                        ; implicit-def: $vgpr14
	s_delay_alu instid0(VALU_DEP_1) | instskip(SKIP_1) | instid1(VALU_DEP_2)
	v_dual_add_nc_u32 v17, 14, v15 :: v_dual_add_nc_u32 v4, v5, v4
	v_mov_b32_e32 v5, v3
	v_cmpx_ne_u32_e32 0, v17
	s_xor_b32 s13, exec_lo, s13
; %bb.16543:                            ;   in Loop: Header=BB4_16247 Depth=3
	s_delay_alu instid0(VALU_DEP_2) | instskip(SKIP_2) | instid1(VALU_DEP_2)
	v_cmp_lt_u64_e32 vcc_lo, 0xffffff, v[4:5]
	v_add_nc_u32_e32 v14, 15, v15
	v_cndmask_b32_e64 v15, 0, 1, vcc_lo
	v_cndmask_b32_e32 v14, v17, v14, vcc_lo
	s_delay_alu instid0(VALU_DEP_2)
	v_lshrrev_b64 v[4:5], v15, v[4:5]
; %bb.16544:                            ;   in Loop: Header=BB4_16247 Depth=3
	s_and_not1_saveexec_b32 s13, s13
; %bb.16545:                            ;   in Loop: Header=BB4_16247 Depth=3
	s_delay_alu instid0(VALU_DEP_1)
	v_bfe_u32 v14, v4, 23, 1
; %bb.16546:                            ;   in Loop: Header=BB4_16247 Depth=3
	s_or_b32 exec_lo, exec_lo, s13
	s_delay_alu instid0(VALU_DEP_2) | instskip(NEXT) | instid1(VALU_DEP_2)
	v_lshrrev_b64 v[4:5], 21, v[4:5]
	v_cmp_gt_i32_e32 vcc_lo, 32, v14
	v_cmp_ne_u32_e64 s13, 0, v14
                                        ; implicit-def: $vgpr62
	s_delay_alu instid0(VALU_DEP_3) | instskip(NEXT) | instid1(VALU_DEP_1)
	v_dual_cndmask_b32 v5, 0, v5 :: v_dual_cndmask_b32 v4, 3, v4
	v_cmp_ne_u64_e32 vcc_lo, 0, v[4:5]
	s_or_b32 s13, s13, vcc_lo
	s_delay_alu instid0(SALU_CYCLE_1) | instskip(NEXT) | instid1(SALU_CYCLE_1)
	s_and_saveexec_b32 s76, s13
	s_xor_b32 s13, exec_lo, s76
; %bb.16547:                            ;   in Loop: Header=BB4_16247 Depth=3
	v_min_i32_e32 v5, 31, v14
	s_delay_alu instid0(VALU_DEP_1) | instskip(NEXT) | instid1(VALU_DEP_1)
	v_lshl_or_b32 v5, v5, 2, v16
                                        ; implicit-def: $vgpr16
	v_and_or_b32 v62, v4, 3, v5
; %bb.16548:                            ;   in Loop: Header=BB4_16247 Depth=3
	s_and_not1_saveexec_b32 s13, s13
; %bb.16549:                            ;   in Loop: Header=BB4_16247 Depth=3
	v_mov_b32_e32 v62, v16
; %bb.16550:                            ;   in Loop: Header=BB4_16247 Depth=3
	s_or_b32 exec_lo, exec_lo, s13
.LBB4_16551:                            ;   in Loop: Header=BB4_16247 Depth=3
	s_delay_alu instid0(SALU_CYCLE_1)
	s_or_b32 exec_lo, exec_lo, s75
                                        ; implicit-def: $vgpr16
.LBB4_16552:                            ;   in Loop: Header=BB4_16247 Depth=3
	s_and_not1_saveexec_b32 s13, s15
; %bb.16553:                            ;   in Loop: Header=BB4_16247 Depth=3
	v_or_b32_e32 v62, 0x7b, v16
; %bb.16554:                            ;   in Loop: Header=BB4_16247 Depth=3
	s_or_b32 exec_lo, exec_lo, s13
                                        ; implicit-def: $vgpr14
                                        ; implicit-def: $vgpr4_vgpr5
.LBB4_16555:                            ;   in Loop: Header=BB4_16247 Depth=3
	s_and_not1_saveexec_b32 s13, s14
	s_cbranch_execz .LBB4_16561
; %bb.16556:                            ;   in Loop: Header=BB4_16247 Depth=3
	s_mov_b32 s14, exec_lo
                                        ; implicit-def: $vgpr62
	v_cmpx_ne_u64_e32 0, v[4:5]
	s_xor_b32 s14, exec_lo, s14
; %bb.16557:                            ;   in Loop: Header=BB4_16247 Depth=3
	v_lshrrev_b32_e32 v4, 24, v14
                                        ; implicit-def: $vgpr14
	s_delay_alu instid0(VALU_DEP_1)
	v_or_b32_e32 v62, 0x7f, v4
; %bb.16558:                            ;   in Loop: Header=BB4_16247 Depth=3
	s_and_not1_saveexec_b32 s14, s14
; %bb.16559:                            ;   in Loop: Header=BB4_16247 Depth=3
	v_cmp_lt_i32_e32 vcc_lo, -1, v14
	v_cndmask_b32_e64 v62, -4, 0x7c, vcc_lo
; %bb.16560:                            ;   in Loop: Header=BB4_16247 Depth=3
	s_or_b32 exec_lo, exec_lo, s14
.LBB4_16561:                            ;   in Loop: Header=BB4_16247 Depth=3
	s_delay_alu instid0(SALU_CYCLE_1)
	s_or_b32 exec_lo, exec_lo, s13
	flat_load_i8 v4, v[8:9] offset:288 th:TH_LOAD_NT
	v_mov_b32_e32 v14, 0
	s_mov_b32 s13, exec_lo
	s_wait_loadcnt_dscnt 0x0
	v_cmpx_ne_u16_e32 0, v4
	s_cbranch_execz .LBB4_16571
; %bb.16562:                            ;   in Loop: Header=BB4_16247 Depth=3
	v_bfrev_b32_e32 v14, 1
	s_mov_b32 s14, exec_lo
	v_cmpx_ne_u16_e32 0xff80, v4
	s_cbranch_execz .LBB4_16570
; %bb.16563:                            ;   in Loop: Header=BB4_16247 Depth=3
	v_and_b32_e32 v14, 0x7c, v4
	v_and_b32_e32 v5, 3, v4
	s_delay_alu instid0(VALU_DEP_2) | instskip(SKIP_1) | instid1(SALU_CYCLE_1)
	v_cmp_ne_u32_e32 vcc_lo, 0x7c, v14
                                        ; implicit-def: $vgpr14
	s_and_saveexec_b32 s15, vcc_lo
	s_xor_b32 s15, exec_lo, s15
	s_cbranch_execz .LBB4_16567
; %bb.16564:                            ;   in Loop: Header=BB4_16247 Depth=3
	v_and_b32_e32 v14, 0xff, v4
	s_mov_b32 s75, exec_lo
	s_delay_alu instid0(VALU_DEP_1) | instskip(NEXT) | instid1(VALU_DEP_1)
	v_bfe_u32 v14, v14, 2, 5
	v_cmpx_eq_u32_e32 0, v14
	s_cbranch_execz .LBB4_16566
; %bb.16565:                            ;   in Loop: Header=BB4_16247 Depth=3
	v_clz_i32_u32_e32 v5, v5
	s_delay_alu instid0(VALU_DEP_1) | instskip(SKIP_1) | instid1(VALU_DEP_2)
	v_min_u32_e32 v14, 32, v5
	v_mov_b32_e32 v5, v3
	v_subrev_nc_u32_e32 v15, 29, v14
	v_sub_nc_u32_e32 v14, 30, v14
	s_delay_alu instid0(VALU_DEP_2) | instskip(NEXT) | instid1(VALU_DEP_1)
	v_lshlrev_b64_e32 v[16:17], v15, v[4:5]
	v_and_b32_e32 v5, 3, v16
.LBB4_16566:                            ;   in Loop: Header=BB4_16247 Depth=3
	s_or_b32 exec_lo, exec_lo, s75
	v_bfe_i32 v4, v4, 0, 16
	s_delay_alu instid0(VALU_DEP_1) | instskip(NEXT) | instid1(VALU_DEP_1)
	v_and_b32_e32 v4, 0x80000000, v4
	v_lshl_add_u32 v4, v14, 23, v4
	s_delay_alu instid0(VALU_DEP_1) | instskip(NEXT) | instid1(VALU_DEP_1)
	v_lshl_or_b32 v4, v5, 21, v4
                                        ; implicit-def: $vgpr5
	v_add_nc_u32_e32 v14, 0x38000000, v4
                                        ; implicit-def: $vgpr4
.LBB4_16567:                            ;   in Loop: Header=BB4_16247 Depth=3
	s_and_not1_saveexec_b32 s15, s15
; %bb.16568:                            ;   in Loop: Header=BB4_16247 Depth=3
	v_cmp_lt_i16_e32 vcc_lo, -1, v4
	v_cndmask_b32_e32 v4, 0xff800000, v48, vcc_lo
	v_cmp_eq_u32_e32 vcc_lo, 0, v5
	s_delay_alu instid0(VALU_DEP_2)
	v_cndmask_b32_e32 v14, 0x7f800001, v4, vcc_lo
; %bb.16569:                            ;   in Loop: Header=BB4_16247 Depth=3
	s_or_b32 exec_lo, exec_lo, s15
.LBB4_16570:                            ;   in Loop: Header=BB4_16247 Depth=3
	s_delay_alu instid0(SALU_CYCLE_1)
	s_or_b32 exec_lo, exec_lo, s14
.LBB4_16571:                            ;   in Loop: Header=BB4_16247 Depth=3
	s_delay_alu instid0(SALU_CYCLE_1) | instskip(NEXT) | instid1(VALU_DEP_1)
	s_or_b32 exec_lo, exec_lo, s13
	v_dual_mul_f32 v14, s74, v14 :: v_dual_mov_b32 v5, v3
                                        ; implicit-def: $vgpr60
	s_delay_alu instid0(VALU_DEP_1) | instskip(NEXT) | instid1(VALU_DEP_1)
	v_and_b32_e32 v4, 0x7f800000, v14
	v_cmp_ne_u64_e32 vcc_lo, 0x7f800000, v[4:5]
	v_and_b32_e32 v4, 0x7fffff, v14
	s_and_saveexec_b32 s13, vcc_lo
	s_delay_alu instid0(SALU_CYCLE_1)
	s_xor_b32 s14, exec_lo, s13
	s_cbranch_execz .LBB4_16589
; %bb.16572:                            ;   in Loop: Header=BB4_16247 Depth=3
	v_and_b32_e32 v16, 0x7fffffff, v14
	v_dual_mov_b32 v17, v3 :: v_dual_lshrrev_b32 v15, 24, v14
                                        ; implicit-def: $vgpr60
	s_delay_alu instid0(VALU_DEP_1) | instskip(NEXT) | instid1(VALU_DEP_2)
	v_cmp_gt_u64_e32 vcc_lo, 0x47600001, v[16:17]
	v_and_b32_e32 v16, 0x80, v15
	s_and_saveexec_b32 s13, vcc_lo
	s_delay_alu instid0(SALU_CYCLE_1)
	s_xor_b32 s15, exec_lo, s13
	s_cbranch_execz .LBB4_16586
; %bb.16573:                            ;   in Loop: Header=BB4_16247 Depth=3
	v_mov_b32_e32 v60, 0
	s_mov_b32 s75, exec_lo
	v_cmpx_ne_u32_e32 0, v14
	s_cbranch_execz .LBB4_16585
; %bb.16574:                            ;   in Loop: Header=BB4_16247 Depth=3
	v_bfe_u32 v17, v14, 23, 8
	v_or_b32_e32 v19, 0x800000, v4
	s_delay_alu instid0(VALU_DEP_2) | instskip(SKIP_1) | instid1(VALU_DEP_2)
	v_sub_nc_u32_e32 v14, 0x71, v17
	v_cmp_gt_u32_e32 vcc_lo, 0x72, v17
	v_cndmask_b32_e32 v14, 0, v14, vcc_lo
	v_cmp_eq_u32_e32 vcc_lo, 0, v17
	v_cndmask_b32_e32 v4, v19, v4, vcc_lo
	s_delay_alu instid0(VALU_DEP_3) | instskip(NEXT) | instid1(VALU_DEP_1)
	v_cndmask_b32_e64 v18, v14, 0x70, vcc_lo
	v_dual_add_nc_u32 v14, 21, v18 :: v_dual_add_nc_u32 v20, 20, v18
	s_delay_alu instid0(VALU_DEP_1) | instskip(NEXT) | instid1(VALU_DEP_2)
	v_lshlrev_b64_e64 v[14:15], v14, -1
	v_lshlrev_b64_e64 v[20:21], v20, 1
	s_delay_alu instid0(VALU_DEP_2) | instskip(SKIP_1) | instid1(VALU_DEP_4)
	v_bfi_b32 v14, v14, 0, v4
	v_lshrrev_b64 v[4:5], v18, v[4:5]
	v_bfi_b32 v15, v15, 0, 0
	s_delay_alu instid0(VALU_DEP_1) | instskip(NEXT) | instid1(VALU_DEP_3)
	v_cmp_eq_u64_e64 s13, v[14:15], v[20:21]
	v_mov_b64_e32 v[14:15], v[4:5]
	s_and_saveexec_b32 s76, s13
; %bb.16575:                            ;   in Loop: Header=BB4_16247 Depth=3
	v_bfe_u32 v14, v4, 21, 1
	v_mov_b32_e32 v15, v3
	s_delay_alu instid0(VALU_DEP_1) | instskip(NEXT) | instid1(VALU_DEP_1)
	v_add_nc_u64_e32 v[14:15], v[4:5], v[14:15]
	v_add_nc_u64_e32 v[14:15], -1, v[14:15]
; %bb.16576:                            ;   in Loop: Header=BB4_16247 Depth=3
	s_or_b32 exec_lo, exec_lo, s76
	v_add_nc_u32_e32 v5, 0xffffff81, v17
	v_lshrrev_b32_e32 v15, 23, v4
	s_mov_b32 s13, exec_lo
	s_delay_alu instid0(VALU_DEP_2) | instskip(NEXT) | instid1(VALU_DEP_1)
	v_cndmask_b32_e64 v5, v5, 0xffffff82, vcc_lo
	v_add3_u32 v15, v18, v5, v15
	v_and_b32_e32 v5, 0x1fffff, v14
                                        ; implicit-def: $vgpr14
	s_delay_alu instid0(VALU_DEP_1) | instskip(SKIP_1) | instid1(VALU_DEP_2)
	v_dual_add_nc_u32 v17, 14, v15 :: v_dual_add_nc_u32 v4, v5, v4
	v_mov_b32_e32 v5, v3
	v_cmpx_ne_u32_e32 0, v17
	s_xor_b32 s13, exec_lo, s13
; %bb.16577:                            ;   in Loop: Header=BB4_16247 Depth=3
	s_delay_alu instid0(VALU_DEP_2) | instskip(SKIP_2) | instid1(VALU_DEP_2)
	v_cmp_lt_u64_e32 vcc_lo, 0xffffff, v[4:5]
	v_add_nc_u32_e32 v14, 15, v15
	v_cndmask_b32_e64 v15, 0, 1, vcc_lo
	v_cndmask_b32_e32 v14, v17, v14, vcc_lo
	s_delay_alu instid0(VALU_DEP_2)
	v_lshrrev_b64 v[4:5], v15, v[4:5]
; %bb.16578:                            ;   in Loop: Header=BB4_16247 Depth=3
	s_and_not1_saveexec_b32 s13, s13
; %bb.16579:                            ;   in Loop: Header=BB4_16247 Depth=3
	s_delay_alu instid0(VALU_DEP_1)
	v_bfe_u32 v14, v4, 23, 1
; %bb.16580:                            ;   in Loop: Header=BB4_16247 Depth=3
	s_or_b32 exec_lo, exec_lo, s13
	s_delay_alu instid0(VALU_DEP_2) | instskip(NEXT) | instid1(VALU_DEP_2)
	v_lshrrev_b64 v[4:5], 21, v[4:5]
	v_cmp_gt_i32_e32 vcc_lo, 32, v14
	v_cmp_ne_u32_e64 s13, 0, v14
                                        ; implicit-def: $vgpr60
	s_delay_alu instid0(VALU_DEP_3) | instskip(NEXT) | instid1(VALU_DEP_1)
	v_dual_cndmask_b32 v5, 0, v5 :: v_dual_cndmask_b32 v4, 3, v4
	v_cmp_ne_u64_e32 vcc_lo, 0, v[4:5]
	s_or_b32 s13, s13, vcc_lo
	s_delay_alu instid0(SALU_CYCLE_1) | instskip(NEXT) | instid1(SALU_CYCLE_1)
	s_and_saveexec_b32 s76, s13
	s_xor_b32 s13, exec_lo, s76
; %bb.16581:                            ;   in Loop: Header=BB4_16247 Depth=3
	v_min_i32_e32 v5, 31, v14
	s_delay_alu instid0(VALU_DEP_1) | instskip(NEXT) | instid1(VALU_DEP_1)
	v_lshl_or_b32 v5, v5, 2, v16
                                        ; implicit-def: $vgpr16
	v_and_or_b32 v60, v4, 3, v5
; %bb.16582:                            ;   in Loop: Header=BB4_16247 Depth=3
	s_and_not1_saveexec_b32 s13, s13
; %bb.16583:                            ;   in Loop: Header=BB4_16247 Depth=3
	v_mov_b32_e32 v60, v16
; %bb.16584:                            ;   in Loop: Header=BB4_16247 Depth=3
	s_or_b32 exec_lo, exec_lo, s13
.LBB4_16585:                            ;   in Loop: Header=BB4_16247 Depth=3
	s_delay_alu instid0(SALU_CYCLE_1)
	s_or_b32 exec_lo, exec_lo, s75
                                        ; implicit-def: $vgpr16
.LBB4_16586:                            ;   in Loop: Header=BB4_16247 Depth=3
	s_and_not1_saveexec_b32 s13, s15
; %bb.16587:                            ;   in Loop: Header=BB4_16247 Depth=3
	v_or_b32_e32 v60, 0x7b, v16
; %bb.16588:                            ;   in Loop: Header=BB4_16247 Depth=3
	s_or_b32 exec_lo, exec_lo, s13
                                        ; implicit-def: $vgpr14
                                        ; implicit-def: $vgpr4_vgpr5
.LBB4_16589:                            ;   in Loop: Header=BB4_16247 Depth=3
	s_and_not1_saveexec_b32 s13, s14
	s_cbranch_execz .LBB4_16595
; %bb.16590:                            ;   in Loop: Header=BB4_16247 Depth=3
	s_mov_b32 s14, exec_lo
                                        ; implicit-def: $vgpr60
	v_cmpx_ne_u64_e32 0, v[4:5]
	s_xor_b32 s14, exec_lo, s14
; %bb.16591:                            ;   in Loop: Header=BB4_16247 Depth=3
	v_lshrrev_b32_e32 v4, 24, v14
                                        ; implicit-def: $vgpr14
	s_delay_alu instid0(VALU_DEP_1)
	v_or_b32_e32 v60, 0x7f, v4
; %bb.16592:                            ;   in Loop: Header=BB4_16247 Depth=3
	s_and_not1_saveexec_b32 s14, s14
; %bb.16593:                            ;   in Loop: Header=BB4_16247 Depth=3
	v_cmp_lt_i32_e32 vcc_lo, -1, v14
	v_cndmask_b32_e64 v60, -4, 0x7c, vcc_lo
; %bb.16594:                            ;   in Loop: Header=BB4_16247 Depth=3
	s_or_b32 exec_lo, exec_lo, s14
.LBB4_16595:                            ;   in Loop: Header=BB4_16247 Depth=3
	s_delay_alu instid0(SALU_CYCLE_1)
	s_or_b32 exec_lo, exec_lo, s13
	flat_load_i8 v4, v[8:9] offset:320 th:TH_LOAD_NT
	v_mov_b32_e32 v14, 0
	s_mov_b32 s13, exec_lo
	s_wait_loadcnt_dscnt 0x0
	v_cmpx_ne_u16_e32 0, v4
	s_cbranch_execz .LBB4_16605
; %bb.16596:                            ;   in Loop: Header=BB4_16247 Depth=3
	v_bfrev_b32_e32 v14, 1
	s_mov_b32 s14, exec_lo
	v_cmpx_ne_u16_e32 0xff80, v4
	s_cbranch_execz .LBB4_16604
; %bb.16597:                            ;   in Loop: Header=BB4_16247 Depth=3
	v_and_b32_e32 v14, 0x7c, v4
	v_and_b32_e32 v5, 3, v4
	s_delay_alu instid0(VALU_DEP_2) | instskip(SKIP_1) | instid1(SALU_CYCLE_1)
	v_cmp_ne_u32_e32 vcc_lo, 0x7c, v14
                                        ; implicit-def: $vgpr14
	s_and_saveexec_b32 s15, vcc_lo
	s_xor_b32 s15, exec_lo, s15
	s_cbranch_execz .LBB4_16601
; %bb.16598:                            ;   in Loop: Header=BB4_16247 Depth=3
	v_and_b32_e32 v14, 0xff, v4
	s_mov_b32 s75, exec_lo
	s_delay_alu instid0(VALU_DEP_1) | instskip(NEXT) | instid1(VALU_DEP_1)
	v_bfe_u32 v14, v14, 2, 5
	v_cmpx_eq_u32_e32 0, v14
	s_cbranch_execz .LBB4_16600
; %bb.16599:                            ;   in Loop: Header=BB4_16247 Depth=3
	v_clz_i32_u32_e32 v5, v5
	s_delay_alu instid0(VALU_DEP_1) | instskip(SKIP_1) | instid1(VALU_DEP_2)
	v_min_u32_e32 v14, 32, v5
	v_mov_b32_e32 v5, v3
	v_subrev_nc_u32_e32 v15, 29, v14
	v_sub_nc_u32_e32 v14, 30, v14
	s_delay_alu instid0(VALU_DEP_2) | instskip(NEXT) | instid1(VALU_DEP_1)
	v_lshlrev_b64_e32 v[16:17], v15, v[4:5]
	v_and_b32_e32 v5, 3, v16
.LBB4_16600:                            ;   in Loop: Header=BB4_16247 Depth=3
	s_or_b32 exec_lo, exec_lo, s75
	v_bfe_i32 v4, v4, 0, 16
	s_delay_alu instid0(VALU_DEP_1) | instskip(NEXT) | instid1(VALU_DEP_1)
	v_and_b32_e32 v4, 0x80000000, v4
	v_lshl_add_u32 v4, v14, 23, v4
	s_delay_alu instid0(VALU_DEP_1) | instskip(NEXT) | instid1(VALU_DEP_1)
	v_lshl_or_b32 v4, v5, 21, v4
                                        ; implicit-def: $vgpr5
	v_add_nc_u32_e32 v14, 0x38000000, v4
                                        ; implicit-def: $vgpr4
.LBB4_16601:                            ;   in Loop: Header=BB4_16247 Depth=3
	s_and_not1_saveexec_b32 s15, s15
; %bb.16602:                            ;   in Loop: Header=BB4_16247 Depth=3
	v_cmp_lt_i16_e32 vcc_lo, -1, v4
	v_cndmask_b32_e32 v4, 0xff800000, v48, vcc_lo
	v_cmp_eq_u32_e32 vcc_lo, 0, v5
	s_delay_alu instid0(VALU_DEP_2)
	v_cndmask_b32_e32 v14, 0x7f800001, v4, vcc_lo
; %bb.16603:                            ;   in Loop: Header=BB4_16247 Depth=3
	s_or_b32 exec_lo, exec_lo, s15
.LBB4_16604:                            ;   in Loop: Header=BB4_16247 Depth=3
	s_delay_alu instid0(SALU_CYCLE_1)
	s_or_b32 exec_lo, exec_lo, s14
.LBB4_16605:                            ;   in Loop: Header=BB4_16247 Depth=3
	s_delay_alu instid0(SALU_CYCLE_1) | instskip(NEXT) | instid1(VALU_DEP_1)
	s_or_b32 exec_lo, exec_lo, s13
	v_dual_mul_f32 v14, s74, v14 :: v_dual_mov_b32 v5, v3
                                        ; implicit-def: $vgpr56
	s_delay_alu instid0(VALU_DEP_1) | instskip(NEXT) | instid1(VALU_DEP_1)
	v_and_b32_e32 v4, 0x7f800000, v14
	v_cmp_ne_u64_e32 vcc_lo, 0x7f800000, v[4:5]
	v_and_b32_e32 v4, 0x7fffff, v14
	s_and_saveexec_b32 s13, vcc_lo
	s_delay_alu instid0(SALU_CYCLE_1)
	s_xor_b32 s14, exec_lo, s13
	s_cbranch_execz .LBB4_16623
; %bb.16606:                            ;   in Loop: Header=BB4_16247 Depth=3
	v_and_b32_e32 v16, 0x7fffffff, v14
	v_dual_mov_b32 v17, v3 :: v_dual_lshrrev_b32 v15, 24, v14
                                        ; implicit-def: $vgpr56
	s_delay_alu instid0(VALU_DEP_1) | instskip(NEXT) | instid1(VALU_DEP_2)
	v_cmp_gt_u64_e32 vcc_lo, 0x47600001, v[16:17]
	v_and_b32_e32 v16, 0x80, v15
	s_and_saveexec_b32 s13, vcc_lo
	s_delay_alu instid0(SALU_CYCLE_1)
	s_xor_b32 s15, exec_lo, s13
	s_cbranch_execz .LBB4_16620
; %bb.16607:                            ;   in Loop: Header=BB4_16247 Depth=3
	v_mov_b32_e32 v56, 0
	s_mov_b32 s75, exec_lo
	v_cmpx_ne_u32_e32 0, v14
	s_cbranch_execz .LBB4_16619
; %bb.16608:                            ;   in Loop: Header=BB4_16247 Depth=3
	v_bfe_u32 v17, v14, 23, 8
	v_or_b32_e32 v19, 0x800000, v4
	s_delay_alu instid0(VALU_DEP_2) | instskip(SKIP_1) | instid1(VALU_DEP_2)
	v_sub_nc_u32_e32 v14, 0x71, v17
	v_cmp_gt_u32_e32 vcc_lo, 0x72, v17
	v_cndmask_b32_e32 v14, 0, v14, vcc_lo
	v_cmp_eq_u32_e32 vcc_lo, 0, v17
	v_cndmask_b32_e32 v4, v19, v4, vcc_lo
	s_delay_alu instid0(VALU_DEP_3) | instskip(NEXT) | instid1(VALU_DEP_1)
	v_cndmask_b32_e64 v18, v14, 0x70, vcc_lo
	v_dual_add_nc_u32 v14, 21, v18 :: v_dual_add_nc_u32 v20, 20, v18
	s_delay_alu instid0(VALU_DEP_1) | instskip(NEXT) | instid1(VALU_DEP_2)
	v_lshlrev_b64_e64 v[14:15], v14, -1
	v_lshlrev_b64_e64 v[20:21], v20, 1
	s_delay_alu instid0(VALU_DEP_2) | instskip(SKIP_1) | instid1(VALU_DEP_4)
	v_bfi_b32 v14, v14, 0, v4
	v_lshrrev_b64 v[4:5], v18, v[4:5]
	v_bfi_b32 v15, v15, 0, 0
	s_delay_alu instid0(VALU_DEP_1) | instskip(NEXT) | instid1(VALU_DEP_3)
	v_cmp_eq_u64_e64 s13, v[14:15], v[20:21]
	v_mov_b64_e32 v[14:15], v[4:5]
	s_and_saveexec_b32 s76, s13
; %bb.16609:                            ;   in Loop: Header=BB4_16247 Depth=3
	v_bfe_u32 v14, v4, 21, 1
	v_mov_b32_e32 v15, v3
	s_delay_alu instid0(VALU_DEP_1) | instskip(NEXT) | instid1(VALU_DEP_1)
	v_add_nc_u64_e32 v[14:15], v[4:5], v[14:15]
	v_add_nc_u64_e32 v[14:15], -1, v[14:15]
; %bb.16610:                            ;   in Loop: Header=BB4_16247 Depth=3
	s_or_b32 exec_lo, exec_lo, s76
	v_add_nc_u32_e32 v5, 0xffffff81, v17
	v_lshrrev_b32_e32 v15, 23, v4
	s_mov_b32 s13, exec_lo
	s_delay_alu instid0(VALU_DEP_2) | instskip(NEXT) | instid1(VALU_DEP_1)
	v_cndmask_b32_e64 v5, v5, 0xffffff82, vcc_lo
	v_add3_u32 v15, v18, v5, v15
	v_and_b32_e32 v5, 0x1fffff, v14
                                        ; implicit-def: $vgpr14
	s_delay_alu instid0(VALU_DEP_1) | instskip(SKIP_1) | instid1(VALU_DEP_2)
	v_dual_add_nc_u32 v17, 14, v15 :: v_dual_add_nc_u32 v4, v5, v4
	v_mov_b32_e32 v5, v3
	v_cmpx_ne_u32_e32 0, v17
	s_xor_b32 s13, exec_lo, s13
; %bb.16611:                            ;   in Loop: Header=BB4_16247 Depth=3
	s_delay_alu instid0(VALU_DEP_2) | instskip(SKIP_2) | instid1(VALU_DEP_2)
	v_cmp_lt_u64_e32 vcc_lo, 0xffffff, v[4:5]
	v_add_nc_u32_e32 v14, 15, v15
	v_cndmask_b32_e64 v15, 0, 1, vcc_lo
	v_cndmask_b32_e32 v14, v17, v14, vcc_lo
	s_delay_alu instid0(VALU_DEP_2)
	v_lshrrev_b64 v[4:5], v15, v[4:5]
; %bb.16612:                            ;   in Loop: Header=BB4_16247 Depth=3
	s_and_not1_saveexec_b32 s13, s13
; %bb.16613:                            ;   in Loop: Header=BB4_16247 Depth=3
	s_delay_alu instid0(VALU_DEP_1)
	v_bfe_u32 v14, v4, 23, 1
; %bb.16614:                            ;   in Loop: Header=BB4_16247 Depth=3
	s_or_b32 exec_lo, exec_lo, s13
	s_delay_alu instid0(VALU_DEP_2) | instskip(NEXT) | instid1(VALU_DEP_2)
	v_lshrrev_b64 v[4:5], 21, v[4:5]
	v_cmp_gt_i32_e32 vcc_lo, 32, v14
	v_cmp_ne_u32_e64 s13, 0, v14
                                        ; implicit-def: $vgpr56
	s_delay_alu instid0(VALU_DEP_3) | instskip(NEXT) | instid1(VALU_DEP_1)
	v_dual_cndmask_b32 v5, 0, v5 :: v_dual_cndmask_b32 v4, 3, v4
	v_cmp_ne_u64_e32 vcc_lo, 0, v[4:5]
	s_or_b32 s13, s13, vcc_lo
	s_delay_alu instid0(SALU_CYCLE_1) | instskip(NEXT) | instid1(SALU_CYCLE_1)
	s_and_saveexec_b32 s76, s13
	s_xor_b32 s13, exec_lo, s76
; %bb.16615:                            ;   in Loop: Header=BB4_16247 Depth=3
	v_min_i32_e32 v5, 31, v14
	s_delay_alu instid0(VALU_DEP_1) | instskip(NEXT) | instid1(VALU_DEP_1)
	v_lshl_or_b32 v5, v5, 2, v16
                                        ; implicit-def: $vgpr16
	v_and_or_b32 v56, v4, 3, v5
; %bb.16616:                            ;   in Loop: Header=BB4_16247 Depth=3
	s_and_not1_saveexec_b32 s13, s13
; %bb.16617:                            ;   in Loop: Header=BB4_16247 Depth=3
	v_mov_b32_e32 v56, v16
; %bb.16618:                            ;   in Loop: Header=BB4_16247 Depth=3
	s_or_b32 exec_lo, exec_lo, s13
.LBB4_16619:                            ;   in Loop: Header=BB4_16247 Depth=3
	s_delay_alu instid0(SALU_CYCLE_1)
	s_or_b32 exec_lo, exec_lo, s75
                                        ; implicit-def: $vgpr16
.LBB4_16620:                            ;   in Loop: Header=BB4_16247 Depth=3
	s_and_not1_saveexec_b32 s13, s15
; %bb.16621:                            ;   in Loop: Header=BB4_16247 Depth=3
	v_or_b32_e32 v56, 0x7b, v16
; %bb.16622:                            ;   in Loop: Header=BB4_16247 Depth=3
	s_or_b32 exec_lo, exec_lo, s13
                                        ; implicit-def: $vgpr14
                                        ; implicit-def: $vgpr4_vgpr5
.LBB4_16623:                            ;   in Loop: Header=BB4_16247 Depth=3
	s_and_not1_saveexec_b32 s13, s14
	s_cbranch_execz .LBB4_16629
; %bb.16624:                            ;   in Loop: Header=BB4_16247 Depth=3
	s_mov_b32 s14, exec_lo
                                        ; implicit-def: $vgpr56
	v_cmpx_ne_u64_e32 0, v[4:5]
	s_xor_b32 s14, exec_lo, s14
; %bb.16625:                            ;   in Loop: Header=BB4_16247 Depth=3
	v_lshrrev_b32_e32 v4, 24, v14
                                        ; implicit-def: $vgpr14
	s_delay_alu instid0(VALU_DEP_1)
	v_or_b32_e32 v56, 0x7f, v4
; %bb.16626:                            ;   in Loop: Header=BB4_16247 Depth=3
	s_and_not1_saveexec_b32 s14, s14
; %bb.16627:                            ;   in Loop: Header=BB4_16247 Depth=3
	v_cmp_lt_i32_e32 vcc_lo, -1, v14
	v_cndmask_b32_e64 v56, -4, 0x7c, vcc_lo
; %bb.16628:                            ;   in Loop: Header=BB4_16247 Depth=3
	s_or_b32 exec_lo, exec_lo, s14
.LBB4_16629:                            ;   in Loop: Header=BB4_16247 Depth=3
	s_delay_alu instid0(SALU_CYCLE_1)
	s_or_b32 exec_lo, exec_lo, s13
	flat_load_i8 v4, v[8:9] offset:352 th:TH_LOAD_NT
	v_mov_b32_e32 v14, 0
	s_mov_b32 s13, exec_lo
	s_wait_loadcnt_dscnt 0x0
	v_cmpx_ne_u16_e32 0, v4
	s_cbranch_execz .LBB4_16639
; %bb.16630:                            ;   in Loop: Header=BB4_16247 Depth=3
	v_bfrev_b32_e32 v14, 1
	s_mov_b32 s14, exec_lo
	v_cmpx_ne_u16_e32 0xff80, v4
	s_cbranch_execz .LBB4_16638
; %bb.16631:                            ;   in Loop: Header=BB4_16247 Depth=3
	v_and_b32_e32 v14, 0x7c, v4
	v_and_b32_e32 v5, 3, v4
	s_delay_alu instid0(VALU_DEP_2) | instskip(SKIP_1) | instid1(SALU_CYCLE_1)
	v_cmp_ne_u32_e32 vcc_lo, 0x7c, v14
                                        ; implicit-def: $vgpr14
	s_and_saveexec_b32 s15, vcc_lo
	s_xor_b32 s15, exec_lo, s15
	s_cbranch_execz .LBB4_16635
; %bb.16632:                            ;   in Loop: Header=BB4_16247 Depth=3
	v_and_b32_e32 v14, 0xff, v4
	s_mov_b32 s75, exec_lo
	s_delay_alu instid0(VALU_DEP_1) | instskip(NEXT) | instid1(VALU_DEP_1)
	v_bfe_u32 v14, v14, 2, 5
	v_cmpx_eq_u32_e32 0, v14
	s_cbranch_execz .LBB4_16634
; %bb.16633:                            ;   in Loop: Header=BB4_16247 Depth=3
	v_clz_i32_u32_e32 v5, v5
	s_delay_alu instid0(VALU_DEP_1) | instskip(SKIP_1) | instid1(VALU_DEP_2)
	v_min_u32_e32 v14, 32, v5
	v_mov_b32_e32 v5, v3
	v_subrev_nc_u32_e32 v15, 29, v14
	v_sub_nc_u32_e32 v14, 30, v14
	s_delay_alu instid0(VALU_DEP_2) | instskip(NEXT) | instid1(VALU_DEP_1)
	v_lshlrev_b64_e32 v[16:17], v15, v[4:5]
	v_and_b32_e32 v5, 3, v16
.LBB4_16634:                            ;   in Loop: Header=BB4_16247 Depth=3
	s_or_b32 exec_lo, exec_lo, s75
	v_bfe_i32 v4, v4, 0, 16
	s_delay_alu instid0(VALU_DEP_1) | instskip(NEXT) | instid1(VALU_DEP_1)
	v_and_b32_e32 v4, 0x80000000, v4
	v_lshl_add_u32 v4, v14, 23, v4
	s_delay_alu instid0(VALU_DEP_1) | instskip(NEXT) | instid1(VALU_DEP_1)
	v_lshl_or_b32 v4, v5, 21, v4
                                        ; implicit-def: $vgpr5
	v_add_nc_u32_e32 v14, 0x38000000, v4
                                        ; implicit-def: $vgpr4
.LBB4_16635:                            ;   in Loop: Header=BB4_16247 Depth=3
	s_and_not1_saveexec_b32 s15, s15
; %bb.16636:                            ;   in Loop: Header=BB4_16247 Depth=3
	v_cmp_lt_i16_e32 vcc_lo, -1, v4
	v_cndmask_b32_e32 v4, 0xff800000, v48, vcc_lo
	v_cmp_eq_u32_e32 vcc_lo, 0, v5
	s_delay_alu instid0(VALU_DEP_2)
	v_cndmask_b32_e32 v14, 0x7f800001, v4, vcc_lo
; %bb.16637:                            ;   in Loop: Header=BB4_16247 Depth=3
	s_or_b32 exec_lo, exec_lo, s15
.LBB4_16638:                            ;   in Loop: Header=BB4_16247 Depth=3
	s_delay_alu instid0(SALU_CYCLE_1)
	s_or_b32 exec_lo, exec_lo, s14
.LBB4_16639:                            ;   in Loop: Header=BB4_16247 Depth=3
	s_delay_alu instid0(SALU_CYCLE_1) | instskip(NEXT) | instid1(VALU_DEP_1)
	s_or_b32 exec_lo, exec_lo, s13
	v_dual_mul_f32 v14, s74, v14 :: v_dual_mov_b32 v5, v3
                                        ; implicit-def: $vgpr46
	s_delay_alu instid0(VALU_DEP_1) | instskip(NEXT) | instid1(VALU_DEP_1)
	v_and_b32_e32 v4, 0x7f800000, v14
	v_cmp_ne_u64_e32 vcc_lo, 0x7f800000, v[4:5]
	v_and_b32_e32 v4, 0x7fffff, v14
	s_and_saveexec_b32 s13, vcc_lo
	s_delay_alu instid0(SALU_CYCLE_1)
	s_xor_b32 s14, exec_lo, s13
	s_cbranch_execz .LBB4_16657
; %bb.16640:                            ;   in Loop: Header=BB4_16247 Depth=3
	v_and_b32_e32 v16, 0x7fffffff, v14
	v_dual_mov_b32 v17, v3 :: v_dual_lshrrev_b32 v15, 24, v14
                                        ; implicit-def: $vgpr46
	s_delay_alu instid0(VALU_DEP_1) | instskip(NEXT) | instid1(VALU_DEP_2)
	v_cmp_gt_u64_e32 vcc_lo, 0x47600001, v[16:17]
	v_and_b32_e32 v16, 0x80, v15
	s_and_saveexec_b32 s13, vcc_lo
	s_delay_alu instid0(SALU_CYCLE_1)
	s_xor_b32 s15, exec_lo, s13
	s_cbranch_execz .LBB4_16654
; %bb.16641:                            ;   in Loop: Header=BB4_16247 Depth=3
	v_mov_b32_e32 v46, 0
	s_mov_b32 s75, exec_lo
	v_cmpx_ne_u32_e32 0, v14
	s_cbranch_execz .LBB4_16653
; %bb.16642:                            ;   in Loop: Header=BB4_16247 Depth=3
	v_bfe_u32 v17, v14, 23, 8
	v_or_b32_e32 v19, 0x800000, v4
	s_delay_alu instid0(VALU_DEP_2) | instskip(SKIP_1) | instid1(VALU_DEP_2)
	v_sub_nc_u32_e32 v14, 0x71, v17
	v_cmp_gt_u32_e32 vcc_lo, 0x72, v17
	v_cndmask_b32_e32 v14, 0, v14, vcc_lo
	v_cmp_eq_u32_e32 vcc_lo, 0, v17
	v_cndmask_b32_e32 v4, v19, v4, vcc_lo
	s_delay_alu instid0(VALU_DEP_3) | instskip(NEXT) | instid1(VALU_DEP_1)
	v_cndmask_b32_e64 v18, v14, 0x70, vcc_lo
	v_dual_add_nc_u32 v14, 21, v18 :: v_dual_add_nc_u32 v20, 20, v18
	s_delay_alu instid0(VALU_DEP_1) | instskip(NEXT) | instid1(VALU_DEP_2)
	v_lshlrev_b64_e64 v[14:15], v14, -1
	v_lshlrev_b64_e64 v[20:21], v20, 1
	s_delay_alu instid0(VALU_DEP_2) | instskip(SKIP_1) | instid1(VALU_DEP_4)
	v_bfi_b32 v14, v14, 0, v4
	v_lshrrev_b64 v[4:5], v18, v[4:5]
	v_bfi_b32 v15, v15, 0, 0
	s_delay_alu instid0(VALU_DEP_1) | instskip(NEXT) | instid1(VALU_DEP_3)
	v_cmp_eq_u64_e64 s13, v[14:15], v[20:21]
	v_mov_b64_e32 v[14:15], v[4:5]
	s_and_saveexec_b32 s76, s13
; %bb.16643:                            ;   in Loop: Header=BB4_16247 Depth=3
	v_bfe_u32 v14, v4, 21, 1
	v_mov_b32_e32 v15, v3
	s_delay_alu instid0(VALU_DEP_1) | instskip(NEXT) | instid1(VALU_DEP_1)
	v_add_nc_u64_e32 v[14:15], v[4:5], v[14:15]
	v_add_nc_u64_e32 v[14:15], -1, v[14:15]
; %bb.16644:                            ;   in Loop: Header=BB4_16247 Depth=3
	s_or_b32 exec_lo, exec_lo, s76
	v_add_nc_u32_e32 v5, 0xffffff81, v17
	v_lshrrev_b32_e32 v15, 23, v4
	s_mov_b32 s13, exec_lo
	s_delay_alu instid0(VALU_DEP_2) | instskip(NEXT) | instid1(VALU_DEP_1)
	v_cndmask_b32_e64 v5, v5, 0xffffff82, vcc_lo
	v_add3_u32 v15, v18, v5, v15
	v_and_b32_e32 v5, 0x1fffff, v14
                                        ; implicit-def: $vgpr14
	s_delay_alu instid0(VALU_DEP_1) | instskip(SKIP_1) | instid1(VALU_DEP_2)
	v_dual_add_nc_u32 v17, 14, v15 :: v_dual_add_nc_u32 v4, v5, v4
	v_mov_b32_e32 v5, v3
	v_cmpx_ne_u32_e32 0, v17
	s_xor_b32 s13, exec_lo, s13
; %bb.16645:                            ;   in Loop: Header=BB4_16247 Depth=3
	s_delay_alu instid0(VALU_DEP_2) | instskip(SKIP_2) | instid1(VALU_DEP_2)
	v_cmp_lt_u64_e32 vcc_lo, 0xffffff, v[4:5]
	v_add_nc_u32_e32 v14, 15, v15
	v_cndmask_b32_e64 v15, 0, 1, vcc_lo
	v_cndmask_b32_e32 v14, v17, v14, vcc_lo
	s_delay_alu instid0(VALU_DEP_2)
	v_lshrrev_b64 v[4:5], v15, v[4:5]
; %bb.16646:                            ;   in Loop: Header=BB4_16247 Depth=3
	s_and_not1_saveexec_b32 s13, s13
; %bb.16647:                            ;   in Loop: Header=BB4_16247 Depth=3
	s_delay_alu instid0(VALU_DEP_1)
	v_bfe_u32 v14, v4, 23, 1
; %bb.16648:                            ;   in Loop: Header=BB4_16247 Depth=3
	s_or_b32 exec_lo, exec_lo, s13
	s_delay_alu instid0(VALU_DEP_2) | instskip(NEXT) | instid1(VALU_DEP_2)
	v_lshrrev_b64 v[4:5], 21, v[4:5]
	v_cmp_gt_i32_e32 vcc_lo, 32, v14
	v_cmp_ne_u32_e64 s13, 0, v14
                                        ; implicit-def: $vgpr46
	s_delay_alu instid0(VALU_DEP_3) | instskip(NEXT) | instid1(VALU_DEP_1)
	v_dual_cndmask_b32 v5, 0, v5 :: v_dual_cndmask_b32 v4, 3, v4
	v_cmp_ne_u64_e32 vcc_lo, 0, v[4:5]
	s_or_b32 s13, s13, vcc_lo
	s_delay_alu instid0(SALU_CYCLE_1) | instskip(NEXT) | instid1(SALU_CYCLE_1)
	s_and_saveexec_b32 s76, s13
	s_xor_b32 s13, exec_lo, s76
; %bb.16649:                            ;   in Loop: Header=BB4_16247 Depth=3
	v_min_i32_e32 v5, 31, v14
	s_delay_alu instid0(VALU_DEP_1) | instskip(NEXT) | instid1(VALU_DEP_1)
	v_lshl_or_b32 v5, v5, 2, v16
                                        ; implicit-def: $vgpr16
	v_and_or_b32 v46, v4, 3, v5
; %bb.16650:                            ;   in Loop: Header=BB4_16247 Depth=3
	s_and_not1_saveexec_b32 s13, s13
; %bb.16651:                            ;   in Loop: Header=BB4_16247 Depth=3
	v_mov_b32_e32 v46, v16
; %bb.16652:                            ;   in Loop: Header=BB4_16247 Depth=3
	s_or_b32 exec_lo, exec_lo, s13
.LBB4_16653:                            ;   in Loop: Header=BB4_16247 Depth=3
	s_delay_alu instid0(SALU_CYCLE_1)
	s_or_b32 exec_lo, exec_lo, s75
                                        ; implicit-def: $vgpr16
.LBB4_16654:                            ;   in Loop: Header=BB4_16247 Depth=3
	s_and_not1_saveexec_b32 s13, s15
; %bb.16655:                            ;   in Loop: Header=BB4_16247 Depth=3
	v_or_b32_e32 v46, 0x7b, v16
; %bb.16656:                            ;   in Loop: Header=BB4_16247 Depth=3
	s_or_b32 exec_lo, exec_lo, s13
                                        ; implicit-def: $vgpr14
                                        ; implicit-def: $vgpr4_vgpr5
.LBB4_16657:                            ;   in Loop: Header=BB4_16247 Depth=3
	s_and_not1_saveexec_b32 s13, s14
	s_cbranch_execz .LBB4_16663
; %bb.16658:                            ;   in Loop: Header=BB4_16247 Depth=3
	s_mov_b32 s14, exec_lo
                                        ; implicit-def: $vgpr46
	v_cmpx_ne_u64_e32 0, v[4:5]
	s_xor_b32 s14, exec_lo, s14
; %bb.16659:                            ;   in Loop: Header=BB4_16247 Depth=3
	v_lshrrev_b32_e32 v4, 24, v14
                                        ; implicit-def: $vgpr14
	s_delay_alu instid0(VALU_DEP_1)
	v_or_b32_e32 v46, 0x7f, v4
; %bb.16660:                            ;   in Loop: Header=BB4_16247 Depth=3
	s_and_not1_saveexec_b32 s14, s14
; %bb.16661:                            ;   in Loop: Header=BB4_16247 Depth=3
	v_cmp_lt_i32_e32 vcc_lo, -1, v14
	v_cndmask_b32_e64 v46, -4, 0x7c, vcc_lo
; %bb.16662:                            ;   in Loop: Header=BB4_16247 Depth=3
	s_or_b32 exec_lo, exec_lo, s14
.LBB4_16663:                            ;   in Loop: Header=BB4_16247 Depth=3
	s_delay_alu instid0(SALU_CYCLE_1)
	s_or_b32 exec_lo, exec_lo, s13
	flat_load_i8 v4, v[8:9] offset:384 th:TH_LOAD_NT
	v_mov_b32_e32 v14, 0
	s_mov_b32 s13, exec_lo
	s_wait_loadcnt_dscnt 0x0
	v_cmpx_ne_u16_e32 0, v4
	s_cbranch_execz .LBB4_16673
; %bb.16664:                            ;   in Loop: Header=BB4_16247 Depth=3
	v_bfrev_b32_e32 v14, 1
	s_mov_b32 s14, exec_lo
	v_cmpx_ne_u16_e32 0xff80, v4
	s_cbranch_execz .LBB4_16672
; %bb.16665:                            ;   in Loop: Header=BB4_16247 Depth=3
	v_and_b32_e32 v14, 0x7c, v4
	v_and_b32_e32 v5, 3, v4
	s_delay_alu instid0(VALU_DEP_2) | instskip(SKIP_1) | instid1(SALU_CYCLE_1)
	v_cmp_ne_u32_e32 vcc_lo, 0x7c, v14
                                        ; implicit-def: $vgpr14
	s_and_saveexec_b32 s15, vcc_lo
	s_xor_b32 s15, exec_lo, s15
	s_cbranch_execz .LBB4_16669
; %bb.16666:                            ;   in Loop: Header=BB4_16247 Depth=3
	v_and_b32_e32 v14, 0xff, v4
	s_mov_b32 s75, exec_lo
	s_delay_alu instid0(VALU_DEP_1) | instskip(NEXT) | instid1(VALU_DEP_1)
	v_bfe_u32 v14, v14, 2, 5
	v_cmpx_eq_u32_e32 0, v14
	s_cbranch_execz .LBB4_16668
; %bb.16667:                            ;   in Loop: Header=BB4_16247 Depth=3
	v_clz_i32_u32_e32 v5, v5
	s_delay_alu instid0(VALU_DEP_1) | instskip(SKIP_1) | instid1(VALU_DEP_2)
	v_min_u32_e32 v14, 32, v5
	v_mov_b32_e32 v5, v3
	v_subrev_nc_u32_e32 v15, 29, v14
	v_sub_nc_u32_e32 v14, 30, v14
	s_delay_alu instid0(VALU_DEP_2) | instskip(NEXT) | instid1(VALU_DEP_1)
	v_lshlrev_b64_e32 v[16:17], v15, v[4:5]
	v_and_b32_e32 v5, 3, v16
.LBB4_16668:                            ;   in Loop: Header=BB4_16247 Depth=3
	s_or_b32 exec_lo, exec_lo, s75
	v_bfe_i32 v4, v4, 0, 16
	s_delay_alu instid0(VALU_DEP_1) | instskip(NEXT) | instid1(VALU_DEP_1)
	v_and_b32_e32 v4, 0x80000000, v4
	v_lshl_add_u32 v4, v14, 23, v4
	s_delay_alu instid0(VALU_DEP_1) | instskip(NEXT) | instid1(VALU_DEP_1)
	v_lshl_or_b32 v4, v5, 21, v4
                                        ; implicit-def: $vgpr5
	v_add_nc_u32_e32 v14, 0x38000000, v4
                                        ; implicit-def: $vgpr4
.LBB4_16669:                            ;   in Loop: Header=BB4_16247 Depth=3
	s_and_not1_saveexec_b32 s15, s15
; %bb.16670:                            ;   in Loop: Header=BB4_16247 Depth=3
	v_cmp_lt_i16_e32 vcc_lo, -1, v4
	v_cndmask_b32_e32 v4, 0xff800000, v48, vcc_lo
	v_cmp_eq_u32_e32 vcc_lo, 0, v5
	s_delay_alu instid0(VALU_DEP_2)
	v_cndmask_b32_e32 v14, 0x7f800001, v4, vcc_lo
; %bb.16671:                            ;   in Loop: Header=BB4_16247 Depth=3
	s_or_b32 exec_lo, exec_lo, s15
.LBB4_16672:                            ;   in Loop: Header=BB4_16247 Depth=3
	s_delay_alu instid0(SALU_CYCLE_1)
	s_or_b32 exec_lo, exec_lo, s14
.LBB4_16673:                            ;   in Loop: Header=BB4_16247 Depth=3
	s_delay_alu instid0(SALU_CYCLE_1) | instskip(NEXT) | instid1(VALU_DEP_1)
	s_or_b32 exec_lo, exec_lo, s13
	v_dual_mul_f32 v14, s74, v14 :: v_dual_mov_b32 v5, v3
                                        ; implicit-def: $vgpr44
	s_delay_alu instid0(VALU_DEP_1) | instskip(NEXT) | instid1(VALU_DEP_1)
	v_and_b32_e32 v4, 0x7f800000, v14
	v_cmp_ne_u64_e32 vcc_lo, 0x7f800000, v[4:5]
	v_and_b32_e32 v4, 0x7fffff, v14
	s_and_saveexec_b32 s13, vcc_lo
	s_delay_alu instid0(SALU_CYCLE_1)
	s_xor_b32 s14, exec_lo, s13
	s_cbranch_execz .LBB4_16691
; %bb.16674:                            ;   in Loop: Header=BB4_16247 Depth=3
	v_and_b32_e32 v16, 0x7fffffff, v14
	v_dual_mov_b32 v17, v3 :: v_dual_lshrrev_b32 v15, 24, v14
                                        ; implicit-def: $vgpr44
	s_delay_alu instid0(VALU_DEP_1) | instskip(NEXT) | instid1(VALU_DEP_2)
	v_cmp_gt_u64_e32 vcc_lo, 0x47600001, v[16:17]
	v_and_b32_e32 v16, 0x80, v15
	s_and_saveexec_b32 s13, vcc_lo
	s_delay_alu instid0(SALU_CYCLE_1)
	s_xor_b32 s15, exec_lo, s13
	s_cbranch_execz .LBB4_16688
; %bb.16675:                            ;   in Loop: Header=BB4_16247 Depth=3
	v_mov_b32_e32 v44, 0
	s_mov_b32 s75, exec_lo
	v_cmpx_ne_u32_e32 0, v14
	s_cbranch_execz .LBB4_16687
; %bb.16676:                            ;   in Loop: Header=BB4_16247 Depth=3
	v_bfe_u32 v17, v14, 23, 8
	v_or_b32_e32 v19, 0x800000, v4
	s_delay_alu instid0(VALU_DEP_2) | instskip(SKIP_1) | instid1(VALU_DEP_2)
	v_sub_nc_u32_e32 v14, 0x71, v17
	v_cmp_gt_u32_e32 vcc_lo, 0x72, v17
	v_cndmask_b32_e32 v14, 0, v14, vcc_lo
	v_cmp_eq_u32_e32 vcc_lo, 0, v17
	v_cndmask_b32_e32 v4, v19, v4, vcc_lo
	s_delay_alu instid0(VALU_DEP_3) | instskip(NEXT) | instid1(VALU_DEP_1)
	v_cndmask_b32_e64 v18, v14, 0x70, vcc_lo
	v_dual_add_nc_u32 v14, 21, v18 :: v_dual_add_nc_u32 v20, 20, v18
	s_delay_alu instid0(VALU_DEP_1) | instskip(NEXT) | instid1(VALU_DEP_2)
	v_lshlrev_b64_e64 v[14:15], v14, -1
	v_lshlrev_b64_e64 v[20:21], v20, 1
	s_delay_alu instid0(VALU_DEP_2) | instskip(SKIP_1) | instid1(VALU_DEP_4)
	v_bfi_b32 v14, v14, 0, v4
	v_lshrrev_b64 v[4:5], v18, v[4:5]
	v_bfi_b32 v15, v15, 0, 0
	s_delay_alu instid0(VALU_DEP_1) | instskip(NEXT) | instid1(VALU_DEP_3)
	v_cmp_eq_u64_e64 s13, v[14:15], v[20:21]
	v_mov_b64_e32 v[14:15], v[4:5]
	s_and_saveexec_b32 s76, s13
; %bb.16677:                            ;   in Loop: Header=BB4_16247 Depth=3
	v_bfe_u32 v14, v4, 21, 1
	v_mov_b32_e32 v15, v3
	s_delay_alu instid0(VALU_DEP_1) | instskip(NEXT) | instid1(VALU_DEP_1)
	v_add_nc_u64_e32 v[14:15], v[4:5], v[14:15]
	v_add_nc_u64_e32 v[14:15], -1, v[14:15]
; %bb.16678:                            ;   in Loop: Header=BB4_16247 Depth=3
	s_or_b32 exec_lo, exec_lo, s76
	v_add_nc_u32_e32 v5, 0xffffff81, v17
	v_lshrrev_b32_e32 v15, 23, v4
	s_mov_b32 s13, exec_lo
	s_delay_alu instid0(VALU_DEP_2) | instskip(NEXT) | instid1(VALU_DEP_1)
	v_cndmask_b32_e64 v5, v5, 0xffffff82, vcc_lo
	v_add3_u32 v15, v18, v5, v15
	v_and_b32_e32 v5, 0x1fffff, v14
                                        ; implicit-def: $vgpr14
	s_delay_alu instid0(VALU_DEP_1) | instskip(SKIP_1) | instid1(VALU_DEP_2)
	v_dual_add_nc_u32 v17, 14, v15 :: v_dual_add_nc_u32 v4, v5, v4
	v_mov_b32_e32 v5, v3
	v_cmpx_ne_u32_e32 0, v17
	s_xor_b32 s13, exec_lo, s13
; %bb.16679:                            ;   in Loop: Header=BB4_16247 Depth=3
	s_delay_alu instid0(VALU_DEP_2) | instskip(SKIP_2) | instid1(VALU_DEP_2)
	v_cmp_lt_u64_e32 vcc_lo, 0xffffff, v[4:5]
	v_add_nc_u32_e32 v14, 15, v15
	v_cndmask_b32_e64 v15, 0, 1, vcc_lo
	v_cndmask_b32_e32 v14, v17, v14, vcc_lo
	s_delay_alu instid0(VALU_DEP_2)
	v_lshrrev_b64 v[4:5], v15, v[4:5]
; %bb.16680:                            ;   in Loop: Header=BB4_16247 Depth=3
	s_and_not1_saveexec_b32 s13, s13
; %bb.16681:                            ;   in Loop: Header=BB4_16247 Depth=3
	s_delay_alu instid0(VALU_DEP_1)
	v_bfe_u32 v14, v4, 23, 1
; %bb.16682:                            ;   in Loop: Header=BB4_16247 Depth=3
	s_or_b32 exec_lo, exec_lo, s13
	s_delay_alu instid0(VALU_DEP_2) | instskip(NEXT) | instid1(VALU_DEP_2)
	v_lshrrev_b64 v[4:5], 21, v[4:5]
	v_cmp_gt_i32_e32 vcc_lo, 32, v14
	v_cmp_ne_u32_e64 s13, 0, v14
                                        ; implicit-def: $vgpr44
	s_delay_alu instid0(VALU_DEP_3) | instskip(NEXT) | instid1(VALU_DEP_1)
	v_dual_cndmask_b32 v5, 0, v5 :: v_dual_cndmask_b32 v4, 3, v4
	v_cmp_ne_u64_e32 vcc_lo, 0, v[4:5]
	s_or_b32 s13, s13, vcc_lo
	s_delay_alu instid0(SALU_CYCLE_1) | instskip(NEXT) | instid1(SALU_CYCLE_1)
	s_and_saveexec_b32 s76, s13
	s_xor_b32 s13, exec_lo, s76
; %bb.16683:                            ;   in Loop: Header=BB4_16247 Depth=3
	v_min_i32_e32 v5, 31, v14
	s_delay_alu instid0(VALU_DEP_1) | instskip(NEXT) | instid1(VALU_DEP_1)
	v_lshl_or_b32 v5, v5, 2, v16
                                        ; implicit-def: $vgpr16
	v_and_or_b32 v44, v4, 3, v5
; %bb.16684:                            ;   in Loop: Header=BB4_16247 Depth=3
	s_and_not1_saveexec_b32 s13, s13
; %bb.16685:                            ;   in Loop: Header=BB4_16247 Depth=3
	v_mov_b32_e32 v44, v16
; %bb.16686:                            ;   in Loop: Header=BB4_16247 Depth=3
	s_or_b32 exec_lo, exec_lo, s13
.LBB4_16687:                            ;   in Loop: Header=BB4_16247 Depth=3
	s_delay_alu instid0(SALU_CYCLE_1)
	s_or_b32 exec_lo, exec_lo, s75
                                        ; implicit-def: $vgpr16
.LBB4_16688:                            ;   in Loop: Header=BB4_16247 Depth=3
	s_and_not1_saveexec_b32 s13, s15
; %bb.16689:                            ;   in Loop: Header=BB4_16247 Depth=3
	v_or_b32_e32 v44, 0x7b, v16
; %bb.16690:                            ;   in Loop: Header=BB4_16247 Depth=3
	s_or_b32 exec_lo, exec_lo, s13
                                        ; implicit-def: $vgpr14
                                        ; implicit-def: $vgpr4_vgpr5
.LBB4_16691:                            ;   in Loop: Header=BB4_16247 Depth=3
	s_and_not1_saveexec_b32 s13, s14
	s_cbranch_execz .LBB4_16697
; %bb.16692:                            ;   in Loop: Header=BB4_16247 Depth=3
	s_mov_b32 s14, exec_lo
                                        ; implicit-def: $vgpr44
	v_cmpx_ne_u64_e32 0, v[4:5]
	s_xor_b32 s14, exec_lo, s14
; %bb.16693:                            ;   in Loop: Header=BB4_16247 Depth=3
	v_lshrrev_b32_e32 v4, 24, v14
                                        ; implicit-def: $vgpr14
	s_delay_alu instid0(VALU_DEP_1)
	v_or_b32_e32 v44, 0x7f, v4
; %bb.16694:                            ;   in Loop: Header=BB4_16247 Depth=3
	s_and_not1_saveexec_b32 s14, s14
; %bb.16695:                            ;   in Loop: Header=BB4_16247 Depth=3
	v_cmp_lt_i32_e32 vcc_lo, -1, v14
	v_cndmask_b32_e64 v44, -4, 0x7c, vcc_lo
; %bb.16696:                            ;   in Loop: Header=BB4_16247 Depth=3
	s_or_b32 exec_lo, exec_lo, s14
.LBB4_16697:                            ;   in Loop: Header=BB4_16247 Depth=3
	s_delay_alu instid0(SALU_CYCLE_1)
	s_or_b32 exec_lo, exec_lo, s13
	flat_load_i8 v4, v[8:9] offset:416 th:TH_LOAD_NT
	v_mov_b32_e32 v14, 0
	s_mov_b32 s13, exec_lo
	s_wait_loadcnt_dscnt 0x0
	v_cmpx_ne_u16_e32 0, v4
	s_cbranch_execz .LBB4_16707
; %bb.16698:                            ;   in Loop: Header=BB4_16247 Depth=3
	v_bfrev_b32_e32 v14, 1
	s_mov_b32 s14, exec_lo
	v_cmpx_ne_u16_e32 0xff80, v4
	s_cbranch_execz .LBB4_16706
; %bb.16699:                            ;   in Loop: Header=BB4_16247 Depth=3
	v_and_b32_e32 v14, 0x7c, v4
	v_and_b32_e32 v5, 3, v4
	s_delay_alu instid0(VALU_DEP_2) | instskip(SKIP_1) | instid1(SALU_CYCLE_1)
	v_cmp_ne_u32_e32 vcc_lo, 0x7c, v14
                                        ; implicit-def: $vgpr14
	s_and_saveexec_b32 s15, vcc_lo
	s_xor_b32 s15, exec_lo, s15
	s_cbranch_execz .LBB4_16703
; %bb.16700:                            ;   in Loop: Header=BB4_16247 Depth=3
	v_and_b32_e32 v14, 0xff, v4
	s_mov_b32 s75, exec_lo
	s_delay_alu instid0(VALU_DEP_1) | instskip(NEXT) | instid1(VALU_DEP_1)
	v_bfe_u32 v14, v14, 2, 5
	v_cmpx_eq_u32_e32 0, v14
	s_cbranch_execz .LBB4_16702
; %bb.16701:                            ;   in Loop: Header=BB4_16247 Depth=3
	v_clz_i32_u32_e32 v5, v5
	s_delay_alu instid0(VALU_DEP_1) | instskip(SKIP_1) | instid1(VALU_DEP_2)
	v_min_u32_e32 v14, 32, v5
	v_mov_b32_e32 v5, v3
	v_subrev_nc_u32_e32 v15, 29, v14
	v_sub_nc_u32_e32 v14, 30, v14
	s_delay_alu instid0(VALU_DEP_2) | instskip(NEXT) | instid1(VALU_DEP_1)
	v_lshlrev_b64_e32 v[16:17], v15, v[4:5]
	v_and_b32_e32 v5, 3, v16
.LBB4_16702:                            ;   in Loop: Header=BB4_16247 Depth=3
	s_or_b32 exec_lo, exec_lo, s75
	v_bfe_i32 v4, v4, 0, 16
	s_delay_alu instid0(VALU_DEP_1) | instskip(NEXT) | instid1(VALU_DEP_1)
	v_and_b32_e32 v4, 0x80000000, v4
	v_lshl_add_u32 v4, v14, 23, v4
	s_delay_alu instid0(VALU_DEP_1) | instskip(NEXT) | instid1(VALU_DEP_1)
	v_lshl_or_b32 v4, v5, 21, v4
                                        ; implicit-def: $vgpr5
	v_add_nc_u32_e32 v14, 0x38000000, v4
                                        ; implicit-def: $vgpr4
.LBB4_16703:                            ;   in Loop: Header=BB4_16247 Depth=3
	s_and_not1_saveexec_b32 s15, s15
; %bb.16704:                            ;   in Loop: Header=BB4_16247 Depth=3
	v_cmp_lt_i16_e32 vcc_lo, -1, v4
	v_cndmask_b32_e32 v4, 0xff800000, v48, vcc_lo
	v_cmp_eq_u32_e32 vcc_lo, 0, v5
	s_delay_alu instid0(VALU_DEP_2)
	v_cndmask_b32_e32 v14, 0x7f800001, v4, vcc_lo
; %bb.16705:                            ;   in Loop: Header=BB4_16247 Depth=3
	s_or_b32 exec_lo, exec_lo, s15
.LBB4_16706:                            ;   in Loop: Header=BB4_16247 Depth=3
	s_delay_alu instid0(SALU_CYCLE_1)
	s_or_b32 exec_lo, exec_lo, s14
.LBB4_16707:                            ;   in Loop: Header=BB4_16247 Depth=3
	s_delay_alu instid0(SALU_CYCLE_1) | instskip(NEXT) | instid1(VALU_DEP_1)
	s_or_b32 exec_lo, exec_lo, s13
	v_dual_mul_f32 v14, s74, v14 :: v_dual_mov_b32 v5, v3
                                        ; implicit-def: $vgpr42
	s_delay_alu instid0(VALU_DEP_1) | instskip(NEXT) | instid1(VALU_DEP_1)
	v_and_b32_e32 v4, 0x7f800000, v14
	v_cmp_ne_u64_e32 vcc_lo, 0x7f800000, v[4:5]
	v_and_b32_e32 v4, 0x7fffff, v14
	s_and_saveexec_b32 s13, vcc_lo
	s_delay_alu instid0(SALU_CYCLE_1)
	s_xor_b32 s14, exec_lo, s13
	s_cbranch_execz .LBB4_16725
; %bb.16708:                            ;   in Loop: Header=BB4_16247 Depth=3
	v_and_b32_e32 v16, 0x7fffffff, v14
	v_dual_mov_b32 v17, v3 :: v_dual_lshrrev_b32 v15, 24, v14
                                        ; implicit-def: $vgpr42
	s_delay_alu instid0(VALU_DEP_1) | instskip(NEXT) | instid1(VALU_DEP_2)
	v_cmp_gt_u64_e32 vcc_lo, 0x47600001, v[16:17]
	v_and_b32_e32 v16, 0x80, v15
	s_and_saveexec_b32 s13, vcc_lo
	s_delay_alu instid0(SALU_CYCLE_1)
	s_xor_b32 s15, exec_lo, s13
	s_cbranch_execz .LBB4_16722
; %bb.16709:                            ;   in Loop: Header=BB4_16247 Depth=3
	v_mov_b32_e32 v42, 0
	s_mov_b32 s75, exec_lo
	v_cmpx_ne_u32_e32 0, v14
	s_cbranch_execz .LBB4_16721
; %bb.16710:                            ;   in Loop: Header=BB4_16247 Depth=3
	v_bfe_u32 v17, v14, 23, 8
	v_or_b32_e32 v19, 0x800000, v4
	s_delay_alu instid0(VALU_DEP_2) | instskip(SKIP_1) | instid1(VALU_DEP_2)
	v_sub_nc_u32_e32 v14, 0x71, v17
	v_cmp_gt_u32_e32 vcc_lo, 0x72, v17
	v_cndmask_b32_e32 v14, 0, v14, vcc_lo
	v_cmp_eq_u32_e32 vcc_lo, 0, v17
	v_cndmask_b32_e32 v4, v19, v4, vcc_lo
	s_delay_alu instid0(VALU_DEP_3) | instskip(NEXT) | instid1(VALU_DEP_1)
	v_cndmask_b32_e64 v18, v14, 0x70, vcc_lo
	v_dual_add_nc_u32 v14, 21, v18 :: v_dual_add_nc_u32 v20, 20, v18
	s_delay_alu instid0(VALU_DEP_1) | instskip(NEXT) | instid1(VALU_DEP_2)
	v_lshlrev_b64_e64 v[14:15], v14, -1
	v_lshlrev_b64_e64 v[20:21], v20, 1
	s_delay_alu instid0(VALU_DEP_2) | instskip(SKIP_1) | instid1(VALU_DEP_4)
	v_bfi_b32 v14, v14, 0, v4
	v_lshrrev_b64 v[4:5], v18, v[4:5]
	v_bfi_b32 v15, v15, 0, 0
	s_delay_alu instid0(VALU_DEP_1) | instskip(NEXT) | instid1(VALU_DEP_3)
	v_cmp_eq_u64_e64 s13, v[14:15], v[20:21]
	v_mov_b64_e32 v[14:15], v[4:5]
	s_and_saveexec_b32 s76, s13
; %bb.16711:                            ;   in Loop: Header=BB4_16247 Depth=3
	v_bfe_u32 v14, v4, 21, 1
	v_mov_b32_e32 v15, v3
	s_delay_alu instid0(VALU_DEP_1) | instskip(NEXT) | instid1(VALU_DEP_1)
	v_add_nc_u64_e32 v[14:15], v[4:5], v[14:15]
	v_add_nc_u64_e32 v[14:15], -1, v[14:15]
; %bb.16712:                            ;   in Loop: Header=BB4_16247 Depth=3
	s_or_b32 exec_lo, exec_lo, s76
	v_add_nc_u32_e32 v5, 0xffffff81, v17
	v_lshrrev_b32_e32 v15, 23, v4
	s_mov_b32 s13, exec_lo
	s_delay_alu instid0(VALU_DEP_2) | instskip(NEXT) | instid1(VALU_DEP_1)
	v_cndmask_b32_e64 v5, v5, 0xffffff82, vcc_lo
	v_add3_u32 v15, v18, v5, v15
	v_and_b32_e32 v5, 0x1fffff, v14
                                        ; implicit-def: $vgpr14
	s_delay_alu instid0(VALU_DEP_1) | instskip(SKIP_1) | instid1(VALU_DEP_2)
	v_dual_add_nc_u32 v17, 14, v15 :: v_dual_add_nc_u32 v4, v5, v4
	v_mov_b32_e32 v5, v3
	v_cmpx_ne_u32_e32 0, v17
	s_xor_b32 s13, exec_lo, s13
; %bb.16713:                            ;   in Loop: Header=BB4_16247 Depth=3
	s_delay_alu instid0(VALU_DEP_2) | instskip(SKIP_2) | instid1(VALU_DEP_2)
	v_cmp_lt_u64_e32 vcc_lo, 0xffffff, v[4:5]
	v_add_nc_u32_e32 v14, 15, v15
	v_cndmask_b32_e64 v15, 0, 1, vcc_lo
	v_cndmask_b32_e32 v14, v17, v14, vcc_lo
	s_delay_alu instid0(VALU_DEP_2)
	v_lshrrev_b64 v[4:5], v15, v[4:5]
; %bb.16714:                            ;   in Loop: Header=BB4_16247 Depth=3
	s_and_not1_saveexec_b32 s13, s13
; %bb.16715:                            ;   in Loop: Header=BB4_16247 Depth=3
	s_delay_alu instid0(VALU_DEP_1)
	v_bfe_u32 v14, v4, 23, 1
; %bb.16716:                            ;   in Loop: Header=BB4_16247 Depth=3
	s_or_b32 exec_lo, exec_lo, s13
	s_delay_alu instid0(VALU_DEP_2) | instskip(NEXT) | instid1(VALU_DEP_2)
	v_lshrrev_b64 v[4:5], 21, v[4:5]
	v_cmp_gt_i32_e32 vcc_lo, 32, v14
	v_cmp_ne_u32_e64 s13, 0, v14
                                        ; implicit-def: $vgpr42
	s_delay_alu instid0(VALU_DEP_3) | instskip(NEXT) | instid1(VALU_DEP_1)
	v_dual_cndmask_b32 v5, 0, v5 :: v_dual_cndmask_b32 v4, 3, v4
	v_cmp_ne_u64_e32 vcc_lo, 0, v[4:5]
	s_or_b32 s13, s13, vcc_lo
	s_delay_alu instid0(SALU_CYCLE_1) | instskip(NEXT) | instid1(SALU_CYCLE_1)
	s_and_saveexec_b32 s76, s13
	s_xor_b32 s13, exec_lo, s76
; %bb.16717:                            ;   in Loop: Header=BB4_16247 Depth=3
	v_min_i32_e32 v5, 31, v14
	s_delay_alu instid0(VALU_DEP_1) | instskip(NEXT) | instid1(VALU_DEP_1)
	v_lshl_or_b32 v5, v5, 2, v16
                                        ; implicit-def: $vgpr16
	v_and_or_b32 v42, v4, 3, v5
; %bb.16718:                            ;   in Loop: Header=BB4_16247 Depth=3
	s_and_not1_saveexec_b32 s13, s13
; %bb.16719:                            ;   in Loop: Header=BB4_16247 Depth=3
	v_mov_b32_e32 v42, v16
; %bb.16720:                            ;   in Loop: Header=BB4_16247 Depth=3
	s_or_b32 exec_lo, exec_lo, s13
.LBB4_16721:                            ;   in Loop: Header=BB4_16247 Depth=3
	s_delay_alu instid0(SALU_CYCLE_1)
	s_or_b32 exec_lo, exec_lo, s75
                                        ; implicit-def: $vgpr16
.LBB4_16722:                            ;   in Loop: Header=BB4_16247 Depth=3
	s_and_not1_saveexec_b32 s13, s15
; %bb.16723:                            ;   in Loop: Header=BB4_16247 Depth=3
	v_or_b32_e32 v42, 0x7b, v16
; %bb.16724:                            ;   in Loop: Header=BB4_16247 Depth=3
	s_or_b32 exec_lo, exec_lo, s13
                                        ; implicit-def: $vgpr14
                                        ; implicit-def: $vgpr4_vgpr5
.LBB4_16725:                            ;   in Loop: Header=BB4_16247 Depth=3
	s_and_not1_saveexec_b32 s13, s14
	s_cbranch_execz .LBB4_16731
; %bb.16726:                            ;   in Loop: Header=BB4_16247 Depth=3
	s_mov_b32 s14, exec_lo
                                        ; implicit-def: $vgpr42
	v_cmpx_ne_u64_e32 0, v[4:5]
	s_xor_b32 s14, exec_lo, s14
; %bb.16727:                            ;   in Loop: Header=BB4_16247 Depth=3
	v_lshrrev_b32_e32 v4, 24, v14
                                        ; implicit-def: $vgpr14
	s_delay_alu instid0(VALU_DEP_1)
	v_or_b32_e32 v42, 0x7f, v4
; %bb.16728:                            ;   in Loop: Header=BB4_16247 Depth=3
	s_and_not1_saveexec_b32 s14, s14
; %bb.16729:                            ;   in Loop: Header=BB4_16247 Depth=3
	v_cmp_lt_i32_e32 vcc_lo, -1, v14
	v_cndmask_b32_e64 v42, -4, 0x7c, vcc_lo
; %bb.16730:                            ;   in Loop: Header=BB4_16247 Depth=3
	s_or_b32 exec_lo, exec_lo, s14
.LBB4_16731:                            ;   in Loop: Header=BB4_16247 Depth=3
	s_delay_alu instid0(SALU_CYCLE_1)
	s_or_b32 exec_lo, exec_lo, s13
	flat_load_i8 v4, v[8:9] offset:448 th:TH_LOAD_NT
	v_mov_b32_e32 v14, 0
	s_mov_b32 s13, exec_lo
	s_wait_loadcnt_dscnt 0x0
	v_cmpx_ne_u16_e32 0, v4
	s_cbranch_execz .LBB4_16741
; %bb.16732:                            ;   in Loop: Header=BB4_16247 Depth=3
	v_bfrev_b32_e32 v14, 1
	s_mov_b32 s14, exec_lo
	v_cmpx_ne_u16_e32 0xff80, v4
	s_cbranch_execz .LBB4_16740
; %bb.16733:                            ;   in Loop: Header=BB4_16247 Depth=3
	v_and_b32_e32 v14, 0x7c, v4
	v_and_b32_e32 v5, 3, v4
	s_delay_alu instid0(VALU_DEP_2) | instskip(SKIP_1) | instid1(SALU_CYCLE_1)
	v_cmp_ne_u32_e32 vcc_lo, 0x7c, v14
                                        ; implicit-def: $vgpr14
	s_and_saveexec_b32 s15, vcc_lo
	s_xor_b32 s15, exec_lo, s15
	s_cbranch_execz .LBB4_16737
; %bb.16734:                            ;   in Loop: Header=BB4_16247 Depth=3
	v_and_b32_e32 v14, 0xff, v4
	s_mov_b32 s75, exec_lo
	s_delay_alu instid0(VALU_DEP_1) | instskip(NEXT) | instid1(VALU_DEP_1)
	v_bfe_u32 v14, v14, 2, 5
	v_cmpx_eq_u32_e32 0, v14
	s_cbranch_execz .LBB4_16736
; %bb.16735:                            ;   in Loop: Header=BB4_16247 Depth=3
	v_clz_i32_u32_e32 v5, v5
	s_delay_alu instid0(VALU_DEP_1) | instskip(SKIP_1) | instid1(VALU_DEP_2)
	v_min_u32_e32 v14, 32, v5
	v_mov_b32_e32 v5, v3
	v_subrev_nc_u32_e32 v15, 29, v14
	v_sub_nc_u32_e32 v14, 30, v14
	s_delay_alu instid0(VALU_DEP_2) | instskip(NEXT) | instid1(VALU_DEP_1)
	v_lshlrev_b64_e32 v[16:17], v15, v[4:5]
	v_and_b32_e32 v5, 3, v16
.LBB4_16736:                            ;   in Loop: Header=BB4_16247 Depth=3
	s_or_b32 exec_lo, exec_lo, s75
	v_bfe_i32 v4, v4, 0, 16
	s_delay_alu instid0(VALU_DEP_1) | instskip(NEXT) | instid1(VALU_DEP_1)
	v_and_b32_e32 v4, 0x80000000, v4
	v_lshl_add_u32 v4, v14, 23, v4
	s_delay_alu instid0(VALU_DEP_1) | instskip(NEXT) | instid1(VALU_DEP_1)
	v_lshl_or_b32 v4, v5, 21, v4
                                        ; implicit-def: $vgpr5
	v_add_nc_u32_e32 v14, 0x38000000, v4
                                        ; implicit-def: $vgpr4
.LBB4_16737:                            ;   in Loop: Header=BB4_16247 Depth=3
	s_and_not1_saveexec_b32 s15, s15
; %bb.16738:                            ;   in Loop: Header=BB4_16247 Depth=3
	v_cmp_lt_i16_e32 vcc_lo, -1, v4
	v_cndmask_b32_e32 v4, 0xff800000, v48, vcc_lo
	v_cmp_eq_u32_e32 vcc_lo, 0, v5
	s_delay_alu instid0(VALU_DEP_2)
	v_cndmask_b32_e32 v14, 0x7f800001, v4, vcc_lo
; %bb.16739:                            ;   in Loop: Header=BB4_16247 Depth=3
	s_or_b32 exec_lo, exec_lo, s15
.LBB4_16740:                            ;   in Loop: Header=BB4_16247 Depth=3
	s_delay_alu instid0(SALU_CYCLE_1)
	s_or_b32 exec_lo, exec_lo, s14
.LBB4_16741:                            ;   in Loop: Header=BB4_16247 Depth=3
	s_delay_alu instid0(SALU_CYCLE_1) | instskip(NEXT) | instid1(VALU_DEP_1)
	s_or_b32 exec_lo, exec_lo, s13
	v_dual_mul_f32 v14, s74, v14 :: v_dual_mov_b32 v5, v3
                                        ; implicit-def: $vgpr40
	s_delay_alu instid0(VALU_DEP_1) | instskip(NEXT) | instid1(VALU_DEP_1)
	v_and_b32_e32 v4, 0x7f800000, v14
	v_cmp_ne_u64_e32 vcc_lo, 0x7f800000, v[4:5]
	v_and_b32_e32 v4, 0x7fffff, v14
	s_and_saveexec_b32 s13, vcc_lo
	s_delay_alu instid0(SALU_CYCLE_1)
	s_xor_b32 s14, exec_lo, s13
	s_cbranch_execz .LBB4_16759
; %bb.16742:                            ;   in Loop: Header=BB4_16247 Depth=3
	v_and_b32_e32 v16, 0x7fffffff, v14
	v_dual_mov_b32 v17, v3 :: v_dual_lshrrev_b32 v15, 24, v14
                                        ; implicit-def: $vgpr40
	s_delay_alu instid0(VALU_DEP_1) | instskip(NEXT) | instid1(VALU_DEP_2)
	v_cmp_gt_u64_e32 vcc_lo, 0x47600001, v[16:17]
	v_and_b32_e32 v16, 0x80, v15
	s_and_saveexec_b32 s13, vcc_lo
	s_delay_alu instid0(SALU_CYCLE_1)
	s_xor_b32 s15, exec_lo, s13
	s_cbranch_execz .LBB4_16756
; %bb.16743:                            ;   in Loop: Header=BB4_16247 Depth=3
	v_mov_b32_e32 v40, 0
	s_mov_b32 s75, exec_lo
	v_cmpx_ne_u32_e32 0, v14
	s_cbranch_execz .LBB4_16755
; %bb.16744:                            ;   in Loop: Header=BB4_16247 Depth=3
	v_bfe_u32 v17, v14, 23, 8
	v_or_b32_e32 v19, 0x800000, v4
	s_delay_alu instid0(VALU_DEP_2) | instskip(SKIP_1) | instid1(VALU_DEP_2)
	v_sub_nc_u32_e32 v14, 0x71, v17
	v_cmp_gt_u32_e32 vcc_lo, 0x72, v17
	v_cndmask_b32_e32 v14, 0, v14, vcc_lo
	v_cmp_eq_u32_e32 vcc_lo, 0, v17
	v_cndmask_b32_e32 v4, v19, v4, vcc_lo
	s_delay_alu instid0(VALU_DEP_3) | instskip(NEXT) | instid1(VALU_DEP_1)
	v_cndmask_b32_e64 v18, v14, 0x70, vcc_lo
	v_dual_add_nc_u32 v14, 21, v18 :: v_dual_add_nc_u32 v20, 20, v18
	s_delay_alu instid0(VALU_DEP_1) | instskip(NEXT) | instid1(VALU_DEP_2)
	v_lshlrev_b64_e64 v[14:15], v14, -1
	v_lshlrev_b64_e64 v[20:21], v20, 1
	s_delay_alu instid0(VALU_DEP_2) | instskip(SKIP_1) | instid1(VALU_DEP_4)
	v_bfi_b32 v14, v14, 0, v4
	v_lshrrev_b64 v[4:5], v18, v[4:5]
	v_bfi_b32 v15, v15, 0, 0
	s_delay_alu instid0(VALU_DEP_1) | instskip(NEXT) | instid1(VALU_DEP_3)
	v_cmp_eq_u64_e64 s13, v[14:15], v[20:21]
	v_mov_b64_e32 v[14:15], v[4:5]
	s_and_saveexec_b32 s76, s13
; %bb.16745:                            ;   in Loop: Header=BB4_16247 Depth=3
	v_bfe_u32 v14, v4, 21, 1
	v_mov_b32_e32 v15, v3
	s_delay_alu instid0(VALU_DEP_1) | instskip(NEXT) | instid1(VALU_DEP_1)
	v_add_nc_u64_e32 v[14:15], v[4:5], v[14:15]
	v_add_nc_u64_e32 v[14:15], -1, v[14:15]
; %bb.16746:                            ;   in Loop: Header=BB4_16247 Depth=3
	s_or_b32 exec_lo, exec_lo, s76
	v_add_nc_u32_e32 v5, 0xffffff81, v17
	v_lshrrev_b32_e32 v15, 23, v4
	s_mov_b32 s13, exec_lo
	s_delay_alu instid0(VALU_DEP_2) | instskip(NEXT) | instid1(VALU_DEP_1)
	v_cndmask_b32_e64 v5, v5, 0xffffff82, vcc_lo
	v_add3_u32 v15, v18, v5, v15
	v_and_b32_e32 v5, 0x1fffff, v14
                                        ; implicit-def: $vgpr14
	s_delay_alu instid0(VALU_DEP_1) | instskip(SKIP_1) | instid1(VALU_DEP_2)
	v_dual_add_nc_u32 v17, 14, v15 :: v_dual_add_nc_u32 v4, v5, v4
	v_mov_b32_e32 v5, v3
	v_cmpx_ne_u32_e32 0, v17
	s_xor_b32 s13, exec_lo, s13
; %bb.16747:                            ;   in Loop: Header=BB4_16247 Depth=3
	s_delay_alu instid0(VALU_DEP_2) | instskip(SKIP_2) | instid1(VALU_DEP_2)
	v_cmp_lt_u64_e32 vcc_lo, 0xffffff, v[4:5]
	v_add_nc_u32_e32 v14, 15, v15
	v_cndmask_b32_e64 v15, 0, 1, vcc_lo
	v_cndmask_b32_e32 v14, v17, v14, vcc_lo
	s_delay_alu instid0(VALU_DEP_2)
	v_lshrrev_b64 v[4:5], v15, v[4:5]
; %bb.16748:                            ;   in Loop: Header=BB4_16247 Depth=3
	s_and_not1_saveexec_b32 s13, s13
; %bb.16749:                            ;   in Loop: Header=BB4_16247 Depth=3
	s_delay_alu instid0(VALU_DEP_1)
	v_bfe_u32 v14, v4, 23, 1
; %bb.16750:                            ;   in Loop: Header=BB4_16247 Depth=3
	s_or_b32 exec_lo, exec_lo, s13
	s_delay_alu instid0(VALU_DEP_2) | instskip(NEXT) | instid1(VALU_DEP_2)
	v_lshrrev_b64 v[4:5], 21, v[4:5]
	v_cmp_gt_i32_e32 vcc_lo, 32, v14
	v_cmp_ne_u32_e64 s13, 0, v14
                                        ; implicit-def: $vgpr40
	s_delay_alu instid0(VALU_DEP_3) | instskip(NEXT) | instid1(VALU_DEP_1)
	v_dual_cndmask_b32 v5, 0, v5 :: v_dual_cndmask_b32 v4, 3, v4
	v_cmp_ne_u64_e32 vcc_lo, 0, v[4:5]
	s_or_b32 s13, s13, vcc_lo
	s_delay_alu instid0(SALU_CYCLE_1) | instskip(NEXT) | instid1(SALU_CYCLE_1)
	s_and_saveexec_b32 s76, s13
	s_xor_b32 s13, exec_lo, s76
; %bb.16751:                            ;   in Loop: Header=BB4_16247 Depth=3
	v_min_i32_e32 v5, 31, v14
	s_delay_alu instid0(VALU_DEP_1) | instskip(NEXT) | instid1(VALU_DEP_1)
	v_lshl_or_b32 v5, v5, 2, v16
                                        ; implicit-def: $vgpr16
	v_and_or_b32 v40, v4, 3, v5
; %bb.16752:                            ;   in Loop: Header=BB4_16247 Depth=3
	s_and_not1_saveexec_b32 s13, s13
; %bb.16753:                            ;   in Loop: Header=BB4_16247 Depth=3
	v_mov_b32_e32 v40, v16
; %bb.16754:                            ;   in Loop: Header=BB4_16247 Depth=3
	s_or_b32 exec_lo, exec_lo, s13
.LBB4_16755:                            ;   in Loop: Header=BB4_16247 Depth=3
	s_delay_alu instid0(SALU_CYCLE_1)
	s_or_b32 exec_lo, exec_lo, s75
                                        ; implicit-def: $vgpr16
.LBB4_16756:                            ;   in Loop: Header=BB4_16247 Depth=3
	s_and_not1_saveexec_b32 s13, s15
; %bb.16757:                            ;   in Loop: Header=BB4_16247 Depth=3
	v_or_b32_e32 v40, 0x7b, v16
; %bb.16758:                            ;   in Loop: Header=BB4_16247 Depth=3
	s_or_b32 exec_lo, exec_lo, s13
                                        ; implicit-def: $vgpr14
                                        ; implicit-def: $vgpr4_vgpr5
.LBB4_16759:                            ;   in Loop: Header=BB4_16247 Depth=3
	s_and_not1_saveexec_b32 s13, s14
	s_cbranch_execz .LBB4_16765
; %bb.16760:                            ;   in Loop: Header=BB4_16247 Depth=3
	s_mov_b32 s14, exec_lo
                                        ; implicit-def: $vgpr40
	v_cmpx_ne_u64_e32 0, v[4:5]
	s_xor_b32 s14, exec_lo, s14
; %bb.16761:                            ;   in Loop: Header=BB4_16247 Depth=3
	v_lshrrev_b32_e32 v4, 24, v14
                                        ; implicit-def: $vgpr14
	s_delay_alu instid0(VALU_DEP_1)
	v_or_b32_e32 v40, 0x7f, v4
; %bb.16762:                            ;   in Loop: Header=BB4_16247 Depth=3
	s_and_not1_saveexec_b32 s14, s14
; %bb.16763:                            ;   in Loop: Header=BB4_16247 Depth=3
	v_cmp_lt_i32_e32 vcc_lo, -1, v14
	v_cndmask_b32_e64 v40, -4, 0x7c, vcc_lo
; %bb.16764:                            ;   in Loop: Header=BB4_16247 Depth=3
	s_or_b32 exec_lo, exec_lo, s14
.LBB4_16765:                            ;   in Loop: Header=BB4_16247 Depth=3
	s_delay_alu instid0(SALU_CYCLE_1)
	s_or_b32 exec_lo, exec_lo, s13
	flat_load_i8 v4, v[8:9] offset:480 th:TH_LOAD_NT
	v_mov_b32_e32 v14, 0
	s_mov_b32 s13, exec_lo
	s_wait_loadcnt_dscnt 0x0
	v_cmpx_ne_u16_e32 0, v4
	s_cbranch_execz .LBB4_16775
; %bb.16766:                            ;   in Loop: Header=BB4_16247 Depth=3
	v_bfrev_b32_e32 v14, 1
	s_mov_b32 s14, exec_lo
	v_cmpx_ne_u16_e32 0xff80, v4
	s_cbranch_execz .LBB4_16774
; %bb.16767:                            ;   in Loop: Header=BB4_16247 Depth=3
	v_and_b32_e32 v14, 0x7c, v4
	v_and_b32_e32 v5, 3, v4
	s_delay_alu instid0(VALU_DEP_2) | instskip(SKIP_1) | instid1(SALU_CYCLE_1)
	v_cmp_ne_u32_e32 vcc_lo, 0x7c, v14
                                        ; implicit-def: $vgpr14
	s_and_saveexec_b32 s15, vcc_lo
	s_xor_b32 s15, exec_lo, s15
	s_cbranch_execz .LBB4_16771
; %bb.16768:                            ;   in Loop: Header=BB4_16247 Depth=3
	v_and_b32_e32 v14, 0xff, v4
	s_mov_b32 s75, exec_lo
	s_delay_alu instid0(VALU_DEP_1) | instskip(NEXT) | instid1(VALU_DEP_1)
	v_bfe_u32 v14, v14, 2, 5
	v_cmpx_eq_u32_e32 0, v14
	s_cbranch_execz .LBB4_16770
; %bb.16769:                            ;   in Loop: Header=BB4_16247 Depth=3
	v_clz_i32_u32_e32 v5, v5
	s_delay_alu instid0(VALU_DEP_1) | instskip(SKIP_1) | instid1(VALU_DEP_2)
	v_min_u32_e32 v14, 32, v5
	v_mov_b32_e32 v5, v3
	v_subrev_nc_u32_e32 v15, 29, v14
	v_sub_nc_u32_e32 v14, 30, v14
	s_delay_alu instid0(VALU_DEP_2) | instskip(NEXT) | instid1(VALU_DEP_1)
	v_lshlrev_b64_e32 v[16:17], v15, v[4:5]
	v_and_b32_e32 v5, 3, v16
.LBB4_16770:                            ;   in Loop: Header=BB4_16247 Depth=3
	s_or_b32 exec_lo, exec_lo, s75
	v_bfe_i32 v4, v4, 0, 16
	s_delay_alu instid0(VALU_DEP_1) | instskip(NEXT) | instid1(VALU_DEP_1)
	v_and_b32_e32 v4, 0x80000000, v4
	v_lshl_add_u32 v4, v14, 23, v4
	s_delay_alu instid0(VALU_DEP_1) | instskip(NEXT) | instid1(VALU_DEP_1)
	v_lshl_or_b32 v4, v5, 21, v4
                                        ; implicit-def: $vgpr5
	v_add_nc_u32_e32 v14, 0x38000000, v4
                                        ; implicit-def: $vgpr4
.LBB4_16771:                            ;   in Loop: Header=BB4_16247 Depth=3
	s_and_not1_saveexec_b32 s15, s15
; %bb.16772:                            ;   in Loop: Header=BB4_16247 Depth=3
	v_cmp_lt_i16_e32 vcc_lo, -1, v4
	v_cndmask_b32_e32 v4, 0xff800000, v48, vcc_lo
	v_cmp_eq_u32_e32 vcc_lo, 0, v5
	s_delay_alu instid0(VALU_DEP_2)
	v_cndmask_b32_e32 v14, 0x7f800001, v4, vcc_lo
; %bb.16773:                            ;   in Loop: Header=BB4_16247 Depth=3
	s_or_b32 exec_lo, exec_lo, s15
.LBB4_16774:                            ;   in Loop: Header=BB4_16247 Depth=3
	s_delay_alu instid0(SALU_CYCLE_1)
	s_or_b32 exec_lo, exec_lo, s14
.LBB4_16775:                            ;   in Loop: Header=BB4_16247 Depth=3
	s_delay_alu instid0(SALU_CYCLE_1) | instskip(NEXT) | instid1(VALU_DEP_1)
	s_or_b32 exec_lo, exec_lo, s13
	v_dual_mul_f32 v15, s74, v14 :: v_dual_mov_b32 v5, v3
                                        ; implicit-def: $vgpr14
	s_delay_alu instid0(VALU_DEP_1) | instskip(NEXT) | instid1(VALU_DEP_1)
	v_and_b32_e32 v4, 0x7f800000, v15
	v_cmp_ne_u64_e32 vcc_lo, 0x7f800000, v[4:5]
	v_and_b32_e32 v4, 0x7fffff, v15
	s_and_saveexec_b32 s13, vcc_lo
	s_delay_alu instid0(SALU_CYCLE_1)
	s_xor_b32 s14, exec_lo, s13
	s_cbranch_execz .LBB4_16793
; %bb.16776:                            ;   in Loop: Header=BB4_16247 Depth=3
	v_and_b32_e32 v16, 0x7fffffff, v15
	v_dual_mov_b32 v17, v3 :: v_dual_lshrrev_b32 v14, 24, v15
	s_delay_alu instid0(VALU_DEP_1) | instskip(NEXT) | instid1(VALU_DEP_2)
	v_cmp_gt_u64_e32 vcc_lo, 0x47600001, v[16:17]
	v_and_b32_e32 v16, 0x80, v14
                                        ; implicit-def: $vgpr14
	s_and_saveexec_b32 s13, vcc_lo
	s_delay_alu instid0(SALU_CYCLE_1)
	s_xor_b32 s15, exec_lo, s13
	s_cbranch_execz .LBB4_16790
; %bb.16777:                            ;   in Loop: Header=BB4_16247 Depth=3
	v_mov_b32_e32 v14, 0
	s_mov_b32 s74, exec_lo
	v_cmpx_ne_u32_e32 0, v15
	s_cbranch_execz .LBB4_16789
; %bb.16778:                            ;   in Loop: Header=BB4_16247 Depth=3
	v_bfe_u32 v17, v15, 23, 8
	v_or_b32_e32 v19, 0x800000, v4
	s_delay_alu instid0(VALU_DEP_2) | instskip(SKIP_1) | instid1(VALU_DEP_2)
	v_sub_nc_u32_e32 v14, 0x71, v17
	v_cmp_gt_u32_e32 vcc_lo, 0x72, v17
	v_cndmask_b32_e32 v14, 0, v14, vcc_lo
	v_cmp_eq_u32_e32 vcc_lo, 0, v17
	v_cndmask_b32_e32 v4, v19, v4, vcc_lo
	s_delay_alu instid0(VALU_DEP_3) | instskip(NEXT) | instid1(VALU_DEP_1)
	v_cndmask_b32_e64 v18, v14, 0x70, vcc_lo
	v_dual_add_nc_u32 v14, 21, v18 :: v_dual_add_nc_u32 v20, 20, v18
	s_delay_alu instid0(VALU_DEP_1) | instskip(NEXT) | instid1(VALU_DEP_2)
	v_lshlrev_b64_e64 v[14:15], v14, -1
	v_lshlrev_b64_e64 v[20:21], v20, 1
	s_delay_alu instid0(VALU_DEP_2) | instskip(SKIP_1) | instid1(VALU_DEP_4)
	v_bfi_b32 v14, v14, 0, v4
	v_lshrrev_b64 v[4:5], v18, v[4:5]
	v_bfi_b32 v15, v15, 0, 0
	s_delay_alu instid0(VALU_DEP_1) | instskip(NEXT) | instid1(VALU_DEP_3)
	v_cmp_eq_u64_e64 s13, v[14:15], v[20:21]
	v_mov_b64_e32 v[14:15], v[4:5]
	s_and_saveexec_b32 s75, s13
; %bb.16779:                            ;   in Loop: Header=BB4_16247 Depth=3
	v_bfe_u32 v14, v4, 21, 1
	v_mov_b32_e32 v15, v3
	s_delay_alu instid0(VALU_DEP_1) | instskip(NEXT) | instid1(VALU_DEP_1)
	v_add_nc_u64_e32 v[14:15], v[4:5], v[14:15]
	v_add_nc_u64_e32 v[14:15], -1, v[14:15]
; %bb.16780:                            ;   in Loop: Header=BB4_16247 Depth=3
	s_or_b32 exec_lo, exec_lo, s75
	v_add_nc_u32_e32 v5, 0xffffff81, v17
	v_lshrrev_b32_e32 v15, 23, v4
	s_mov_b32 s13, exec_lo
	s_delay_alu instid0(VALU_DEP_2) | instskip(NEXT) | instid1(VALU_DEP_1)
	v_cndmask_b32_e64 v5, v5, 0xffffff82, vcc_lo
	v_add3_u32 v17, v18, v5, v15
	v_and_b32_e32 v5, 0x1fffff, v14
                                        ; implicit-def: $vgpr15
	s_delay_alu instid0(VALU_DEP_1) | instskip(SKIP_1) | instid1(VALU_DEP_2)
	v_dual_add_nc_u32 v14, 14, v17 :: v_dual_add_nc_u32 v4, v5, v4
	v_mov_b32_e32 v5, v3
	v_cmpx_ne_u32_e32 0, v14
	s_xor_b32 s13, exec_lo, s13
; %bb.16781:                            ;   in Loop: Header=BB4_16247 Depth=3
	s_delay_alu instid0(VALU_DEP_2) | instskip(SKIP_1) | instid1(VALU_DEP_1)
	v_cmp_lt_u64_e32 vcc_lo, 0xffffff, v[4:5]
	v_add_nc_u32_e32 v15, 15, v17
	v_cndmask_b32_e32 v15, v14, v15, vcc_lo
	v_cndmask_b32_e64 v14, 0, 1, vcc_lo
	s_delay_alu instid0(VALU_DEP_1)
	v_lshrrev_b64 v[4:5], v14, v[4:5]
; %bb.16782:                            ;   in Loop: Header=BB4_16247 Depth=3
	s_and_not1_saveexec_b32 s13, s13
; %bb.16783:                            ;   in Loop: Header=BB4_16247 Depth=3
	s_delay_alu instid0(VALU_DEP_1)
	v_bfe_u32 v15, v4, 23, 1
; %bb.16784:                            ;   in Loop: Header=BB4_16247 Depth=3
	s_or_b32 exec_lo, exec_lo, s13
	s_delay_alu instid0(VALU_DEP_2) | instskip(NEXT) | instid1(VALU_DEP_2)
	v_lshrrev_b64 v[4:5], 21, v[4:5]
	v_cmp_gt_i32_e32 vcc_lo, 32, v15
	v_cmp_ne_u32_e64 s13, 0, v15
                                        ; implicit-def: $vgpr14
	s_delay_alu instid0(VALU_DEP_3) | instskip(NEXT) | instid1(VALU_DEP_1)
	v_dual_cndmask_b32 v5, 0, v5 :: v_dual_cndmask_b32 v4, 3, v4
	v_cmp_ne_u64_e32 vcc_lo, 0, v[4:5]
	s_or_b32 s13, s13, vcc_lo
	s_delay_alu instid0(SALU_CYCLE_1) | instskip(NEXT) | instid1(SALU_CYCLE_1)
	s_and_saveexec_b32 s75, s13
	s_xor_b32 s13, exec_lo, s75
; %bb.16785:                            ;   in Loop: Header=BB4_16247 Depth=3
	v_min_i32_e32 v5, 31, v15
	s_delay_alu instid0(VALU_DEP_1) | instskip(NEXT) | instid1(VALU_DEP_1)
	v_lshl_or_b32 v5, v5, 2, v16
                                        ; implicit-def: $vgpr16
	v_and_or_b32 v14, v4, 3, v5
; %bb.16786:                            ;   in Loop: Header=BB4_16247 Depth=3
	s_and_not1_saveexec_b32 s13, s13
; %bb.16787:                            ;   in Loop: Header=BB4_16247 Depth=3
	v_mov_b32_e32 v14, v16
; %bb.16788:                            ;   in Loop: Header=BB4_16247 Depth=3
	s_or_b32 exec_lo, exec_lo, s13
.LBB4_16789:                            ;   in Loop: Header=BB4_16247 Depth=3
	s_delay_alu instid0(SALU_CYCLE_1)
	s_or_b32 exec_lo, exec_lo, s74
                                        ; implicit-def: $vgpr16
.LBB4_16790:                            ;   in Loop: Header=BB4_16247 Depth=3
	s_and_not1_saveexec_b32 s13, s15
; %bb.16791:                            ;   in Loop: Header=BB4_16247 Depth=3
	v_or_b32_e32 v14, 0x7b, v16
; %bb.16792:                            ;   in Loop: Header=BB4_16247 Depth=3
	s_or_b32 exec_lo, exec_lo, s13
                                        ; implicit-def: $vgpr15
                                        ; implicit-def: $vgpr4_vgpr5
.LBB4_16793:                            ;   in Loop: Header=BB4_16247 Depth=3
	s_and_not1_saveexec_b32 s13, s14
	s_cbranch_execz .LBB4_16799
; %bb.16794:                            ;   in Loop: Header=BB4_16247 Depth=3
	s_mov_b32 s14, exec_lo
                                        ; implicit-def: $vgpr14
	v_cmpx_ne_u64_e32 0, v[4:5]
	s_xor_b32 s14, exec_lo, s14
; %bb.16795:                            ;   in Loop: Header=BB4_16247 Depth=3
	v_lshrrev_b32_e32 v4, 24, v15
                                        ; implicit-def: $vgpr15
	s_delay_alu instid0(VALU_DEP_1)
	v_or_b32_e32 v14, 0x7f, v4
; %bb.16796:                            ;   in Loop: Header=BB4_16247 Depth=3
	s_and_not1_saveexec_b32 s14, s14
; %bb.16797:                            ;   in Loop: Header=BB4_16247 Depth=3
	v_cmp_lt_i32_e32 vcc_lo, -1, v15
	v_cndmask_b32_e64 v14, -4, 0x7c, vcc_lo
; %bb.16798:                            ;   in Loop: Header=BB4_16247 Depth=3
	s_or_b32 exec_lo, exec_lo, s14
.LBB4_16799:                            ;   in Loop: Header=BB4_16247 Depth=3
	s_delay_alu instid0(SALU_CYCLE_1)
	s_or_b32 exec_lo, exec_lo, s13
	s_clause 0xf
	flat_load_i8 v120, v[10:11] th:TH_LOAD_NT
	flat_load_i8 v116, v[10:11] offset:32 th:TH_LOAD_NT
	flat_load_i8 v100, v[10:11] offset:64 th:TH_LOAD_NT
	;; [unrolled: 1-line block ×15, first 2 shown]
	v_and_b32_e32 v19, 0xff, v106
	v_dual_mov_b32 v5, 0 :: v_dual_mov_b32 v15, 0
	s_mov_b32 s13, exec_lo
	s_wait_xcnt 0x0
	s_delay_alu instid0(VALU_DEP_2)
	v_cmpx_ne_u16_e32 0, v19
	s_cbranch_execz .LBB4_16809
; %bb.16800:                            ;   in Loop: Header=BB4_16247 Depth=3
	v_bfrev_b32_e32 v15, 1
	s_mov_b32 s14, exec_lo
	v_cmpx_ne_u16_e32 0x80, v19
	s_cbranch_execz .LBB4_16808
; %bb.16801:                            ;   in Loop: Header=BB4_16247 Depth=3
	v_and_b32_e32 v15, 0x7c, v106
	v_and_b32_e32 v17, 3, v106
	s_delay_alu instid0(VALU_DEP_2) | instskip(SKIP_1) | instid1(SALU_CYCLE_1)
	v_cmp_ne_u32_e32 vcc_lo, 0x7c, v15
                                        ; implicit-def: $vgpr15
	s_and_saveexec_b32 s15, vcc_lo
	s_xor_b32 s15, exec_lo, s15
	s_cbranch_execz .LBB4_16805
; %bb.16802:                            ;   in Loop: Header=BB4_16247 Depth=3
	v_bfe_u32 v15, v19, 2, 5
	s_mov_b32 s74, exec_lo
	s_delay_alu instid0(VALU_DEP_1)
	v_cmpx_eq_u32_e32 0, v15
	s_cbranch_execz .LBB4_16804
; %bb.16803:                            ;   in Loop: Header=BB4_16247 Depth=3
	v_clz_i32_u32_e32 v15, v17
	s_delay_alu instid0(VALU_DEP_1) | instskip(SKIP_1) | instid1(VALU_DEP_2)
	v_min_u32_e32 v15, 32, v15
	v_mov_b32_e32 v107, v3
	v_subrev_nc_u32_e32 v17, 29, v15
	v_sub_nc_u32_e32 v15, 30, v15
	s_delay_alu instid0(VALU_DEP_2) | instskip(NEXT) | instid1(VALU_DEP_1)
	v_lshlrev_b64_e32 v[86:87], v17, v[106:107]
	v_and_b32_e32 v17, 3, v86
.LBB4_16804:                            ;   in Loop: Header=BB4_16247 Depth=3
	s_or_b32 exec_lo, exec_lo, s74
	v_lshlrev_b32_e32 v19, 24, v106
                                        ; implicit-def: $vgpr106
	s_delay_alu instid0(VALU_DEP_1) | instskip(NEXT) | instid1(VALU_DEP_1)
	v_and_b32_e32 v19, 0x80000000, v19
	v_lshl_add_u32 v15, v15, 23, v19
	s_delay_alu instid0(VALU_DEP_1) | instskip(NEXT) | instid1(VALU_DEP_1)
	v_lshl_or_b32 v15, v17, 21, v15
                                        ; implicit-def: $vgpr17
	v_add_nc_u32_e32 v15, 0x38000000, v15
.LBB4_16805:                            ;   in Loop: Header=BB4_16247 Depth=3
	s_and_not1_saveexec_b32 s15, s15
; %bb.16806:                            ;   in Loop: Header=BB4_16247 Depth=3
	v_bfe_i32 v15, v106, 0, 8
	s_delay_alu instid0(VALU_DEP_1) | instskip(SKIP_2) | instid1(VALU_DEP_2)
	v_cmp_lt_i16_e32 vcc_lo, -1, v15
	v_cndmask_b32_e32 v15, 0xff800000, v48, vcc_lo
	v_cmp_eq_u32_e32 vcc_lo, 0, v17
	v_cndmask_b32_e32 v15, 0x7f800001, v15, vcc_lo
; %bb.16807:                            ;   in Loop: Header=BB4_16247 Depth=3
	s_or_b32 exec_lo, exec_lo, s15
.LBB4_16808:                            ;   in Loop: Header=BB4_16247 Depth=3
	s_delay_alu instid0(SALU_CYCLE_1)
	s_or_b32 exec_lo, exec_lo, s14
.LBB4_16809:                            ;   in Loop: Header=BB4_16247 Depth=3
	s_delay_alu instid0(SALU_CYCLE_1) | instskip(NEXT) | instid1(SALU_CYCLE_1)
	s_or_b32 exec_lo, exec_lo, s13
	s_mov_b32 s13, exec_lo
	s_wait_loadcnt_dscnt 0xf0f
	v_cmpx_ne_u16_e32 0, v120
	s_cbranch_execz .LBB4_16819
; %bb.16810:                            ;   in Loop: Header=BB4_16247 Depth=3
	v_bfrev_b32_e32 v5, 1
	s_mov_b32 s14, exec_lo
	v_cmpx_ne_u16_e32 0xff80, v120
	s_cbranch_execz .LBB4_16818
; %bb.16811:                            ;   in Loop: Header=BB4_16247 Depth=3
	v_and_b32_e32 v5, 0x7c, v120
	v_and_b32_e32 v17, 3, v120
	s_delay_alu instid0(VALU_DEP_2) | instskip(SKIP_1) | instid1(SALU_CYCLE_1)
	v_cmp_ne_u32_e32 vcc_lo, 0x7c, v5
                                        ; implicit-def: $vgpr5
	s_and_saveexec_b32 s15, vcc_lo
	s_xor_b32 s15, exec_lo, s15
	s_cbranch_execz .LBB4_16815
; %bb.16812:                            ;   in Loop: Header=BB4_16247 Depth=3
	v_and_b32_e32 v5, 0xff, v120
	s_mov_b32 s74, exec_lo
	s_delay_alu instid0(VALU_DEP_1) | instskip(NEXT) | instid1(VALU_DEP_1)
	v_bfe_u32 v5, v5, 2, 5
	v_cmpx_eq_u32_e32 0, v5
	s_cbranch_execz .LBB4_16814
; %bb.16813:                            ;   in Loop: Header=BB4_16247 Depth=3
	v_clz_i32_u32_e32 v5, v17
	s_delay_alu instid0(VALU_DEP_1) | instskip(SKIP_1) | instid1(VALU_DEP_2)
	v_min_u32_e32 v5, 32, v5
	v_mov_b32_e32 v121, v3
	v_subrev_nc_u32_e32 v17, 29, v5
	v_sub_nc_u32_e32 v5, 30, v5
	s_delay_alu instid0(VALU_DEP_2) | instskip(NEXT) | instid1(VALU_DEP_1)
	v_lshlrev_b64_e32 v[86:87], v17, v[120:121]
	v_and_b32_e32 v17, 3, v86
.LBB4_16814:                            ;   in Loop: Header=BB4_16247 Depth=3
	s_or_b32 exec_lo, exec_lo, s74
	v_bfe_i32 v19, v120, 0, 16
                                        ; implicit-def: $vgpr120
	s_delay_alu instid0(VALU_DEP_1) | instskip(NEXT) | instid1(VALU_DEP_1)
	v_and_b32_e32 v19, 0x80000000, v19
	v_lshl_add_u32 v5, v5, 23, v19
	s_delay_alu instid0(VALU_DEP_1) | instskip(NEXT) | instid1(VALU_DEP_1)
	v_lshl_or_b32 v5, v17, 21, v5
                                        ; implicit-def: $vgpr17
	v_add_nc_u32_e32 v5, 0x38000000, v5
.LBB4_16815:                            ;   in Loop: Header=BB4_16247 Depth=3
	s_and_not1_saveexec_b32 s15, s15
; %bb.16816:                            ;   in Loop: Header=BB4_16247 Depth=3
	v_cmp_lt_i16_e32 vcc_lo, -1, v120
	v_cndmask_b32_e32 v5, 0xff800000, v48, vcc_lo
	v_cmp_eq_u32_e32 vcc_lo, 0, v17
	s_delay_alu instid0(VALU_DEP_2)
	v_cndmask_b32_e32 v5, 0x7f800001, v5, vcc_lo
; %bb.16817:                            ;   in Loop: Header=BB4_16247 Depth=3
	s_or_b32 exec_lo, exec_lo, s15
.LBB4_16818:                            ;   in Loop: Header=BB4_16247 Depth=3
	s_delay_alu instid0(SALU_CYCLE_1)
	s_or_b32 exec_lo, exec_lo, s14
.LBB4_16819:                            ;   in Loop: Header=BB4_16247 Depth=3
	s_delay_alu instid0(SALU_CYCLE_1) | instskip(NEXT) | instid1(VALU_DEP_1)
	s_or_b32 exec_lo, exec_lo, s13
	v_add_f32_e32 v15, v15, v5
	v_dual_mov_b32 v87, v3 :: v_dual_mov_b32 v107, v3
                                        ; implicit-def: $vgpr120
	s_mov_b32 s13, exec_lo
	s_delay_alu instid0(VALU_DEP_2) | instskip(SKIP_1) | instid1(VALU_DEP_2)
	v_and_b32_e32 v86, 0x7f800000, v15
	v_and_b32_e32 v106, 0x7fffff, v15
	v_cmpx_ne_u64_e32 0x7f800000, v[86:87]
	s_xor_b32 s14, exec_lo, s13
	s_cbranch_execz .LBB4_16837
; %bb.16820:                            ;   in Loop: Header=BB4_16247 Depth=3
	v_dual_mov_b32 v87, v3 :: v_dual_lshrrev_b32 v5, 24, v15
	v_and_b32_e32 v86, 0x7fffffff, v15
                                        ; implicit-def: $vgpr120
	s_mov_b32 s13, exec_lo
	s_delay_alu instid0(VALU_DEP_2) | instskip(NEXT) | instid1(VALU_DEP_2)
	v_and_b32_e32 v5, 0x80, v5
	v_cmpx_gt_u64_e32 0x47600001, v[86:87]
	s_xor_b32 s15, exec_lo, s13
	s_cbranch_execz .LBB4_16834
; %bb.16821:                            ;   in Loop: Header=BB4_16247 Depth=3
	v_mov_b32_e32 v120, 0
	s_mov_b32 s74, exec_lo
	v_cmpx_ne_u32_e32 0, v15
	s_cbranch_execz .LBB4_16833
; %bb.16822:                            ;   in Loop: Header=BB4_16247 Depth=3
	v_bfe_u32 v15, v15, 23, 8
	v_or_b32_e32 v19, 0x800000, v106
	s_mov_b32 s75, exec_lo
	s_delay_alu instid0(VALU_DEP_2) | instskip(SKIP_1) | instid1(VALU_DEP_3)
	v_cmp_eq_u32_e32 vcc_lo, 0, v15
	v_cmp_gt_u32_e64 s13, 0x72, v15
	v_dual_cndmask_b32 v106, v19, v106 :: v_dual_sub_nc_u32 v17, 0x71, v15
	s_delay_alu instid0(VALU_DEP_1) | instskip(NEXT) | instid1(VALU_DEP_1)
	v_cndmask_b32_e64 v17, 0, v17, s13
	v_cndmask_b32_e64 v17, v17, 0x70, vcc_lo
	s_delay_alu instid0(VALU_DEP_1) | instskip(NEXT) | instid1(VALU_DEP_1)
	v_add_nc_u32_e32 v19, 21, v17
	v_lshlrev_b64_e64 v[86:87], v19, -1
	v_add_nc_u32_e32 v19, 20, v17
	s_delay_alu instid0(VALU_DEP_1) | instskip(NEXT) | instid1(VALU_DEP_3)
	v_lshlrev_b64_e64 v[96:97], v19, 1
	v_bfi_b32 v86, v86, 0, v106
	v_lshrrev_b64 v[106:107], v17, v[106:107]
	v_bfi_b32 v87, v87, 0, 0
	s_delay_alu instid0(VALU_DEP_2) | instskip(NEXT) | instid1(VALU_DEP_2)
	v_mov_b64_e32 v[120:121], v[106:107]
	v_cmpx_eq_u64_e64 v[86:87], v[96:97]
; %bb.16823:                            ;   in Loop: Header=BB4_16247 Depth=3
	v_bfe_u32 v86, v106, 21, 1
	v_mov_b32_e32 v87, v3
	s_delay_alu instid0(VALU_DEP_1) | instskip(NEXT) | instid1(VALU_DEP_1)
	v_add_nc_u64_e32 v[86:87], v[106:107], v[86:87]
	v_add_nc_u64_e32 v[120:121], -1, v[86:87]
; %bb.16824:                            ;   in Loop: Header=BB4_16247 Depth=3
	s_or_b32 exec_lo, exec_lo, s75
	v_add_nc_u32_e32 v15, 0xffffff81, v15
	v_lshrrev_b32_e32 v19, 23, v106
	s_mov_b32 s13, exec_lo
	v_mov_b32_e32 v107, v3
	s_delay_alu instid0(VALU_DEP_3) | instskip(NEXT) | instid1(VALU_DEP_1)
	v_cndmask_b32_e64 v15, v15, 0xffffff82, vcc_lo
	v_add3_u32 v17, v17, v15, v19
	v_and_b32_e32 v15, 0x1fffff, v120
	s_delay_alu instid0(VALU_DEP_1) | instskip(NEXT) | instid1(VALU_DEP_1)
	v_dual_add_nc_u32 v19, 14, v17 :: v_dual_add_nc_u32 v106, v15, v106
                                        ; implicit-def: $vgpr15
	v_cmpx_ne_u32_e32 0, v19
	s_xor_b32 s13, exec_lo, s13
; %bb.16825:                            ;   in Loop: Header=BB4_16247 Depth=3
	s_delay_alu instid0(VALU_DEP_2) | instskip(SKIP_2) | instid1(VALU_DEP_2)
	v_cmp_lt_u64_e32 vcc_lo, 0xffffff, v[106:107]
	v_add_nc_u32_e32 v15, 15, v17
	v_cndmask_b32_e64 v17, 0, 1, vcc_lo
	v_cndmask_b32_e32 v15, v19, v15, vcc_lo
	s_delay_alu instid0(VALU_DEP_2)
	v_lshrrev_b64 v[106:107], v17, v[106:107]
; %bb.16826:                            ;   in Loop: Header=BB4_16247 Depth=3
	s_and_not1_saveexec_b32 s13, s13
; %bb.16827:                            ;   in Loop: Header=BB4_16247 Depth=3
	s_delay_alu instid0(VALU_DEP_1)
	v_bfe_u32 v15, v106, 23, 1
; %bb.16828:                            ;   in Loop: Header=BB4_16247 Depth=3
	s_or_b32 exec_lo, exec_lo, s13
	s_delay_alu instid0(VALU_DEP_2) | instskip(NEXT) | instid1(VALU_DEP_2)
	v_lshrrev_b64 v[86:87], 21, v[106:107]
	v_cmp_gt_i32_e32 vcc_lo, 32, v15
	v_cmp_ne_u32_e64 s13, 0, v15
                                        ; implicit-def: $vgpr120
	s_delay_alu instid0(VALU_DEP_3) | instskip(NEXT) | instid1(VALU_DEP_1)
	v_dual_cndmask_b32 v107, 0, v87 :: v_dual_cndmask_b32 v106, 3, v86
	v_cmp_ne_u64_e32 vcc_lo, 0, v[106:107]
	s_or_b32 s13, s13, vcc_lo
	s_delay_alu instid0(SALU_CYCLE_1) | instskip(NEXT) | instid1(SALU_CYCLE_1)
	s_and_saveexec_b32 s75, s13
	s_xor_b32 s13, exec_lo, s75
; %bb.16829:                            ;   in Loop: Header=BB4_16247 Depth=3
	v_min_i32_e32 v15, 31, v15
	s_delay_alu instid0(VALU_DEP_1) | instskip(NEXT) | instid1(VALU_DEP_1)
	v_lshl_or_b32 v5, v15, 2, v5
	v_and_or_b32 v120, v106, 3, v5
                                        ; implicit-def: $vgpr5
; %bb.16830:                            ;   in Loop: Header=BB4_16247 Depth=3
	s_and_not1_saveexec_b32 s13, s13
; %bb.16831:                            ;   in Loop: Header=BB4_16247 Depth=3
	v_mov_b32_e32 v120, v5
; %bb.16832:                            ;   in Loop: Header=BB4_16247 Depth=3
	s_or_b32 exec_lo, exec_lo, s13
.LBB4_16833:                            ;   in Loop: Header=BB4_16247 Depth=3
	s_delay_alu instid0(SALU_CYCLE_1)
	s_or_b32 exec_lo, exec_lo, s74
                                        ; implicit-def: $vgpr5
.LBB4_16834:                            ;   in Loop: Header=BB4_16247 Depth=3
	s_and_not1_saveexec_b32 s13, s15
; %bb.16835:                            ;   in Loop: Header=BB4_16247 Depth=3
	v_or_b32_e32 v120, 0x7b, v5
; %bb.16836:                            ;   in Loop: Header=BB4_16247 Depth=3
	s_or_b32 exec_lo, exec_lo, s13
                                        ; implicit-def: $vgpr15
                                        ; implicit-def: $vgpr106_vgpr107
.LBB4_16837:                            ;   in Loop: Header=BB4_16247 Depth=3
	s_and_not1_saveexec_b32 s13, s14
	s_cbranch_execz .LBB4_16843
; %bb.16838:                            ;   in Loop: Header=BB4_16247 Depth=3
	s_mov_b32 s14, exec_lo
                                        ; implicit-def: $vgpr120
	v_cmpx_ne_u64_e32 0, v[106:107]
	s_xor_b32 s14, exec_lo, s14
; %bb.16839:                            ;   in Loop: Header=BB4_16247 Depth=3
	v_lshrrev_b32_e32 v5, 24, v15
                                        ; implicit-def: $vgpr15
	s_delay_alu instid0(VALU_DEP_1)
	v_or_b32_e32 v120, 0x7f, v5
; %bb.16840:                            ;   in Loop: Header=BB4_16247 Depth=3
	s_and_not1_saveexec_b32 s14, s14
; %bb.16841:                            ;   in Loop: Header=BB4_16247 Depth=3
	v_cmp_lt_i32_e32 vcc_lo, -1, v15
	v_cndmask_b32_e64 v120, -4, 0x7c, vcc_lo
; %bb.16842:                            ;   in Loop: Header=BB4_16247 Depth=3
	s_or_b32 exec_lo, exec_lo, s14
.LBB4_16843:                            ;   in Loop: Header=BB4_16247 Depth=3
	s_delay_alu instid0(SALU_CYCLE_1) | instskip(SKIP_3) | instid1(VALU_DEP_2)
	s_or_b32 exec_lo, exec_lo, s13
	v_and_b32_e32 v19, 0xff, v104
	v_dual_mov_b32 v5, 0 :: v_dual_mov_b32 v15, 0
	s_mov_b32 s13, exec_lo
	v_cmpx_ne_u16_e32 0, v19
	s_cbranch_execz .LBB4_16853
; %bb.16844:                            ;   in Loop: Header=BB4_16247 Depth=3
	v_bfrev_b32_e32 v15, 1
	s_mov_b32 s14, exec_lo
	v_cmpx_ne_u16_e32 0x80, v19
	s_cbranch_execz .LBB4_16852
; %bb.16845:                            ;   in Loop: Header=BB4_16247 Depth=3
	v_and_b32_e32 v15, 0x7c, v104
	v_and_b32_e32 v17, 3, v104
	s_delay_alu instid0(VALU_DEP_2) | instskip(SKIP_1) | instid1(SALU_CYCLE_1)
	v_cmp_ne_u32_e32 vcc_lo, 0x7c, v15
                                        ; implicit-def: $vgpr15
	s_and_saveexec_b32 s15, vcc_lo
	s_xor_b32 s15, exec_lo, s15
	s_cbranch_execz .LBB4_16849
; %bb.16846:                            ;   in Loop: Header=BB4_16247 Depth=3
	v_bfe_u32 v15, v19, 2, 5
	s_mov_b32 s74, exec_lo
	s_delay_alu instid0(VALU_DEP_1)
	v_cmpx_eq_u32_e32 0, v15
	s_cbranch_execz .LBB4_16848
; %bb.16847:                            ;   in Loop: Header=BB4_16247 Depth=3
	v_clz_i32_u32_e32 v15, v17
	s_delay_alu instid0(VALU_DEP_1) | instskip(SKIP_1) | instid1(VALU_DEP_2)
	v_min_u32_e32 v15, 32, v15
	v_mov_b32_e32 v105, v3
	v_subrev_nc_u32_e32 v17, 29, v15
	v_sub_nc_u32_e32 v15, 30, v15
	s_delay_alu instid0(VALU_DEP_2) | instskip(NEXT) | instid1(VALU_DEP_1)
	v_lshlrev_b64_e32 v[86:87], v17, v[104:105]
	v_and_b32_e32 v17, 3, v86
.LBB4_16848:                            ;   in Loop: Header=BB4_16247 Depth=3
	s_or_b32 exec_lo, exec_lo, s74
	v_lshlrev_b32_e32 v19, 24, v104
                                        ; implicit-def: $vgpr104
	s_delay_alu instid0(VALU_DEP_1) | instskip(NEXT) | instid1(VALU_DEP_1)
	v_and_b32_e32 v19, 0x80000000, v19
	v_lshl_add_u32 v15, v15, 23, v19
	s_delay_alu instid0(VALU_DEP_1) | instskip(NEXT) | instid1(VALU_DEP_1)
	v_lshl_or_b32 v15, v17, 21, v15
                                        ; implicit-def: $vgpr17
	v_add_nc_u32_e32 v15, 0x38000000, v15
.LBB4_16849:                            ;   in Loop: Header=BB4_16247 Depth=3
	s_and_not1_saveexec_b32 s15, s15
; %bb.16850:                            ;   in Loop: Header=BB4_16247 Depth=3
	v_bfe_i32 v15, v104, 0, 8
	s_delay_alu instid0(VALU_DEP_1) | instskip(SKIP_2) | instid1(VALU_DEP_2)
	v_cmp_lt_i16_e32 vcc_lo, -1, v15
	v_cndmask_b32_e32 v15, 0xff800000, v48, vcc_lo
	v_cmp_eq_u32_e32 vcc_lo, 0, v17
	v_cndmask_b32_e32 v15, 0x7f800001, v15, vcc_lo
; %bb.16851:                            ;   in Loop: Header=BB4_16247 Depth=3
	s_or_b32 exec_lo, exec_lo, s15
.LBB4_16852:                            ;   in Loop: Header=BB4_16247 Depth=3
	s_delay_alu instid0(SALU_CYCLE_1)
	s_or_b32 exec_lo, exec_lo, s14
.LBB4_16853:                            ;   in Loop: Header=BB4_16247 Depth=3
	s_delay_alu instid0(SALU_CYCLE_1) | instskip(NEXT) | instid1(SALU_CYCLE_1)
	s_or_b32 exec_lo, exec_lo, s13
	s_mov_b32 s13, exec_lo
	s_wait_loadcnt_dscnt 0xe0e
	v_cmpx_ne_u16_e32 0, v116
	s_cbranch_execz .LBB4_16863
; %bb.16854:                            ;   in Loop: Header=BB4_16247 Depth=3
	v_bfrev_b32_e32 v5, 1
	s_mov_b32 s14, exec_lo
	v_cmpx_ne_u16_e32 0xff80, v116
	s_cbranch_execz .LBB4_16862
; %bb.16855:                            ;   in Loop: Header=BB4_16247 Depth=3
	v_and_b32_e32 v5, 0x7c, v116
	v_and_b32_e32 v17, 3, v116
	s_delay_alu instid0(VALU_DEP_2) | instskip(SKIP_1) | instid1(SALU_CYCLE_1)
	v_cmp_ne_u32_e32 vcc_lo, 0x7c, v5
                                        ; implicit-def: $vgpr5
	s_and_saveexec_b32 s15, vcc_lo
	s_xor_b32 s15, exec_lo, s15
	s_cbranch_execz .LBB4_16859
; %bb.16856:                            ;   in Loop: Header=BB4_16247 Depth=3
	v_and_b32_e32 v5, 0xff, v116
	s_mov_b32 s74, exec_lo
	s_delay_alu instid0(VALU_DEP_1) | instskip(NEXT) | instid1(VALU_DEP_1)
	v_bfe_u32 v5, v5, 2, 5
	v_cmpx_eq_u32_e32 0, v5
	s_cbranch_execz .LBB4_16858
; %bb.16857:                            ;   in Loop: Header=BB4_16247 Depth=3
	v_clz_i32_u32_e32 v5, v17
	s_delay_alu instid0(VALU_DEP_1) | instskip(SKIP_1) | instid1(VALU_DEP_2)
	v_min_u32_e32 v5, 32, v5
	v_mov_b32_e32 v117, v3
	v_subrev_nc_u32_e32 v17, 29, v5
	v_sub_nc_u32_e32 v5, 30, v5
	s_delay_alu instid0(VALU_DEP_2) | instskip(NEXT) | instid1(VALU_DEP_1)
	v_lshlrev_b64_e32 v[86:87], v17, v[116:117]
	v_and_b32_e32 v17, 3, v86
.LBB4_16858:                            ;   in Loop: Header=BB4_16247 Depth=3
	s_or_b32 exec_lo, exec_lo, s74
	v_bfe_i32 v19, v116, 0, 16
                                        ; implicit-def: $vgpr116
	s_delay_alu instid0(VALU_DEP_1) | instskip(NEXT) | instid1(VALU_DEP_1)
	v_and_b32_e32 v19, 0x80000000, v19
	v_lshl_add_u32 v5, v5, 23, v19
	s_delay_alu instid0(VALU_DEP_1) | instskip(NEXT) | instid1(VALU_DEP_1)
	v_lshl_or_b32 v5, v17, 21, v5
                                        ; implicit-def: $vgpr17
	v_add_nc_u32_e32 v5, 0x38000000, v5
.LBB4_16859:                            ;   in Loop: Header=BB4_16247 Depth=3
	s_and_not1_saveexec_b32 s15, s15
; %bb.16860:                            ;   in Loop: Header=BB4_16247 Depth=3
	v_cmp_lt_i16_e32 vcc_lo, -1, v116
	v_cndmask_b32_e32 v5, 0xff800000, v48, vcc_lo
	v_cmp_eq_u32_e32 vcc_lo, 0, v17
	s_delay_alu instid0(VALU_DEP_2)
	v_cndmask_b32_e32 v5, 0x7f800001, v5, vcc_lo
; %bb.16861:                            ;   in Loop: Header=BB4_16247 Depth=3
	s_or_b32 exec_lo, exec_lo, s15
.LBB4_16862:                            ;   in Loop: Header=BB4_16247 Depth=3
	s_delay_alu instid0(SALU_CYCLE_1)
	s_or_b32 exec_lo, exec_lo, s14
.LBB4_16863:                            ;   in Loop: Header=BB4_16247 Depth=3
	s_delay_alu instid0(SALU_CYCLE_1) | instskip(NEXT) | instid1(VALU_DEP_1)
	s_or_b32 exec_lo, exec_lo, s13
	v_add_f32_e32 v15, v15, v5
	v_dual_mov_b32 v87, v3 :: v_dual_mov_b32 v117, v3
                                        ; implicit-def: $vgpr104
	s_mov_b32 s13, exec_lo
	s_delay_alu instid0(VALU_DEP_2) | instskip(SKIP_1) | instid1(VALU_DEP_2)
	v_and_b32_e32 v86, 0x7f800000, v15
	v_and_b32_e32 v116, 0x7fffff, v15
	v_cmpx_ne_u64_e32 0x7f800000, v[86:87]
	s_xor_b32 s14, exec_lo, s13
	s_cbranch_execz .LBB4_16881
; %bb.16864:                            ;   in Loop: Header=BB4_16247 Depth=3
	v_dual_mov_b32 v87, v3 :: v_dual_lshrrev_b32 v5, 24, v15
	v_and_b32_e32 v86, 0x7fffffff, v15
                                        ; implicit-def: $vgpr104
	s_mov_b32 s13, exec_lo
	s_delay_alu instid0(VALU_DEP_2) | instskip(NEXT) | instid1(VALU_DEP_2)
	v_and_b32_e32 v5, 0x80, v5
	v_cmpx_gt_u64_e32 0x47600001, v[86:87]
	s_xor_b32 s15, exec_lo, s13
	s_cbranch_execz .LBB4_16878
; %bb.16865:                            ;   in Loop: Header=BB4_16247 Depth=3
	v_mov_b32_e32 v104, 0
	s_mov_b32 s74, exec_lo
	v_cmpx_ne_u32_e32 0, v15
	s_cbranch_execz .LBB4_16877
; %bb.16866:                            ;   in Loop: Header=BB4_16247 Depth=3
	v_bfe_u32 v15, v15, 23, 8
	v_or_b32_e32 v19, 0x800000, v116
	s_mov_b32 s75, exec_lo
	s_delay_alu instid0(VALU_DEP_2) | instskip(SKIP_1) | instid1(VALU_DEP_3)
	v_cmp_eq_u32_e32 vcc_lo, 0, v15
	v_cmp_gt_u32_e64 s13, 0x72, v15
	v_dual_cndmask_b32 v116, v19, v116 :: v_dual_sub_nc_u32 v17, 0x71, v15
	s_delay_alu instid0(VALU_DEP_1) | instskip(NEXT) | instid1(VALU_DEP_1)
	v_cndmask_b32_e64 v17, 0, v17, s13
	v_cndmask_b32_e64 v17, v17, 0x70, vcc_lo
	s_delay_alu instid0(VALU_DEP_1) | instskip(NEXT) | instid1(VALU_DEP_1)
	v_add_nc_u32_e32 v19, 21, v17
	v_lshlrev_b64_e64 v[86:87], v19, -1
	v_add_nc_u32_e32 v19, 20, v17
	s_delay_alu instid0(VALU_DEP_1) | instskip(NEXT) | instid1(VALU_DEP_3)
	v_lshlrev_b64_e64 v[96:97], v19, 1
	v_bfi_b32 v86, v86, 0, v116
	v_lshrrev_b64 v[116:117], v17, v[116:117]
	v_bfi_b32 v87, v87, 0, 0
	s_delay_alu instid0(VALU_DEP_2) | instskip(NEXT) | instid1(VALU_DEP_2)
	v_mov_b64_e32 v[104:105], v[116:117]
	v_cmpx_eq_u64_e64 v[86:87], v[96:97]
; %bb.16867:                            ;   in Loop: Header=BB4_16247 Depth=3
	v_bfe_u32 v86, v116, 21, 1
	v_mov_b32_e32 v87, v3
	s_delay_alu instid0(VALU_DEP_1) | instskip(NEXT) | instid1(VALU_DEP_1)
	v_add_nc_u64_e32 v[86:87], v[116:117], v[86:87]
	v_add_nc_u64_e32 v[104:105], -1, v[86:87]
; %bb.16868:                            ;   in Loop: Header=BB4_16247 Depth=3
	s_or_b32 exec_lo, exec_lo, s75
	v_add_nc_u32_e32 v15, 0xffffff81, v15
	v_lshrrev_b32_e32 v19, 23, v116
	s_mov_b32 s13, exec_lo
	v_mov_b32_e32 v117, v3
	s_delay_alu instid0(VALU_DEP_3) | instskip(NEXT) | instid1(VALU_DEP_1)
	v_cndmask_b32_e64 v15, v15, 0xffffff82, vcc_lo
	v_add3_u32 v17, v17, v15, v19
	v_and_b32_e32 v15, 0x1fffff, v104
	s_delay_alu instid0(VALU_DEP_1) | instskip(NEXT) | instid1(VALU_DEP_1)
	v_dual_add_nc_u32 v19, 14, v17 :: v_dual_add_nc_u32 v116, v15, v116
                                        ; implicit-def: $vgpr15
	v_cmpx_ne_u32_e32 0, v19
	s_xor_b32 s13, exec_lo, s13
; %bb.16869:                            ;   in Loop: Header=BB4_16247 Depth=3
	s_delay_alu instid0(VALU_DEP_2) | instskip(SKIP_2) | instid1(VALU_DEP_2)
	v_cmp_lt_u64_e32 vcc_lo, 0xffffff, v[116:117]
	v_add_nc_u32_e32 v15, 15, v17
	v_cndmask_b32_e64 v17, 0, 1, vcc_lo
	v_cndmask_b32_e32 v15, v19, v15, vcc_lo
	s_delay_alu instid0(VALU_DEP_2)
	v_lshrrev_b64 v[116:117], v17, v[116:117]
; %bb.16870:                            ;   in Loop: Header=BB4_16247 Depth=3
	s_and_not1_saveexec_b32 s13, s13
; %bb.16871:                            ;   in Loop: Header=BB4_16247 Depth=3
	s_delay_alu instid0(VALU_DEP_1)
	v_bfe_u32 v15, v116, 23, 1
; %bb.16872:                            ;   in Loop: Header=BB4_16247 Depth=3
	s_or_b32 exec_lo, exec_lo, s13
	s_delay_alu instid0(VALU_DEP_2) | instskip(NEXT) | instid1(VALU_DEP_2)
	v_lshrrev_b64 v[86:87], 21, v[116:117]
	v_cmp_gt_i32_e32 vcc_lo, 32, v15
	v_cmp_ne_u32_e64 s13, 0, v15
                                        ; implicit-def: $vgpr104
	s_delay_alu instid0(VALU_DEP_3) | instskip(NEXT) | instid1(VALU_DEP_1)
	v_dual_cndmask_b32 v117, 0, v87 :: v_dual_cndmask_b32 v116, 3, v86
	v_cmp_ne_u64_e32 vcc_lo, 0, v[116:117]
	s_or_b32 s13, s13, vcc_lo
	s_delay_alu instid0(SALU_CYCLE_1) | instskip(NEXT) | instid1(SALU_CYCLE_1)
	s_and_saveexec_b32 s75, s13
	s_xor_b32 s13, exec_lo, s75
; %bb.16873:                            ;   in Loop: Header=BB4_16247 Depth=3
	v_min_i32_e32 v15, 31, v15
	s_delay_alu instid0(VALU_DEP_1) | instskip(NEXT) | instid1(VALU_DEP_1)
	v_lshl_or_b32 v5, v15, 2, v5
	v_and_or_b32 v104, v116, 3, v5
                                        ; implicit-def: $vgpr5
; %bb.16874:                            ;   in Loop: Header=BB4_16247 Depth=3
	s_and_not1_saveexec_b32 s13, s13
; %bb.16875:                            ;   in Loop: Header=BB4_16247 Depth=3
	v_mov_b32_e32 v104, v5
; %bb.16876:                            ;   in Loop: Header=BB4_16247 Depth=3
	s_or_b32 exec_lo, exec_lo, s13
.LBB4_16877:                            ;   in Loop: Header=BB4_16247 Depth=3
	s_delay_alu instid0(SALU_CYCLE_1)
	s_or_b32 exec_lo, exec_lo, s74
                                        ; implicit-def: $vgpr5
.LBB4_16878:                            ;   in Loop: Header=BB4_16247 Depth=3
	s_and_not1_saveexec_b32 s13, s15
; %bb.16879:                            ;   in Loop: Header=BB4_16247 Depth=3
	v_or_b32_e32 v104, 0x7b, v5
; %bb.16880:                            ;   in Loop: Header=BB4_16247 Depth=3
	s_or_b32 exec_lo, exec_lo, s13
                                        ; implicit-def: $vgpr15
                                        ; implicit-def: $vgpr116_vgpr117
.LBB4_16881:                            ;   in Loop: Header=BB4_16247 Depth=3
	s_and_not1_saveexec_b32 s13, s14
	s_cbranch_execz .LBB4_16887
; %bb.16882:                            ;   in Loop: Header=BB4_16247 Depth=3
	s_mov_b32 s14, exec_lo
                                        ; implicit-def: $vgpr104
	v_cmpx_ne_u64_e32 0, v[116:117]
	s_xor_b32 s14, exec_lo, s14
; %bb.16883:                            ;   in Loop: Header=BB4_16247 Depth=3
	v_lshrrev_b32_e32 v5, 24, v15
                                        ; implicit-def: $vgpr15
	s_delay_alu instid0(VALU_DEP_1)
	v_or_b32_e32 v104, 0x7f, v5
; %bb.16884:                            ;   in Loop: Header=BB4_16247 Depth=3
	s_and_not1_saveexec_b32 s14, s14
; %bb.16885:                            ;   in Loop: Header=BB4_16247 Depth=3
	v_cmp_lt_i32_e32 vcc_lo, -1, v15
	v_cndmask_b32_e64 v104, -4, 0x7c, vcc_lo
; %bb.16886:                            ;   in Loop: Header=BB4_16247 Depth=3
	s_or_b32 exec_lo, exec_lo, s14
.LBB4_16887:                            ;   in Loop: Header=BB4_16247 Depth=3
	s_delay_alu instid0(SALU_CYCLE_1) | instskip(SKIP_3) | instid1(VALU_DEP_2)
	s_or_b32 exec_lo, exec_lo, s13
	v_and_b32_e32 v19, 0xff, v92
	v_dual_mov_b32 v5, 0 :: v_dual_mov_b32 v15, 0
	s_mov_b32 s13, exec_lo
	v_cmpx_ne_u16_e32 0, v19
	s_cbranch_execz .LBB4_16897
; %bb.16888:                            ;   in Loop: Header=BB4_16247 Depth=3
	v_bfrev_b32_e32 v15, 1
	s_mov_b32 s14, exec_lo
	v_cmpx_ne_u16_e32 0x80, v19
	s_cbranch_execz .LBB4_16896
; %bb.16889:                            ;   in Loop: Header=BB4_16247 Depth=3
	v_and_b32_e32 v15, 0x7c, v92
	v_and_b32_e32 v17, 3, v92
	s_delay_alu instid0(VALU_DEP_2) | instskip(SKIP_1) | instid1(SALU_CYCLE_1)
	v_cmp_ne_u32_e32 vcc_lo, 0x7c, v15
                                        ; implicit-def: $vgpr15
	s_and_saveexec_b32 s15, vcc_lo
	s_xor_b32 s15, exec_lo, s15
	s_cbranch_execz .LBB4_16893
; %bb.16890:                            ;   in Loop: Header=BB4_16247 Depth=3
	v_bfe_u32 v15, v19, 2, 5
	s_mov_b32 s74, exec_lo
	s_delay_alu instid0(VALU_DEP_1)
	v_cmpx_eq_u32_e32 0, v15
	s_cbranch_execz .LBB4_16892
; %bb.16891:                            ;   in Loop: Header=BB4_16247 Depth=3
	v_clz_i32_u32_e32 v15, v17
	s_delay_alu instid0(VALU_DEP_1) | instskip(SKIP_1) | instid1(VALU_DEP_2)
	v_min_u32_e32 v15, 32, v15
	v_mov_b32_e32 v93, v3
	v_subrev_nc_u32_e32 v17, 29, v15
	v_sub_nc_u32_e32 v15, 30, v15
	s_delay_alu instid0(VALU_DEP_2) | instskip(NEXT) | instid1(VALU_DEP_1)
	v_lshlrev_b64_e32 v[86:87], v17, v[92:93]
	v_and_b32_e32 v17, 3, v86
.LBB4_16892:                            ;   in Loop: Header=BB4_16247 Depth=3
	s_or_b32 exec_lo, exec_lo, s74
	v_lshlrev_b32_e32 v19, 24, v92
                                        ; implicit-def: $vgpr92
	s_delay_alu instid0(VALU_DEP_1) | instskip(NEXT) | instid1(VALU_DEP_1)
	v_and_b32_e32 v19, 0x80000000, v19
	v_lshl_add_u32 v15, v15, 23, v19
	s_delay_alu instid0(VALU_DEP_1) | instskip(NEXT) | instid1(VALU_DEP_1)
	v_lshl_or_b32 v15, v17, 21, v15
                                        ; implicit-def: $vgpr17
	v_add_nc_u32_e32 v15, 0x38000000, v15
.LBB4_16893:                            ;   in Loop: Header=BB4_16247 Depth=3
	s_and_not1_saveexec_b32 s15, s15
; %bb.16894:                            ;   in Loop: Header=BB4_16247 Depth=3
	v_bfe_i32 v15, v92, 0, 8
	s_delay_alu instid0(VALU_DEP_1) | instskip(SKIP_2) | instid1(VALU_DEP_2)
	v_cmp_lt_i16_e32 vcc_lo, -1, v15
	v_cndmask_b32_e32 v15, 0xff800000, v48, vcc_lo
	v_cmp_eq_u32_e32 vcc_lo, 0, v17
	v_cndmask_b32_e32 v15, 0x7f800001, v15, vcc_lo
; %bb.16895:                            ;   in Loop: Header=BB4_16247 Depth=3
	s_or_b32 exec_lo, exec_lo, s15
.LBB4_16896:                            ;   in Loop: Header=BB4_16247 Depth=3
	s_delay_alu instid0(SALU_CYCLE_1)
	s_or_b32 exec_lo, exec_lo, s14
.LBB4_16897:                            ;   in Loop: Header=BB4_16247 Depth=3
	s_delay_alu instid0(SALU_CYCLE_1) | instskip(NEXT) | instid1(SALU_CYCLE_1)
	s_or_b32 exec_lo, exec_lo, s13
	s_mov_b32 s13, exec_lo
	s_wait_loadcnt_dscnt 0xd0d
	v_cmpx_ne_u16_e32 0, v100
	s_cbranch_execz .LBB4_16907
; %bb.16898:                            ;   in Loop: Header=BB4_16247 Depth=3
	v_bfrev_b32_e32 v5, 1
	s_mov_b32 s14, exec_lo
	v_cmpx_ne_u16_e32 0xff80, v100
	s_cbranch_execz .LBB4_16906
; %bb.16899:                            ;   in Loop: Header=BB4_16247 Depth=3
	v_and_b32_e32 v5, 0x7c, v100
	v_and_b32_e32 v17, 3, v100
	s_delay_alu instid0(VALU_DEP_2) | instskip(SKIP_1) | instid1(SALU_CYCLE_1)
	v_cmp_ne_u32_e32 vcc_lo, 0x7c, v5
                                        ; implicit-def: $vgpr5
	s_and_saveexec_b32 s15, vcc_lo
	s_xor_b32 s15, exec_lo, s15
	s_cbranch_execz .LBB4_16903
; %bb.16900:                            ;   in Loop: Header=BB4_16247 Depth=3
	v_and_b32_e32 v5, 0xff, v100
	s_mov_b32 s74, exec_lo
	s_delay_alu instid0(VALU_DEP_1) | instskip(NEXT) | instid1(VALU_DEP_1)
	v_bfe_u32 v5, v5, 2, 5
	v_cmpx_eq_u32_e32 0, v5
	s_cbranch_execz .LBB4_16902
; %bb.16901:                            ;   in Loop: Header=BB4_16247 Depth=3
	v_clz_i32_u32_e32 v5, v17
	s_delay_alu instid0(VALU_DEP_1) | instskip(SKIP_1) | instid1(VALU_DEP_2)
	v_min_u32_e32 v5, 32, v5
	v_mov_b32_e32 v101, v3
	v_subrev_nc_u32_e32 v17, 29, v5
	v_sub_nc_u32_e32 v5, 30, v5
	s_delay_alu instid0(VALU_DEP_2) | instskip(NEXT) | instid1(VALU_DEP_1)
	v_lshlrev_b64_e32 v[86:87], v17, v[100:101]
	v_and_b32_e32 v17, 3, v86
.LBB4_16902:                            ;   in Loop: Header=BB4_16247 Depth=3
	s_or_b32 exec_lo, exec_lo, s74
	v_bfe_i32 v19, v100, 0, 16
                                        ; implicit-def: $vgpr100
	s_delay_alu instid0(VALU_DEP_1) | instskip(NEXT) | instid1(VALU_DEP_1)
	v_and_b32_e32 v19, 0x80000000, v19
	v_lshl_add_u32 v5, v5, 23, v19
	s_delay_alu instid0(VALU_DEP_1) | instskip(NEXT) | instid1(VALU_DEP_1)
	v_lshl_or_b32 v5, v17, 21, v5
                                        ; implicit-def: $vgpr17
	v_add_nc_u32_e32 v5, 0x38000000, v5
.LBB4_16903:                            ;   in Loop: Header=BB4_16247 Depth=3
	s_and_not1_saveexec_b32 s15, s15
; %bb.16904:                            ;   in Loop: Header=BB4_16247 Depth=3
	v_cmp_lt_i16_e32 vcc_lo, -1, v100
	v_cndmask_b32_e32 v5, 0xff800000, v48, vcc_lo
	v_cmp_eq_u32_e32 vcc_lo, 0, v17
	s_delay_alu instid0(VALU_DEP_2)
	v_cndmask_b32_e32 v5, 0x7f800001, v5, vcc_lo
; %bb.16905:                            ;   in Loop: Header=BB4_16247 Depth=3
	s_or_b32 exec_lo, exec_lo, s15
.LBB4_16906:                            ;   in Loop: Header=BB4_16247 Depth=3
	s_delay_alu instid0(SALU_CYCLE_1)
	s_or_b32 exec_lo, exec_lo, s14
.LBB4_16907:                            ;   in Loop: Header=BB4_16247 Depth=3
	s_delay_alu instid0(SALU_CYCLE_1) | instskip(NEXT) | instid1(VALU_DEP_1)
	s_or_b32 exec_lo, exec_lo, s13
	v_add_f32_e32 v15, v15, v5
	v_dual_mov_b32 v87, v3 :: v_dual_mov_b32 v101, v3
                                        ; implicit-def: $vgpr116
	s_mov_b32 s13, exec_lo
	s_delay_alu instid0(VALU_DEP_2) | instskip(SKIP_1) | instid1(VALU_DEP_2)
	v_and_b32_e32 v86, 0x7f800000, v15
	v_and_b32_e32 v100, 0x7fffff, v15
	v_cmpx_ne_u64_e32 0x7f800000, v[86:87]
	s_xor_b32 s14, exec_lo, s13
	s_cbranch_execz .LBB4_16925
; %bb.16908:                            ;   in Loop: Header=BB4_16247 Depth=3
	v_dual_mov_b32 v87, v3 :: v_dual_lshrrev_b32 v5, 24, v15
	v_and_b32_e32 v86, 0x7fffffff, v15
                                        ; implicit-def: $vgpr116
	s_mov_b32 s13, exec_lo
	s_delay_alu instid0(VALU_DEP_2) | instskip(NEXT) | instid1(VALU_DEP_2)
	v_and_b32_e32 v5, 0x80, v5
	v_cmpx_gt_u64_e32 0x47600001, v[86:87]
	s_xor_b32 s15, exec_lo, s13
	s_cbranch_execz .LBB4_16922
; %bb.16909:                            ;   in Loop: Header=BB4_16247 Depth=3
	v_mov_b32_e32 v116, 0
	s_mov_b32 s74, exec_lo
	v_cmpx_ne_u32_e32 0, v15
	s_cbranch_execz .LBB4_16921
; %bb.16910:                            ;   in Loop: Header=BB4_16247 Depth=3
	v_bfe_u32 v15, v15, 23, 8
	v_or_b32_e32 v19, 0x800000, v100
	s_mov_b32 s75, exec_lo
	s_delay_alu instid0(VALU_DEP_2) | instskip(SKIP_1) | instid1(VALU_DEP_3)
	v_cmp_eq_u32_e32 vcc_lo, 0, v15
	v_cmp_gt_u32_e64 s13, 0x72, v15
	v_dual_cndmask_b32 v100, v19, v100 :: v_dual_sub_nc_u32 v17, 0x71, v15
	s_delay_alu instid0(VALU_DEP_1) | instskip(NEXT) | instid1(VALU_DEP_1)
	v_cndmask_b32_e64 v17, 0, v17, s13
	v_cndmask_b32_e64 v17, v17, 0x70, vcc_lo
	s_delay_alu instid0(VALU_DEP_1) | instskip(NEXT) | instid1(VALU_DEP_1)
	v_add_nc_u32_e32 v19, 21, v17
	v_lshlrev_b64_e64 v[86:87], v19, -1
	v_add_nc_u32_e32 v19, 20, v17
	s_delay_alu instid0(VALU_DEP_1) | instskip(NEXT) | instid1(VALU_DEP_3)
	v_lshlrev_b64_e64 v[96:97], v19, 1
	v_bfi_b32 v86, v86, 0, v100
	v_lshrrev_b64 v[100:101], v17, v[100:101]
	v_bfi_b32 v87, v87, 0, 0
	s_delay_alu instid0(VALU_DEP_2) | instskip(NEXT) | instid1(VALU_DEP_2)
	v_mov_b64_e32 v[116:117], v[100:101]
	v_cmpx_eq_u64_e64 v[86:87], v[96:97]
; %bb.16911:                            ;   in Loop: Header=BB4_16247 Depth=3
	v_bfe_u32 v86, v100, 21, 1
	v_mov_b32_e32 v87, v3
	s_delay_alu instid0(VALU_DEP_1) | instskip(NEXT) | instid1(VALU_DEP_1)
	v_add_nc_u64_e32 v[86:87], v[100:101], v[86:87]
	v_add_nc_u64_e32 v[116:117], -1, v[86:87]
; %bb.16912:                            ;   in Loop: Header=BB4_16247 Depth=3
	s_or_b32 exec_lo, exec_lo, s75
	v_add_nc_u32_e32 v15, 0xffffff81, v15
	v_lshrrev_b32_e32 v19, 23, v100
	s_mov_b32 s13, exec_lo
	v_mov_b32_e32 v101, v3
	s_delay_alu instid0(VALU_DEP_3) | instskip(NEXT) | instid1(VALU_DEP_1)
	v_cndmask_b32_e64 v15, v15, 0xffffff82, vcc_lo
	v_add3_u32 v17, v17, v15, v19
	v_and_b32_e32 v15, 0x1fffff, v116
	s_delay_alu instid0(VALU_DEP_1) | instskip(NEXT) | instid1(VALU_DEP_1)
	v_dual_add_nc_u32 v19, 14, v17 :: v_dual_add_nc_u32 v100, v15, v100
                                        ; implicit-def: $vgpr15
	v_cmpx_ne_u32_e32 0, v19
	s_xor_b32 s13, exec_lo, s13
; %bb.16913:                            ;   in Loop: Header=BB4_16247 Depth=3
	s_delay_alu instid0(VALU_DEP_2) | instskip(SKIP_2) | instid1(VALU_DEP_2)
	v_cmp_lt_u64_e32 vcc_lo, 0xffffff, v[100:101]
	v_add_nc_u32_e32 v15, 15, v17
	v_cndmask_b32_e64 v17, 0, 1, vcc_lo
	v_cndmask_b32_e32 v15, v19, v15, vcc_lo
	s_delay_alu instid0(VALU_DEP_2)
	v_lshrrev_b64 v[100:101], v17, v[100:101]
; %bb.16914:                            ;   in Loop: Header=BB4_16247 Depth=3
	s_and_not1_saveexec_b32 s13, s13
; %bb.16915:                            ;   in Loop: Header=BB4_16247 Depth=3
	s_delay_alu instid0(VALU_DEP_1)
	v_bfe_u32 v15, v100, 23, 1
; %bb.16916:                            ;   in Loop: Header=BB4_16247 Depth=3
	s_or_b32 exec_lo, exec_lo, s13
	s_delay_alu instid0(VALU_DEP_2) | instskip(NEXT) | instid1(VALU_DEP_2)
	v_lshrrev_b64 v[86:87], 21, v[100:101]
	v_cmp_gt_i32_e32 vcc_lo, 32, v15
	v_cmp_ne_u32_e64 s13, 0, v15
                                        ; implicit-def: $vgpr116
	s_delay_alu instid0(VALU_DEP_3) | instskip(NEXT) | instid1(VALU_DEP_1)
	v_dual_cndmask_b32 v101, 0, v87 :: v_dual_cndmask_b32 v100, 3, v86
	v_cmp_ne_u64_e32 vcc_lo, 0, v[100:101]
	s_or_b32 s13, s13, vcc_lo
	s_delay_alu instid0(SALU_CYCLE_1) | instskip(NEXT) | instid1(SALU_CYCLE_1)
	s_and_saveexec_b32 s75, s13
	s_xor_b32 s13, exec_lo, s75
; %bb.16917:                            ;   in Loop: Header=BB4_16247 Depth=3
	v_min_i32_e32 v15, 31, v15
	s_delay_alu instid0(VALU_DEP_1) | instskip(NEXT) | instid1(VALU_DEP_1)
	v_lshl_or_b32 v5, v15, 2, v5
	v_and_or_b32 v116, v100, 3, v5
                                        ; implicit-def: $vgpr5
; %bb.16918:                            ;   in Loop: Header=BB4_16247 Depth=3
	s_and_not1_saveexec_b32 s13, s13
; %bb.16919:                            ;   in Loop: Header=BB4_16247 Depth=3
	v_mov_b32_e32 v116, v5
; %bb.16920:                            ;   in Loop: Header=BB4_16247 Depth=3
	s_or_b32 exec_lo, exec_lo, s13
.LBB4_16921:                            ;   in Loop: Header=BB4_16247 Depth=3
	s_delay_alu instid0(SALU_CYCLE_1)
	s_or_b32 exec_lo, exec_lo, s74
                                        ; implicit-def: $vgpr5
.LBB4_16922:                            ;   in Loop: Header=BB4_16247 Depth=3
	s_and_not1_saveexec_b32 s13, s15
; %bb.16923:                            ;   in Loop: Header=BB4_16247 Depth=3
	v_or_b32_e32 v116, 0x7b, v5
; %bb.16924:                            ;   in Loop: Header=BB4_16247 Depth=3
	s_or_b32 exec_lo, exec_lo, s13
                                        ; implicit-def: $vgpr15
                                        ; implicit-def: $vgpr100_vgpr101
.LBB4_16925:                            ;   in Loop: Header=BB4_16247 Depth=3
	s_and_not1_saveexec_b32 s13, s14
	s_cbranch_execz .LBB4_16931
; %bb.16926:                            ;   in Loop: Header=BB4_16247 Depth=3
	s_mov_b32 s14, exec_lo
                                        ; implicit-def: $vgpr116
	v_cmpx_ne_u64_e32 0, v[100:101]
	s_xor_b32 s14, exec_lo, s14
; %bb.16927:                            ;   in Loop: Header=BB4_16247 Depth=3
	v_lshrrev_b32_e32 v5, 24, v15
                                        ; implicit-def: $vgpr15
	s_delay_alu instid0(VALU_DEP_1)
	v_or_b32_e32 v116, 0x7f, v5
; %bb.16928:                            ;   in Loop: Header=BB4_16247 Depth=3
	s_and_not1_saveexec_b32 s14, s14
; %bb.16929:                            ;   in Loop: Header=BB4_16247 Depth=3
	v_cmp_lt_i32_e32 vcc_lo, -1, v15
	v_cndmask_b32_e64 v116, -4, 0x7c, vcc_lo
; %bb.16930:                            ;   in Loop: Header=BB4_16247 Depth=3
	s_or_b32 exec_lo, exec_lo, s14
.LBB4_16931:                            ;   in Loop: Header=BB4_16247 Depth=3
	s_delay_alu instid0(SALU_CYCLE_1) | instskip(SKIP_3) | instid1(VALU_DEP_2)
	s_or_b32 exec_lo, exec_lo, s13
	v_and_b32_e32 v19, 0xff, v90
	v_dual_mov_b32 v5, 0 :: v_dual_mov_b32 v15, 0
	s_mov_b32 s13, exec_lo
	v_cmpx_ne_u16_e32 0, v19
	s_cbranch_execz .LBB4_16941
; %bb.16932:                            ;   in Loop: Header=BB4_16247 Depth=3
	v_bfrev_b32_e32 v15, 1
	s_mov_b32 s14, exec_lo
	v_cmpx_ne_u16_e32 0x80, v19
	s_cbranch_execz .LBB4_16940
; %bb.16933:                            ;   in Loop: Header=BB4_16247 Depth=3
	v_and_b32_e32 v15, 0x7c, v90
	v_and_b32_e32 v17, 3, v90
	s_delay_alu instid0(VALU_DEP_2) | instskip(SKIP_1) | instid1(SALU_CYCLE_1)
	v_cmp_ne_u32_e32 vcc_lo, 0x7c, v15
                                        ; implicit-def: $vgpr15
	s_and_saveexec_b32 s15, vcc_lo
	s_xor_b32 s15, exec_lo, s15
	s_cbranch_execz .LBB4_16937
; %bb.16934:                            ;   in Loop: Header=BB4_16247 Depth=3
	v_bfe_u32 v15, v19, 2, 5
	s_mov_b32 s74, exec_lo
	s_delay_alu instid0(VALU_DEP_1)
	v_cmpx_eq_u32_e32 0, v15
	s_cbranch_execz .LBB4_16936
; %bb.16935:                            ;   in Loop: Header=BB4_16247 Depth=3
	v_clz_i32_u32_e32 v15, v17
	s_delay_alu instid0(VALU_DEP_1) | instskip(SKIP_1) | instid1(VALU_DEP_2)
	v_min_u32_e32 v15, 32, v15
	v_mov_b32_e32 v91, v3
	v_subrev_nc_u32_e32 v17, 29, v15
	v_sub_nc_u32_e32 v15, 30, v15
	s_delay_alu instid0(VALU_DEP_2) | instskip(NEXT) | instid1(VALU_DEP_1)
	v_lshlrev_b64_e32 v[86:87], v17, v[90:91]
	v_and_b32_e32 v17, 3, v86
.LBB4_16936:                            ;   in Loop: Header=BB4_16247 Depth=3
	s_or_b32 exec_lo, exec_lo, s74
	v_lshlrev_b32_e32 v19, 24, v90
                                        ; implicit-def: $vgpr90
	s_delay_alu instid0(VALU_DEP_1) | instskip(NEXT) | instid1(VALU_DEP_1)
	v_and_b32_e32 v19, 0x80000000, v19
	v_lshl_add_u32 v15, v15, 23, v19
	s_delay_alu instid0(VALU_DEP_1) | instskip(NEXT) | instid1(VALU_DEP_1)
	v_lshl_or_b32 v15, v17, 21, v15
                                        ; implicit-def: $vgpr17
	v_add_nc_u32_e32 v15, 0x38000000, v15
.LBB4_16937:                            ;   in Loop: Header=BB4_16247 Depth=3
	s_and_not1_saveexec_b32 s15, s15
; %bb.16938:                            ;   in Loop: Header=BB4_16247 Depth=3
	v_bfe_i32 v15, v90, 0, 8
	s_delay_alu instid0(VALU_DEP_1) | instskip(SKIP_2) | instid1(VALU_DEP_2)
	v_cmp_lt_i16_e32 vcc_lo, -1, v15
	v_cndmask_b32_e32 v15, 0xff800000, v48, vcc_lo
	v_cmp_eq_u32_e32 vcc_lo, 0, v17
	v_cndmask_b32_e32 v15, 0x7f800001, v15, vcc_lo
; %bb.16939:                            ;   in Loop: Header=BB4_16247 Depth=3
	s_or_b32 exec_lo, exec_lo, s15
.LBB4_16940:                            ;   in Loop: Header=BB4_16247 Depth=3
	s_delay_alu instid0(SALU_CYCLE_1)
	s_or_b32 exec_lo, exec_lo, s14
.LBB4_16941:                            ;   in Loop: Header=BB4_16247 Depth=3
	s_delay_alu instid0(SALU_CYCLE_1) | instskip(NEXT) | instid1(SALU_CYCLE_1)
	s_or_b32 exec_lo, exec_lo, s13
	s_mov_b32 s13, exec_lo
	s_wait_loadcnt_dscnt 0xc0c
	v_cmpx_ne_u16_e32 0, v50
	s_cbranch_execz .LBB4_16951
; %bb.16942:                            ;   in Loop: Header=BB4_16247 Depth=3
	v_bfrev_b32_e32 v5, 1
	s_mov_b32 s14, exec_lo
	v_cmpx_ne_u16_e32 0xff80, v50
	s_cbranch_execz .LBB4_16950
; %bb.16943:                            ;   in Loop: Header=BB4_16247 Depth=3
	v_and_b32_e32 v5, 0x7c, v50
	v_and_b32_e32 v17, 3, v50
	s_delay_alu instid0(VALU_DEP_2) | instskip(SKIP_1) | instid1(SALU_CYCLE_1)
	v_cmp_ne_u32_e32 vcc_lo, 0x7c, v5
                                        ; implicit-def: $vgpr5
	s_and_saveexec_b32 s15, vcc_lo
	s_xor_b32 s15, exec_lo, s15
	s_cbranch_execz .LBB4_16947
; %bb.16944:                            ;   in Loop: Header=BB4_16247 Depth=3
	v_and_b32_e32 v5, 0xff, v50
	s_mov_b32 s74, exec_lo
	s_delay_alu instid0(VALU_DEP_1) | instskip(NEXT) | instid1(VALU_DEP_1)
	v_bfe_u32 v5, v5, 2, 5
	v_cmpx_eq_u32_e32 0, v5
	s_cbranch_execz .LBB4_16946
; %bb.16945:                            ;   in Loop: Header=BB4_16247 Depth=3
	v_clz_i32_u32_e32 v5, v17
	s_delay_alu instid0(VALU_DEP_1) | instskip(SKIP_1) | instid1(VALU_DEP_2)
	v_min_u32_e32 v5, 32, v5
	v_mov_b32_e32 v51, v3
	v_subrev_nc_u32_e32 v17, 29, v5
	v_sub_nc_u32_e32 v5, 30, v5
	s_delay_alu instid0(VALU_DEP_2) | instskip(NEXT) | instid1(VALU_DEP_1)
	v_lshlrev_b64_e32 v[86:87], v17, v[50:51]
	v_and_b32_e32 v17, 3, v86
.LBB4_16946:                            ;   in Loop: Header=BB4_16247 Depth=3
	s_or_b32 exec_lo, exec_lo, s74
	v_bfe_i32 v19, v50, 0, 16
                                        ; implicit-def: $vgpr50
	s_delay_alu instid0(VALU_DEP_1) | instskip(NEXT) | instid1(VALU_DEP_1)
	v_and_b32_e32 v19, 0x80000000, v19
	v_lshl_add_u32 v5, v5, 23, v19
	s_delay_alu instid0(VALU_DEP_1) | instskip(NEXT) | instid1(VALU_DEP_1)
	v_lshl_or_b32 v5, v17, 21, v5
                                        ; implicit-def: $vgpr17
	v_add_nc_u32_e32 v5, 0x38000000, v5
.LBB4_16947:                            ;   in Loop: Header=BB4_16247 Depth=3
	s_and_not1_saveexec_b32 s15, s15
; %bb.16948:                            ;   in Loop: Header=BB4_16247 Depth=3
	v_cmp_lt_i16_e32 vcc_lo, -1, v50
	v_cndmask_b32_e32 v5, 0xff800000, v48, vcc_lo
	v_cmp_eq_u32_e32 vcc_lo, 0, v17
	s_delay_alu instid0(VALU_DEP_2)
	v_cndmask_b32_e32 v5, 0x7f800001, v5, vcc_lo
; %bb.16949:                            ;   in Loop: Header=BB4_16247 Depth=3
	s_or_b32 exec_lo, exec_lo, s15
.LBB4_16950:                            ;   in Loop: Header=BB4_16247 Depth=3
	s_delay_alu instid0(SALU_CYCLE_1)
	s_or_b32 exec_lo, exec_lo, s14
.LBB4_16951:                            ;   in Loop: Header=BB4_16247 Depth=3
	s_delay_alu instid0(SALU_CYCLE_1) | instskip(NEXT) | instid1(VALU_DEP_1)
	s_or_b32 exec_lo, exec_lo, s13
	v_add_f32_e32 v15, v15, v5
	v_mov_b32_e32 v51, v3
                                        ; implicit-def: $vgpr100
	s_delay_alu instid0(VALU_DEP_2) | instskip(NEXT) | instid1(VALU_DEP_1)
	v_and_b32_e32 v50, 0x7f800000, v15
	v_cmp_ne_u64_e32 vcc_lo, 0x7f800000, v[50:51]
	v_and_b32_e32 v50, 0x7fffff, v15
	s_and_saveexec_b32 s13, vcc_lo
	s_delay_alu instid0(SALU_CYCLE_1)
	s_xor_b32 s14, exec_lo, s13
	s_cbranch_execz .LBB4_16969
; %bb.16952:                            ;   in Loop: Header=BB4_16247 Depth=3
	v_dual_mov_b32 v87, v3 :: v_dual_lshrrev_b32 v5, 24, v15
	v_and_b32_e32 v86, 0x7fffffff, v15
                                        ; implicit-def: $vgpr100
	s_mov_b32 s13, exec_lo
	s_delay_alu instid0(VALU_DEP_2) | instskip(NEXT) | instid1(VALU_DEP_2)
	v_and_b32_e32 v5, 0x80, v5
	v_cmpx_gt_u64_e32 0x47600001, v[86:87]
	s_xor_b32 s15, exec_lo, s13
	s_cbranch_execz .LBB4_16966
; %bb.16953:                            ;   in Loop: Header=BB4_16247 Depth=3
	v_mov_b32_e32 v100, 0
	s_mov_b32 s74, exec_lo
	v_cmpx_ne_u32_e32 0, v15
	s_cbranch_execz .LBB4_16965
; %bb.16954:                            ;   in Loop: Header=BB4_16247 Depth=3
	v_bfe_u32 v15, v15, 23, 8
	v_or_b32_e32 v21, 0x800000, v50
	s_mov_b32 s75, exec_lo
	s_delay_alu instid0(VALU_DEP_2) | instskip(SKIP_1) | instid1(VALU_DEP_2)
	v_sub_nc_u32_e32 v17, 0x71, v15
	v_cmp_gt_u32_e32 vcc_lo, 0x72, v15
	v_cndmask_b32_e32 v17, 0, v17, vcc_lo
	v_cmp_eq_u32_e32 vcc_lo, 0, v15
	s_delay_alu instid0(VALU_DEP_2) | instskip(NEXT) | instid1(VALU_DEP_1)
	v_cndmask_b32_e64 v17, v17, 0x70, vcc_lo
	v_dual_cndmask_b32 v50, v21, v50 :: v_dual_add_nc_u32 v19, 21, v17
	s_delay_alu instid0(VALU_DEP_1) | instskip(SKIP_1) | instid1(VALU_DEP_1)
	v_lshlrev_b64_e64 v[86:87], v19, -1
	v_add_nc_u32_e32 v19, 20, v17
	v_lshlrev_b64_e64 v[96:97], v19, 1
	s_delay_alu instid0(VALU_DEP_3) | instskip(SKIP_2) | instid1(VALU_DEP_2)
	v_bfi_b32 v86, v86, 0, v50
	v_lshrrev_b64 v[50:51], v17, v[50:51]
	v_bfi_b32 v87, v87, 0, 0
	v_mov_b64_e32 v[100:101], v[50:51]
	s_delay_alu instid0(VALU_DEP_2)
	v_cmpx_eq_u64_e64 v[86:87], v[96:97]
; %bb.16955:                            ;   in Loop: Header=BB4_16247 Depth=3
	v_bfe_u32 v86, v50, 21, 1
	v_mov_b32_e32 v87, v3
	s_delay_alu instid0(VALU_DEP_1) | instskip(NEXT) | instid1(VALU_DEP_1)
	v_add_nc_u64_e32 v[86:87], v[50:51], v[86:87]
	v_add_nc_u64_e32 v[100:101], -1, v[86:87]
; %bb.16956:                            ;   in Loop: Header=BB4_16247 Depth=3
	s_or_b32 exec_lo, exec_lo, s75
	v_add_nc_u32_e32 v15, 0xffffff81, v15
	v_lshrrev_b32_e32 v19, 23, v50
	s_mov_b32 s13, exec_lo
	v_mov_b32_e32 v51, v3
	s_delay_alu instid0(VALU_DEP_3) | instskip(NEXT) | instid1(VALU_DEP_1)
	v_cndmask_b32_e64 v15, v15, 0xffffff82, vcc_lo
	v_add3_u32 v17, v17, v15, v19
	v_and_b32_e32 v15, 0x1fffff, v100
	s_delay_alu instid0(VALU_DEP_1) | instskip(NEXT) | instid1(VALU_DEP_1)
	v_dual_add_nc_u32 v19, 14, v17 :: v_dual_add_nc_u32 v50, v15, v50
                                        ; implicit-def: $vgpr15
	v_cmpx_ne_u32_e32 0, v19
	s_xor_b32 s13, exec_lo, s13
; %bb.16957:                            ;   in Loop: Header=BB4_16247 Depth=3
	s_delay_alu instid0(VALU_DEP_2) | instskip(SKIP_2) | instid1(VALU_DEP_2)
	v_cmp_lt_u64_e32 vcc_lo, 0xffffff, v[50:51]
	v_add_nc_u32_e32 v15, 15, v17
	v_cndmask_b32_e64 v17, 0, 1, vcc_lo
	v_cndmask_b32_e32 v15, v19, v15, vcc_lo
	s_delay_alu instid0(VALU_DEP_2)
	v_lshrrev_b64 v[50:51], v17, v[50:51]
; %bb.16958:                            ;   in Loop: Header=BB4_16247 Depth=3
	s_and_not1_saveexec_b32 s13, s13
; %bb.16959:                            ;   in Loop: Header=BB4_16247 Depth=3
	s_delay_alu instid0(VALU_DEP_1)
	v_bfe_u32 v15, v50, 23, 1
; %bb.16960:                            ;   in Loop: Header=BB4_16247 Depth=3
	s_or_b32 exec_lo, exec_lo, s13
	s_delay_alu instid0(VALU_DEP_2) | instskip(NEXT) | instid1(VALU_DEP_2)
	v_lshrrev_b64 v[50:51], 21, v[50:51]
	v_cmp_gt_i32_e32 vcc_lo, 32, v15
	v_cmp_ne_u32_e64 s13, 0, v15
                                        ; implicit-def: $vgpr100
	s_delay_alu instid0(VALU_DEP_3) | instskip(NEXT) | instid1(VALU_DEP_1)
	v_dual_cndmask_b32 v51, 0, v51 :: v_dual_cndmask_b32 v50, 3, v50
	v_cmp_ne_u64_e32 vcc_lo, 0, v[50:51]
	s_or_b32 s13, s13, vcc_lo
	s_delay_alu instid0(SALU_CYCLE_1) | instskip(NEXT) | instid1(SALU_CYCLE_1)
	s_and_saveexec_b32 s75, s13
	s_xor_b32 s13, exec_lo, s75
; %bb.16961:                            ;   in Loop: Header=BB4_16247 Depth=3
	v_min_i32_e32 v15, 31, v15
	s_delay_alu instid0(VALU_DEP_1) | instskip(NEXT) | instid1(VALU_DEP_1)
	v_lshl_or_b32 v5, v15, 2, v5
	v_and_or_b32 v100, v50, 3, v5
                                        ; implicit-def: $vgpr5
; %bb.16962:                            ;   in Loop: Header=BB4_16247 Depth=3
	s_and_not1_saveexec_b32 s13, s13
; %bb.16963:                            ;   in Loop: Header=BB4_16247 Depth=3
	v_mov_b32_e32 v100, v5
; %bb.16964:                            ;   in Loop: Header=BB4_16247 Depth=3
	s_or_b32 exec_lo, exec_lo, s13
.LBB4_16965:                            ;   in Loop: Header=BB4_16247 Depth=3
	s_delay_alu instid0(SALU_CYCLE_1)
	s_or_b32 exec_lo, exec_lo, s74
                                        ; implicit-def: $vgpr5
.LBB4_16966:                            ;   in Loop: Header=BB4_16247 Depth=3
	s_and_not1_saveexec_b32 s13, s15
; %bb.16967:                            ;   in Loop: Header=BB4_16247 Depth=3
	v_or_b32_e32 v100, 0x7b, v5
; %bb.16968:                            ;   in Loop: Header=BB4_16247 Depth=3
	s_or_b32 exec_lo, exec_lo, s13
                                        ; implicit-def: $vgpr15
                                        ; implicit-def: $vgpr50_vgpr51
.LBB4_16969:                            ;   in Loop: Header=BB4_16247 Depth=3
	s_and_not1_saveexec_b32 s13, s14
	s_cbranch_execz .LBB4_16975
; %bb.16970:                            ;   in Loop: Header=BB4_16247 Depth=3
	s_mov_b32 s14, exec_lo
                                        ; implicit-def: $vgpr100
	v_cmpx_ne_u64_e32 0, v[50:51]
	s_xor_b32 s14, exec_lo, s14
; %bb.16971:                            ;   in Loop: Header=BB4_16247 Depth=3
	v_lshrrev_b32_e32 v5, 24, v15
                                        ; implicit-def: $vgpr15
	s_delay_alu instid0(VALU_DEP_1)
	v_or_b32_e32 v100, 0x7f, v5
; %bb.16972:                            ;   in Loop: Header=BB4_16247 Depth=3
	s_and_not1_saveexec_b32 s14, s14
; %bb.16973:                            ;   in Loop: Header=BB4_16247 Depth=3
	v_cmp_lt_i32_e32 vcc_lo, -1, v15
	v_cndmask_b32_e64 v100, -4, 0x7c, vcc_lo
; %bb.16974:                            ;   in Loop: Header=BB4_16247 Depth=3
	s_or_b32 exec_lo, exec_lo, s14
.LBB4_16975:                            ;   in Loop: Header=BB4_16247 Depth=3
	s_delay_alu instid0(SALU_CYCLE_1) | instskip(SKIP_3) | instid1(VALU_DEP_2)
	s_or_b32 exec_lo, exec_lo, s13
	v_and_b32_e32 v19, 0xff, v88
	v_dual_mov_b32 v5, 0 :: v_dual_mov_b32 v15, 0
	s_mov_b32 s13, exec_lo
	v_cmpx_ne_u16_e32 0, v19
	s_cbranch_execz .LBB4_16985
; %bb.16976:                            ;   in Loop: Header=BB4_16247 Depth=3
	v_bfrev_b32_e32 v15, 1
	s_mov_b32 s14, exec_lo
	v_cmpx_ne_u16_e32 0x80, v19
	s_cbranch_execz .LBB4_16984
; %bb.16977:                            ;   in Loop: Header=BB4_16247 Depth=3
	v_and_b32_e32 v15, 0x7c, v88
	v_and_b32_e32 v17, 3, v88
	s_delay_alu instid0(VALU_DEP_2) | instskip(SKIP_1) | instid1(SALU_CYCLE_1)
	v_cmp_ne_u32_e32 vcc_lo, 0x7c, v15
                                        ; implicit-def: $vgpr15
	s_and_saveexec_b32 s15, vcc_lo
	s_xor_b32 s15, exec_lo, s15
	s_cbranch_execz .LBB4_16981
; %bb.16978:                            ;   in Loop: Header=BB4_16247 Depth=3
	v_bfe_u32 v15, v19, 2, 5
	s_mov_b32 s74, exec_lo
	s_delay_alu instid0(VALU_DEP_1)
	v_cmpx_eq_u32_e32 0, v15
	s_cbranch_execz .LBB4_16980
; %bb.16979:                            ;   in Loop: Header=BB4_16247 Depth=3
	v_clz_i32_u32_e32 v15, v17
	s_delay_alu instid0(VALU_DEP_1) | instskip(SKIP_1) | instid1(VALU_DEP_2)
	v_min_u32_e32 v15, 32, v15
	v_mov_b32_e32 v89, v3
	v_subrev_nc_u32_e32 v17, 29, v15
	v_sub_nc_u32_e32 v15, 30, v15
	s_delay_alu instid0(VALU_DEP_2) | instskip(NEXT) | instid1(VALU_DEP_1)
	v_lshlrev_b64_e32 v[50:51], v17, v[88:89]
	v_and_b32_e32 v17, 3, v50
.LBB4_16980:                            ;   in Loop: Header=BB4_16247 Depth=3
	s_or_b32 exec_lo, exec_lo, s74
	v_lshlrev_b32_e32 v19, 24, v88
                                        ; implicit-def: $vgpr88
	s_delay_alu instid0(VALU_DEP_1) | instskip(NEXT) | instid1(VALU_DEP_1)
	v_and_b32_e32 v19, 0x80000000, v19
	v_lshl_add_u32 v15, v15, 23, v19
	s_delay_alu instid0(VALU_DEP_1) | instskip(NEXT) | instid1(VALU_DEP_1)
	v_lshl_or_b32 v15, v17, 21, v15
                                        ; implicit-def: $vgpr17
	v_add_nc_u32_e32 v15, 0x38000000, v15
.LBB4_16981:                            ;   in Loop: Header=BB4_16247 Depth=3
	s_and_not1_saveexec_b32 s15, s15
; %bb.16982:                            ;   in Loop: Header=BB4_16247 Depth=3
	v_bfe_i32 v15, v88, 0, 8
	s_delay_alu instid0(VALU_DEP_1) | instskip(SKIP_2) | instid1(VALU_DEP_2)
	v_cmp_lt_i16_e32 vcc_lo, -1, v15
	v_cndmask_b32_e32 v15, 0xff800000, v48, vcc_lo
	v_cmp_eq_u32_e32 vcc_lo, 0, v17
	v_cndmask_b32_e32 v15, 0x7f800001, v15, vcc_lo
; %bb.16983:                            ;   in Loop: Header=BB4_16247 Depth=3
	s_or_b32 exec_lo, exec_lo, s15
.LBB4_16984:                            ;   in Loop: Header=BB4_16247 Depth=3
	s_delay_alu instid0(SALU_CYCLE_1)
	s_or_b32 exec_lo, exec_lo, s14
.LBB4_16985:                            ;   in Loop: Header=BB4_16247 Depth=3
	s_delay_alu instid0(SALU_CYCLE_1) | instskip(NEXT) | instid1(SALU_CYCLE_1)
	s_or_b32 exec_lo, exec_lo, s13
	s_mov_b32 s13, exec_lo
	s_wait_loadcnt_dscnt 0xb0b
	v_cmpx_ne_u16_e32 0, v4
	s_cbranch_execz .LBB4_16995
; %bb.16986:                            ;   in Loop: Header=BB4_16247 Depth=3
	v_bfrev_b32_e32 v5, 1
	s_mov_b32 s14, exec_lo
	v_cmpx_ne_u16_e32 0xff80, v4
	s_cbranch_execz .LBB4_16994
; %bb.16987:                            ;   in Loop: Header=BB4_16247 Depth=3
	v_and_b32_e32 v5, 0x7c, v4
	v_and_b32_e32 v17, 3, v4
	s_delay_alu instid0(VALU_DEP_2) | instskip(SKIP_1) | instid1(SALU_CYCLE_1)
	v_cmp_ne_u32_e32 vcc_lo, 0x7c, v5
                                        ; implicit-def: $vgpr5
	s_and_saveexec_b32 s15, vcc_lo
	s_xor_b32 s15, exec_lo, s15
	s_cbranch_execz .LBB4_16991
; %bb.16988:                            ;   in Loop: Header=BB4_16247 Depth=3
	v_and_b32_e32 v5, 0xff, v4
	s_mov_b32 s74, exec_lo
	s_delay_alu instid0(VALU_DEP_1) | instskip(NEXT) | instid1(VALU_DEP_1)
	v_bfe_u32 v5, v5, 2, 5
	v_cmpx_eq_u32_e32 0, v5
; %bb.16989:                            ;   in Loop: Header=BB4_16247 Depth=3
	v_clz_i32_u32_e32 v5, v17
	s_delay_alu instid0(VALU_DEP_1) | instskip(SKIP_1) | instid1(VALU_DEP_2)
	v_min_u32_e32 v17, 32, v5
	v_mov_b32_e32 v5, v3
	v_subrev_nc_u32_e32 v19, 29, v17
	s_delay_alu instid0(VALU_DEP_1) | instskip(NEXT) | instid1(VALU_DEP_1)
	v_lshlrev_b64_e32 v[50:51], v19, v[4:5]
	v_dual_sub_nc_u32 v5, 30, v17 :: v_dual_bitop2_b32 v17, 3, v50 bitop3:0x40
; %bb.16990:                            ;   in Loop: Header=BB4_16247 Depth=3
	s_or_b32 exec_lo, exec_lo, s74
	v_bfe_i32 v4, v4, 0, 16
	s_delay_alu instid0(VALU_DEP_1) | instskip(NEXT) | instid1(VALU_DEP_1)
	v_and_b32_e32 v4, 0x80000000, v4
	v_lshl_add_u32 v4, v5, 23, v4
	s_delay_alu instid0(VALU_DEP_1) | instskip(NEXT) | instid1(VALU_DEP_1)
	v_lshl_or_b32 v4, v17, 21, v4
                                        ; implicit-def: $vgpr17
	v_add_nc_u32_e32 v5, 0x38000000, v4
                                        ; implicit-def: $vgpr4
.LBB4_16991:                            ;   in Loop: Header=BB4_16247 Depth=3
	s_and_not1_saveexec_b32 s15, s15
; %bb.16992:                            ;   in Loop: Header=BB4_16247 Depth=3
	v_cmp_lt_i16_e32 vcc_lo, -1, v4
	v_cndmask_b32_e32 v4, 0xff800000, v48, vcc_lo
	v_cmp_eq_u32_e32 vcc_lo, 0, v17
	s_delay_alu instid0(VALU_DEP_2)
	v_cndmask_b32_e32 v5, 0x7f800001, v4, vcc_lo
; %bb.16993:                            ;   in Loop: Header=BB4_16247 Depth=3
	s_or_b32 exec_lo, exec_lo, s15
.LBB4_16994:                            ;   in Loop: Header=BB4_16247 Depth=3
	s_delay_alu instid0(SALU_CYCLE_1)
	s_or_b32 exec_lo, exec_lo, s14
.LBB4_16995:                            ;   in Loop: Header=BB4_16247 Depth=3
	s_delay_alu instid0(SALU_CYCLE_1) | instskip(NEXT) | instid1(VALU_DEP_1)
	s_or_b32 exec_lo, exec_lo, s13
	v_add_f32_e32 v17, v15, v5
	v_mov_b32_e32 v5, v3
                                        ; implicit-def: $vgpr101
	s_delay_alu instid0(VALU_DEP_2) | instskip(NEXT) | instid1(VALU_DEP_1)
	v_and_b32_e32 v4, 0x7f800000, v17
	v_cmp_ne_u64_e32 vcc_lo, 0x7f800000, v[4:5]
	v_and_b32_e32 v4, 0x7fffff, v17
	s_and_saveexec_b32 s13, vcc_lo
	s_delay_alu instid0(SALU_CYCLE_1)
	s_xor_b32 s14, exec_lo, s13
	s_cbranch_execz .LBB4_17013
; %bb.16996:                            ;   in Loop: Header=BB4_16247 Depth=3
	v_dual_mov_b32 v51, v3 :: v_dual_lshrrev_b32 v15, 24, v17
	v_and_b32_e32 v50, 0x7fffffff, v17
                                        ; implicit-def: $vgpr101
	s_mov_b32 s13, exec_lo
	s_delay_alu instid0(VALU_DEP_2) | instskip(NEXT) | instid1(VALU_DEP_2)
	v_and_b32_e32 v15, 0x80, v15
	v_cmpx_gt_u64_e32 0x47600001, v[50:51]
	s_xor_b32 s15, exec_lo, s13
	s_cbranch_execz .LBB4_17010
; %bb.16997:                            ;   in Loop: Header=BB4_16247 Depth=3
	v_mov_b32_e32 v101, 0
	s_mov_b32 s74, exec_lo
	v_cmpx_ne_u32_e32 0, v17
	s_cbranch_execz .LBB4_17009
; %bb.16998:                            ;   in Loop: Header=BB4_16247 Depth=3
	v_bfe_u32 v17, v17, 23, 8
	v_or_b32_e32 v31, 0x800000, v4
	s_delay_alu instid0(VALU_DEP_2) | instskip(SKIP_1) | instid1(VALU_DEP_2)
	v_sub_nc_u32_e32 v19, 0x71, v17
	v_cmp_gt_u32_e32 vcc_lo, 0x72, v17
	v_cndmask_b32_e32 v19, 0, v19, vcc_lo
	v_cmp_eq_u32_e32 vcc_lo, 0, v17
	s_delay_alu instid0(VALU_DEP_2) | instskip(NEXT) | instid1(VALU_DEP_1)
	v_cndmask_b32_e64 v19, v19, 0x70, vcc_lo
	v_dual_cndmask_b32 v4, v31, v4 :: v_dual_add_nc_u32 v21, 21, v19
	s_delay_alu instid0(VALU_DEP_1) | instskip(SKIP_1) | instid1(VALU_DEP_1)
	v_lshlrev_b64_e64 v[50:51], v21, -1
	v_add_nc_u32_e32 v21, 20, v19
	v_lshlrev_b64_e64 v[86:87], v21, 1
	s_delay_alu instid0(VALU_DEP_3) | instskip(SKIP_2) | instid1(VALU_DEP_1)
	v_bfi_b32 v50, v50, 0, v4
	v_lshrrev_b64 v[4:5], v19, v[4:5]
	v_bfi_b32 v51, v51, 0, 0
	v_cmp_eq_u64_e64 s13, v[50:51], v[86:87]
	s_delay_alu instid0(VALU_DEP_3)
	v_mov_b64_e32 v[50:51], v[4:5]
	s_and_saveexec_b32 s75, s13
; %bb.16999:                            ;   in Loop: Header=BB4_16247 Depth=3
	v_bfe_u32 v50, v4, 21, 1
	v_mov_b32_e32 v51, v3
	s_delay_alu instid0(VALU_DEP_1) | instskip(NEXT) | instid1(VALU_DEP_1)
	v_add_nc_u64_e32 v[50:51], v[4:5], v[50:51]
	v_add_nc_u64_e32 v[50:51], -1, v[50:51]
; %bb.17000:                            ;   in Loop: Header=BB4_16247 Depth=3
	s_or_b32 exec_lo, exec_lo, s75
	v_add_nc_u32_e32 v5, 0xffffff81, v17
	v_lshrrev_b32_e32 v17, 23, v4
	s_mov_b32 s13, exec_lo
	s_delay_alu instid0(VALU_DEP_2) | instskip(NEXT) | instid1(VALU_DEP_1)
	v_cndmask_b32_e64 v5, v5, 0xffffff82, vcc_lo
	v_add3_u32 v19, v19, v5, v17
	v_and_b32_e32 v5, 0x1fffff, v50
                                        ; implicit-def: $vgpr17
	s_delay_alu instid0(VALU_DEP_1) | instskip(SKIP_1) | instid1(VALU_DEP_2)
	v_dual_add_nc_u32 v21, 14, v19 :: v_dual_add_nc_u32 v4, v5, v4
	v_mov_b32_e32 v5, v3
	v_cmpx_ne_u32_e32 0, v21
	s_xor_b32 s13, exec_lo, s13
; %bb.17001:                            ;   in Loop: Header=BB4_16247 Depth=3
	s_delay_alu instid0(VALU_DEP_2) | instskip(SKIP_2) | instid1(VALU_DEP_2)
	v_cmp_lt_u64_e32 vcc_lo, 0xffffff, v[4:5]
	v_add_nc_u32_e32 v17, 15, v19
	v_cndmask_b32_e64 v19, 0, 1, vcc_lo
	v_cndmask_b32_e32 v17, v21, v17, vcc_lo
	s_delay_alu instid0(VALU_DEP_2)
	v_lshrrev_b64 v[4:5], v19, v[4:5]
; %bb.17002:                            ;   in Loop: Header=BB4_16247 Depth=3
	s_and_not1_saveexec_b32 s13, s13
; %bb.17003:                            ;   in Loop: Header=BB4_16247 Depth=3
	s_delay_alu instid0(VALU_DEP_1)
	v_bfe_u32 v17, v4, 23, 1
; %bb.17004:                            ;   in Loop: Header=BB4_16247 Depth=3
	s_or_b32 exec_lo, exec_lo, s13
	s_delay_alu instid0(VALU_DEP_2) | instskip(NEXT) | instid1(VALU_DEP_2)
	v_lshrrev_b64 v[4:5], 21, v[4:5]
	v_cmp_gt_i32_e32 vcc_lo, 32, v17
	v_cmp_ne_u32_e64 s13, 0, v17
                                        ; implicit-def: $vgpr101
	s_delay_alu instid0(VALU_DEP_3) | instskip(NEXT) | instid1(VALU_DEP_1)
	v_dual_cndmask_b32 v5, 0, v5 :: v_dual_cndmask_b32 v4, 3, v4
	v_cmp_ne_u64_e32 vcc_lo, 0, v[4:5]
	s_or_b32 s13, s13, vcc_lo
	s_delay_alu instid0(SALU_CYCLE_1) | instskip(NEXT) | instid1(SALU_CYCLE_1)
	s_and_saveexec_b32 s75, s13
	s_xor_b32 s13, exec_lo, s75
; %bb.17005:                            ;   in Loop: Header=BB4_16247 Depth=3
	v_min_i32_e32 v5, 31, v17
	s_delay_alu instid0(VALU_DEP_1) | instskip(NEXT) | instid1(VALU_DEP_1)
	v_lshl_or_b32 v5, v5, 2, v15
                                        ; implicit-def: $vgpr15
	v_and_or_b32 v101, v4, 3, v5
; %bb.17006:                            ;   in Loop: Header=BB4_16247 Depth=3
	s_and_not1_saveexec_b32 s13, s13
; %bb.17007:                            ;   in Loop: Header=BB4_16247 Depth=3
	v_mov_b32_e32 v101, v15
; %bb.17008:                            ;   in Loop: Header=BB4_16247 Depth=3
	s_or_b32 exec_lo, exec_lo, s13
.LBB4_17009:                            ;   in Loop: Header=BB4_16247 Depth=3
	s_delay_alu instid0(SALU_CYCLE_1)
	s_or_b32 exec_lo, exec_lo, s74
                                        ; implicit-def: $vgpr15
.LBB4_17010:                            ;   in Loop: Header=BB4_16247 Depth=3
	s_and_not1_saveexec_b32 s13, s15
; %bb.17011:                            ;   in Loop: Header=BB4_16247 Depth=3
	v_or_b32_e32 v101, 0x7b, v15
; %bb.17012:                            ;   in Loop: Header=BB4_16247 Depth=3
	s_or_b32 exec_lo, exec_lo, s13
                                        ; implicit-def: $vgpr17
                                        ; implicit-def: $vgpr4_vgpr5
.LBB4_17013:                            ;   in Loop: Header=BB4_16247 Depth=3
	s_and_not1_saveexec_b32 s13, s14
	s_cbranch_execz .LBB4_17019
; %bb.17014:                            ;   in Loop: Header=BB4_16247 Depth=3
	s_mov_b32 s14, exec_lo
                                        ; implicit-def: $vgpr101
	v_cmpx_ne_u64_e32 0, v[4:5]
	s_xor_b32 s14, exec_lo, s14
; %bb.17015:                            ;   in Loop: Header=BB4_16247 Depth=3
	v_lshrrev_b32_e32 v4, 24, v17
                                        ; implicit-def: $vgpr17
	s_delay_alu instid0(VALU_DEP_1)
	v_or_b32_e32 v101, 0x7f, v4
; %bb.17016:                            ;   in Loop: Header=BB4_16247 Depth=3
	s_and_not1_saveexec_b32 s14, s14
; %bb.17017:                            ;   in Loop: Header=BB4_16247 Depth=3
	v_cmp_lt_i32_e32 vcc_lo, -1, v17
	v_cndmask_b32_e64 v101, -4, 0x7c, vcc_lo
; %bb.17018:                            ;   in Loop: Header=BB4_16247 Depth=3
	s_or_b32 exec_lo, exec_lo, s14
.LBB4_17019:                            ;   in Loop: Header=BB4_16247 Depth=3
	s_delay_alu instid0(SALU_CYCLE_1) | instskip(SKIP_3) | instid1(VALU_DEP_2)
	s_or_b32 exec_lo, exec_lo, s13
	v_and_b32_e32 v17, 0xff, v78
	v_dual_mov_b32 v4, 0 :: v_dual_mov_b32 v5, 0
	s_mov_b32 s13, exec_lo
	v_cmpx_ne_u16_e32 0, v17
	s_cbranch_execz .LBB4_17029
; %bb.17020:                            ;   in Loop: Header=BB4_16247 Depth=3
	v_bfrev_b32_e32 v5, 1
	s_mov_b32 s14, exec_lo
	v_cmpx_ne_u16_e32 0x80, v17
	s_cbranch_execz .LBB4_17028
; %bb.17021:                            ;   in Loop: Header=BB4_16247 Depth=3
	v_and_b32_e32 v5, 0x7c, v78
	v_and_b32_e32 v15, 3, v78
	s_delay_alu instid0(VALU_DEP_2) | instskip(SKIP_1) | instid1(SALU_CYCLE_1)
	v_cmp_ne_u32_e32 vcc_lo, 0x7c, v5
                                        ; implicit-def: $vgpr5
	s_and_saveexec_b32 s15, vcc_lo
	s_xor_b32 s15, exec_lo, s15
	s_cbranch_execz .LBB4_17025
; %bb.17022:                            ;   in Loop: Header=BB4_16247 Depth=3
	v_bfe_u32 v5, v17, 2, 5
	s_mov_b32 s74, exec_lo
	s_delay_alu instid0(VALU_DEP_1)
	v_cmpx_eq_u32_e32 0, v5
	s_cbranch_execz .LBB4_17024
; %bb.17023:                            ;   in Loop: Header=BB4_16247 Depth=3
	v_clz_i32_u32_e32 v5, v15
	s_delay_alu instid0(VALU_DEP_1) | instskip(SKIP_1) | instid1(VALU_DEP_2)
	v_min_u32_e32 v5, 32, v5
	v_mov_b32_e32 v79, v3
	v_subrev_nc_u32_e32 v15, 29, v5
	v_sub_nc_u32_e32 v5, 30, v5
	s_delay_alu instid0(VALU_DEP_2) | instskip(NEXT) | instid1(VALU_DEP_1)
	v_lshlrev_b64_e32 v[50:51], v15, v[78:79]
	v_and_b32_e32 v15, 3, v50
.LBB4_17024:                            ;   in Loop: Header=BB4_16247 Depth=3
	s_or_b32 exec_lo, exec_lo, s74
	v_lshlrev_b32_e32 v17, 24, v78
                                        ; implicit-def: $vgpr78
	s_delay_alu instid0(VALU_DEP_1) | instskip(NEXT) | instid1(VALU_DEP_1)
	v_and_b32_e32 v17, 0x80000000, v17
	v_lshl_add_u32 v5, v5, 23, v17
	s_delay_alu instid0(VALU_DEP_1) | instskip(NEXT) | instid1(VALU_DEP_1)
	v_lshl_or_b32 v5, v15, 21, v5
                                        ; implicit-def: $vgpr15
	v_add_nc_u32_e32 v5, 0x38000000, v5
.LBB4_17025:                            ;   in Loop: Header=BB4_16247 Depth=3
	s_and_not1_saveexec_b32 s15, s15
; %bb.17026:                            ;   in Loop: Header=BB4_16247 Depth=3
	v_bfe_i32 v5, v78, 0, 8
	s_delay_alu instid0(VALU_DEP_1) | instskip(SKIP_2) | instid1(VALU_DEP_2)
	v_cmp_lt_i16_e32 vcc_lo, -1, v5
	v_cndmask_b32_e32 v5, 0xff800000, v48, vcc_lo
	v_cmp_eq_u32_e32 vcc_lo, 0, v15
	v_cndmask_b32_e32 v5, 0x7f800001, v5, vcc_lo
; %bb.17027:                            ;   in Loop: Header=BB4_16247 Depth=3
	s_or_b32 exec_lo, exec_lo, s15
.LBB4_17028:                            ;   in Loop: Header=BB4_16247 Depth=3
	s_delay_alu instid0(SALU_CYCLE_1)
	s_or_b32 exec_lo, exec_lo, s14
.LBB4_17029:                            ;   in Loop: Header=BB4_16247 Depth=3
	s_delay_alu instid0(SALU_CYCLE_1) | instskip(NEXT) | instid1(SALU_CYCLE_1)
	s_or_b32 exec_lo, exec_lo, s13
	s_mov_b32 s13, exec_lo
	s_wait_loadcnt_dscnt 0xa0a
	v_cmpx_ne_u16_e32 0, v64
	s_cbranch_execz .LBB4_17039
; %bb.17030:                            ;   in Loop: Header=BB4_16247 Depth=3
	v_bfrev_b32_e32 v4, 1
	s_mov_b32 s14, exec_lo
	v_cmpx_ne_u16_e32 0xff80, v64
	s_cbranch_execz .LBB4_17038
; %bb.17031:                            ;   in Loop: Header=BB4_16247 Depth=3
	v_and_b32_e32 v4, 0x7c, v64
	v_and_b32_e32 v15, 3, v64
	s_delay_alu instid0(VALU_DEP_2) | instskip(SKIP_1) | instid1(SALU_CYCLE_1)
	v_cmp_ne_u32_e32 vcc_lo, 0x7c, v4
                                        ; implicit-def: $vgpr4
	s_and_saveexec_b32 s15, vcc_lo
	s_xor_b32 s15, exec_lo, s15
	s_cbranch_execz .LBB4_17035
; %bb.17032:                            ;   in Loop: Header=BB4_16247 Depth=3
	v_and_b32_e32 v4, 0xff, v64
	s_mov_b32 s74, exec_lo
	s_delay_alu instid0(VALU_DEP_1) | instskip(NEXT) | instid1(VALU_DEP_1)
	v_bfe_u32 v4, v4, 2, 5
	v_cmpx_eq_u32_e32 0, v4
	s_cbranch_execz .LBB4_17034
; %bb.17033:                            ;   in Loop: Header=BB4_16247 Depth=3
	v_clz_i32_u32_e32 v4, v15
	s_delay_alu instid0(VALU_DEP_1) | instskip(SKIP_1) | instid1(VALU_DEP_2)
	v_min_u32_e32 v4, 32, v4
	v_mov_b32_e32 v65, v3
	v_subrev_nc_u32_e32 v15, 29, v4
	v_sub_nc_u32_e32 v4, 30, v4
	s_delay_alu instid0(VALU_DEP_2) | instskip(NEXT) | instid1(VALU_DEP_1)
	v_lshlrev_b64_e32 v[50:51], v15, v[64:65]
	v_and_b32_e32 v15, 3, v50
.LBB4_17034:                            ;   in Loop: Header=BB4_16247 Depth=3
	s_or_b32 exec_lo, exec_lo, s74
	v_bfe_i32 v17, v64, 0, 16
                                        ; implicit-def: $vgpr64
	s_delay_alu instid0(VALU_DEP_1) | instskip(NEXT) | instid1(VALU_DEP_1)
	v_and_b32_e32 v17, 0x80000000, v17
	v_lshl_add_u32 v4, v4, 23, v17
	s_delay_alu instid0(VALU_DEP_1) | instskip(NEXT) | instid1(VALU_DEP_1)
	v_lshl_or_b32 v4, v15, 21, v4
                                        ; implicit-def: $vgpr15
	v_add_nc_u32_e32 v4, 0x38000000, v4
.LBB4_17035:                            ;   in Loop: Header=BB4_16247 Depth=3
	s_and_not1_saveexec_b32 s15, s15
; %bb.17036:                            ;   in Loop: Header=BB4_16247 Depth=3
	v_cmp_lt_i16_e32 vcc_lo, -1, v64
	v_cndmask_b32_e32 v4, 0xff800000, v48, vcc_lo
	v_cmp_eq_u32_e32 vcc_lo, 0, v15
	s_delay_alu instid0(VALU_DEP_2)
	v_cndmask_b32_e32 v4, 0x7f800001, v4, vcc_lo
; %bb.17037:                            ;   in Loop: Header=BB4_16247 Depth=3
	s_or_b32 exec_lo, exec_lo, s15
.LBB4_17038:                            ;   in Loop: Header=BB4_16247 Depth=3
	s_delay_alu instid0(SALU_CYCLE_1)
	s_or_b32 exec_lo, exec_lo, s14
.LBB4_17039:                            ;   in Loop: Header=BB4_16247 Depth=3
	s_delay_alu instid0(SALU_CYCLE_1) | instskip(NEXT) | instid1(VALU_DEP_1)
	s_or_b32 exec_lo, exec_lo, s13
	v_dual_add_f32 v17, v5, v4 :: v_dual_mov_b32 v5, v3
                                        ; implicit-def: $vgpr50
	s_delay_alu instid0(VALU_DEP_1) | instskip(NEXT) | instid1(VALU_DEP_1)
	v_and_b32_e32 v4, 0x7f800000, v17
	v_cmp_ne_u64_e32 vcc_lo, 0x7f800000, v[4:5]
	v_and_b32_e32 v4, 0x7fffff, v17
	s_and_saveexec_b32 s13, vcc_lo
	s_delay_alu instid0(SALU_CYCLE_1)
	s_xor_b32 s14, exec_lo, s13
	s_cbranch_execz .LBB4_17057
; %bb.17040:                            ;   in Loop: Header=BB4_16247 Depth=3
	v_and_b32_e32 v50, 0x7fffffff, v17
	v_dual_mov_b32 v51, v3 :: v_dual_lshrrev_b32 v15, 24, v17
	s_delay_alu instid0(VALU_DEP_1) | instskip(NEXT) | instid1(VALU_DEP_2)
	v_cmp_gt_u64_e32 vcc_lo, 0x47600001, v[50:51]
	v_and_b32_e32 v15, 0x80, v15
                                        ; implicit-def: $vgpr50
	s_and_saveexec_b32 s13, vcc_lo
	s_delay_alu instid0(SALU_CYCLE_1)
	s_xor_b32 s15, exec_lo, s13
	s_cbranch_execz .LBB4_17054
; %bb.17041:                            ;   in Loop: Header=BB4_16247 Depth=3
	v_mov_b32_e32 v50, 0
	s_mov_b32 s74, exec_lo
	v_cmpx_ne_u32_e32 0, v17
	s_cbranch_execz .LBB4_17053
; %bb.17042:                            ;   in Loop: Header=BB4_16247 Depth=3
	v_bfe_u32 v17, v17, 23, 8
	v_or_b32_e32 v31, 0x800000, v4
	s_delay_alu instid0(VALU_DEP_2) | instskip(SKIP_1) | instid1(VALU_DEP_2)
	v_sub_nc_u32_e32 v19, 0x71, v17
	v_cmp_gt_u32_e32 vcc_lo, 0x72, v17
	v_cndmask_b32_e32 v19, 0, v19, vcc_lo
	v_cmp_eq_u32_e32 vcc_lo, 0, v17
	s_delay_alu instid0(VALU_DEP_2) | instskip(NEXT) | instid1(VALU_DEP_1)
	v_cndmask_b32_e64 v19, v19, 0x70, vcc_lo
	v_dual_cndmask_b32 v4, v31, v4 :: v_dual_add_nc_u32 v21, 21, v19
	s_delay_alu instid0(VALU_DEP_1) | instskip(SKIP_1) | instid1(VALU_DEP_1)
	v_lshlrev_b64_e64 v[50:51], v21, -1
	v_add_nc_u32_e32 v21, 20, v19
	v_lshlrev_b64_e64 v[64:65], v21, 1
	s_delay_alu instid0(VALU_DEP_3) | instskip(SKIP_2) | instid1(VALU_DEP_1)
	v_bfi_b32 v50, v50, 0, v4
	v_lshrrev_b64 v[4:5], v19, v[4:5]
	v_bfi_b32 v51, v51, 0, 0
	v_cmp_eq_u64_e64 s13, v[50:51], v[64:65]
	s_delay_alu instid0(VALU_DEP_3)
	v_mov_b64_e32 v[50:51], v[4:5]
	s_and_saveexec_b32 s75, s13
; %bb.17043:                            ;   in Loop: Header=BB4_16247 Depth=3
	v_bfe_u32 v50, v4, 21, 1
	v_mov_b32_e32 v51, v3
	s_delay_alu instid0(VALU_DEP_1) | instskip(NEXT) | instid1(VALU_DEP_1)
	v_add_nc_u64_e32 v[50:51], v[4:5], v[50:51]
	v_add_nc_u64_e32 v[50:51], -1, v[50:51]
; %bb.17044:                            ;   in Loop: Header=BB4_16247 Depth=3
	s_or_b32 exec_lo, exec_lo, s75
	v_add_nc_u32_e32 v5, 0xffffff81, v17
	v_lshrrev_b32_e32 v17, 23, v4
	s_mov_b32 s13, exec_lo
	s_delay_alu instid0(VALU_DEP_2) | instskip(NEXT) | instid1(VALU_DEP_1)
	v_cndmask_b32_e64 v5, v5, 0xffffff82, vcc_lo
	v_add3_u32 v19, v19, v5, v17
	v_and_b32_e32 v5, 0x1fffff, v50
                                        ; implicit-def: $vgpr17
	s_delay_alu instid0(VALU_DEP_1) | instskip(SKIP_1) | instid1(VALU_DEP_2)
	v_dual_add_nc_u32 v21, 14, v19 :: v_dual_add_nc_u32 v4, v5, v4
	v_mov_b32_e32 v5, v3
	v_cmpx_ne_u32_e32 0, v21
	s_xor_b32 s13, exec_lo, s13
; %bb.17045:                            ;   in Loop: Header=BB4_16247 Depth=3
	s_delay_alu instid0(VALU_DEP_2) | instskip(SKIP_2) | instid1(VALU_DEP_2)
	v_cmp_lt_u64_e32 vcc_lo, 0xffffff, v[4:5]
	v_add_nc_u32_e32 v17, 15, v19
	v_cndmask_b32_e64 v19, 0, 1, vcc_lo
	v_cndmask_b32_e32 v17, v21, v17, vcc_lo
	s_delay_alu instid0(VALU_DEP_2)
	v_lshrrev_b64 v[4:5], v19, v[4:5]
; %bb.17046:                            ;   in Loop: Header=BB4_16247 Depth=3
	s_and_not1_saveexec_b32 s13, s13
; %bb.17047:                            ;   in Loop: Header=BB4_16247 Depth=3
	s_delay_alu instid0(VALU_DEP_1)
	v_bfe_u32 v17, v4, 23, 1
; %bb.17048:                            ;   in Loop: Header=BB4_16247 Depth=3
	s_or_b32 exec_lo, exec_lo, s13
	s_delay_alu instid0(VALU_DEP_2) | instskip(NEXT) | instid1(VALU_DEP_2)
	v_lshrrev_b64 v[4:5], 21, v[4:5]
	v_cmp_gt_i32_e32 vcc_lo, 32, v17
	v_cmp_ne_u32_e64 s13, 0, v17
                                        ; implicit-def: $vgpr50
	s_delay_alu instid0(VALU_DEP_3) | instskip(NEXT) | instid1(VALU_DEP_1)
	v_dual_cndmask_b32 v5, 0, v5 :: v_dual_cndmask_b32 v4, 3, v4
	v_cmp_ne_u64_e32 vcc_lo, 0, v[4:5]
	s_or_b32 s13, s13, vcc_lo
	s_delay_alu instid0(SALU_CYCLE_1) | instskip(NEXT) | instid1(SALU_CYCLE_1)
	s_and_saveexec_b32 s75, s13
	s_xor_b32 s13, exec_lo, s75
; %bb.17049:                            ;   in Loop: Header=BB4_16247 Depth=3
	v_min_i32_e32 v5, 31, v17
	s_delay_alu instid0(VALU_DEP_1) | instskip(NEXT) | instid1(VALU_DEP_1)
	v_lshl_or_b32 v5, v5, 2, v15
                                        ; implicit-def: $vgpr15
	v_and_or_b32 v50, v4, 3, v5
; %bb.17050:                            ;   in Loop: Header=BB4_16247 Depth=3
	s_and_not1_saveexec_b32 s13, s13
; %bb.17051:                            ;   in Loop: Header=BB4_16247 Depth=3
	v_mov_b32_e32 v50, v15
; %bb.17052:                            ;   in Loop: Header=BB4_16247 Depth=3
	s_or_b32 exec_lo, exec_lo, s13
.LBB4_17053:                            ;   in Loop: Header=BB4_16247 Depth=3
	s_delay_alu instid0(SALU_CYCLE_1)
	s_or_b32 exec_lo, exec_lo, s74
                                        ; implicit-def: $vgpr15
.LBB4_17054:                            ;   in Loop: Header=BB4_16247 Depth=3
	s_and_not1_saveexec_b32 s13, s15
; %bb.17055:                            ;   in Loop: Header=BB4_16247 Depth=3
	v_or_b32_e32 v50, 0x7b, v15
; %bb.17056:                            ;   in Loop: Header=BB4_16247 Depth=3
	s_or_b32 exec_lo, exec_lo, s13
                                        ; implicit-def: $vgpr17
                                        ; implicit-def: $vgpr4_vgpr5
.LBB4_17057:                            ;   in Loop: Header=BB4_16247 Depth=3
	s_and_not1_saveexec_b32 s13, s14
	s_cbranch_execz .LBB4_17063
; %bb.17058:                            ;   in Loop: Header=BB4_16247 Depth=3
	s_mov_b32 s14, exec_lo
                                        ; implicit-def: $vgpr50
	v_cmpx_ne_u64_e32 0, v[4:5]
	s_xor_b32 s14, exec_lo, s14
; %bb.17059:                            ;   in Loop: Header=BB4_16247 Depth=3
	v_lshrrev_b32_e32 v4, 24, v17
                                        ; implicit-def: $vgpr17
	s_delay_alu instid0(VALU_DEP_1)
	v_or_b32_e32 v50, 0x7f, v4
; %bb.17060:                            ;   in Loop: Header=BB4_16247 Depth=3
	s_and_not1_saveexec_b32 s14, s14
; %bb.17061:                            ;   in Loop: Header=BB4_16247 Depth=3
	v_cmp_lt_i32_e32 vcc_lo, -1, v17
	v_cndmask_b32_e64 v50, -4, 0x7c, vcc_lo
; %bb.17062:                            ;   in Loop: Header=BB4_16247 Depth=3
	s_or_b32 exec_lo, exec_lo, s14
.LBB4_17063:                            ;   in Loop: Header=BB4_16247 Depth=3
	s_delay_alu instid0(SALU_CYCLE_1) | instskip(SKIP_3) | instid1(VALU_DEP_2)
	s_or_b32 exec_lo, exec_lo, s13
	v_and_b32_e32 v17, 0xff, v74
	v_dual_mov_b32 v4, 0 :: v_dual_mov_b32 v5, 0
	s_mov_b32 s13, exec_lo
	v_cmpx_ne_u16_e32 0, v17
	s_cbranch_execz .LBB4_17073
; %bb.17064:                            ;   in Loop: Header=BB4_16247 Depth=3
	v_bfrev_b32_e32 v5, 1
	s_mov_b32 s14, exec_lo
	v_cmpx_ne_u16_e32 0x80, v17
	s_cbranch_execz .LBB4_17072
; %bb.17065:                            ;   in Loop: Header=BB4_16247 Depth=3
	v_and_b32_e32 v5, 0x7c, v74
	v_and_b32_e32 v15, 3, v74
	s_delay_alu instid0(VALU_DEP_2) | instskip(SKIP_1) | instid1(SALU_CYCLE_1)
	v_cmp_ne_u32_e32 vcc_lo, 0x7c, v5
                                        ; implicit-def: $vgpr5
	s_and_saveexec_b32 s15, vcc_lo
	s_xor_b32 s15, exec_lo, s15
	s_cbranch_execz .LBB4_17069
; %bb.17066:                            ;   in Loop: Header=BB4_16247 Depth=3
	v_bfe_u32 v5, v17, 2, 5
	s_mov_b32 s74, exec_lo
	s_delay_alu instid0(VALU_DEP_1)
	v_cmpx_eq_u32_e32 0, v5
	s_cbranch_execz .LBB4_17068
; %bb.17067:                            ;   in Loop: Header=BB4_16247 Depth=3
	v_clz_i32_u32_e32 v5, v15
	s_delay_alu instid0(VALU_DEP_1) | instskip(SKIP_1) | instid1(VALU_DEP_2)
	v_min_u32_e32 v5, 32, v5
	v_mov_b32_e32 v75, v3
	v_subrev_nc_u32_e32 v15, 29, v5
	v_sub_nc_u32_e32 v5, 30, v5
	s_delay_alu instid0(VALU_DEP_2) | instskip(NEXT) | instid1(VALU_DEP_1)
	v_lshlrev_b64_e32 v[64:65], v15, v[74:75]
	v_and_b32_e32 v15, 3, v64
.LBB4_17068:                            ;   in Loop: Header=BB4_16247 Depth=3
	s_or_b32 exec_lo, exec_lo, s74
	v_lshlrev_b32_e32 v17, 24, v74
                                        ; implicit-def: $vgpr74
	s_delay_alu instid0(VALU_DEP_1) | instskip(NEXT) | instid1(VALU_DEP_1)
	v_and_b32_e32 v17, 0x80000000, v17
	v_lshl_add_u32 v5, v5, 23, v17
	s_delay_alu instid0(VALU_DEP_1) | instskip(NEXT) | instid1(VALU_DEP_1)
	v_lshl_or_b32 v5, v15, 21, v5
                                        ; implicit-def: $vgpr15
	v_add_nc_u32_e32 v5, 0x38000000, v5
.LBB4_17069:                            ;   in Loop: Header=BB4_16247 Depth=3
	s_and_not1_saveexec_b32 s15, s15
; %bb.17070:                            ;   in Loop: Header=BB4_16247 Depth=3
	v_bfe_i32 v5, v74, 0, 8
	s_delay_alu instid0(VALU_DEP_1) | instskip(SKIP_2) | instid1(VALU_DEP_2)
	v_cmp_lt_i16_e32 vcc_lo, -1, v5
	v_cndmask_b32_e32 v5, 0xff800000, v48, vcc_lo
	v_cmp_eq_u32_e32 vcc_lo, 0, v15
	v_cndmask_b32_e32 v5, 0x7f800001, v5, vcc_lo
; %bb.17071:                            ;   in Loop: Header=BB4_16247 Depth=3
	s_or_b32 exec_lo, exec_lo, s15
.LBB4_17072:                            ;   in Loop: Header=BB4_16247 Depth=3
	s_delay_alu instid0(SALU_CYCLE_1)
	s_or_b32 exec_lo, exec_lo, s14
.LBB4_17073:                            ;   in Loop: Header=BB4_16247 Depth=3
	s_delay_alu instid0(SALU_CYCLE_1) | instskip(NEXT) | instid1(SALU_CYCLE_1)
	s_or_b32 exec_lo, exec_lo, s13
	s_mov_b32 s13, exec_lo
	s_wait_loadcnt_dscnt 0x909
	v_cmpx_ne_u16_e32 0, v16
	s_cbranch_execz .LBB4_17083
; %bb.17074:                            ;   in Loop: Header=BB4_16247 Depth=3
	v_bfrev_b32_e32 v4, 1
	s_mov_b32 s14, exec_lo
	v_cmpx_ne_u16_e32 0xff80, v16
	s_cbranch_execz .LBB4_17082
; %bb.17075:                            ;   in Loop: Header=BB4_16247 Depth=3
	v_and_b32_e32 v4, 0x7c, v16
	v_and_b32_e32 v15, 3, v16
	s_delay_alu instid0(VALU_DEP_2) | instskip(SKIP_1) | instid1(SALU_CYCLE_1)
	v_cmp_ne_u32_e32 vcc_lo, 0x7c, v4
                                        ; implicit-def: $vgpr4
	s_and_saveexec_b32 s15, vcc_lo
	s_xor_b32 s15, exec_lo, s15
	s_cbranch_execz .LBB4_17079
; %bb.17076:                            ;   in Loop: Header=BB4_16247 Depth=3
	v_and_b32_e32 v4, 0xff, v16
	s_mov_b32 s74, exec_lo
	s_delay_alu instid0(VALU_DEP_1) | instskip(NEXT) | instid1(VALU_DEP_1)
	v_bfe_u32 v4, v4, 2, 5
	v_cmpx_eq_u32_e32 0, v4
	s_cbranch_execz .LBB4_17078
; %bb.17077:                            ;   in Loop: Header=BB4_16247 Depth=3
	v_clz_i32_u32_e32 v4, v15
	s_delay_alu instid0(VALU_DEP_1) | instskip(SKIP_1) | instid1(VALU_DEP_2)
	v_min_u32_e32 v4, 32, v4
	v_mov_b32_e32 v17, v3
	v_subrev_nc_u32_e32 v15, 29, v4
	v_sub_nc_u32_e32 v4, 30, v4
	s_delay_alu instid0(VALU_DEP_2) | instskip(NEXT) | instid1(VALU_DEP_1)
	v_lshlrev_b64_e32 v[64:65], v15, v[16:17]
	v_and_b32_e32 v15, 3, v64
.LBB4_17078:                            ;   in Loop: Header=BB4_16247 Depth=3
	s_or_b32 exec_lo, exec_lo, s74
	v_bfe_i32 v16, v16, 0, 16
	s_delay_alu instid0(VALU_DEP_1) | instskip(NEXT) | instid1(VALU_DEP_1)
	v_and_b32_e32 v16, 0x80000000, v16
	v_lshl_add_u32 v4, v4, 23, v16
                                        ; implicit-def: $vgpr16
	s_delay_alu instid0(VALU_DEP_1) | instskip(NEXT) | instid1(VALU_DEP_1)
	v_lshl_or_b32 v4, v15, 21, v4
                                        ; implicit-def: $vgpr15
	v_add_nc_u32_e32 v4, 0x38000000, v4
.LBB4_17079:                            ;   in Loop: Header=BB4_16247 Depth=3
	s_and_not1_saveexec_b32 s15, s15
; %bb.17080:                            ;   in Loop: Header=BB4_16247 Depth=3
	v_cmp_lt_i16_e32 vcc_lo, -1, v16
	v_cndmask_b32_e32 v4, 0xff800000, v48, vcc_lo
	v_cmp_eq_u32_e32 vcc_lo, 0, v15
	s_delay_alu instid0(VALU_DEP_2)
	v_cndmask_b32_e32 v4, 0x7f800001, v4, vcc_lo
; %bb.17081:                            ;   in Loop: Header=BB4_16247 Depth=3
	s_or_b32 exec_lo, exec_lo, s15
.LBB4_17082:                            ;   in Loop: Header=BB4_16247 Depth=3
	s_delay_alu instid0(SALU_CYCLE_1)
	s_or_b32 exec_lo, exec_lo, s14
.LBB4_17083:                            ;   in Loop: Header=BB4_16247 Depth=3
	s_delay_alu instid0(SALU_CYCLE_1) | instskip(NEXT) | instid1(VALU_DEP_1)
	s_or_b32 exec_lo, exec_lo, s13
	v_dual_add_f32 v16, v5, v4 :: v_dual_mov_b32 v5, v3
                                        ; implicit-def: $vgpr51
	s_delay_alu instid0(VALU_DEP_1) | instskip(NEXT) | instid1(VALU_DEP_1)
	v_and_b32_e32 v4, 0x7f800000, v16
	v_cmp_ne_u64_e32 vcc_lo, 0x7f800000, v[4:5]
	v_and_b32_e32 v4, 0x7fffff, v16
	s_and_saveexec_b32 s13, vcc_lo
	s_delay_alu instid0(SALU_CYCLE_1)
	s_xor_b32 s14, exec_lo, s13
	s_cbranch_execz .LBB4_17101
; %bb.17084:                            ;   in Loop: Header=BB4_16247 Depth=3
	v_dual_mov_b32 v65, v3 :: v_dual_lshrrev_b32 v15, 24, v16
	v_and_b32_e32 v64, 0x7fffffff, v16
                                        ; implicit-def: $vgpr51
	s_mov_b32 s13, exec_lo
	s_delay_alu instid0(VALU_DEP_2) | instskip(NEXT) | instid1(VALU_DEP_2)
	v_and_b32_e32 v15, 0x80, v15
	v_cmpx_gt_u64_e32 0x47600001, v[64:65]
	s_xor_b32 s15, exec_lo, s13
	s_cbranch_execz .LBB4_17098
; %bb.17085:                            ;   in Loop: Header=BB4_16247 Depth=3
	v_mov_b32_e32 v51, 0
	s_mov_b32 s74, exec_lo
	v_cmpx_ne_u32_e32 0, v16
	s_cbranch_execz .LBB4_17097
; %bb.17086:                            ;   in Loop: Header=BB4_16247 Depth=3
	v_bfe_u32 v19, v16, 23, 8
	v_or_b32_e32 v31, 0x800000, v4
	s_delay_alu instid0(VALU_DEP_2) | instskip(SKIP_1) | instid1(VALU_DEP_2)
	v_sub_nc_u32_e32 v16, 0x71, v19
	v_cmp_gt_u32_e32 vcc_lo, 0x72, v19
	v_cndmask_b32_e32 v16, 0, v16, vcc_lo
	v_cmp_eq_u32_e32 vcc_lo, 0, v19
	s_delay_alu instid0(VALU_DEP_2) | instskip(NEXT) | instid1(VALU_DEP_1)
	v_cndmask_b32_e64 v21, v16, 0x70, vcc_lo
	v_dual_cndmask_b32 v4, v31, v4, vcc_lo :: v_dual_add_nc_u32 v16, 21, v21
	v_add_nc_u32_e32 v51, 20, v21
	s_delay_alu instid0(VALU_DEP_2) | instskip(NEXT) | instid1(VALU_DEP_2)
	v_lshlrev_b64_e64 v[16:17], v16, -1
	v_lshlrev_b64_e64 v[64:65], v51, 1
	s_delay_alu instid0(VALU_DEP_2) | instskip(SKIP_1) | instid1(VALU_DEP_4)
	v_bfi_b32 v16, v16, 0, v4
	v_lshrrev_b64 v[4:5], v21, v[4:5]
	v_bfi_b32 v17, v17, 0, 0
	s_delay_alu instid0(VALU_DEP_1) | instskip(NEXT) | instid1(VALU_DEP_3)
	v_cmp_eq_u64_e64 s13, v[16:17], v[64:65]
	v_mov_b64_e32 v[16:17], v[4:5]
	s_and_saveexec_b32 s75, s13
; %bb.17087:                            ;   in Loop: Header=BB4_16247 Depth=3
	v_bfe_u32 v16, v4, 21, 1
	v_mov_b32_e32 v17, v3
	s_delay_alu instid0(VALU_DEP_1) | instskip(NEXT) | instid1(VALU_DEP_1)
	v_add_nc_u64_e32 v[16:17], v[4:5], v[16:17]
	v_add_nc_u64_e32 v[16:17], -1, v[16:17]
; %bb.17088:                            ;   in Loop: Header=BB4_16247 Depth=3
	s_or_b32 exec_lo, exec_lo, s75
	v_add_nc_u32_e32 v5, 0xffffff81, v19
	v_lshrrev_b32_e32 v17, 23, v4
	s_mov_b32 s13, exec_lo
	s_delay_alu instid0(VALU_DEP_2) | instskip(NEXT) | instid1(VALU_DEP_1)
	v_cndmask_b32_e64 v5, v5, 0xffffff82, vcc_lo
	v_add3_u32 v17, v21, v5, v17
	v_and_b32_e32 v5, 0x1fffff, v16
                                        ; implicit-def: $vgpr16
	s_delay_alu instid0(VALU_DEP_1) | instskip(SKIP_1) | instid1(VALU_DEP_2)
	v_dual_add_nc_u32 v19, 14, v17 :: v_dual_add_nc_u32 v4, v5, v4
	v_mov_b32_e32 v5, v3
	v_cmpx_ne_u32_e32 0, v19
	s_xor_b32 s13, exec_lo, s13
; %bb.17089:                            ;   in Loop: Header=BB4_16247 Depth=3
	s_delay_alu instid0(VALU_DEP_2) | instskip(SKIP_2) | instid1(VALU_DEP_2)
	v_cmp_lt_u64_e32 vcc_lo, 0xffffff, v[4:5]
	v_add_nc_u32_e32 v16, 15, v17
	v_cndmask_b32_e64 v17, 0, 1, vcc_lo
	v_cndmask_b32_e32 v16, v19, v16, vcc_lo
	s_delay_alu instid0(VALU_DEP_2)
	v_lshrrev_b64 v[4:5], v17, v[4:5]
; %bb.17090:                            ;   in Loop: Header=BB4_16247 Depth=3
	s_and_not1_saveexec_b32 s13, s13
; %bb.17091:                            ;   in Loop: Header=BB4_16247 Depth=3
	s_delay_alu instid0(VALU_DEP_1)
	v_bfe_u32 v16, v4, 23, 1
; %bb.17092:                            ;   in Loop: Header=BB4_16247 Depth=3
	s_or_b32 exec_lo, exec_lo, s13
	s_delay_alu instid0(VALU_DEP_2) | instskip(NEXT) | instid1(VALU_DEP_2)
	v_lshrrev_b64 v[4:5], 21, v[4:5]
	v_cmp_gt_i32_e32 vcc_lo, 32, v16
	v_cmp_ne_u32_e64 s13, 0, v16
                                        ; implicit-def: $vgpr51
	s_delay_alu instid0(VALU_DEP_3) | instskip(NEXT) | instid1(VALU_DEP_1)
	v_dual_cndmask_b32 v5, 0, v5 :: v_dual_cndmask_b32 v4, 3, v4
	v_cmp_ne_u64_e32 vcc_lo, 0, v[4:5]
	s_or_b32 s13, s13, vcc_lo
	s_delay_alu instid0(SALU_CYCLE_1) | instskip(NEXT) | instid1(SALU_CYCLE_1)
	s_and_saveexec_b32 s75, s13
	s_xor_b32 s13, exec_lo, s75
; %bb.17093:                            ;   in Loop: Header=BB4_16247 Depth=3
	v_min_i32_e32 v5, 31, v16
	s_delay_alu instid0(VALU_DEP_1) | instskip(NEXT) | instid1(VALU_DEP_1)
	v_lshl_or_b32 v5, v5, 2, v15
                                        ; implicit-def: $vgpr15
	v_and_or_b32 v51, v4, 3, v5
; %bb.17094:                            ;   in Loop: Header=BB4_16247 Depth=3
	s_and_not1_saveexec_b32 s13, s13
; %bb.17095:                            ;   in Loop: Header=BB4_16247 Depth=3
	v_mov_b32_e32 v51, v15
; %bb.17096:                            ;   in Loop: Header=BB4_16247 Depth=3
	s_or_b32 exec_lo, exec_lo, s13
.LBB4_17097:                            ;   in Loop: Header=BB4_16247 Depth=3
	s_delay_alu instid0(SALU_CYCLE_1)
	s_or_b32 exec_lo, exec_lo, s74
                                        ; implicit-def: $vgpr15
.LBB4_17098:                            ;   in Loop: Header=BB4_16247 Depth=3
	s_and_not1_saveexec_b32 s13, s15
; %bb.17099:                            ;   in Loop: Header=BB4_16247 Depth=3
	v_or_b32_e32 v51, 0x7b, v15
; %bb.17100:                            ;   in Loop: Header=BB4_16247 Depth=3
	s_or_b32 exec_lo, exec_lo, s13
                                        ; implicit-def: $vgpr16
                                        ; implicit-def: $vgpr4_vgpr5
.LBB4_17101:                            ;   in Loop: Header=BB4_16247 Depth=3
	s_and_not1_saveexec_b32 s13, s14
	s_cbranch_execz .LBB4_17107
; %bb.17102:                            ;   in Loop: Header=BB4_16247 Depth=3
	s_mov_b32 s14, exec_lo
                                        ; implicit-def: $vgpr51
	v_cmpx_ne_u64_e32 0, v[4:5]
	s_xor_b32 s14, exec_lo, s14
; %bb.17103:                            ;   in Loop: Header=BB4_16247 Depth=3
	v_lshrrev_b32_e32 v4, 24, v16
                                        ; implicit-def: $vgpr16
	s_delay_alu instid0(VALU_DEP_1)
	v_or_b32_e32 v51, 0x7f, v4
; %bb.17104:                            ;   in Loop: Header=BB4_16247 Depth=3
	s_and_not1_saveexec_b32 s14, s14
; %bb.17105:                            ;   in Loop: Header=BB4_16247 Depth=3
	v_cmp_lt_i32_e32 vcc_lo, -1, v16
	v_cndmask_b32_e64 v51, -4, 0x7c, vcc_lo
; %bb.17106:                            ;   in Loop: Header=BB4_16247 Depth=3
	s_or_b32 exec_lo, exec_lo, s14
.LBB4_17107:                            ;   in Loop: Header=BB4_16247 Depth=3
	s_delay_alu instid0(SALU_CYCLE_1) | instskip(SKIP_3) | instid1(VALU_DEP_2)
	s_or_b32 exec_lo, exec_lo, s13
	v_and_b32_e32 v16, 0xff, v72
	v_dual_mov_b32 v4, 0 :: v_dual_mov_b32 v5, 0
	s_mov_b32 s13, exec_lo
	v_cmpx_ne_u16_e32 0, v16
	s_cbranch_execz .LBB4_17117
; %bb.17108:                            ;   in Loop: Header=BB4_16247 Depth=3
	v_bfrev_b32_e32 v5, 1
	s_mov_b32 s14, exec_lo
	v_cmpx_ne_u16_e32 0x80, v16
	s_cbranch_execz .LBB4_17116
; %bb.17109:                            ;   in Loop: Header=BB4_16247 Depth=3
	v_and_b32_e32 v5, 0x7c, v72
	v_and_b32_e32 v15, 3, v72
	s_delay_alu instid0(VALU_DEP_2) | instskip(SKIP_1) | instid1(SALU_CYCLE_1)
	v_cmp_ne_u32_e32 vcc_lo, 0x7c, v5
                                        ; implicit-def: $vgpr5
	s_and_saveexec_b32 s15, vcc_lo
	s_xor_b32 s15, exec_lo, s15
	s_cbranch_execz .LBB4_17113
; %bb.17110:                            ;   in Loop: Header=BB4_16247 Depth=3
	v_bfe_u32 v5, v16, 2, 5
	s_mov_b32 s74, exec_lo
	s_delay_alu instid0(VALU_DEP_1)
	v_cmpx_eq_u32_e32 0, v5
	s_cbranch_execz .LBB4_17112
; %bb.17111:                            ;   in Loop: Header=BB4_16247 Depth=3
	v_clz_i32_u32_e32 v5, v15
	s_delay_alu instid0(VALU_DEP_1) | instskip(SKIP_1) | instid1(VALU_DEP_2)
	v_min_u32_e32 v5, 32, v5
	v_mov_b32_e32 v73, v3
	v_subrev_nc_u32_e32 v15, 29, v5
	v_sub_nc_u32_e32 v5, 30, v5
	s_delay_alu instid0(VALU_DEP_2) | instskip(NEXT) | instid1(VALU_DEP_1)
	v_lshlrev_b64_e32 v[16:17], v15, v[72:73]
	v_and_b32_e32 v15, 3, v16
.LBB4_17112:                            ;   in Loop: Header=BB4_16247 Depth=3
	s_or_b32 exec_lo, exec_lo, s74
	v_lshlrev_b32_e32 v16, 24, v72
                                        ; implicit-def: $vgpr72
	s_delay_alu instid0(VALU_DEP_1) | instskip(NEXT) | instid1(VALU_DEP_1)
	v_and_b32_e32 v16, 0x80000000, v16
	v_lshl_add_u32 v5, v5, 23, v16
	s_delay_alu instid0(VALU_DEP_1) | instskip(NEXT) | instid1(VALU_DEP_1)
	v_lshl_or_b32 v5, v15, 21, v5
                                        ; implicit-def: $vgpr15
	v_add_nc_u32_e32 v5, 0x38000000, v5
.LBB4_17113:                            ;   in Loop: Header=BB4_16247 Depth=3
	s_and_not1_saveexec_b32 s15, s15
; %bb.17114:                            ;   in Loop: Header=BB4_16247 Depth=3
	v_bfe_i32 v5, v72, 0, 8
	s_delay_alu instid0(VALU_DEP_1) | instskip(SKIP_2) | instid1(VALU_DEP_2)
	v_cmp_lt_i16_e32 vcc_lo, -1, v5
	v_cndmask_b32_e32 v5, 0xff800000, v48, vcc_lo
	v_cmp_eq_u32_e32 vcc_lo, 0, v15
	v_cndmask_b32_e32 v5, 0x7f800001, v5, vcc_lo
; %bb.17115:                            ;   in Loop: Header=BB4_16247 Depth=3
	s_or_b32 exec_lo, exec_lo, s15
.LBB4_17116:                            ;   in Loop: Header=BB4_16247 Depth=3
	s_delay_alu instid0(SALU_CYCLE_1)
	s_or_b32 exec_lo, exec_lo, s14
.LBB4_17117:                            ;   in Loop: Header=BB4_16247 Depth=3
	s_delay_alu instid0(SALU_CYCLE_1) | instskip(NEXT) | instid1(SALU_CYCLE_1)
	s_or_b32 exec_lo, exec_lo, s13
	s_mov_b32 s13, exec_lo
	s_wait_loadcnt_dscnt 0x808
	v_cmpx_ne_u16_e32 0, v30
	s_cbranch_execz .LBB4_17127
; %bb.17118:                            ;   in Loop: Header=BB4_16247 Depth=3
	v_bfrev_b32_e32 v4, 1
	s_mov_b32 s14, exec_lo
	v_cmpx_ne_u16_e32 0xff80, v30
	s_cbranch_execz .LBB4_17126
; %bb.17119:                            ;   in Loop: Header=BB4_16247 Depth=3
	v_and_b32_e32 v4, 0x7c, v30
	v_and_b32_e32 v15, 3, v30
	s_delay_alu instid0(VALU_DEP_2) | instskip(SKIP_1) | instid1(SALU_CYCLE_1)
	v_cmp_ne_u32_e32 vcc_lo, 0x7c, v4
                                        ; implicit-def: $vgpr4
	s_and_saveexec_b32 s15, vcc_lo
	s_xor_b32 s15, exec_lo, s15
	s_cbranch_execz .LBB4_17123
; %bb.17120:                            ;   in Loop: Header=BB4_16247 Depth=3
	v_and_b32_e32 v4, 0xff, v30
	s_mov_b32 s74, exec_lo
	s_delay_alu instid0(VALU_DEP_1) | instskip(NEXT) | instid1(VALU_DEP_1)
	v_bfe_u32 v4, v4, 2, 5
	v_cmpx_eq_u32_e32 0, v4
	s_cbranch_execz .LBB4_17122
; %bb.17121:                            ;   in Loop: Header=BB4_16247 Depth=3
	v_clz_i32_u32_e32 v4, v15
	s_delay_alu instid0(VALU_DEP_1) | instskip(SKIP_1) | instid1(VALU_DEP_2)
	v_min_u32_e32 v4, 32, v4
	v_mov_b32_e32 v31, v3
	v_subrev_nc_u32_e32 v15, 29, v4
	v_sub_nc_u32_e32 v4, 30, v4
	s_delay_alu instid0(VALU_DEP_2) | instskip(NEXT) | instid1(VALU_DEP_1)
	v_lshlrev_b64_e32 v[16:17], v15, v[30:31]
	v_and_b32_e32 v15, 3, v16
.LBB4_17122:                            ;   in Loop: Header=BB4_16247 Depth=3
	s_or_b32 exec_lo, exec_lo, s74
	v_bfe_i32 v16, v30, 0, 16
                                        ; implicit-def: $vgpr30
	s_delay_alu instid0(VALU_DEP_1) | instskip(NEXT) | instid1(VALU_DEP_1)
	v_and_b32_e32 v16, 0x80000000, v16
	v_lshl_add_u32 v4, v4, 23, v16
	s_delay_alu instid0(VALU_DEP_1) | instskip(NEXT) | instid1(VALU_DEP_1)
	v_lshl_or_b32 v4, v15, 21, v4
                                        ; implicit-def: $vgpr15
	v_add_nc_u32_e32 v4, 0x38000000, v4
.LBB4_17123:                            ;   in Loop: Header=BB4_16247 Depth=3
	s_and_not1_saveexec_b32 s15, s15
; %bb.17124:                            ;   in Loop: Header=BB4_16247 Depth=3
	v_cmp_lt_i16_e32 vcc_lo, -1, v30
	v_cndmask_b32_e32 v4, 0xff800000, v48, vcc_lo
	v_cmp_eq_u32_e32 vcc_lo, 0, v15
	s_delay_alu instid0(VALU_DEP_2)
	v_cndmask_b32_e32 v4, 0x7f800001, v4, vcc_lo
; %bb.17125:                            ;   in Loop: Header=BB4_16247 Depth=3
	s_or_b32 exec_lo, exec_lo, s15
.LBB4_17126:                            ;   in Loop: Header=BB4_16247 Depth=3
	s_delay_alu instid0(SALU_CYCLE_1)
	s_or_b32 exec_lo, exec_lo, s14
.LBB4_17127:                            ;   in Loop: Header=BB4_16247 Depth=3
	s_delay_alu instid0(SALU_CYCLE_1) | instskip(NEXT) | instid1(VALU_DEP_1)
	s_or_b32 exec_lo, exec_lo, s13
	v_dual_add_f32 v16, v5, v4 :: v_dual_mov_b32 v5, v3
                                        ; implicit-def: $vgpr30
	s_delay_alu instid0(VALU_DEP_1) | instskip(NEXT) | instid1(VALU_DEP_1)
	v_and_b32_e32 v4, 0x7f800000, v16
	v_cmp_ne_u64_e32 vcc_lo, 0x7f800000, v[4:5]
	v_and_b32_e32 v4, 0x7fffff, v16
	s_and_saveexec_b32 s13, vcc_lo
	s_delay_alu instid0(SALU_CYCLE_1)
	s_xor_b32 s14, exec_lo, s13
	s_cbranch_execz .LBB4_17145
; %bb.17128:                            ;   in Loop: Header=BB4_16247 Depth=3
	v_and_b32_e32 v30, 0x7fffffff, v16
	v_dual_mov_b32 v31, v3 :: v_dual_lshrrev_b32 v15, 24, v16
	s_delay_alu instid0(VALU_DEP_1) | instskip(NEXT) | instid1(VALU_DEP_2)
	v_cmp_gt_u64_e32 vcc_lo, 0x47600001, v[30:31]
	v_and_b32_e32 v15, 0x80, v15
                                        ; implicit-def: $vgpr30
	s_and_saveexec_b32 s13, vcc_lo
	s_delay_alu instid0(SALU_CYCLE_1)
	s_xor_b32 s15, exec_lo, s13
	s_cbranch_execz .LBB4_17142
; %bb.17129:                            ;   in Loop: Header=BB4_16247 Depth=3
	v_mov_b32_e32 v30, 0
	s_mov_b32 s74, exec_lo
	v_cmpx_ne_u32_e32 0, v16
	s_cbranch_execz .LBB4_17141
; %bb.17130:                            ;   in Loop: Header=BB4_16247 Depth=3
	v_bfe_u32 v19, v16, 23, 8
	v_or_b32_e32 v30, 0x800000, v4
	s_delay_alu instid0(VALU_DEP_2) | instskip(SKIP_1) | instid1(VALU_DEP_2)
	v_sub_nc_u32_e32 v16, 0x71, v19
	v_cmp_gt_u32_e32 vcc_lo, 0x72, v19
	v_cndmask_b32_e32 v16, 0, v16, vcc_lo
	v_cmp_eq_u32_e32 vcc_lo, 0, v19
	s_delay_alu instid0(VALU_DEP_2) | instskip(NEXT) | instid1(VALU_DEP_1)
	v_cndmask_b32_e64 v21, v16, 0x70, vcc_lo
	v_dual_cndmask_b32 v4, v30, v4, vcc_lo :: v_dual_add_nc_u32 v16, 21, v21
	v_add_nc_u32_e32 v31, 20, v21
	s_delay_alu instid0(VALU_DEP_2) | instskip(NEXT) | instid1(VALU_DEP_2)
	v_lshlrev_b64_e64 v[16:17], v16, -1
	v_lshlrev_b64_e64 v[30:31], v31, 1
	s_delay_alu instid0(VALU_DEP_2) | instskip(SKIP_1) | instid1(VALU_DEP_4)
	v_bfi_b32 v16, v16, 0, v4
	v_lshrrev_b64 v[4:5], v21, v[4:5]
	v_bfi_b32 v17, v17, 0, 0
	s_delay_alu instid0(VALU_DEP_1) | instskip(NEXT) | instid1(VALU_DEP_3)
	v_cmp_eq_u64_e64 s13, v[16:17], v[30:31]
	v_mov_b64_e32 v[16:17], v[4:5]
	s_and_saveexec_b32 s75, s13
; %bb.17131:                            ;   in Loop: Header=BB4_16247 Depth=3
	v_bfe_u32 v16, v4, 21, 1
	v_mov_b32_e32 v17, v3
	s_delay_alu instid0(VALU_DEP_1) | instskip(NEXT) | instid1(VALU_DEP_1)
	v_add_nc_u64_e32 v[16:17], v[4:5], v[16:17]
	v_add_nc_u64_e32 v[16:17], -1, v[16:17]
; %bb.17132:                            ;   in Loop: Header=BB4_16247 Depth=3
	s_or_b32 exec_lo, exec_lo, s75
	v_add_nc_u32_e32 v5, 0xffffff81, v19
	v_lshrrev_b32_e32 v17, 23, v4
	s_mov_b32 s13, exec_lo
	s_delay_alu instid0(VALU_DEP_2) | instskip(NEXT) | instid1(VALU_DEP_1)
	v_cndmask_b32_e64 v5, v5, 0xffffff82, vcc_lo
	v_add3_u32 v17, v21, v5, v17
	v_and_b32_e32 v5, 0x1fffff, v16
                                        ; implicit-def: $vgpr16
	s_delay_alu instid0(VALU_DEP_1) | instskip(SKIP_1) | instid1(VALU_DEP_2)
	v_dual_add_nc_u32 v19, 14, v17 :: v_dual_add_nc_u32 v4, v5, v4
	v_mov_b32_e32 v5, v3
	v_cmpx_ne_u32_e32 0, v19
	s_xor_b32 s13, exec_lo, s13
; %bb.17133:                            ;   in Loop: Header=BB4_16247 Depth=3
	s_delay_alu instid0(VALU_DEP_2) | instskip(SKIP_2) | instid1(VALU_DEP_2)
	v_cmp_lt_u64_e32 vcc_lo, 0xffffff, v[4:5]
	v_add_nc_u32_e32 v16, 15, v17
	v_cndmask_b32_e64 v17, 0, 1, vcc_lo
	v_cndmask_b32_e32 v16, v19, v16, vcc_lo
	s_delay_alu instid0(VALU_DEP_2)
	v_lshrrev_b64 v[4:5], v17, v[4:5]
; %bb.17134:                            ;   in Loop: Header=BB4_16247 Depth=3
	s_and_not1_saveexec_b32 s13, s13
; %bb.17135:                            ;   in Loop: Header=BB4_16247 Depth=3
	s_delay_alu instid0(VALU_DEP_1)
	v_bfe_u32 v16, v4, 23, 1
; %bb.17136:                            ;   in Loop: Header=BB4_16247 Depth=3
	s_or_b32 exec_lo, exec_lo, s13
	s_delay_alu instid0(VALU_DEP_2) | instskip(NEXT) | instid1(VALU_DEP_2)
	v_lshrrev_b64 v[4:5], 21, v[4:5]
	v_cmp_gt_i32_e32 vcc_lo, 32, v16
	v_cmp_ne_u32_e64 s13, 0, v16
                                        ; implicit-def: $vgpr30
	s_delay_alu instid0(VALU_DEP_3) | instskip(NEXT) | instid1(VALU_DEP_1)
	v_dual_cndmask_b32 v5, 0, v5 :: v_dual_cndmask_b32 v4, 3, v4
	v_cmp_ne_u64_e32 vcc_lo, 0, v[4:5]
	s_or_b32 s13, s13, vcc_lo
	s_delay_alu instid0(SALU_CYCLE_1) | instskip(NEXT) | instid1(SALU_CYCLE_1)
	s_and_saveexec_b32 s75, s13
	s_xor_b32 s13, exec_lo, s75
; %bb.17137:                            ;   in Loop: Header=BB4_16247 Depth=3
	v_min_i32_e32 v5, 31, v16
	s_delay_alu instid0(VALU_DEP_1) | instskip(NEXT) | instid1(VALU_DEP_1)
	v_lshl_or_b32 v5, v5, 2, v15
                                        ; implicit-def: $vgpr15
	v_and_or_b32 v30, v4, 3, v5
; %bb.17138:                            ;   in Loop: Header=BB4_16247 Depth=3
	s_and_not1_saveexec_b32 s13, s13
; %bb.17139:                            ;   in Loop: Header=BB4_16247 Depth=3
	v_mov_b32_e32 v30, v15
; %bb.17140:                            ;   in Loop: Header=BB4_16247 Depth=3
	s_or_b32 exec_lo, exec_lo, s13
.LBB4_17141:                            ;   in Loop: Header=BB4_16247 Depth=3
	s_delay_alu instid0(SALU_CYCLE_1)
	s_or_b32 exec_lo, exec_lo, s74
                                        ; implicit-def: $vgpr15
.LBB4_17142:                            ;   in Loop: Header=BB4_16247 Depth=3
	s_and_not1_saveexec_b32 s13, s15
; %bb.17143:                            ;   in Loop: Header=BB4_16247 Depth=3
	v_or_b32_e32 v30, 0x7b, v15
; %bb.17144:                            ;   in Loop: Header=BB4_16247 Depth=3
	s_or_b32 exec_lo, exec_lo, s13
                                        ; implicit-def: $vgpr16
                                        ; implicit-def: $vgpr4_vgpr5
.LBB4_17145:                            ;   in Loop: Header=BB4_16247 Depth=3
	s_and_not1_saveexec_b32 s13, s14
	s_cbranch_execz .LBB4_17151
; %bb.17146:                            ;   in Loop: Header=BB4_16247 Depth=3
	s_mov_b32 s14, exec_lo
                                        ; implicit-def: $vgpr30
	v_cmpx_ne_u64_e32 0, v[4:5]
	s_xor_b32 s14, exec_lo, s14
; %bb.17147:                            ;   in Loop: Header=BB4_16247 Depth=3
	v_lshrrev_b32_e32 v4, 24, v16
                                        ; implicit-def: $vgpr16
	s_delay_alu instid0(VALU_DEP_1)
	v_or_b32_e32 v30, 0x7f, v4
; %bb.17148:                            ;   in Loop: Header=BB4_16247 Depth=3
	s_and_not1_saveexec_b32 s14, s14
; %bb.17149:                            ;   in Loop: Header=BB4_16247 Depth=3
	v_cmp_lt_i32_e32 vcc_lo, -1, v16
	v_cndmask_b32_e64 v30, -4, 0x7c, vcc_lo
; %bb.17150:                            ;   in Loop: Header=BB4_16247 Depth=3
	s_or_b32 exec_lo, exec_lo, s14
.LBB4_17151:                            ;   in Loop: Header=BB4_16247 Depth=3
	s_delay_alu instid0(SALU_CYCLE_1) | instskip(SKIP_3) | instid1(VALU_DEP_2)
	s_or_b32 exec_lo, exec_lo, s13
	v_and_b32_e32 v16, 0xff, v62
	v_dual_mov_b32 v4, 0 :: v_dual_mov_b32 v5, 0
	s_mov_b32 s13, exec_lo
	v_cmpx_ne_u16_e32 0, v16
	s_cbranch_execz .LBB4_17161
; %bb.17152:                            ;   in Loop: Header=BB4_16247 Depth=3
	v_bfrev_b32_e32 v5, 1
	s_mov_b32 s14, exec_lo
	v_cmpx_ne_u16_e32 0x80, v16
	s_cbranch_execz .LBB4_17160
; %bb.17153:                            ;   in Loop: Header=BB4_16247 Depth=3
	v_and_b32_e32 v5, 0x7c, v62
	v_and_b32_e32 v15, 3, v62
	s_delay_alu instid0(VALU_DEP_2) | instskip(SKIP_1) | instid1(SALU_CYCLE_1)
	v_cmp_ne_u32_e32 vcc_lo, 0x7c, v5
                                        ; implicit-def: $vgpr5
	s_and_saveexec_b32 s15, vcc_lo
	s_xor_b32 s15, exec_lo, s15
	s_cbranch_execz .LBB4_17157
; %bb.17154:                            ;   in Loop: Header=BB4_16247 Depth=3
	v_bfe_u32 v5, v16, 2, 5
	s_mov_b32 s74, exec_lo
	s_delay_alu instid0(VALU_DEP_1)
	v_cmpx_eq_u32_e32 0, v5
	s_cbranch_execz .LBB4_17156
; %bb.17155:                            ;   in Loop: Header=BB4_16247 Depth=3
	v_clz_i32_u32_e32 v5, v15
	s_delay_alu instid0(VALU_DEP_1) | instskip(SKIP_1) | instid1(VALU_DEP_2)
	v_min_u32_e32 v5, 32, v5
	v_mov_b32_e32 v63, v3
	v_subrev_nc_u32_e32 v15, 29, v5
	v_sub_nc_u32_e32 v5, 30, v5
	s_delay_alu instid0(VALU_DEP_2) | instskip(NEXT) | instid1(VALU_DEP_1)
	v_lshlrev_b64_e32 v[16:17], v15, v[62:63]
	v_and_b32_e32 v15, 3, v16
.LBB4_17156:                            ;   in Loop: Header=BB4_16247 Depth=3
	s_or_b32 exec_lo, exec_lo, s74
	v_lshlrev_b32_e32 v16, 24, v62
                                        ; implicit-def: $vgpr62
	s_delay_alu instid0(VALU_DEP_1) | instskip(NEXT) | instid1(VALU_DEP_1)
	v_and_b32_e32 v16, 0x80000000, v16
	v_lshl_add_u32 v5, v5, 23, v16
	s_delay_alu instid0(VALU_DEP_1) | instskip(NEXT) | instid1(VALU_DEP_1)
	v_lshl_or_b32 v5, v15, 21, v5
                                        ; implicit-def: $vgpr15
	v_add_nc_u32_e32 v5, 0x38000000, v5
.LBB4_17157:                            ;   in Loop: Header=BB4_16247 Depth=3
	s_and_not1_saveexec_b32 s15, s15
; %bb.17158:                            ;   in Loop: Header=BB4_16247 Depth=3
	v_bfe_i32 v5, v62, 0, 8
	s_delay_alu instid0(VALU_DEP_1) | instskip(SKIP_2) | instid1(VALU_DEP_2)
	v_cmp_lt_i16_e32 vcc_lo, -1, v5
	v_cndmask_b32_e32 v5, 0xff800000, v48, vcc_lo
	v_cmp_eq_u32_e32 vcc_lo, 0, v15
	v_cndmask_b32_e32 v5, 0x7f800001, v5, vcc_lo
; %bb.17159:                            ;   in Loop: Header=BB4_16247 Depth=3
	s_or_b32 exec_lo, exec_lo, s15
.LBB4_17160:                            ;   in Loop: Header=BB4_16247 Depth=3
	s_delay_alu instid0(SALU_CYCLE_1)
	s_or_b32 exec_lo, exec_lo, s14
.LBB4_17161:                            ;   in Loop: Header=BB4_16247 Depth=3
	s_delay_alu instid0(SALU_CYCLE_1) | instskip(NEXT) | instid1(SALU_CYCLE_1)
	s_or_b32 exec_lo, exec_lo, s13
	s_mov_b32 s13, exec_lo
	s_wait_loadcnt_dscnt 0x707
	v_cmpx_ne_u16_e32 0, v20
	s_cbranch_execz .LBB4_17171
; %bb.17162:                            ;   in Loop: Header=BB4_16247 Depth=3
	v_bfrev_b32_e32 v4, 1
	s_mov_b32 s14, exec_lo
	v_cmpx_ne_u16_e32 0xff80, v20
	s_cbranch_execz .LBB4_17170
; %bb.17163:                            ;   in Loop: Header=BB4_16247 Depth=3
	v_and_b32_e32 v4, 0x7c, v20
	v_and_b32_e32 v15, 3, v20
	s_delay_alu instid0(VALU_DEP_2) | instskip(SKIP_1) | instid1(SALU_CYCLE_1)
	v_cmp_ne_u32_e32 vcc_lo, 0x7c, v4
                                        ; implicit-def: $vgpr4
	s_and_saveexec_b32 s15, vcc_lo
	s_xor_b32 s15, exec_lo, s15
	s_cbranch_execz .LBB4_17167
; %bb.17164:                            ;   in Loop: Header=BB4_16247 Depth=3
	v_and_b32_e32 v4, 0xff, v20
	s_mov_b32 s74, exec_lo
	s_delay_alu instid0(VALU_DEP_1) | instskip(NEXT) | instid1(VALU_DEP_1)
	v_bfe_u32 v4, v4, 2, 5
	v_cmpx_eq_u32_e32 0, v4
	s_cbranch_execz .LBB4_17166
; %bb.17165:                            ;   in Loop: Header=BB4_16247 Depth=3
	v_clz_i32_u32_e32 v4, v15
	s_delay_alu instid0(VALU_DEP_1) | instskip(SKIP_1) | instid1(VALU_DEP_2)
	v_min_u32_e32 v4, 32, v4
	v_mov_b32_e32 v21, v3
	v_subrev_nc_u32_e32 v15, 29, v4
	v_sub_nc_u32_e32 v4, 30, v4
	s_delay_alu instid0(VALU_DEP_2) | instskip(NEXT) | instid1(VALU_DEP_1)
	v_lshlrev_b64_e32 v[16:17], v15, v[20:21]
	v_and_b32_e32 v15, 3, v16
.LBB4_17166:                            ;   in Loop: Header=BB4_16247 Depth=3
	s_or_b32 exec_lo, exec_lo, s74
	v_bfe_i32 v16, v20, 0, 16
                                        ; implicit-def: $vgpr20
	s_delay_alu instid0(VALU_DEP_1) | instskip(NEXT) | instid1(VALU_DEP_1)
	v_and_b32_e32 v16, 0x80000000, v16
	v_lshl_add_u32 v4, v4, 23, v16
	s_delay_alu instid0(VALU_DEP_1) | instskip(NEXT) | instid1(VALU_DEP_1)
	v_lshl_or_b32 v4, v15, 21, v4
                                        ; implicit-def: $vgpr15
	v_add_nc_u32_e32 v4, 0x38000000, v4
.LBB4_17167:                            ;   in Loop: Header=BB4_16247 Depth=3
	s_and_not1_saveexec_b32 s15, s15
; %bb.17168:                            ;   in Loop: Header=BB4_16247 Depth=3
	v_cmp_lt_i16_e32 vcc_lo, -1, v20
	v_cndmask_b32_e32 v4, 0xff800000, v48, vcc_lo
	v_cmp_eq_u32_e32 vcc_lo, 0, v15
	s_delay_alu instid0(VALU_DEP_2)
	v_cndmask_b32_e32 v4, 0x7f800001, v4, vcc_lo
; %bb.17169:                            ;   in Loop: Header=BB4_16247 Depth=3
	s_or_b32 exec_lo, exec_lo, s15
.LBB4_17170:                            ;   in Loop: Header=BB4_16247 Depth=3
	s_delay_alu instid0(SALU_CYCLE_1)
	s_or_b32 exec_lo, exec_lo, s14
.LBB4_17171:                            ;   in Loop: Header=BB4_16247 Depth=3
	s_delay_alu instid0(SALU_CYCLE_1) | instskip(NEXT) | instid1(VALU_DEP_1)
	s_or_b32 exec_lo, exec_lo, s13
	v_dual_add_f32 v16, v5, v4 :: v_dual_mov_b32 v5, v3
                                        ; implicit-def: $vgpr20
	s_delay_alu instid0(VALU_DEP_1) | instskip(NEXT) | instid1(VALU_DEP_1)
	v_and_b32_e32 v4, 0x7f800000, v16
	v_cmp_ne_u64_e32 vcc_lo, 0x7f800000, v[4:5]
	v_and_b32_e32 v4, 0x7fffff, v16
	s_and_saveexec_b32 s13, vcc_lo
	s_delay_alu instid0(SALU_CYCLE_1)
	s_xor_b32 s14, exec_lo, s13
	s_cbranch_execz .LBB4_17189
; %bb.17172:                            ;   in Loop: Header=BB4_16247 Depth=3
	v_and_b32_e32 v20, 0x7fffffff, v16
	v_dual_mov_b32 v21, v3 :: v_dual_lshrrev_b32 v15, 24, v16
	s_delay_alu instid0(VALU_DEP_1) | instskip(NEXT) | instid1(VALU_DEP_2)
	v_cmp_gt_u64_e32 vcc_lo, 0x47600001, v[20:21]
	v_and_b32_e32 v15, 0x80, v15
                                        ; implicit-def: $vgpr20
	s_and_saveexec_b32 s13, vcc_lo
	s_delay_alu instid0(SALU_CYCLE_1)
	s_xor_b32 s15, exec_lo, s13
	s_cbranch_execz .LBB4_17186
; %bb.17173:                            ;   in Loop: Header=BB4_16247 Depth=3
	v_mov_b32_e32 v20, 0
	s_mov_b32 s74, exec_lo
	v_cmpx_ne_u32_e32 0, v16
	s_cbranch_execz .LBB4_17185
; %bb.17174:                            ;   in Loop: Header=BB4_16247 Depth=3
	v_bfe_u32 v19, v16, 23, 8
	v_or_b32_e32 v21, 0x800000, v4
	s_delay_alu instid0(VALU_DEP_2) | instskip(SKIP_1) | instid1(VALU_DEP_2)
	v_sub_nc_u32_e32 v16, 0x71, v19
	v_cmp_gt_u32_e32 vcc_lo, 0x72, v19
	v_cndmask_b32_e32 v16, 0, v16, vcc_lo
	v_cmp_eq_u32_e32 vcc_lo, 0, v19
	s_delay_alu instid0(VALU_DEP_2) | instskip(SKIP_1) | instid1(VALU_DEP_2)
	v_cndmask_b32_e64 v20, v16, 0x70, vcc_lo
	v_cndmask_b32_e32 v4, v21, v4, vcc_lo
	v_dual_add_nc_u32 v16, 21, v20 :: v_dual_add_nc_u32 v31, 20, v20
	s_delay_alu instid0(VALU_DEP_1) | instskip(NEXT) | instid1(VALU_DEP_2)
	v_lshlrev_b64_e64 v[16:17], v16, -1
	v_lshlrev_b64_e64 v[64:65], v31, 1
	s_delay_alu instid0(VALU_DEP_2) | instskip(SKIP_1) | instid1(VALU_DEP_4)
	v_bfi_b32 v16, v16, 0, v4
	v_lshrrev_b64 v[4:5], v20, v[4:5]
	v_bfi_b32 v17, v17, 0, 0
	s_delay_alu instid0(VALU_DEP_1) | instskip(NEXT) | instid1(VALU_DEP_3)
	v_cmp_eq_u64_e64 s13, v[16:17], v[64:65]
	v_mov_b64_e32 v[16:17], v[4:5]
	s_and_saveexec_b32 s75, s13
; %bb.17175:                            ;   in Loop: Header=BB4_16247 Depth=3
	v_bfe_u32 v16, v4, 21, 1
	v_mov_b32_e32 v17, v3
	s_delay_alu instid0(VALU_DEP_1) | instskip(NEXT) | instid1(VALU_DEP_1)
	v_add_nc_u64_e32 v[16:17], v[4:5], v[16:17]
	v_add_nc_u64_e32 v[16:17], -1, v[16:17]
; %bb.17176:                            ;   in Loop: Header=BB4_16247 Depth=3
	s_or_b32 exec_lo, exec_lo, s75
	v_add_nc_u32_e32 v5, 0xffffff81, v19
	v_lshrrev_b32_e32 v17, 23, v4
	s_mov_b32 s13, exec_lo
	s_delay_alu instid0(VALU_DEP_2) | instskip(NEXT) | instid1(VALU_DEP_1)
	v_cndmask_b32_e64 v5, v5, 0xffffff82, vcc_lo
	v_add3_u32 v17, v20, v5, v17
	v_and_b32_e32 v5, 0x1fffff, v16
                                        ; implicit-def: $vgpr16
	s_delay_alu instid0(VALU_DEP_1) | instskip(SKIP_1) | instid1(VALU_DEP_2)
	v_dual_add_nc_u32 v19, 14, v17 :: v_dual_add_nc_u32 v4, v5, v4
	v_mov_b32_e32 v5, v3
	v_cmpx_ne_u32_e32 0, v19
	s_xor_b32 s13, exec_lo, s13
; %bb.17177:                            ;   in Loop: Header=BB4_16247 Depth=3
	s_delay_alu instid0(VALU_DEP_2) | instskip(SKIP_2) | instid1(VALU_DEP_2)
	v_cmp_lt_u64_e32 vcc_lo, 0xffffff, v[4:5]
	v_add_nc_u32_e32 v16, 15, v17
	v_cndmask_b32_e64 v17, 0, 1, vcc_lo
	v_cndmask_b32_e32 v16, v19, v16, vcc_lo
	s_delay_alu instid0(VALU_DEP_2)
	v_lshrrev_b64 v[4:5], v17, v[4:5]
; %bb.17178:                            ;   in Loop: Header=BB4_16247 Depth=3
	s_and_not1_saveexec_b32 s13, s13
; %bb.17179:                            ;   in Loop: Header=BB4_16247 Depth=3
	s_delay_alu instid0(VALU_DEP_1)
	v_bfe_u32 v16, v4, 23, 1
; %bb.17180:                            ;   in Loop: Header=BB4_16247 Depth=3
	s_or_b32 exec_lo, exec_lo, s13
	s_delay_alu instid0(VALU_DEP_2) | instskip(NEXT) | instid1(VALU_DEP_2)
	v_lshrrev_b64 v[4:5], 21, v[4:5]
	v_cmp_gt_i32_e32 vcc_lo, 32, v16
	v_cmp_ne_u32_e64 s13, 0, v16
                                        ; implicit-def: $vgpr20
	s_delay_alu instid0(VALU_DEP_3) | instskip(NEXT) | instid1(VALU_DEP_1)
	v_dual_cndmask_b32 v5, 0, v5 :: v_dual_cndmask_b32 v4, 3, v4
	v_cmp_ne_u64_e32 vcc_lo, 0, v[4:5]
	s_or_b32 s13, s13, vcc_lo
	s_delay_alu instid0(SALU_CYCLE_1) | instskip(NEXT) | instid1(SALU_CYCLE_1)
	s_and_saveexec_b32 s75, s13
	s_xor_b32 s13, exec_lo, s75
; %bb.17181:                            ;   in Loop: Header=BB4_16247 Depth=3
	v_min_i32_e32 v5, 31, v16
	s_delay_alu instid0(VALU_DEP_1) | instskip(NEXT) | instid1(VALU_DEP_1)
	v_lshl_or_b32 v5, v5, 2, v15
                                        ; implicit-def: $vgpr15
	v_and_or_b32 v20, v4, 3, v5
; %bb.17182:                            ;   in Loop: Header=BB4_16247 Depth=3
	s_and_not1_saveexec_b32 s13, s13
; %bb.17183:                            ;   in Loop: Header=BB4_16247 Depth=3
	v_mov_b32_e32 v20, v15
; %bb.17184:                            ;   in Loop: Header=BB4_16247 Depth=3
	s_or_b32 exec_lo, exec_lo, s13
.LBB4_17185:                            ;   in Loop: Header=BB4_16247 Depth=3
	s_delay_alu instid0(SALU_CYCLE_1)
	s_or_b32 exec_lo, exec_lo, s74
                                        ; implicit-def: $vgpr15
.LBB4_17186:                            ;   in Loop: Header=BB4_16247 Depth=3
	s_and_not1_saveexec_b32 s13, s15
; %bb.17187:                            ;   in Loop: Header=BB4_16247 Depth=3
	v_or_b32_e32 v20, 0x7b, v15
; %bb.17188:                            ;   in Loop: Header=BB4_16247 Depth=3
	s_or_b32 exec_lo, exec_lo, s13
                                        ; implicit-def: $vgpr16
                                        ; implicit-def: $vgpr4_vgpr5
.LBB4_17189:                            ;   in Loop: Header=BB4_16247 Depth=3
	s_and_not1_saveexec_b32 s13, s14
	s_cbranch_execz .LBB4_17195
; %bb.17190:                            ;   in Loop: Header=BB4_16247 Depth=3
	s_mov_b32 s14, exec_lo
                                        ; implicit-def: $vgpr20
	v_cmpx_ne_u64_e32 0, v[4:5]
	s_xor_b32 s14, exec_lo, s14
; %bb.17191:                            ;   in Loop: Header=BB4_16247 Depth=3
	v_lshrrev_b32_e32 v4, 24, v16
                                        ; implicit-def: $vgpr16
	s_delay_alu instid0(VALU_DEP_1)
	v_or_b32_e32 v20, 0x7f, v4
; %bb.17192:                            ;   in Loop: Header=BB4_16247 Depth=3
	s_and_not1_saveexec_b32 s14, s14
; %bb.17193:                            ;   in Loop: Header=BB4_16247 Depth=3
	v_cmp_lt_i32_e32 vcc_lo, -1, v16
	v_cndmask_b32_e64 v20, -4, 0x7c, vcc_lo
; %bb.17194:                            ;   in Loop: Header=BB4_16247 Depth=3
	s_or_b32 exec_lo, exec_lo, s14
.LBB4_17195:                            ;   in Loop: Header=BB4_16247 Depth=3
	s_delay_alu instid0(SALU_CYCLE_1) | instskip(SKIP_3) | instid1(VALU_DEP_2)
	s_or_b32 exec_lo, exec_lo, s13
	v_and_b32_e32 v16, 0xff, v60
	v_dual_mov_b32 v4, 0 :: v_dual_mov_b32 v5, 0
	s_mov_b32 s13, exec_lo
	v_cmpx_ne_u16_e32 0, v16
	s_cbranch_execz .LBB4_17205
; %bb.17196:                            ;   in Loop: Header=BB4_16247 Depth=3
	v_bfrev_b32_e32 v5, 1
	s_mov_b32 s14, exec_lo
	v_cmpx_ne_u16_e32 0x80, v16
	s_cbranch_execz .LBB4_17204
; %bb.17197:                            ;   in Loop: Header=BB4_16247 Depth=3
	v_and_b32_e32 v5, 0x7c, v60
	v_and_b32_e32 v15, 3, v60
	s_delay_alu instid0(VALU_DEP_2) | instskip(SKIP_1) | instid1(SALU_CYCLE_1)
	v_cmp_ne_u32_e32 vcc_lo, 0x7c, v5
                                        ; implicit-def: $vgpr5
	s_and_saveexec_b32 s15, vcc_lo
	s_xor_b32 s15, exec_lo, s15
	s_cbranch_execz .LBB4_17201
; %bb.17198:                            ;   in Loop: Header=BB4_16247 Depth=3
	v_bfe_u32 v5, v16, 2, 5
	s_mov_b32 s74, exec_lo
	s_delay_alu instid0(VALU_DEP_1)
	v_cmpx_eq_u32_e32 0, v5
	s_cbranch_execz .LBB4_17200
; %bb.17199:                            ;   in Loop: Header=BB4_16247 Depth=3
	v_clz_i32_u32_e32 v5, v15
	s_delay_alu instid0(VALU_DEP_1) | instskip(SKIP_1) | instid1(VALU_DEP_2)
	v_min_u32_e32 v5, 32, v5
	v_mov_b32_e32 v61, v3
	v_subrev_nc_u32_e32 v15, 29, v5
	v_sub_nc_u32_e32 v5, 30, v5
	s_delay_alu instid0(VALU_DEP_2) | instskip(NEXT) | instid1(VALU_DEP_1)
	v_lshlrev_b64_e32 v[16:17], v15, v[60:61]
	v_and_b32_e32 v15, 3, v16
.LBB4_17200:                            ;   in Loop: Header=BB4_16247 Depth=3
	s_or_b32 exec_lo, exec_lo, s74
	v_lshlrev_b32_e32 v16, 24, v60
                                        ; implicit-def: $vgpr60
	s_delay_alu instid0(VALU_DEP_1) | instskip(NEXT) | instid1(VALU_DEP_1)
	v_and_b32_e32 v16, 0x80000000, v16
	v_lshl_add_u32 v5, v5, 23, v16
	s_delay_alu instid0(VALU_DEP_1) | instskip(NEXT) | instid1(VALU_DEP_1)
	v_lshl_or_b32 v5, v15, 21, v5
                                        ; implicit-def: $vgpr15
	v_add_nc_u32_e32 v5, 0x38000000, v5
.LBB4_17201:                            ;   in Loop: Header=BB4_16247 Depth=3
	s_and_not1_saveexec_b32 s15, s15
; %bb.17202:                            ;   in Loop: Header=BB4_16247 Depth=3
	v_bfe_i32 v5, v60, 0, 8
	s_delay_alu instid0(VALU_DEP_1) | instskip(SKIP_2) | instid1(VALU_DEP_2)
	v_cmp_lt_i16_e32 vcc_lo, -1, v5
	v_cndmask_b32_e32 v5, 0xff800000, v48, vcc_lo
	v_cmp_eq_u32_e32 vcc_lo, 0, v15
	v_cndmask_b32_e32 v5, 0x7f800001, v5, vcc_lo
; %bb.17203:                            ;   in Loop: Header=BB4_16247 Depth=3
	s_or_b32 exec_lo, exec_lo, s15
.LBB4_17204:                            ;   in Loop: Header=BB4_16247 Depth=3
	s_delay_alu instid0(SALU_CYCLE_1)
	s_or_b32 exec_lo, exec_lo, s14
.LBB4_17205:                            ;   in Loop: Header=BB4_16247 Depth=3
	s_delay_alu instid0(SALU_CYCLE_1) | instskip(NEXT) | instid1(SALU_CYCLE_1)
	s_or_b32 exec_lo, exec_lo, s13
	s_mov_b32 s13, exec_lo
	s_wait_loadcnt_dscnt 0x606
	v_cmpx_ne_u16_e32 0, v18
	s_cbranch_execz .LBB4_17215
; %bb.17206:                            ;   in Loop: Header=BB4_16247 Depth=3
	v_bfrev_b32_e32 v4, 1
	s_mov_b32 s14, exec_lo
	v_cmpx_ne_u16_e32 0xff80, v18
	s_cbranch_execz .LBB4_17214
; %bb.17207:                            ;   in Loop: Header=BB4_16247 Depth=3
	v_and_b32_e32 v4, 0x7c, v18
	v_and_b32_e32 v15, 3, v18
	s_delay_alu instid0(VALU_DEP_2) | instskip(SKIP_1) | instid1(SALU_CYCLE_1)
	v_cmp_ne_u32_e32 vcc_lo, 0x7c, v4
                                        ; implicit-def: $vgpr4
	s_and_saveexec_b32 s15, vcc_lo
	s_xor_b32 s15, exec_lo, s15
	s_cbranch_execz .LBB4_17211
; %bb.17208:                            ;   in Loop: Header=BB4_16247 Depth=3
	v_and_b32_e32 v4, 0xff, v18
	s_mov_b32 s74, exec_lo
	s_delay_alu instid0(VALU_DEP_1) | instskip(NEXT) | instid1(VALU_DEP_1)
	v_bfe_u32 v4, v4, 2, 5
	v_cmpx_eq_u32_e32 0, v4
	s_cbranch_execz .LBB4_17210
; %bb.17209:                            ;   in Loop: Header=BB4_16247 Depth=3
	v_clz_i32_u32_e32 v4, v15
	s_delay_alu instid0(VALU_DEP_1) | instskip(SKIP_1) | instid1(VALU_DEP_2)
	v_min_u32_e32 v4, 32, v4
	v_mov_b32_e32 v19, v3
	v_subrev_nc_u32_e32 v15, 29, v4
	v_sub_nc_u32_e32 v4, 30, v4
	s_delay_alu instid0(VALU_DEP_2) | instskip(NEXT) | instid1(VALU_DEP_1)
	v_lshlrev_b64_e32 v[16:17], v15, v[18:19]
	v_and_b32_e32 v15, 3, v16
.LBB4_17210:                            ;   in Loop: Header=BB4_16247 Depth=3
	s_or_b32 exec_lo, exec_lo, s74
	v_bfe_i32 v16, v18, 0, 16
                                        ; implicit-def: $vgpr18
	s_delay_alu instid0(VALU_DEP_1) | instskip(NEXT) | instid1(VALU_DEP_1)
	v_and_b32_e32 v16, 0x80000000, v16
	v_lshl_add_u32 v4, v4, 23, v16
	s_delay_alu instid0(VALU_DEP_1) | instskip(NEXT) | instid1(VALU_DEP_1)
	v_lshl_or_b32 v4, v15, 21, v4
                                        ; implicit-def: $vgpr15
	v_add_nc_u32_e32 v4, 0x38000000, v4
.LBB4_17211:                            ;   in Loop: Header=BB4_16247 Depth=3
	s_and_not1_saveexec_b32 s15, s15
; %bb.17212:                            ;   in Loop: Header=BB4_16247 Depth=3
	v_cmp_lt_i16_e32 vcc_lo, -1, v18
	v_cndmask_b32_e32 v4, 0xff800000, v48, vcc_lo
	v_cmp_eq_u32_e32 vcc_lo, 0, v15
	s_delay_alu instid0(VALU_DEP_2)
	v_cndmask_b32_e32 v4, 0x7f800001, v4, vcc_lo
; %bb.17213:                            ;   in Loop: Header=BB4_16247 Depth=3
	s_or_b32 exec_lo, exec_lo, s15
.LBB4_17214:                            ;   in Loop: Header=BB4_16247 Depth=3
	s_delay_alu instid0(SALU_CYCLE_1)
	s_or_b32 exec_lo, exec_lo, s14
.LBB4_17215:                            ;   in Loop: Header=BB4_16247 Depth=3
	s_delay_alu instid0(SALU_CYCLE_1) | instskip(NEXT) | instid1(VALU_DEP_1)
	s_or_b32 exec_lo, exec_lo, s13
	v_dual_add_f32 v16, v5, v4 :: v_dual_mov_b32 v5, v3
                                        ; implicit-def: $vgpr18
	s_delay_alu instid0(VALU_DEP_1) | instskip(NEXT) | instid1(VALU_DEP_1)
	v_and_b32_e32 v4, 0x7f800000, v16
	v_cmp_ne_u64_e32 vcc_lo, 0x7f800000, v[4:5]
	v_and_b32_e32 v4, 0x7fffff, v16
	s_and_saveexec_b32 s13, vcc_lo
	s_delay_alu instid0(SALU_CYCLE_1)
	s_xor_b32 s14, exec_lo, s13
	s_cbranch_execz .LBB4_17233
; %bb.17216:                            ;   in Loop: Header=BB4_16247 Depth=3
	v_and_b32_e32 v18, 0x7fffffff, v16
	v_dual_mov_b32 v19, v3 :: v_dual_lshrrev_b32 v15, 24, v16
	s_delay_alu instid0(VALU_DEP_1) | instskip(NEXT) | instid1(VALU_DEP_2)
	v_cmp_gt_u64_e32 vcc_lo, 0x47600001, v[18:19]
	v_and_b32_e32 v15, 0x80, v15
                                        ; implicit-def: $vgpr18
	s_and_saveexec_b32 s13, vcc_lo
	s_delay_alu instid0(SALU_CYCLE_1)
	s_xor_b32 s15, exec_lo, s13
	s_cbranch_execz .LBB4_17230
; %bb.17217:                            ;   in Loop: Header=BB4_16247 Depth=3
	v_mov_b32_e32 v18, 0
	s_mov_b32 s74, exec_lo
	v_cmpx_ne_u32_e32 0, v16
	s_cbranch_execz .LBB4_17229
; %bb.17218:                            ;   in Loop: Header=BB4_16247 Depth=3
	v_bfe_u32 v18, v16, 23, 8
	v_or_b32_e32 v21, 0x800000, v4
	s_delay_alu instid0(VALU_DEP_2) | instskip(SKIP_1) | instid1(VALU_DEP_2)
	v_sub_nc_u32_e32 v16, 0x71, v18
	v_cmp_gt_u32_e32 vcc_lo, 0x72, v18
	v_cndmask_b32_e32 v16, 0, v16, vcc_lo
	v_cmp_eq_u32_e32 vcc_lo, 0, v18
	s_delay_alu instid0(VALU_DEP_2) | instskip(NEXT) | instid1(VALU_DEP_1)
	v_cndmask_b32_e64 v19, v16, 0x70, vcc_lo
	v_dual_cndmask_b32 v4, v21, v4, vcc_lo :: v_dual_add_nc_u32 v16, 21, v19
	v_add_nc_u32_e32 v31, 20, v19
	s_delay_alu instid0(VALU_DEP_2) | instskip(NEXT) | instid1(VALU_DEP_2)
	v_lshlrev_b64_e64 v[16:17], v16, -1
	v_lshlrev_b64_e64 v[64:65], v31, 1
	s_delay_alu instid0(VALU_DEP_2) | instskip(SKIP_1) | instid1(VALU_DEP_4)
	v_bfi_b32 v16, v16, 0, v4
	v_lshrrev_b64 v[4:5], v19, v[4:5]
	v_bfi_b32 v17, v17, 0, 0
	s_delay_alu instid0(VALU_DEP_1) | instskip(NEXT) | instid1(VALU_DEP_3)
	v_cmp_eq_u64_e64 s13, v[16:17], v[64:65]
	v_mov_b64_e32 v[16:17], v[4:5]
	s_and_saveexec_b32 s75, s13
; %bb.17219:                            ;   in Loop: Header=BB4_16247 Depth=3
	v_bfe_u32 v16, v4, 21, 1
	v_mov_b32_e32 v17, v3
	s_delay_alu instid0(VALU_DEP_1) | instskip(NEXT) | instid1(VALU_DEP_1)
	v_add_nc_u64_e32 v[16:17], v[4:5], v[16:17]
	v_add_nc_u64_e32 v[16:17], -1, v[16:17]
; %bb.17220:                            ;   in Loop: Header=BB4_16247 Depth=3
	s_or_b32 exec_lo, exec_lo, s75
	v_add_nc_u32_e32 v5, 0xffffff81, v18
	v_lshrrev_b32_e32 v17, 23, v4
	s_mov_b32 s13, exec_lo
	s_delay_alu instid0(VALU_DEP_2) | instskip(NEXT) | instid1(VALU_DEP_1)
	v_cndmask_b32_e64 v5, v5, 0xffffff82, vcc_lo
	v_add3_u32 v17, v19, v5, v17
	v_and_b32_e32 v5, 0x1fffff, v16
                                        ; implicit-def: $vgpr16
	s_delay_alu instid0(VALU_DEP_1) | instskip(SKIP_1) | instid1(VALU_DEP_2)
	v_dual_add_nc_u32 v18, 14, v17 :: v_dual_add_nc_u32 v4, v5, v4
	v_mov_b32_e32 v5, v3
	v_cmpx_ne_u32_e32 0, v18
	s_xor_b32 s13, exec_lo, s13
; %bb.17221:                            ;   in Loop: Header=BB4_16247 Depth=3
	s_delay_alu instid0(VALU_DEP_2) | instskip(SKIP_2) | instid1(VALU_DEP_2)
	v_cmp_lt_u64_e32 vcc_lo, 0xffffff, v[4:5]
	v_add_nc_u32_e32 v16, 15, v17
	v_cndmask_b32_e64 v17, 0, 1, vcc_lo
	v_cndmask_b32_e32 v16, v18, v16, vcc_lo
	s_delay_alu instid0(VALU_DEP_2)
	v_lshrrev_b64 v[4:5], v17, v[4:5]
; %bb.17222:                            ;   in Loop: Header=BB4_16247 Depth=3
	s_and_not1_saveexec_b32 s13, s13
; %bb.17223:                            ;   in Loop: Header=BB4_16247 Depth=3
	s_delay_alu instid0(VALU_DEP_1)
	v_bfe_u32 v16, v4, 23, 1
; %bb.17224:                            ;   in Loop: Header=BB4_16247 Depth=3
	s_or_b32 exec_lo, exec_lo, s13
	s_delay_alu instid0(VALU_DEP_2) | instskip(NEXT) | instid1(VALU_DEP_2)
	v_lshrrev_b64 v[4:5], 21, v[4:5]
	v_cmp_gt_i32_e32 vcc_lo, 32, v16
	v_cmp_ne_u32_e64 s13, 0, v16
                                        ; implicit-def: $vgpr18
	s_delay_alu instid0(VALU_DEP_3) | instskip(NEXT) | instid1(VALU_DEP_1)
	v_dual_cndmask_b32 v5, 0, v5 :: v_dual_cndmask_b32 v4, 3, v4
	v_cmp_ne_u64_e32 vcc_lo, 0, v[4:5]
	s_or_b32 s13, s13, vcc_lo
	s_delay_alu instid0(SALU_CYCLE_1) | instskip(NEXT) | instid1(SALU_CYCLE_1)
	s_and_saveexec_b32 s75, s13
	s_xor_b32 s13, exec_lo, s75
; %bb.17225:                            ;   in Loop: Header=BB4_16247 Depth=3
	v_min_i32_e32 v5, 31, v16
	s_delay_alu instid0(VALU_DEP_1) | instskip(NEXT) | instid1(VALU_DEP_1)
	v_lshl_or_b32 v5, v5, 2, v15
                                        ; implicit-def: $vgpr15
	v_and_or_b32 v18, v4, 3, v5
; %bb.17226:                            ;   in Loop: Header=BB4_16247 Depth=3
	s_and_not1_saveexec_b32 s13, s13
; %bb.17227:                            ;   in Loop: Header=BB4_16247 Depth=3
	v_mov_b32_e32 v18, v15
; %bb.17228:                            ;   in Loop: Header=BB4_16247 Depth=3
	s_or_b32 exec_lo, exec_lo, s13
.LBB4_17229:                            ;   in Loop: Header=BB4_16247 Depth=3
	s_delay_alu instid0(SALU_CYCLE_1)
	s_or_b32 exec_lo, exec_lo, s74
                                        ; implicit-def: $vgpr15
.LBB4_17230:                            ;   in Loop: Header=BB4_16247 Depth=3
	s_and_not1_saveexec_b32 s13, s15
; %bb.17231:                            ;   in Loop: Header=BB4_16247 Depth=3
	v_or_b32_e32 v18, 0x7b, v15
; %bb.17232:                            ;   in Loop: Header=BB4_16247 Depth=3
	s_or_b32 exec_lo, exec_lo, s13
                                        ; implicit-def: $vgpr16
                                        ; implicit-def: $vgpr4_vgpr5
.LBB4_17233:                            ;   in Loop: Header=BB4_16247 Depth=3
	s_and_not1_saveexec_b32 s13, s14
	s_cbranch_execz .LBB4_17239
; %bb.17234:                            ;   in Loop: Header=BB4_16247 Depth=3
	s_mov_b32 s14, exec_lo
                                        ; implicit-def: $vgpr18
	v_cmpx_ne_u64_e32 0, v[4:5]
	s_xor_b32 s14, exec_lo, s14
; %bb.17235:                            ;   in Loop: Header=BB4_16247 Depth=3
	v_lshrrev_b32_e32 v4, 24, v16
                                        ; implicit-def: $vgpr16
	s_delay_alu instid0(VALU_DEP_1)
	v_or_b32_e32 v18, 0x7f, v4
; %bb.17236:                            ;   in Loop: Header=BB4_16247 Depth=3
	s_and_not1_saveexec_b32 s14, s14
; %bb.17237:                            ;   in Loop: Header=BB4_16247 Depth=3
	v_cmp_lt_i32_e32 vcc_lo, -1, v16
	v_cndmask_b32_e64 v18, -4, 0x7c, vcc_lo
; %bb.17238:                            ;   in Loop: Header=BB4_16247 Depth=3
	s_or_b32 exec_lo, exec_lo, s14
.LBB4_17239:                            ;   in Loop: Header=BB4_16247 Depth=3
	s_delay_alu instid0(SALU_CYCLE_1) | instskip(SKIP_3) | instid1(VALU_DEP_2)
	s_or_b32 exec_lo, exec_lo, s13
	v_and_b32_e32 v16, 0xff, v56
	v_dual_mov_b32 v4, 0 :: v_dual_mov_b32 v5, 0
	s_mov_b32 s13, exec_lo
	v_cmpx_ne_u16_e32 0, v16
	s_cbranch_execz .LBB4_17249
; %bb.17240:                            ;   in Loop: Header=BB4_16247 Depth=3
	v_bfrev_b32_e32 v5, 1
	s_mov_b32 s14, exec_lo
	v_cmpx_ne_u16_e32 0x80, v16
	s_cbranch_execz .LBB4_17248
; %bb.17241:                            ;   in Loop: Header=BB4_16247 Depth=3
	v_and_b32_e32 v5, 0x7c, v56
	v_and_b32_e32 v15, 3, v56
	s_delay_alu instid0(VALU_DEP_2) | instskip(SKIP_1) | instid1(SALU_CYCLE_1)
	v_cmp_ne_u32_e32 vcc_lo, 0x7c, v5
                                        ; implicit-def: $vgpr5
	s_and_saveexec_b32 s15, vcc_lo
	s_xor_b32 s15, exec_lo, s15
	s_cbranch_execz .LBB4_17245
; %bb.17242:                            ;   in Loop: Header=BB4_16247 Depth=3
	v_bfe_u32 v5, v16, 2, 5
	s_mov_b32 s74, exec_lo
	s_delay_alu instid0(VALU_DEP_1)
	v_cmpx_eq_u32_e32 0, v5
	s_cbranch_execz .LBB4_17244
; %bb.17243:                            ;   in Loop: Header=BB4_16247 Depth=3
	v_clz_i32_u32_e32 v5, v15
	s_delay_alu instid0(VALU_DEP_1) | instskip(SKIP_1) | instid1(VALU_DEP_2)
	v_min_u32_e32 v5, 32, v5
	v_mov_b32_e32 v57, v3
	v_subrev_nc_u32_e32 v15, 29, v5
	v_sub_nc_u32_e32 v5, 30, v5
	s_delay_alu instid0(VALU_DEP_2) | instskip(NEXT) | instid1(VALU_DEP_1)
	v_lshlrev_b64_e32 v[16:17], v15, v[56:57]
	v_and_b32_e32 v15, 3, v16
.LBB4_17244:                            ;   in Loop: Header=BB4_16247 Depth=3
	s_or_b32 exec_lo, exec_lo, s74
	v_lshlrev_b32_e32 v16, 24, v56
                                        ; implicit-def: $vgpr56
	s_delay_alu instid0(VALU_DEP_1) | instskip(NEXT) | instid1(VALU_DEP_1)
	v_and_b32_e32 v16, 0x80000000, v16
	v_lshl_add_u32 v5, v5, 23, v16
	s_delay_alu instid0(VALU_DEP_1) | instskip(NEXT) | instid1(VALU_DEP_1)
	v_lshl_or_b32 v5, v15, 21, v5
                                        ; implicit-def: $vgpr15
	v_add_nc_u32_e32 v5, 0x38000000, v5
.LBB4_17245:                            ;   in Loop: Header=BB4_16247 Depth=3
	s_and_not1_saveexec_b32 s15, s15
; %bb.17246:                            ;   in Loop: Header=BB4_16247 Depth=3
	v_bfe_i32 v5, v56, 0, 8
	s_delay_alu instid0(VALU_DEP_1) | instskip(SKIP_2) | instid1(VALU_DEP_2)
	v_cmp_lt_i16_e32 vcc_lo, -1, v5
	v_cndmask_b32_e32 v5, 0xff800000, v48, vcc_lo
	v_cmp_eq_u32_e32 vcc_lo, 0, v15
	v_cndmask_b32_e32 v5, 0x7f800001, v5, vcc_lo
; %bb.17247:                            ;   in Loop: Header=BB4_16247 Depth=3
	s_or_b32 exec_lo, exec_lo, s15
.LBB4_17248:                            ;   in Loop: Header=BB4_16247 Depth=3
	s_delay_alu instid0(SALU_CYCLE_1)
	s_or_b32 exec_lo, exec_lo, s14
.LBB4_17249:                            ;   in Loop: Header=BB4_16247 Depth=3
	s_delay_alu instid0(SALU_CYCLE_1) | instskip(NEXT) | instid1(SALU_CYCLE_1)
	s_or_b32 exec_lo, exec_lo, s13
	s_mov_b32 s13, exec_lo
	s_wait_loadcnt_dscnt 0x505
	v_cmpx_ne_u16_e32 0, v110
	s_cbranch_execz .LBB4_17259
; %bb.17250:                            ;   in Loop: Header=BB4_16247 Depth=3
	v_bfrev_b32_e32 v4, 1
	s_mov_b32 s14, exec_lo
	v_cmpx_ne_u16_e32 0xff80, v110
	s_cbranch_execz .LBB4_17258
; %bb.17251:                            ;   in Loop: Header=BB4_16247 Depth=3
	v_and_b32_e32 v4, 0x7c, v110
	v_and_b32_e32 v15, 3, v110
	s_delay_alu instid0(VALU_DEP_2) | instskip(SKIP_1) | instid1(SALU_CYCLE_1)
	v_cmp_ne_u32_e32 vcc_lo, 0x7c, v4
                                        ; implicit-def: $vgpr4
	s_and_saveexec_b32 s15, vcc_lo
	s_xor_b32 s15, exec_lo, s15
	s_cbranch_execz .LBB4_17255
; %bb.17252:                            ;   in Loop: Header=BB4_16247 Depth=3
	v_and_b32_e32 v4, 0xff, v110
	s_mov_b32 s74, exec_lo
	s_delay_alu instid0(VALU_DEP_1) | instskip(NEXT) | instid1(VALU_DEP_1)
	v_bfe_u32 v4, v4, 2, 5
	v_cmpx_eq_u32_e32 0, v4
	s_cbranch_execz .LBB4_17254
; %bb.17253:                            ;   in Loop: Header=BB4_16247 Depth=3
	v_clz_i32_u32_e32 v4, v15
	s_delay_alu instid0(VALU_DEP_1) | instskip(SKIP_1) | instid1(VALU_DEP_2)
	v_min_u32_e32 v4, 32, v4
	v_mov_b32_e32 v111, v3
	v_subrev_nc_u32_e32 v15, 29, v4
	v_sub_nc_u32_e32 v4, 30, v4
	s_delay_alu instid0(VALU_DEP_2) | instskip(NEXT) | instid1(VALU_DEP_1)
	v_lshlrev_b64_e32 v[16:17], v15, v[110:111]
	v_and_b32_e32 v15, 3, v16
.LBB4_17254:                            ;   in Loop: Header=BB4_16247 Depth=3
	s_or_b32 exec_lo, exec_lo, s74
	v_bfe_i32 v16, v110, 0, 16
                                        ; implicit-def: $vgpr110
	s_delay_alu instid0(VALU_DEP_1) | instskip(NEXT) | instid1(VALU_DEP_1)
	v_and_b32_e32 v16, 0x80000000, v16
	v_lshl_add_u32 v4, v4, 23, v16
	s_delay_alu instid0(VALU_DEP_1) | instskip(NEXT) | instid1(VALU_DEP_1)
	v_lshl_or_b32 v4, v15, 21, v4
                                        ; implicit-def: $vgpr15
	v_add_nc_u32_e32 v4, 0x38000000, v4
.LBB4_17255:                            ;   in Loop: Header=BB4_16247 Depth=3
	s_and_not1_saveexec_b32 s15, s15
; %bb.17256:                            ;   in Loop: Header=BB4_16247 Depth=3
	v_cmp_lt_i16_e32 vcc_lo, -1, v110
	v_cndmask_b32_e32 v4, 0xff800000, v48, vcc_lo
	v_cmp_eq_u32_e32 vcc_lo, 0, v15
	s_delay_alu instid0(VALU_DEP_2)
	v_cndmask_b32_e32 v4, 0x7f800001, v4, vcc_lo
; %bb.17257:                            ;   in Loop: Header=BB4_16247 Depth=3
	s_or_b32 exec_lo, exec_lo, s15
.LBB4_17258:                            ;   in Loop: Header=BB4_16247 Depth=3
	s_delay_alu instid0(SALU_CYCLE_1)
	s_or_b32 exec_lo, exec_lo, s14
.LBB4_17259:                            ;   in Loop: Header=BB4_16247 Depth=3
	s_delay_alu instid0(SALU_CYCLE_1) | instskip(NEXT) | instid1(VALU_DEP_1)
	s_or_b32 exec_lo, exec_lo, s13
	v_dual_add_f32 v16, v5, v4 :: v_dual_mov_b32 v5, v3
                                        ; implicit-def: $vgpr19
	s_delay_alu instid0(VALU_DEP_1) | instskip(NEXT) | instid1(VALU_DEP_1)
	v_and_b32_e32 v4, 0x7f800000, v16
	v_cmp_ne_u64_e32 vcc_lo, 0x7f800000, v[4:5]
	v_and_b32_e32 v4, 0x7fffff, v16
	s_and_saveexec_b32 s13, vcc_lo
	s_delay_alu instid0(SALU_CYCLE_1)
	s_xor_b32 s14, exec_lo, s13
	s_cbranch_execz .LBB4_17277
; %bb.17260:                            ;   in Loop: Header=BB4_16247 Depth=3
	v_dual_mov_b32 v65, v3 :: v_dual_lshrrev_b32 v15, 24, v16
	v_and_b32_e32 v64, 0x7fffffff, v16
                                        ; implicit-def: $vgpr19
	s_mov_b32 s13, exec_lo
	s_delay_alu instid0(VALU_DEP_2) | instskip(NEXT) | instid1(VALU_DEP_2)
	v_and_b32_e32 v15, 0x80, v15
	v_cmpx_gt_u64_e32 0x47600001, v[64:65]
	s_xor_b32 s15, exec_lo, s13
	s_cbranch_execz .LBB4_17274
; %bb.17261:                            ;   in Loop: Header=BB4_16247 Depth=3
	v_mov_b32_e32 v19, 0
	s_mov_b32 s74, exec_lo
	v_cmpx_ne_u32_e32 0, v16
	s_cbranch_execz .LBB4_17273
; %bb.17262:                            ;   in Loop: Header=BB4_16247 Depth=3
	v_bfe_u32 v19, v16, 23, 8
	v_or_b32_e32 v31, 0x800000, v4
	s_delay_alu instid0(VALU_DEP_2) | instskip(SKIP_1) | instid1(VALU_DEP_2)
	v_sub_nc_u32_e32 v16, 0x71, v19
	v_cmp_gt_u32_e32 vcc_lo, 0x72, v19
	v_cndmask_b32_e32 v16, 0, v16, vcc_lo
	v_cmp_eq_u32_e32 vcc_lo, 0, v19
	s_delay_alu instid0(VALU_DEP_2) | instskip(NEXT) | instid1(VALU_DEP_1)
	v_cndmask_b32_e64 v21, v16, 0x70, vcc_lo
	v_dual_cndmask_b32 v4, v31, v4, vcc_lo :: v_dual_add_nc_u32 v16, 21, v21
	v_add_nc_u32_e32 v64, 20, v21
	s_delay_alu instid0(VALU_DEP_2) | instskip(NEXT) | instid1(VALU_DEP_2)
	v_lshlrev_b64_e64 v[16:17], v16, -1
	v_lshlrev_b64_e64 v[64:65], v64, 1
	s_delay_alu instid0(VALU_DEP_2) | instskip(SKIP_1) | instid1(VALU_DEP_4)
	v_bfi_b32 v16, v16, 0, v4
	v_lshrrev_b64 v[4:5], v21, v[4:5]
	v_bfi_b32 v17, v17, 0, 0
	s_delay_alu instid0(VALU_DEP_1) | instskip(NEXT) | instid1(VALU_DEP_3)
	v_cmp_eq_u64_e64 s13, v[16:17], v[64:65]
	v_mov_b64_e32 v[16:17], v[4:5]
	s_and_saveexec_b32 s75, s13
; %bb.17263:                            ;   in Loop: Header=BB4_16247 Depth=3
	v_bfe_u32 v16, v4, 21, 1
	v_mov_b32_e32 v17, v3
	s_delay_alu instid0(VALU_DEP_1) | instskip(NEXT) | instid1(VALU_DEP_1)
	v_add_nc_u64_e32 v[16:17], v[4:5], v[16:17]
	v_add_nc_u64_e32 v[16:17], -1, v[16:17]
; %bb.17264:                            ;   in Loop: Header=BB4_16247 Depth=3
	s_or_b32 exec_lo, exec_lo, s75
	v_add_nc_u32_e32 v5, 0xffffff81, v19
	v_lshrrev_b32_e32 v17, 23, v4
	s_mov_b32 s13, exec_lo
	s_delay_alu instid0(VALU_DEP_2) | instskip(NEXT) | instid1(VALU_DEP_1)
	v_cndmask_b32_e64 v5, v5, 0xffffff82, vcc_lo
	v_add3_u32 v17, v21, v5, v17
	v_and_b32_e32 v5, 0x1fffff, v16
                                        ; implicit-def: $vgpr16
	s_delay_alu instid0(VALU_DEP_1) | instskip(SKIP_1) | instid1(VALU_DEP_2)
	v_dual_add_nc_u32 v19, 14, v17 :: v_dual_add_nc_u32 v4, v5, v4
	v_mov_b32_e32 v5, v3
	v_cmpx_ne_u32_e32 0, v19
	s_xor_b32 s13, exec_lo, s13
; %bb.17265:                            ;   in Loop: Header=BB4_16247 Depth=3
	s_delay_alu instid0(VALU_DEP_2) | instskip(SKIP_2) | instid1(VALU_DEP_2)
	v_cmp_lt_u64_e32 vcc_lo, 0xffffff, v[4:5]
	v_add_nc_u32_e32 v16, 15, v17
	v_cndmask_b32_e64 v17, 0, 1, vcc_lo
	v_cndmask_b32_e32 v16, v19, v16, vcc_lo
	s_delay_alu instid0(VALU_DEP_2)
	v_lshrrev_b64 v[4:5], v17, v[4:5]
; %bb.17266:                            ;   in Loop: Header=BB4_16247 Depth=3
	s_and_not1_saveexec_b32 s13, s13
; %bb.17267:                            ;   in Loop: Header=BB4_16247 Depth=3
	s_delay_alu instid0(VALU_DEP_1)
	v_bfe_u32 v16, v4, 23, 1
; %bb.17268:                            ;   in Loop: Header=BB4_16247 Depth=3
	s_or_b32 exec_lo, exec_lo, s13
	s_delay_alu instid0(VALU_DEP_2) | instskip(NEXT) | instid1(VALU_DEP_2)
	v_lshrrev_b64 v[4:5], 21, v[4:5]
	v_cmp_gt_i32_e32 vcc_lo, 32, v16
	v_cmp_ne_u32_e64 s13, 0, v16
                                        ; implicit-def: $vgpr19
	s_delay_alu instid0(VALU_DEP_3) | instskip(NEXT) | instid1(VALU_DEP_1)
	v_dual_cndmask_b32 v5, 0, v5 :: v_dual_cndmask_b32 v4, 3, v4
	v_cmp_ne_u64_e32 vcc_lo, 0, v[4:5]
	s_or_b32 s13, s13, vcc_lo
	s_delay_alu instid0(SALU_CYCLE_1) | instskip(NEXT) | instid1(SALU_CYCLE_1)
	s_and_saveexec_b32 s75, s13
	s_xor_b32 s13, exec_lo, s75
; %bb.17269:                            ;   in Loop: Header=BB4_16247 Depth=3
	v_min_i32_e32 v5, 31, v16
	s_delay_alu instid0(VALU_DEP_1) | instskip(NEXT) | instid1(VALU_DEP_1)
	v_lshl_or_b32 v5, v5, 2, v15
                                        ; implicit-def: $vgpr15
	v_and_or_b32 v19, v4, 3, v5
; %bb.17270:                            ;   in Loop: Header=BB4_16247 Depth=3
	s_and_not1_saveexec_b32 s13, s13
; %bb.17271:                            ;   in Loop: Header=BB4_16247 Depth=3
	v_mov_b32_e32 v19, v15
; %bb.17272:                            ;   in Loop: Header=BB4_16247 Depth=3
	s_or_b32 exec_lo, exec_lo, s13
.LBB4_17273:                            ;   in Loop: Header=BB4_16247 Depth=3
	s_delay_alu instid0(SALU_CYCLE_1)
	s_or_b32 exec_lo, exec_lo, s74
                                        ; implicit-def: $vgpr15
.LBB4_17274:                            ;   in Loop: Header=BB4_16247 Depth=3
	s_and_not1_saveexec_b32 s13, s15
; %bb.17275:                            ;   in Loop: Header=BB4_16247 Depth=3
	v_or_b32_e32 v19, 0x7b, v15
; %bb.17276:                            ;   in Loop: Header=BB4_16247 Depth=3
	s_or_b32 exec_lo, exec_lo, s13
                                        ; implicit-def: $vgpr16
                                        ; implicit-def: $vgpr4_vgpr5
.LBB4_17277:                            ;   in Loop: Header=BB4_16247 Depth=3
	s_and_not1_saveexec_b32 s13, s14
	s_cbranch_execz .LBB4_17283
; %bb.17278:                            ;   in Loop: Header=BB4_16247 Depth=3
	s_mov_b32 s14, exec_lo
                                        ; implicit-def: $vgpr19
	v_cmpx_ne_u64_e32 0, v[4:5]
	s_xor_b32 s14, exec_lo, s14
; %bb.17279:                            ;   in Loop: Header=BB4_16247 Depth=3
	v_lshrrev_b32_e32 v4, 24, v16
                                        ; implicit-def: $vgpr16
	s_delay_alu instid0(VALU_DEP_1)
	v_or_b32_e32 v19, 0x7f, v4
; %bb.17280:                            ;   in Loop: Header=BB4_16247 Depth=3
	s_and_not1_saveexec_b32 s14, s14
; %bb.17281:                            ;   in Loop: Header=BB4_16247 Depth=3
	v_cmp_lt_i32_e32 vcc_lo, -1, v16
	v_cndmask_b32_e64 v19, -4, 0x7c, vcc_lo
; %bb.17282:                            ;   in Loop: Header=BB4_16247 Depth=3
	s_or_b32 exec_lo, exec_lo, s14
.LBB4_17283:                            ;   in Loop: Header=BB4_16247 Depth=3
	s_delay_alu instid0(SALU_CYCLE_1) | instskip(SKIP_3) | instid1(VALU_DEP_2)
	s_or_b32 exec_lo, exec_lo, s13
	v_and_b32_e32 v16, 0xff, v46
	v_dual_mov_b32 v4, 0 :: v_dual_mov_b32 v5, 0
	s_mov_b32 s13, exec_lo
	v_cmpx_ne_u16_e32 0, v16
	s_cbranch_execz .LBB4_17293
; %bb.17284:                            ;   in Loop: Header=BB4_16247 Depth=3
	v_bfrev_b32_e32 v5, 1
	s_mov_b32 s14, exec_lo
	v_cmpx_ne_u16_e32 0x80, v16
	s_cbranch_execz .LBB4_17292
; %bb.17285:                            ;   in Loop: Header=BB4_16247 Depth=3
	v_and_b32_e32 v5, 0x7c, v46
	v_and_b32_e32 v15, 3, v46
	s_delay_alu instid0(VALU_DEP_2) | instskip(SKIP_1) | instid1(SALU_CYCLE_1)
	v_cmp_ne_u32_e32 vcc_lo, 0x7c, v5
                                        ; implicit-def: $vgpr5
	s_and_saveexec_b32 s15, vcc_lo
	s_xor_b32 s15, exec_lo, s15
	s_cbranch_execz .LBB4_17289
; %bb.17286:                            ;   in Loop: Header=BB4_16247 Depth=3
	v_bfe_u32 v5, v16, 2, 5
	s_mov_b32 s74, exec_lo
	s_delay_alu instid0(VALU_DEP_1)
	v_cmpx_eq_u32_e32 0, v5
	s_cbranch_execz .LBB4_17288
; %bb.17287:                            ;   in Loop: Header=BB4_16247 Depth=3
	v_clz_i32_u32_e32 v5, v15
	v_dual_mov_b32 v21, v47 :: v_dual_mov_b32 v47, v3
	s_delay_alu instid0(VALU_DEP_2) | instskip(NEXT) | instid1(VALU_DEP_1)
	v_min_u32_e32 v5, 32, v5
	v_subrev_nc_u32_e32 v15, 29, v5
	v_sub_nc_u32_e32 v5, 30, v5
	s_delay_alu instid0(VALU_DEP_2) | instskip(NEXT) | instid1(VALU_DEP_1)
	v_lshlrev_b64_e32 v[16:17], v15, v[46:47]
	v_dual_mov_b32 v47, v21 :: v_dual_bitop2_b32 v15, 3, v16 bitop3:0x40
.LBB4_17288:                            ;   in Loop: Header=BB4_16247 Depth=3
	s_or_b32 exec_lo, exec_lo, s74
	v_lshlrev_b32_e32 v16, 24, v46
                                        ; implicit-def: $vgpr46
	s_delay_alu instid0(VALU_DEP_1) | instskip(NEXT) | instid1(VALU_DEP_1)
	v_and_b32_e32 v16, 0x80000000, v16
	v_lshl_add_u32 v5, v5, 23, v16
	s_delay_alu instid0(VALU_DEP_1) | instskip(NEXT) | instid1(VALU_DEP_1)
	v_lshl_or_b32 v5, v15, 21, v5
                                        ; implicit-def: $vgpr15
	v_add_nc_u32_e32 v5, 0x38000000, v5
.LBB4_17289:                            ;   in Loop: Header=BB4_16247 Depth=3
	s_and_not1_saveexec_b32 s15, s15
; %bb.17290:                            ;   in Loop: Header=BB4_16247 Depth=3
	v_bfe_i32 v5, v46, 0, 8
	s_delay_alu instid0(VALU_DEP_1) | instskip(SKIP_2) | instid1(VALU_DEP_2)
	v_cmp_lt_i16_e32 vcc_lo, -1, v5
	v_cndmask_b32_e32 v5, 0xff800000, v48, vcc_lo
	v_cmp_eq_u32_e32 vcc_lo, 0, v15
	v_cndmask_b32_e32 v5, 0x7f800001, v5, vcc_lo
; %bb.17291:                            ;   in Loop: Header=BB4_16247 Depth=3
	s_or_b32 exec_lo, exec_lo, s15
.LBB4_17292:                            ;   in Loop: Header=BB4_16247 Depth=3
	s_delay_alu instid0(SALU_CYCLE_1)
	s_or_b32 exec_lo, exec_lo, s14
.LBB4_17293:                            ;   in Loop: Header=BB4_16247 Depth=3
	s_delay_alu instid0(SALU_CYCLE_1) | instskip(NEXT) | instid1(SALU_CYCLE_1)
	s_or_b32 exec_lo, exec_lo, s13
	s_mov_b32 s13, exec_lo
	s_wait_loadcnt_dscnt 0x404
	v_cmpx_ne_u16_e32 0, v108
	s_cbranch_execz .LBB4_17303
; %bb.17294:                            ;   in Loop: Header=BB4_16247 Depth=3
	v_bfrev_b32_e32 v4, 1
	s_mov_b32 s14, exec_lo
	v_cmpx_ne_u16_e32 0xff80, v108
	s_cbranch_execz .LBB4_17302
; %bb.17295:                            ;   in Loop: Header=BB4_16247 Depth=3
	v_and_b32_e32 v4, 0x7c, v108
	v_and_b32_e32 v15, 3, v108
	s_delay_alu instid0(VALU_DEP_2) | instskip(SKIP_1) | instid1(SALU_CYCLE_1)
	v_cmp_ne_u32_e32 vcc_lo, 0x7c, v4
                                        ; implicit-def: $vgpr4
	s_and_saveexec_b32 s15, vcc_lo
	s_xor_b32 s15, exec_lo, s15
	s_cbranch_execz .LBB4_17299
; %bb.17296:                            ;   in Loop: Header=BB4_16247 Depth=3
	v_and_b32_e32 v4, 0xff, v108
	s_mov_b32 s74, exec_lo
	s_delay_alu instid0(VALU_DEP_1) | instskip(NEXT) | instid1(VALU_DEP_1)
	v_bfe_u32 v4, v4, 2, 5
	v_cmpx_eq_u32_e32 0, v4
	s_cbranch_execz .LBB4_17298
; %bb.17297:                            ;   in Loop: Header=BB4_16247 Depth=3
	v_clz_i32_u32_e32 v4, v15
	s_delay_alu instid0(VALU_DEP_1) | instskip(SKIP_1) | instid1(VALU_DEP_2)
	v_min_u32_e32 v4, 32, v4
	v_mov_b32_e32 v109, v3
	v_subrev_nc_u32_e32 v15, 29, v4
	v_sub_nc_u32_e32 v4, 30, v4
	s_delay_alu instid0(VALU_DEP_2) | instskip(NEXT) | instid1(VALU_DEP_1)
	v_lshlrev_b64_e32 v[16:17], v15, v[108:109]
	v_and_b32_e32 v15, 3, v16
.LBB4_17298:                            ;   in Loop: Header=BB4_16247 Depth=3
	s_or_b32 exec_lo, exec_lo, s74
	v_bfe_i32 v16, v108, 0, 16
                                        ; implicit-def: $vgpr108
	s_delay_alu instid0(VALU_DEP_1) | instskip(NEXT) | instid1(VALU_DEP_1)
	v_and_b32_e32 v16, 0x80000000, v16
	v_lshl_add_u32 v4, v4, 23, v16
	s_delay_alu instid0(VALU_DEP_1) | instskip(NEXT) | instid1(VALU_DEP_1)
	v_lshl_or_b32 v4, v15, 21, v4
                                        ; implicit-def: $vgpr15
	v_add_nc_u32_e32 v4, 0x38000000, v4
.LBB4_17299:                            ;   in Loop: Header=BB4_16247 Depth=3
	s_and_not1_saveexec_b32 s15, s15
; %bb.17300:                            ;   in Loop: Header=BB4_16247 Depth=3
	v_cmp_lt_i16_e32 vcc_lo, -1, v108
	v_cndmask_b32_e32 v4, 0xff800000, v48, vcc_lo
	v_cmp_eq_u32_e32 vcc_lo, 0, v15
	s_delay_alu instid0(VALU_DEP_2)
	v_cndmask_b32_e32 v4, 0x7f800001, v4, vcc_lo
; %bb.17301:                            ;   in Loop: Header=BB4_16247 Depth=3
	s_or_b32 exec_lo, exec_lo, s15
.LBB4_17302:                            ;   in Loop: Header=BB4_16247 Depth=3
	s_delay_alu instid0(SALU_CYCLE_1)
	s_or_b32 exec_lo, exec_lo, s14
.LBB4_17303:                            ;   in Loop: Header=BB4_16247 Depth=3
	s_delay_alu instid0(SALU_CYCLE_1) | instskip(NEXT) | instid1(VALU_DEP_1)
	s_or_b32 exec_lo, exec_lo, s13
	v_dual_add_f32 v16, v5, v4 :: v_dual_mov_b32 v5, v3
                                        ; implicit-def: $vgpr21
	s_delay_alu instid0(VALU_DEP_1) | instskip(NEXT) | instid1(VALU_DEP_1)
	v_and_b32_e32 v4, 0x7f800000, v16
	v_cmp_ne_u64_e32 vcc_lo, 0x7f800000, v[4:5]
	v_and_b32_e32 v4, 0x7fffff, v16
	s_and_saveexec_b32 s13, vcc_lo
	s_delay_alu instid0(SALU_CYCLE_1)
	s_xor_b32 s14, exec_lo, s13
	s_cbranch_execz .LBB4_17321
; %bb.17304:                            ;   in Loop: Header=BB4_16247 Depth=3
	v_dual_mov_b32 v65, v3 :: v_dual_lshrrev_b32 v15, 24, v16
	v_and_b32_e32 v64, 0x7fffffff, v16
                                        ; implicit-def: $vgpr21
	s_mov_b32 s13, exec_lo
	s_delay_alu instid0(VALU_DEP_2) | instskip(NEXT) | instid1(VALU_DEP_2)
	v_and_b32_e32 v15, 0x80, v15
	v_cmpx_gt_u64_e32 0x47600001, v[64:65]
	s_xor_b32 s15, exec_lo, s13
	s_cbranch_execz .LBB4_17318
; %bb.17305:                            ;   in Loop: Header=BB4_16247 Depth=3
	v_mov_b32_e32 v21, 0
	s_mov_b32 s74, exec_lo
	v_cmpx_ne_u32_e32 0, v16
	s_cbranch_execz .LBB4_17317
; %bb.17306:                            ;   in Loop: Header=BB4_16247 Depth=3
	v_bfe_u32 v21, v16, 23, 8
	v_or_b32_e32 v64, 0x800000, v4
	s_delay_alu instid0(VALU_DEP_2) | instskip(SKIP_1) | instid1(VALU_DEP_2)
	v_sub_nc_u32_e32 v16, 0x71, v21
	v_cmp_gt_u32_e32 vcc_lo, 0x72, v21
	v_cndmask_b32_e32 v16, 0, v16, vcc_lo
	v_cmp_eq_u32_e32 vcc_lo, 0, v21
	s_delay_alu instid0(VALU_DEP_2) | instskip(NEXT) | instid1(VALU_DEP_1)
	v_cndmask_b32_e64 v31, v16, 0x70, vcc_lo
	v_dual_cndmask_b32 v4, v64, v4, vcc_lo :: v_dual_add_nc_u32 v16, 21, v31
	v_add_nc_u32_e32 v65, 20, v31
	s_delay_alu instid0(VALU_DEP_2) | instskip(NEXT) | instid1(VALU_DEP_2)
	v_lshlrev_b64_e64 v[16:17], v16, -1
	v_lshlrev_b64_e64 v[64:65], v65, 1
	s_delay_alu instid0(VALU_DEP_2) | instskip(SKIP_1) | instid1(VALU_DEP_4)
	v_bfi_b32 v16, v16, 0, v4
	v_lshrrev_b64 v[4:5], v31, v[4:5]
	v_bfi_b32 v17, v17, 0, 0
	s_delay_alu instid0(VALU_DEP_1) | instskip(NEXT) | instid1(VALU_DEP_3)
	v_cmp_eq_u64_e64 s13, v[16:17], v[64:65]
	v_mov_b64_e32 v[16:17], v[4:5]
	s_and_saveexec_b32 s75, s13
; %bb.17307:                            ;   in Loop: Header=BB4_16247 Depth=3
	v_bfe_u32 v16, v4, 21, 1
	v_mov_b32_e32 v17, v3
	s_delay_alu instid0(VALU_DEP_1) | instskip(NEXT) | instid1(VALU_DEP_1)
	v_add_nc_u64_e32 v[16:17], v[4:5], v[16:17]
	v_add_nc_u64_e32 v[16:17], -1, v[16:17]
; %bb.17308:                            ;   in Loop: Header=BB4_16247 Depth=3
	s_or_b32 exec_lo, exec_lo, s75
	v_add_nc_u32_e32 v5, 0xffffff81, v21
	v_lshrrev_b32_e32 v17, 23, v4
	s_mov_b32 s13, exec_lo
	s_delay_alu instid0(VALU_DEP_2) | instskip(NEXT) | instid1(VALU_DEP_1)
	v_cndmask_b32_e64 v5, v5, 0xffffff82, vcc_lo
	v_add3_u32 v17, v31, v5, v17
	v_and_b32_e32 v5, 0x1fffff, v16
                                        ; implicit-def: $vgpr16
	s_delay_alu instid0(VALU_DEP_1) | instskip(SKIP_1) | instid1(VALU_DEP_2)
	v_dual_add_nc_u32 v21, 14, v17 :: v_dual_add_nc_u32 v4, v5, v4
	v_mov_b32_e32 v5, v3
	v_cmpx_ne_u32_e32 0, v21
	s_xor_b32 s13, exec_lo, s13
; %bb.17309:                            ;   in Loop: Header=BB4_16247 Depth=3
	s_delay_alu instid0(VALU_DEP_2) | instskip(SKIP_2) | instid1(VALU_DEP_2)
	v_cmp_lt_u64_e32 vcc_lo, 0xffffff, v[4:5]
	v_add_nc_u32_e32 v16, 15, v17
	v_cndmask_b32_e64 v17, 0, 1, vcc_lo
	v_cndmask_b32_e32 v16, v21, v16, vcc_lo
	s_delay_alu instid0(VALU_DEP_2)
	v_lshrrev_b64 v[4:5], v17, v[4:5]
; %bb.17310:                            ;   in Loop: Header=BB4_16247 Depth=3
	s_and_not1_saveexec_b32 s13, s13
; %bb.17311:                            ;   in Loop: Header=BB4_16247 Depth=3
	s_delay_alu instid0(VALU_DEP_1)
	v_bfe_u32 v16, v4, 23, 1
; %bb.17312:                            ;   in Loop: Header=BB4_16247 Depth=3
	s_or_b32 exec_lo, exec_lo, s13
	s_delay_alu instid0(VALU_DEP_2) | instskip(NEXT) | instid1(VALU_DEP_2)
	v_lshrrev_b64 v[4:5], 21, v[4:5]
	v_cmp_gt_i32_e32 vcc_lo, 32, v16
	v_cmp_ne_u32_e64 s13, 0, v16
                                        ; implicit-def: $vgpr21
	s_delay_alu instid0(VALU_DEP_3) | instskip(NEXT) | instid1(VALU_DEP_1)
	v_dual_cndmask_b32 v5, 0, v5 :: v_dual_cndmask_b32 v4, 3, v4
	v_cmp_ne_u64_e32 vcc_lo, 0, v[4:5]
	s_or_b32 s13, s13, vcc_lo
	s_delay_alu instid0(SALU_CYCLE_1) | instskip(NEXT) | instid1(SALU_CYCLE_1)
	s_and_saveexec_b32 s75, s13
	s_xor_b32 s13, exec_lo, s75
; %bb.17313:                            ;   in Loop: Header=BB4_16247 Depth=3
	v_min_i32_e32 v5, 31, v16
	s_delay_alu instid0(VALU_DEP_1) | instskip(NEXT) | instid1(VALU_DEP_1)
	v_lshl_or_b32 v5, v5, 2, v15
                                        ; implicit-def: $vgpr15
	v_and_or_b32 v21, v4, 3, v5
; %bb.17314:                            ;   in Loop: Header=BB4_16247 Depth=3
	s_and_not1_saveexec_b32 s13, s13
; %bb.17315:                            ;   in Loop: Header=BB4_16247 Depth=3
	v_mov_b32_e32 v21, v15
; %bb.17316:                            ;   in Loop: Header=BB4_16247 Depth=3
	s_or_b32 exec_lo, exec_lo, s13
.LBB4_17317:                            ;   in Loop: Header=BB4_16247 Depth=3
	s_delay_alu instid0(SALU_CYCLE_1)
	s_or_b32 exec_lo, exec_lo, s74
                                        ; implicit-def: $vgpr15
.LBB4_17318:                            ;   in Loop: Header=BB4_16247 Depth=3
	s_and_not1_saveexec_b32 s13, s15
; %bb.17319:                            ;   in Loop: Header=BB4_16247 Depth=3
	v_or_b32_e32 v21, 0x7b, v15
; %bb.17320:                            ;   in Loop: Header=BB4_16247 Depth=3
	s_or_b32 exec_lo, exec_lo, s13
                                        ; implicit-def: $vgpr16
                                        ; implicit-def: $vgpr4_vgpr5
.LBB4_17321:                            ;   in Loop: Header=BB4_16247 Depth=3
	s_and_not1_saveexec_b32 s13, s14
	s_cbranch_execz .LBB4_17327
; %bb.17322:                            ;   in Loop: Header=BB4_16247 Depth=3
	s_mov_b32 s14, exec_lo
                                        ; implicit-def: $vgpr21
	v_cmpx_ne_u64_e32 0, v[4:5]
	s_xor_b32 s14, exec_lo, s14
; %bb.17323:                            ;   in Loop: Header=BB4_16247 Depth=3
	v_lshrrev_b32_e32 v4, 24, v16
                                        ; implicit-def: $vgpr16
	s_delay_alu instid0(VALU_DEP_1)
	v_or_b32_e32 v21, 0x7f, v4
; %bb.17324:                            ;   in Loop: Header=BB4_16247 Depth=3
	s_and_not1_saveexec_b32 s14, s14
; %bb.17325:                            ;   in Loop: Header=BB4_16247 Depth=3
	v_cmp_lt_i32_e32 vcc_lo, -1, v16
	v_cndmask_b32_e64 v21, -4, 0x7c, vcc_lo
; %bb.17326:                            ;   in Loop: Header=BB4_16247 Depth=3
	s_or_b32 exec_lo, exec_lo, s14
.LBB4_17327:                            ;   in Loop: Header=BB4_16247 Depth=3
	s_delay_alu instid0(SALU_CYCLE_1) | instskip(SKIP_3) | instid1(VALU_DEP_2)
	s_or_b32 exec_lo, exec_lo, s13
	v_and_b32_e32 v16, 0xff, v44
	v_dual_mov_b32 v4, 0 :: v_dual_mov_b32 v5, 0
	s_mov_b32 s13, exec_lo
	v_cmpx_ne_u16_e32 0, v16
	s_cbranch_execz .LBB4_17337
; %bb.17328:                            ;   in Loop: Header=BB4_16247 Depth=3
	v_bfrev_b32_e32 v5, 1
	s_mov_b32 s14, exec_lo
	v_cmpx_ne_u16_e32 0x80, v16
	s_cbranch_execz .LBB4_17336
; %bb.17329:                            ;   in Loop: Header=BB4_16247 Depth=3
	v_and_b32_e32 v5, 0x7c, v44
	v_and_b32_e32 v15, 3, v44
	s_delay_alu instid0(VALU_DEP_2) | instskip(SKIP_1) | instid1(SALU_CYCLE_1)
	v_cmp_ne_u32_e32 vcc_lo, 0x7c, v5
                                        ; implicit-def: $vgpr5
	s_and_saveexec_b32 s15, vcc_lo
	s_xor_b32 s15, exec_lo, s15
	s_cbranch_execz .LBB4_17333
; %bb.17330:                            ;   in Loop: Header=BB4_16247 Depth=3
	v_bfe_u32 v5, v16, 2, 5
	s_mov_b32 s74, exec_lo
	s_delay_alu instid0(VALU_DEP_1)
	v_cmpx_eq_u32_e32 0, v5
	s_cbranch_execz .LBB4_17332
; %bb.17331:                            ;   in Loop: Header=BB4_16247 Depth=3
	v_clz_i32_u32_e32 v5, v15
	s_delay_alu instid0(VALU_DEP_1) | instskip(SKIP_1) | instid1(VALU_DEP_2)
	v_min_u32_e32 v5, 32, v5
	v_mov_b32_e32 v45, v3
	v_subrev_nc_u32_e32 v15, 29, v5
	v_sub_nc_u32_e32 v5, 30, v5
	s_delay_alu instid0(VALU_DEP_2) | instskip(NEXT) | instid1(VALU_DEP_1)
	v_lshlrev_b64_e32 v[16:17], v15, v[44:45]
	v_and_b32_e32 v15, 3, v16
.LBB4_17332:                            ;   in Loop: Header=BB4_16247 Depth=3
	s_or_b32 exec_lo, exec_lo, s74
	v_lshlrev_b32_e32 v16, 24, v44
                                        ; implicit-def: $vgpr44
	s_delay_alu instid0(VALU_DEP_1) | instskip(NEXT) | instid1(VALU_DEP_1)
	v_and_b32_e32 v16, 0x80000000, v16
	v_lshl_add_u32 v5, v5, 23, v16
	s_delay_alu instid0(VALU_DEP_1) | instskip(NEXT) | instid1(VALU_DEP_1)
	v_lshl_or_b32 v5, v15, 21, v5
                                        ; implicit-def: $vgpr15
	v_add_nc_u32_e32 v5, 0x38000000, v5
.LBB4_17333:                            ;   in Loop: Header=BB4_16247 Depth=3
	s_and_not1_saveexec_b32 s15, s15
; %bb.17334:                            ;   in Loop: Header=BB4_16247 Depth=3
	v_bfe_i32 v5, v44, 0, 8
	s_delay_alu instid0(VALU_DEP_1) | instskip(SKIP_2) | instid1(VALU_DEP_2)
	v_cmp_lt_i16_e32 vcc_lo, -1, v5
	v_cndmask_b32_e32 v5, 0xff800000, v48, vcc_lo
	v_cmp_eq_u32_e32 vcc_lo, 0, v15
	v_cndmask_b32_e32 v5, 0x7f800001, v5, vcc_lo
; %bb.17335:                            ;   in Loop: Header=BB4_16247 Depth=3
	s_or_b32 exec_lo, exec_lo, s15
.LBB4_17336:                            ;   in Loop: Header=BB4_16247 Depth=3
	s_delay_alu instid0(SALU_CYCLE_1)
	s_or_b32 exec_lo, exec_lo, s14
.LBB4_17337:                            ;   in Loop: Header=BB4_16247 Depth=3
	s_delay_alu instid0(SALU_CYCLE_1) | instskip(NEXT) | instid1(SALU_CYCLE_1)
	s_or_b32 exec_lo, exec_lo, s13
	s_mov_b32 s13, exec_lo
	s_wait_loadcnt_dscnt 0x303
	v_cmpx_ne_u16_e32 0, v94
	s_cbranch_execz .LBB4_17347
; %bb.17338:                            ;   in Loop: Header=BB4_16247 Depth=3
	v_bfrev_b32_e32 v4, 1
	s_mov_b32 s14, exec_lo
	v_cmpx_ne_u16_e32 0xff80, v94
	s_cbranch_execz .LBB4_17346
; %bb.17339:                            ;   in Loop: Header=BB4_16247 Depth=3
	v_and_b32_e32 v4, 0x7c, v94
	v_and_b32_e32 v15, 3, v94
	s_delay_alu instid0(VALU_DEP_2) | instskip(SKIP_1) | instid1(SALU_CYCLE_1)
	v_cmp_ne_u32_e32 vcc_lo, 0x7c, v4
                                        ; implicit-def: $vgpr4
	s_and_saveexec_b32 s15, vcc_lo
	s_xor_b32 s15, exec_lo, s15
	s_cbranch_execz .LBB4_17343
; %bb.17340:                            ;   in Loop: Header=BB4_16247 Depth=3
	v_and_b32_e32 v4, 0xff, v94
	s_mov_b32 s74, exec_lo
	s_delay_alu instid0(VALU_DEP_1) | instskip(NEXT) | instid1(VALU_DEP_1)
	v_bfe_u32 v4, v4, 2, 5
	v_cmpx_eq_u32_e32 0, v4
	s_cbranch_execz .LBB4_17342
; %bb.17341:                            ;   in Loop: Header=BB4_16247 Depth=3
	v_clz_i32_u32_e32 v4, v15
	s_delay_alu instid0(VALU_DEP_1) | instskip(SKIP_1) | instid1(VALU_DEP_2)
	v_min_u32_e32 v4, 32, v4
	v_mov_b32_e32 v95, v3
	v_subrev_nc_u32_e32 v15, 29, v4
	v_sub_nc_u32_e32 v4, 30, v4
	s_delay_alu instid0(VALU_DEP_2) | instskip(NEXT) | instid1(VALU_DEP_1)
	v_lshlrev_b64_e32 v[16:17], v15, v[94:95]
	v_and_b32_e32 v15, 3, v16
.LBB4_17342:                            ;   in Loop: Header=BB4_16247 Depth=3
	s_or_b32 exec_lo, exec_lo, s74
	v_bfe_i32 v16, v94, 0, 16
                                        ; implicit-def: $vgpr94
	s_delay_alu instid0(VALU_DEP_1) | instskip(NEXT) | instid1(VALU_DEP_1)
	v_and_b32_e32 v16, 0x80000000, v16
	v_lshl_add_u32 v4, v4, 23, v16
	s_delay_alu instid0(VALU_DEP_1) | instskip(NEXT) | instid1(VALU_DEP_1)
	v_lshl_or_b32 v4, v15, 21, v4
                                        ; implicit-def: $vgpr15
	v_add_nc_u32_e32 v4, 0x38000000, v4
.LBB4_17343:                            ;   in Loop: Header=BB4_16247 Depth=3
	s_and_not1_saveexec_b32 s15, s15
; %bb.17344:                            ;   in Loop: Header=BB4_16247 Depth=3
	v_cmp_lt_i16_e32 vcc_lo, -1, v94
	v_cndmask_b32_e32 v4, 0xff800000, v48, vcc_lo
	v_cmp_eq_u32_e32 vcc_lo, 0, v15
	s_delay_alu instid0(VALU_DEP_2)
	v_cndmask_b32_e32 v4, 0x7f800001, v4, vcc_lo
; %bb.17345:                            ;   in Loop: Header=BB4_16247 Depth=3
	s_or_b32 exec_lo, exec_lo, s15
.LBB4_17346:                            ;   in Loop: Header=BB4_16247 Depth=3
	s_delay_alu instid0(SALU_CYCLE_1)
	s_or_b32 exec_lo, exec_lo, s14
.LBB4_17347:                            ;   in Loop: Header=BB4_16247 Depth=3
	s_delay_alu instid0(SALU_CYCLE_1) | instskip(NEXT) | instid1(VALU_DEP_1)
	s_or_b32 exec_lo, exec_lo, s13
	v_dual_add_f32 v16, v5, v4 :: v_dual_mov_b32 v5, v3
                                        ; implicit-def: $vgpr31
	s_delay_alu instid0(VALU_DEP_1) | instskip(NEXT) | instid1(VALU_DEP_1)
	v_and_b32_e32 v4, 0x7f800000, v16
	v_cmp_ne_u64_e32 vcc_lo, 0x7f800000, v[4:5]
	v_and_b32_e32 v4, 0x7fffff, v16
	s_and_saveexec_b32 s13, vcc_lo
	s_delay_alu instid0(SALU_CYCLE_1)
	s_xor_b32 s14, exec_lo, s13
	s_cbranch_execz .LBB4_17365
; %bb.17348:                            ;   in Loop: Header=BB4_16247 Depth=3
	v_dual_mov_b32 v65, v3 :: v_dual_lshrrev_b32 v15, 24, v16
	v_and_b32_e32 v64, 0x7fffffff, v16
                                        ; implicit-def: $vgpr31
	s_mov_b32 s13, exec_lo
	s_delay_alu instid0(VALU_DEP_2) | instskip(NEXT) | instid1(VALU_DEP_2)
	v_and_b32_e32 v15, 0x80, v15
	v_cmpx_gt_u64_e32 0x47600001, v[64:65]
	s_xor_b32 s15, exec_lo, s13
	s_cbranch_execz .LBB4_17362
; %bb.17349:                            ;   in Loop: Header=BB4_16247 Depth=3
	v_mov_b32_e32 v31, 0
	s_mov_b32 s74, exec_lo
	v_cmpx_ne_u32_e32 0, v16
	s_cbranch_execz .LBB4_17361
; %bb.17350:                            ;   in Loop: Header=BB4_16247 Depth=3
	v_bfe_u32 v31, v16, 23, 8
	v_or_b32_e32 v65, 0x800000, v4
	s_delay_alu instid0(VALU_DEP_2) | instskip(SKIP_1) | instid1(VALU_DEP_2)
	v_sub_nc_u32_e32 v16, 0x71, v31
	v_cmp_gt_u32_e32 vcc_lo, 0x72, v31
	v_cndmask_b32_e32 v16, 0, v16, vcc_lo
	v_cmp_eq_u32_e32 vcc_lo, 0, v31
	s_delay_alu instid0(VALU_DEP_2) | instskip(SKIP_1) | instid1(VALU_DEP_2)
	v_cndmask_b32_e64 v64, v16, 0x70, vcc_lo
	v_cndmask_b32_e32 v4, v65, v4, vcc_lo
	v_dual_add_nc_u32 v16, 21, v64 :: v_dual_add_nc_u32 v86, 20, v64
	s_delay_alu instid0(VALU_DEP_1) | instskip(NEXT) | instid1(VALU_DEP_2)
	v_lshlrev_b64_e64 v[16:17], v16, -1
	v_lshlrev_b64_e64 v[86:87], v86, 1
	s_delay_alu instid0(VALU_DEP_2) | instskip(SKIP_1) | instid1(VALU_DEP_4)
	v_bfi_b32 v16, v16, 0, v4
	v_lshrrev_b64 v[4:5], v64, v[4:5]
	v_bfi_b32 v17, v17, 0, 0
	s_delay_alu instid0(VALU_DEP_1) | instskip(NEXT) | instid1(VALU_DEP_3)
	v_cmp_eq_u64_e64 s13, v[16:17], v[86:87]
	v_mov_b64_e32 v[16:17], v[4:5]
	s_and_saveexec_b32 s75, s13
; %bb.17351:                            ;   in Loop: Header=BB4_16247 Depth=3
	v_bfe_u32 v16, v4, 21, 1
	v_mov_b32_e32 v17, v3
	s_delay_alu instid0(VALU_DEP_1) | instskip(NEXT) | instid1(VALU_DEP_1)
	v_add_nc_u64_e32 v[16:17], v[4:5], v[16:17]
	v_add_nc_u64_e32 v[16:17], -1, v[16:17]
; %bb.17352:                            ;   in Loop: Header=BB4_16247 Depth=3
	s_or_b32 exec_lo, exec_lo, s75
	v_add_nc_u32_e32 v5, 0xffffff81, v31
	v_lshrrev_b32_e32 v17, 23, v4
	s_mov_b32 s13, exec_lo
	s_delay_alu instid0(VALU_DEP_2) | instskip(NEXT) | instid1(VALU_DEP_1)
	v_cndmask_b32_e64 v5, v5, 0xffffff82, vcc_lo
	v_add3_u32 v17, v64, v5, v17
	v_and_b32_e32 v5, 0x1fffff, v16
                                        ; implicit-def: $vgpr16
	s_delay_alu instid0(VALU_DEP_1) | instskip(SKIP_1) | instid1(VALU_DEP_2)
	v_dual_add_nc_u32 v31, 14, v17 :: v_dual_add_nc_u32 v4, v5, v4
	v_mov_b32_e32 v5, v3
	v_cmpx_ne_u32_e32 0, v31
	s_xor_b32 s13, exec_lo, s13
; %bb.17353:                            ;   in Loop: Header=BB4_16247 Depth=3
	s_delay_alu instid0(VALU_DEP_2) | instskip(SKIP_2) | instid1(VALU_DEP_2)
	v_cmp_lt_u64_e32 vcc_lo, 0xffffff, v[4:5]
	v_add_nc_u32_e32 v16, 15, v17
	v_cndmask_b32_e64 v17, 0, 1, vcc_lo
	v_cndmask_b32_e32 v16, v31, v16, vcc_lo
	s_delay_alu instid0(VALU_DEP_2)
	v_lshrrev_b64 v[4:5], v17, v[4:5]
; %bb.17354:                            ;   in Loop: Header=BB4_16247 Depth=3
	s_and_not1_saveexec_b32 s13, s13
; %bb.17355:                            ;   in Loop: Header=BB4_16247 Depth=3
	s_delay_alu instid0(VALU_DEP_1)
	v_bfe_u32 v16, v4, 23, 1
; %bb.17356:                            ;   in Loop: Header=BB4_16247 Depth=3
	s_or_b32 exec_lo, exec_lo, s13
	s_delay_alu instid0(VALU_DEP_2) | instskip(NEXT) | instid1(VALU_DEP_2)
	v_lshrrev_b64 v[4:5], 21, v[4:5]
	v_cmp_gt_i32_e32 vcc_lo, 32, v16
	v_cmp_ne_u32_e64 s13, 0, v16
                                        ; implicit-def: $vgpr31
	s_delay_alu instid0(VALU_DEP_3) | instskip(NEXT) | instid1(VALU_DEP_1)
	v_dual_cndmask_b32 v5, 0, v5 :: v_dual_cndmask_b32 v4, 3, v4
	v_cmp_ne_u64_e32 vcc_lo, 0, v[4:5]
	s_or_b32 s13, s13, vcc_lo
	s_delay_alu instid0(SALU_CYCLE_1) | instskip(NEXT) | instid1(SALU_CYCLE_1)
	s_and_saveexec_b32 s75, s13
	s_xor_b32 s13, exec_lo, s75
; %bb.17357:                            ;   in Loop: Header=BB4_16247 Depth=3
	v_min_i32_e32 v5, 31, v16
	s_delay_alu instid0(VALU_DEP_1) | instskip(NEXT) | instid1(VALU_DEP_1)
	v_lshl_or_b32 v5, v5, 2, v15
                                        ; implicit-def: $vgpr15
	v_and_or_b32 v31, v4, 3, v5
; %bb.17358:                            ;   in Loop: Header=BB4_16247 Depth=3
	s_and_not1_saveexec_b32 s13, s13
; %bb.17359:                            ;   in Loop: Header=BB4_16247 Depth=3
	v_mov_b32_e32 v31, v15
; %bb.17360:                            ;   in Loop: Header=BB4_16247 Depth=3
	s_or_b32 exec_lo, exec_lo, s13
.LBB4_17361:                            ;   in Loop: Header=BB4_16247 Depth=3
	s_delay_alu instid0(SALU_CYCLE_1)
	s_or_b32 exec_lo, exec_lo, s74
                                        ; implicit-def: $vgpr15
.LBB4_17362:                            ;   in Loop: Header=BB4_16247 Depth=3
	s_and_not1_saveexec_b32 s13, s15
; %bb.17363:                            ;   in Loop: Header=BB4_16247 Depth=3
	v_or_b32_e32 v31, 0x7b, v15
; %bb.17364:                            ;   in Loop: Header=BB4_16247 Depth=3
	s_or_b32 exec_lo, exec_lo, s13
                                        ; implicit-def: $vgpr16
                                        ; implicit-def: $vgpr4_vgpr5
.LBB4_17365:                            ;   in Loop: Header=BB4_16247 Depth=3
	s_and_not1_saveexec_b32 s13, s14
	s_cbranch_execz .LBB4_17371
; %bb.17366:                            ;   in Loop: Header=BB4_16247 Depth=3
	s_mov_b32 s14, exec_lo
                                        ; implicit-def: $vgpr31
	v_cmpx_ne_u64_e32 0, v[4:5]
	s_xor_b32 s14, exec_lo, s14
; %bb.17367:                            ;   in Loop: Header=BB4_16247 Depth=3
	v_lshrrev_b32_e32 v4, 24, v16
                                        ; implicit-def: $vgpr16
	s_delay_alu instid0(VALU_DEP_1)
	v_or_b32_e32 v31, 0x7f, v4
; %bb.17368:                            ;   in Loop: Header=BB4_16247 Depth=3
	s_and_not1_saveexec_b32 s14, s14
; %bb.17369:                            ;   in Loop: Header=BB4_16247 Depth=3
	v_cmp_lt_i32_e32 vcc_lo, -1, v16
	v_cndmask_b32_e64 v31, -4, 0x7c, vcc_lo
; %bb.17370:                            ;   in Loop: Header=BB4_16247 Depth=3
	s_or_b32 exec_lo, exec_lo, s14
.LBB4_17371:                            ;   in Loop: Header=BB4_16247 Depth=3
	s_delay_alu instid0(SALU_CYCLE_1) | instskip(SKIP_3) | instid1(VALU_DEP_2)
	s_or_b32 exec_lo, exec_lo, s13
	v_and_b32_e32 v16, 0xff, v42
	v_dual_mov_b32 v4, 0 :: v_dual_mov_b32 v5, 0
	s_mov_b32 s13, exec_lo
	v_cmpx_ne_u16_e32 0, v16
	s_cbranch_execz .LBB4_17381
; %bb.17372:                            ;   in Loop: Header=BB4_16247 Depth=3
	v_bfrev_b32_e32 v5, 1
	s_mov_b32 s14, exec_lo
	v_cmpx_ne_u16_e32 0x80, v16
	s_cbranch_execz .LBB4_17380
; %bb.17373:                            ;   in Loop: Header=BB4_16247 Depth=3
	v_and_b32_e32 v5, 0x7c, v42
	v_and_b32_e32 v15, 3, v42
	s_delay_alu instid0(VALU_DEP_2) | instskip(SKIP_1) | instid1(SALU_CYCLE_1)
	v_cmp_ne_u32_e32 vcc_lo, 0x7c, v5
                                        ; implicit-def: $vgpr5
	s_and_saveexec_b32 s15, vcc_lo
	s_xor_b32 s15, exec_lo, s15
	s_cbranch_execz .LBB4_17377
; %bb.17374:                            ;   in Loop: Header=BB4_16247 Depth=3
	v_bfe_u32 v5, v16, 2, 5
	s_mov_b32 s74, exec_lo
	s_delay_alu instid0(VALU_DEP_1)
	v_cmpx_eq_u32_e32 0, v5
	s_cbranch_execz .LBB4_17376
; %bb.17375:                            ;   in Loop: Header=BB4_16247 Depth=3
	v_clz_i32_u32_e32 v5, v15
	s_delay_alu instid0(VALU_DEP_1) | instskip(SKIP_1) | instid1(VALU_DEP_2)
	v_min_u32_e32 v5, 32, v5
	v_mov_b32_e32 v43, v3
	v_subrev_nc_u32_e32 v15, 29, v5
	v_sub_nc_u32_e32 v5, 30, v5
	s_delay_alu instid0(VALU_DEP_2) | instskip(NEXT) | instid1(VALU_DEP_1)
	v_lshlrev_b64_e32 v[16:17], v15, v[42:43]
	v_and_b32_e32 v15, 3, v16
.LBB4_17376:                            ;   in Loop: Header=BB4_16247 Depth=3
	s_or_b32 exec_lo, exec_lo, s74
	v_lshlrev_b32_e32 v16, 24, v42
                                        ; implicit-def: $vgpr42
	s_delay_alu instid0(VALU_DEP_1) | instskip(NEXT) | instid1(VALU_DEP_1)
	v_and_b32_e32 v16, 0x80000000, v16
	v_lshl_add_u32 v5, v5, 23, v16
	s_delay_alu instid0(VALU_DEP_1) | instskip(NEXT) | instid1(VALU_DEP_1)
	v_lshl_or_b32 v5, v15, 21, v5
                                        ; implicit-def: $vgpr15
	v_add_nc_u32_e32 v5, 0x38000000, v5
.LBB4_17377:                            ;   in Loop: Header=BB4_16247 Depth=3
	s_and_not1_saveexec_b32 s15, s15
; %bb.17378:                            ;   in Loop: Header=BB4_16247 Depth=3
	v_bfe_i32 v5, v42, 0, 8
	s_delay_alu instid0(VALU_DEP_1) | instskip(SKIP_2) | instid1(VALU_DEP_2)
	v_cmp_lt_i16_e32 vcc_lo, -1, v5
	v_cndmask_b32_e32 v5, 0xff800000, v48, vcc_lo
	v_cmp_eq_u32_e32 vcc_lo, 0, v15
	v_cndmask_b32_e32 v5, 0x7f800001, v5, vcc_lo
; %bb.17379:                            ;   in Loop: Header=BB4_16247 Depth=3
	s_or_b32 exec_lo, exec_lo, s15
.LBB4_17380:                            ;   in Loop: Header=BB4_16247 Depth=3
	s_delay_alu instid0(SALU_CYCLE_1)
	s_or_b32 exec_lo, exec_lo, s14
.LBB4_17381:                            ;   in Loop: Header=BB4_16247 Depth=3
	s_delay_alu instid0(SALU_CYCLE_1) | instskip(NEXT) | instid1(SALU_CYCLE_1)
	s_or_b32 exec_lo, exec_lo, s13
	s_mov_b32 s13, exec_lo
	s_wait_loadcnt_dscnt 0x202
	v_cmpx_ne_u16_e32 0, v76
	s_cbranch_execz .LBB4_17391
; %bb.17382:                            ;   in Loop: Header=BB4_16247 Depth=3
	v_bfrev_b32_e32 v4, 1
	s_mov_b32 s14, exec_lo
	v_cmpx_ne_u16_e32 0xff80, v76
	s_cbranch_execz .LBB4_17390
; %bb.17383:                            ;   in Loop: Header=BB4_16247 Depth=3
	v_and_b32_e32 v4, 0x7c, v76
	v_and_b32_e32 v15, 3, v76
	s_delay_alu instid0(VALU_DEP_2) | instskip(SKIP_1) | instid1(SALU_CYCLE_1)
	v_cmp_ne_u32_e32 vcc_lo, 0x7c, v4
                                        ; implicit-def: $vgpr4
	s_and_saveexec_b32 s15, vcc_lo
	s_xor_b32 s15, exec_lo, s15
	s_cbranch_execz .LBB4_17387
; %bb.17384:                            ;   in Loop: Header=BB4_16247 Depth=3
	v_and_b32_e32 v4, 0xff, v76
	s_mov_b32 s74, exec_lo
	s_delay_alu instid0(VALU_DEP_1) | instskip(NEXT) | instid1(VALU_DEP_1)
	v_bfe_u32 v4, v4, 2, 5
	v_cmpx_eq_u32_e32 0, v4
	s_cbranch_execz .LBB4_17386
; %bb.17385:                            ;   in Loop: Header=BB4_16247 Depth=3
	v_clz_i32_u32_e32 v4, v15
	s_delay_alu instid0(VALU_DEP_1) | instskip(SKIP_1) | instid1(VALU_DEP_2)
	v_min_u32_e32 v4, 32, v4
	v_mov_b32_e32 v77, v3
	v_subrev_nc_u32_e32 v15, 29, v4
	v_sub_nc_u32_e32 v4, 30, v4
	s_delay_alu instid0(VALU_DEP_2) | instskip(NEXT) | instid1(VALU_DEP_1)
	v_lshlrev_b64_e32 v[16:17], v15, v[76:77]
	v_and_b32_e32 v15, 3, v16
.LBB4_17386:                            ;   in Loop: Header=BB4_16247 Depth=3
	s_or_b32 exec_lo, exec_lo, s74
	v_bfe_i32 v16, v76, 0, 16
                                        ; implicit-def: $vgpr76
	s_delay_alu instid0(VALU_DEP_1) | instskip(NEXT) | instid1(VALU_DEP_1)
	v_and_b32_e32 v16, 0x80000000, v16
	v_lshl_add_u32 v4, v4, 23, v16
	s_delay_alu instid0(VALU_DEP_1) | instskip(NEXT) | instid1(VALU_DEP_1)
	v_lshl_or_b32 v4, v15, 21, v4
                                        ; implicit-def: $vgpr15
	v_add_nc_u32_e32 v4, 0x38000000, v4
.LBB4_17387:                            ;   in Loop: Header=BB4_16247 Depth=3
	s_and_not1_saveexec_b32 s15, s15
; %bb.17388:                            ;   in Loop: Header=BB4_16247 Depth=3
	v_cmp_lt_i16_e32 vcc_lo, -1, v76
	v_cndmask_b32_e32 v4, 0xff800000, v48, vcc_lo
	v_cmp_eq_u32_e32 vcc_lo, 0, v15
	s_delay_alu instid0(VALU_DEP_2)
	v_cndmask_b32_e32 v4, 0x7f800001, v4, vcc_lo
; %bb.17389:                            ;   in Loop: Header=BB4_16247 Depth=3
	s_or_b32 exec_lo, exec_lo, s15
.LBB4_17390:                            ;   in Loop: Header=BB4_16247 Depth=3
	s_delay_alu instid0(SALU_CYCLE_1)
	s_or_b32 exec_lo, exec_lo, s14
.LBB4_17391:                            ;   in Loop: Header=BB4_16247 Depth=3
	s_delay_alu instid0(SALU_CYCLE_1) | instskip(NEXT) | instid1(VALU_DEP_1)
	s_or_b32 exec_lo, exec_lo, s13
	v_dual_add_f32 v16, v5, v4 :: v_dual_mov_b32 v5, v3
                                        ; implicit-def: $vgpr64
	s_delay_alu instid0(VALU_DEP_1) | instskip(NEXT) | instid1(VALU_DEP_1)
	v_and_b32_e32 v4, 0x7f800000, v16
	v_cmp_ne_u64_e32 vcc_lo, 0x7f800000, v[4:5]
	v_and_b32_e32 v4, 0x7fffff, v16
	s_and_saveexec_b32 s13, vcc_lo
	s_delay_alu instid0(SALU_CYCLE_1)
	s_xor_b32 s14, exec_lo, s13
	s_cbranch_execz .LBB4_17409
; %bb.17392:                            ;   in Loop: Header=BB4_16247 Depth=3
	v_and_b32_e32 v64, 0x7fffffff, v16
	v_dual_mov_b32 v65, v3 :: v_dual_lshrrev_b32 v15, 24, v16
	s_delay_alu instid0(VALU_DEP_1) | instskip(NEXT) | instid1(VALU_DEP_2)
	v_cmp_gt_u64_e32 vcc_lo, 0x47600001, v[64:65]
	v_and_b32_e32 v15, 0x80, v15
                                        ; implicit-def: $vgpr64
	s_and_saveexec_b32 s13, vcc_lo
	s_delay_alu instid0(SALU_CYCLE_1)
	s_xor_b32 s15, exec_lo, s13
	s_cbranch_execz .LBB4_17406
; %bb.17393:                            ;   in Loop: Header=BB4_16247 Depth=3
	v_mov_b32_e32 v64, 0
	s_mov_b32 s74, exec_lo
	v_cmpx_ne_u32_e32 0, v16
	s_cbranch_execz .LBB4_17405
; %bb.17394:                            ;   in Loop: Header=BB4_16247 Depth=3
	v_bfe_u32 v64, v16, 23, 8
	v_or_b32_e32 v86, 0x800000, v4
	s_delay_alu instid0(VALU_DEP_2) | instskip(SKIP_1) | instid1(VALU_DEP_2)
	v_sub_nc_u32_e32 v16, 0x71, v64
	v_cmp_gt_u32_e32 vcc_lo, 0x72, v64
	v_cndmask_b32_e32 v16, 0, v16, vcc_lo
	v_cmp_eq_u32_e32 vcc_lo, 0, v64
	s_delay_alu instid0(VALU_DEP_2) | instskip(NEXT) | instid1(VALU_DEP_1)
	v_cndmask_b32_e64 v65, v16, 0x70, vcc_lo
	v_dual_cndmask_b32 v4, v86, v4, vcc_lo :: v_dual_add_nc_u32 v16, 21, v65
	v_add_nc_u32_e32 v87, 20, v65
	s_delay_alu instid0(VALU_DEP_2) | instskip(NEXT) | instid1(VALU_DEP_2)
	v_lshlrev_b64_e64 v[16:17], v16, -1
	v_lshlrev_b64_e64 v[86:87], v87, 1
	s_delay_alu instid0(VALU_DEP_2) | instskip(SKIP_1) | instid1(VALU_DEP_4)
	v_bfi_b32 v16, v16, 0, v4
	v_lshrrev_b64 v[4:5], v65, v[4:5]
	v_bfi_b32 v17, v17, 0, 0
	s_delay_alu instid0(VALU_DEP_1) | instskip(NEXT) | instid1(VALU_DEP_3)
	v_cmp_eq_u64_e64 s13, v[16:17], v[86:87]
	v_mov_b64_e32 v[16:17], v[4:5]
	s_and_saveexec_b32 s75, s13
; %bb.17395:                            ;   in Loop: Header=BB4_16247 Depth=3
	v_bfe_u32 v16, v4, 21, 1
	v_mov_b32_e32 v17, v3
	s_delay_alu instid0(VALU_DEP_1) | instskip(NEXT) | instid1(VALU_DEP_1)
	v_add_nc_u64_e32 v[16:17], v[4:5], v[16:17]
	v_add_nc_u64_e32 v[16:17], -1, v[16:17]
; %bb.17396:                            ;   in Loop: Header=BB4_16247 Depth=3
	s_or_b32 exec_lo, exec_lo, s75
	v_add_nc_u32_e32 v5, 0xffffff81, v64
	v_lshrrev_b32_e32 v17, 23, v4
	s_mov_b32 s13, exec_lo
	s_delay_alu instid0(VALU_DEP_2) | instskip(NEXT) | instid1(VALU_DEP_1)
	v_cndmask_b32_e64 v5, v5, 0xffffff82, vcc_lo
	v_add3_u32 v17, v65, v5, v17
	v_and_b32_e32 v5, 0x1fffff, v16
                                        ; implicit-def: $vgpr16
	s_delay_alu instid0(VALU_DEP_1) | instskip(SKIP_1) | instid1(VALU_DEP_2)
	v_dual_add_nc_u32 v64, 14, v17 :: v_dual_add_nc_u32 v4, v5, v4
	v_mov_b32_e32 v5, v3
	v_cmpx_ne_u32_e32 0, v64
	s_xor_b32 s13, exec_lo, s13
; %bb.17397:                            ;   in Loop: Header=BB4_16247 Depth=3
	s_delay_alu instid0(VALU_DEP_2) | instskip(SKIP_2) | instid1(VALU_DEP_2)
	v_cmp_lt_u64_e32 vcc_lo, 0xffffff, v[4:5]
	v_add_nc_u32_e32 v16, 15, v17
	v_cndmask_b32_e64 v17, 0, 1, vcc_lo
	v_cndmask_b32_e32 v16, v64, v16, vcc_lo
	s_delay_alu instid0(VALU_DEP_2)
	v_lshrrev_b64 v[4:5], v17, v[4:5]
; %bb.17398:                            ;   in Loop: Header=BB4_16247 Depth=3
	s_and_not1_saveexec_b32 s13, s13
; %bb.17399:                            ;   in Loop: Header=BB4_16247 Depth=3
	s_delay_alu instid0(VALU_DEP_1)
	v_bfe_u32 v16, v4, 23, 1
; %bb.17400:                            ;   in Loop: Header=BB4_16247 Depth=3
	s_or_b32 exec_lo, exec_lo, s13
	s_delay_alu instid0(VALU_DEP_2) | instskip(NEXT) | instid1(VALU_DEP_2)
	v_lshrrev_b64 v[4:5], 21, v[4:5]
	v_cmp_gt_i32_e32 vcc_lo, 32, v16
	v_cmp_ne_u32_e64 s13, 0, v16
                                        ; implicit-def: $vgpr64
	s_delay_alu instid0(VALU_DEP_3) | instskip(NEXT) | instid1(VALU_DEP_1)
	v_dual_cndmask_b32 v5, 0, v5 :: v_dual_cndmask_b32 v4, 3, v4
	v_cmp_ne_u64_e32 vcc_lo, 0, v[4:5]
	s_or_b32 s13, s13, vcc_lo
	s_delay_alu instid0(SALU_CYCLE_1) | instskip(NEXT) | instid1(SALU_CYCLE_1)
	s_and_saveexec_b32 s75, s13
	s_xor_b32 s13, exec_lo, s75
; %bb.17401:                            ;   in Loop: Header=BB4_16247 Depth=3
	v_min_i32_e32 v5, 31, v16
	s_delay_alu instid0(VALU_DEP_1) | instskip(NEXT) | instid1(VALU_DEP_1)
	v_lshl_or_b32 v5, v5, 2, v15
                                        ; implicit-def: $vgpr15
	v_and_or_b32 v64, v4, 3, v5
; %bb.17402:                            ;   in Loop: Header=BB4_16247 Depth=3
	s_and_not1_saveexec_b32 s13, s13
; %bb.17403:                            ;   in Loop: Header=BB4_16247 Depth=3
	v_mov_b32_e32 v64, v15
; %bb.17404:                            ;   in Loop: Header=BB4_16247 Depth=3
	s_or_b32 exec_lo, exec_lo, s13
.LBB4_17405:                            ;   in Loop: Header=BB4_16247 Depth=3
	s_delay_alu instid0(SALU_CYCLE_1)
	s_or_b32 exec_lo, exec_lo, s74
                                        ; implicit-def: $vgpr15
.LBB4_17406:                            ;   in Loop: Header=BB4_16247 Depth=3
	s_and_not1_saveexec_b32 s13, s15
; %bb.17407:                            ;   in Loop: Header=BB4_16247 Depth=3
	v_or_b32_e32 v64, 0x7b, v15
; %bb.17408:                            ;   in Loop: Header=BB4_16247 Depth=3
	s_or_b32 exec_lo, exec_lo, s13
                                        ; implicit-def: $vgpr16
                                        ; implicit-def: $vgpr4_vgpr5
.LBB4_17409:                            ;   in Loop: Header=BB4_16247 Depth=3
	s_and_not1_saveexec_b32 s13, s14
	s_cbranch_execz .LBB4_17415
; %bb.17410:                            ;   in Loop: Header=BB4_16247 Depth=3
	s_mov_b32 s14, exec_lo
                                        ; implicit-def: $vgpr64
	v_cmpx_ne_u64_e32 0, v[4:5]
	s_xor_b32 s14, exec_lo, s14
; %bb.17411:                            ;   in Loop: Header=BB4_16247 Depth=3
	v_lshrrev_b32_e32 v4, 24, v16
                                        ; implicit-def: $vgpr16
	s_delay_alu instid0(VALU_DEP_1)
	v_or_b32_e32 v64, 0x7f, v4
; %bb.17412:                            ;   in Loop: Header=BB4_16247 Depth=3
	s_and_not1_saveexec_b32 s14, s14
; %bb.17413:                            ;   in Loop: Header=BB4_16247 Depth=3
	v_cmp_lt_i32_e32 vcc_lo, -1, v16
	v_cndmask_b32_e64 v64, -4, 0x7c, vcc_lo
; %bb.17414:                            ;   in Loop: Header=BB4_16247 Depth=3
	s_or_b32 exec_lo, exec_lo, s14
.LBB4_17415:                            ;   in Loop: Header=BB4_16247 Depth=3
	s_delay_alu instid0(SALU_CYCLE_1) | instskip(SKIP_3) | instid1(VALU_DEP_2)
	s_or_b32 exec_lo, exec_lo, s13
	v_and_b32_e32 v16, 0xff, v40
	v_dual_mov_b32 v4, 0 :: v_dual_mov_b32 v5, 0
	s_mov_b32 s13, exec_lo
	v_cmpx_ne_u16_e32 0, v16
	s_cbranch_execz .LBB4_17425
; %bb.17416:                            ;   in Loop: Header=BB4_16247 Depth=3
	v_bfrev_b32_e32 v5, 1
	s_mov_b32 s14, exec_lo
	v_cmpx_ne_u16_e32 0x80, v16
	s_cbranch_execz .LBB4_17424
; %bb.17417:                            ;   in Loop: Header=BB4_16247 Depth=3
	v_and_b32_e32 v5, 0x7c, v40
	v_and_b32_e32 v15, 3, v40
	s_delay_alu instid0(VALU_DEP_2) | instskip(SKIP_1) | instid1(SALU_CYCLE_1)
	v_cmp_ne_u32_e32 vcc_lo, 0x7c, v5
                                        ; implicit-def: $vgpr5
	s_and_saveexec_b32 s15, vcc_lo
	s_xor_b32 s15, exec_lo, s15
	s_cbranch_execz .LBB4_17421
; %bb.17418:                            ;   in Loop: Header=BB4_16247 Depth=3
	v_bfe_u32 v5, v16, 2, 5
	s_mov_b32 s74, exec_lo
	s_delay_alu instid0(VALU_DEP_1)
	v_cmpx_eq_u32_e32 0, v5
	s_cbranch_execz .LBB4_17420
; %bb.17419:                            ;   in Loop: Header=BB4_16247 Depth=3
	v_clz_i32_u32_e32 v5, v15
	s_delay_alu instid0(VALU_DEP_1) | instskip(SKIP_1) | instid1(VALU_DEP_2)
	v_min_u32_e32 v5, 32, v5
	v_mov_b32_e32 v41, v3
	v_subrev_nc_u32_e32 v15, 29, v5
	v_sub_nc_u32_e32 v5, 30, v5
	s_delay_alu instid0(VALU_DEP_2) | instskip(NEXT) | instid1(VALU_DEP_1)
	v_lshlrev_b64_e32 v[16:17], v15, v[40:41]
	v_and_b32_e32 v15, 3, v16
.LBB4_17420:                            ;   in Loop: Header=BB4_16247 Depth=3
	s_or_b32 exec_lo, exec_lo, s74
	v_lshlrev_b32_e32 v16, 24, v40
                                        ; implicit-def: $vgpr40
	s_delay_alu instid0(VALU_DEP_1) | instskip(NEXT) | instid1(VALU_DEP_1)
	v_and_b32_e32 v16, 0x80000000, v16
	v_lshl_add_u32 v5, v5, 23, v16
	s_delay_alu instid0(VALU_DEP_1) | instskip(NEXT) | instid1(VALU_DEP_1)
	v_lshl_or_b32 v5, v15, 21, v5
                                        ; implicit-def: $vgpr15
	v_add_nc_u32_e32 v5, 0x38000000, v5
.LBB4_17421:                            ;   in Loop: Header=BB4_16247 Depth=3
	s_and_not1_saveexec_b32 s15, s15
; %bb.17422:                            ;   in Loop: Header=BB4_16247 Depth=3
	v_bfe_i32 v5, v40, 0, 8
	s_delay_alu instid0(VALU_DEP_1) | instskip(SKIP_2) | instid1(VALU_DEP_2)
	v_cmp_lt_i16_e32 vcc_lo, -1, v5
	v_cndmask_b32_e32 v5, 0xff800000, v48, vcc_lo
	v_cmp_eq_u32_e32 vcc_lo, 0, v15
	v_cndmask_b32_e32 v5, 0x7f800001, v5, vcc_lo
; %bb.17423:                            ;   in Loop: Header=BB4_16247 Depth=3
	s_or_b32 exec_lo, exec_lo, s15
.LBB4_17424:                            ;   in Loop: Header=BB4_16247 Depth=3
	s_delay_alu instid0(SALU_CYCLE_1)
	s_or_b32 exec_lo, exec_lo, s14
.LBB4_17425:                            ;   in Loop: Header=BB4_16247 Depth=3
	s_delay_alu instid0(SALU_CYCLE_1) | instskip(NEXT) | instid1(SALU_CYCLE_1)
	s_or_b32 exec_lo, exec_lo, s13
	s_mov_b32 s13, exec_lo
	s_wait_loadcnt_dscnt 0x101
	v_cmpx_ne_u16_e32 0, v58
	s_cbranch_execz .LBB4_17435
; %bb.17426:                            ;   in Loop: Header=BB4_16247 Depth=3
	v_bfrev_b32_e32 v4, 1
	s_mov_b32 s14, exec_lo
	v_cmpx_ne_u16_e32 0xff80, v58
	s_cbranch_execz .LBB4_17434
; %bb.17427:                            ;   in Loop: Header=BB4_16247 Depth=3
	v_and_b32_e32 v4, 0x7c, v58
	v_and_b32_e32 v15, 3, v58
	s_delay_alu instid0(VALU_DEP_2) | instskip(SKIP_1) | instid1(SALU_CYCLE_1)
	v_cmp_ne_u32_e32 vcc_lo, 0x7c, v4
                                        ; implicit-def: $vgpr4
	s_and_saveexec_b32 s15, vcc_lo
	s_xor_b32 s15, exec_lo, s15
	s_cbranch_execz .LBB4_17431
; %bb.17428:                            ;   in Loop: Header=BB4_16247 Depth=3
	v_and_b32_e32 v4, 0xff, v58
	s_mov_b32 s74, exec_lo
	s_delay_alu instid0(VALU_DEP_1) | instskip(NEXT) | instid1(VALU_DEP_1)
	v_bfe_u32 v4, v4, 2, 5
	v_cmpx_eq_u32_e32 0, v4
	s_cbranch_execz .LBB4_17430
; %bb.17429:                            ;   in Loop: Header=BB4_16247 Depth=3
	v_clz_i32_u32_e32 v4, v15
	s_delay_alu instid0(VALU_DEP_1) | instskip(SKIP_1) | instid1(VALU_DEP_2)
	v_min_u32_e32 v4, 32, v4
	v_mov_b32_e32 v59, v3
	v_subrev_nc_u32_e32 v15, 29, v4
	v_sub_nc_u32_e32 v4, 30, v4
	s_delay_alu instid0(VALU_DEP_2) | instskip(NEXT) | instid1(VALU_DEP_1)
	v_lshlrev_b64_e32 v[16:17], v15, v[58:59]
	v_and_b32_e32 v15, 3, v16
.LBB4_17430:                            ;   in Loop: Header=BB4_16247 Depth=3
	s_or_b32 exec_lo, exec_lo, s74
	v_bfe_i32 v16, v58, 0, 16
                                        ; implicit-def: $vgpr58
	s_delay_alu instid0(VALU_DEP_1) | instskip(NEXT) | instid1(VALU_DEP_1)
	v_and_b32_e32 v16, 0x80000000, v16
	v_lshl_add_u32 v4, v4, 23, v16
	s_delay_alu instid0(VALU_DEP_1) | instskip(NEXT) | instid1(VALU_DEP_1)
	v_lshl_or_b32 v4, v15, 21, v4
                                        ; implicit-def: $vgpr15
	v_add_nc_u32_e32 v4, 0x38000000, v4
.LBB4_17431:                            ;   in Loop: Header=BB4_16247 Depth=3
	s_and_not1_saveexec_b32 s15, s15
; %bb.17432:                            ;   in Loop: Header=BB4_16247 Depth=3
	v_cmp_lt_i16_e32 vcc_lo, -1, v58
	v_cndmask_b32_e32 v4, 0xff800000, v48, vcc_lo
	v_cmp_eq_u32_e32 vcc_lo, 0, v15
	s_delay_alu instid0(VALU_DEP_2)
	v_cndmask_b32_e32 v4, 0x7f800001, v4, vcc_lo
; %bb.17433:                            ;   in Loop: Header=BB4_16247 Depth=3
	s_or_b32 exec_lo, exec_lo, s15
.LBB4_17434:                            ;   in Loop: Header=BB4_16247 Depth=3
	s_delay_alu instid0(SALU_CYCLE_1)
	s_or_b32 exec_lo, exec_lo, s14
.LBB4_17435:                            ;   in Loop: Header=BB4_16247 Depth=3
	s_delay_alu instid0(SALU_CYCLE_1) | instskip(NEXT) | instid1(VALU_DEP_1)
	s_or_b32 exec_lo, exec_lo, s13
	v_dual_add_f32 v17, v5, v4 :: v_dual_mov_b32 v5, v3
                                        ; implicit-def: $vgpr16
	s_delay_alu instid0(VALU_DEP_1) | instskip(NEXT) | instid1(VALU_DEP_1)
	v_and_b32_e32 v4, 0x7f800000, v17
	v_cmp_ne_u64_e32 vcc_lo, 0x7f800000, v[4:5]
	v_and_b32_e32 v4, 0x7fffff, v17
	s_and_saveexec_b32 s13, vcc_lo
	s_delay_alu instid0(SALU_CYCLE_1)
	s_xor_b32 s14, exec_lo, s13
	s_cbranch_execz .LBB4_17453
; %bb.17436:                            ;   in Loop: Header=BB4_16247 Depth=3
	v_dual_mov_b32 v87, v3 :: v_dual_lshrrev_b32 v15, 24, v17
	v_and_b32_e32 v86, 0x7fffffff, v17
                                        ; implicit-def: $vgpr16
	s_mov_b32 s13, exec_lo
	s_delay_alu instid0(VALU_DEP_2) | instskip(NEXT) | instid1(VALU_DEP_2)
	v_and_b32_e32 v15, 0x80, v15
	v_cmpx_gt_u64_e32 0x47600001, v[86:87]
	s_xor_b32 s15, exec_lo, s13
	s_cbranch_execz .LBB4_17450
; %bb.17437:                            ;   in Loop: Header=BB4_16247 Depth=3
	v_mov_b32_e32 v16, 0
	s_mov_b32 s74, exec_lo
	v_cmpx_ne_u32_e32 0, v17
	s_cbranch_execz .LBB4_17449
; %bb.17438:                            ;   in Loop: Header=BB4_16247 Depth=3
	v_bfe_u32 v65, v17, 23, 8
	v_or_b32_e32 v87, 0x800000, v4
	s_delay_alu instid0(VALU_DEP_2) | instskip(SKIP_1) | instid1(VALU_DEP_2)
	v_sub_nc_u32_e32 v16, 0x71, v65
	v_cmp_gt_u32_e32 vcc_lo, 0x72, v65
	v_cndmask_b32_e32 v16, 0, v16, vcc_lo
	v_cmp_eq_u32_e32 vcc_lo, 0, v65
	s_delay_alu instid0(VALU_DEP_2) | instskip(NEXT) | instid1(VALU_DEP_1)
	v_cndmask_b32_e64 v86, v16, 0x70, vcc_lo
	v_dual_cndmask_b32 v4, v87, v4, vcc_lo :: v_dual_add_nc_u32 v16, 21, v86
	v_add_nc_u32_e32 v96, 20, v86
	s_delay_alu instid0(VALU_DEP_2) | instskip(NEXT) | instid1(VALU_DEP_2)
	v_lshlrev_b64_e64 v[16:17], v16, -1
	v_lshlrev_b64_e64 v[96:97], v96, 1
	s_delay_alu instid0(VALU_DEP_2) | instskip(SKIP_1) | instid1(VALU_DEP_4)
	v_bfi_b32 v16, v16, 0, v4
	v_lshrrev_b64 v[4:5], v86, v[4:5]
	v_bfi_b32 v17, v17, 0, 0
	s_delay_alu instid0(VALU_DEP_1) | instskip(NEXT) | instid1(VALU_DEP_3)
	v_cmp_eq_u64_e64 s13, v[16:17], v[96:97]
	v_mov_b64_e32 v[16:17], v[4:5]
	s_and_saveexec_b32 s75, s13
; %bb.17439:                            ;   in Loop: Header=BB4_16247 Depth=3
	v_bfe_u32 v16, v4, 21, 1
	v_mov_b32_e32 v17, v3
	s_delay_alu instid0(VALU_DEP_1) | instskip(NEXT) | instid1(VALU_DEP_1)
	v_add_nc_u64_e32 v[16:17], v[4:5], v[16:17]
	v_add_nc_u64_e32 v[16:17], -1, v[16:17]
; %bb.17440:                            ;   in Loop: Header=BB4_16247 Depth=3
	s_or_b32 exec_lo, exec_lo, s75
	v_add_nc_u32_e32 v5, 0xffffff81, v65
	v_lshrrev_b32_e32 v17, 23, v4
	s_mov_b32 s13, exec_lo
	s_delay_alu instid0(VALU_DEP_2) | instskip(NEXT) | instid1(VALU_DEP_1)
	v_cndmask_b32_e64 v5, v5, 0xffffff82, vcc_lo
	v_add3_u32 v65, v86, v5, v17
	v_and_b32_e32 v5, 0x1fffff, v16
                                        ; implicit-def: $vgpr17
	s_delay_alu instid0(VALU_DEP_1) | instskip(SKIP_1) | instid1(VALU_DEP_2)
	v_dual_add_nc_u32 v16, 14, v65 :: v_dual_add_nc_u32 v4, v5, v4
	v_mov_b32_e32 v5, v3
	v_cmpx_ne_u32_e32 0, v16
	s_xor_b32 s13, exec_lo, s13
; %bb.17441:                            ;   in Loop: Header=BB4_16247 Depth=3
	s_delay_alu instid0(VALU_DEP_2) | instskip(SKIP_1) | instid1(VALU_DEP_1)
	v_cmp_lt_u64_e32 vcc_lo, 0xffffff, v[4:5]
	v_add_nc_u32_e32 v17, 15, v65
	v_cndmask_b32_e32 v17, v16, v17, vcc_lo
	v_cndmask_b32_e64 v16, 0, 1, vcc_lo
	s_delay_alu instid0(VALU_DEP_1)
	v_lshrrev_b64 v[4:5], v16, v[4:5]
; %bb.17442:                            ;   in Loop: Header=BB4_16247 Depth=3
	s_and_not1_saveexec_b32 s13, s13
; %bb.17443:                            ;   in Loop: Header=BB4_16247 Depth=3
	s_delay_alu instid0(VALU_DEP_1)
	v_bfe_u32 v17, v4, 23, 1
; %bb.17444:                            ;   in Loop: Header=BB4_16247 Depth=3
	s_or_b32 exec_lo, exec_lo, s13
	s_delay_alu instid0(VALU_DEP_2) | instskip(NEXT) | instid1(VALU_DEP_2)
	v_lshrrev_b64 v[4:5], 21, v[4:5]
	v_cmp_gt_i32_e32 vcc_lo, 32, v17
	v_cmp_ne_u32_e64 s13, 0, v17
                                        ; implicit-def: $vgpr16
	s_delay_alu instid0(VALU_DEP_3) | instskip(NEXT) | instid1(VALU_DEP_1)
	v_dual_cndmask_b32 v5, 0, v5 :: v_dual_cndmask_b32 v4, 3, v4
	v_cmp_ne_u64_e32 vcc_lo, 0, v[4:5]
	s_or_b32 s13, s13, vcc_lo
	s_delay_alu instid0(SALU_CYCLE_1) | instskip(NEXT) | instid1(SALU_CYCLE_1)
	s_and_saveexec_b32 s75, s13
	s_xor_b32 s13, exec_lo, s75
; %bb.17445:                            ;   in Loop: Header=BB4_16247 Depth=3
	v_min_i32_e32 v5, 31, v17
	s_delay_alu instid0(VALU_DEP_1) | instskip(NEXT) | instid1(VALU_DEP_1)
	v_lshl_or_b32 v5, v5, 2, v15
                                        ; implicit-def: $vgpr15
	v_and_or_b32 v16, v4, 3, v5
; %bb.17446:                            ;   in Loop: Header=BB4_16247 Depth=3
	s_and_not1_saveexec_b32 s13, s13
; %bb.17447:                            ;   in Loop: Header=BB4_16247 Depth=3
	v_mov_b32_e32 v16, v15
; %bb.17448:                            ;   in Loop: Header=BB4_16247 Depth=3
	s_or_b32 exec_lo, exec_lo, s13
.LBB4_17449:                            ;   in Loop: Header=BB4_16247 Depth=3
	s_delay_alu instid0(SALU_CYCLE_1)
	s_or_b32 exec_lo, exec_lo, s74
                                        ; implicit-def: $vgpr15
.LBB4_17450:                            ;   in Loop: Header=BB4_16247 Depth=3
	s_and_not1_saveexec_b32 s13, s15
; %bb.17451:                            ;   in Loop: Header=BB4_16247 Depth=3
	v_or_b32_e32 v16, 0x7b, v15
; %bb.17452:                            ;   in Loop: Header=BB4_16247 Depth=3
	s_or_b32 exec_lo, exec_lo, s13
                                        ; implicit-def: $vgpr17
                                        ; implicit-def: $vgpr4_vgpr5
.LBB4_17453:                            ;   in Loop: Header=BB4_16247 Depth=3
	s_and_not1_saveexec_b32 s13, s14
	s_cbranch_execz .LBB4_17459
; %bb.17454:                            ;   in Loop: Header=BB4_16247 Depth=3
	s_mov_b32 s14, exec_lo
                                        ; implicit-def: $vgpr16
	v_cmpx_ne_u64_e32 0, v[4:5]
	s_xor_b32 s14, exec_lo, s14
; %bb.17455:                            ;   in Loop: Header=BB4_16247 Depth=3
	v_lshrrev_b32_e32 v4, 24, v17
                                        ; implicit-def: $vgpr17
	s_delay_alu instid0(VALU_DEP_1)
	v_or_b32_e32 v16, 0x7f, v4
; %bb.17456:                            ;   in Loop: Header=BB4_16247 Depth=3
	s_and_not1_saveexec_b32 s14, s14
; %bb.17457:                            ;   in Loop: Header=BB4_16247 Depth=3
	v_cmp_lt_i32_e32 vcc_lo, -1, v17
	v_cndmask_b32_e64 v16, -4, 0x7c, vcc_lo
; %bb.17458:                            ;   in Loop: Header=BB4_16247 Depth=3
	s_or_b32 exec_lo, exec_lo, s14
.LBB4_17459:                            ;   in Loop: Header=BB4_16247 Depth=3
	s_delay_alu instid0(SALU_CYCLE_1) | instskip(SKIP_3) | instid1(VALU_DEP_2)
	s_or_b32 exec_lo, exec_lo, s13
	v_and_b32_e32 v17, 0xff, v14
	v_dual_mov_b32 v4, 0 :: v_dual_mov_b32 v5, 0
	s_mov_b32 s13, exec_lo
	v_cmpx_ne_u16_e32 0, v17
	s_cbranch_execz .LBB4_17469
; %bb.17460:                            ;   in Loop: Header=BB4_16247 Depth=3
	v_bfrev_b32_e32 v5, 1
	s_mov_b32 s14, exec_lo
	v_cmpx_ne_u16_e32 0x80, v17
	s_cbranch_execz .LBB4_17468
; %bb.17461:                            ;   in Loop: Header=BB4_16247 Depth=3
	v_and_b32_e32 v5, 0x7c, v14
	v_and_b32_e32 v15, 3, v14
	s_delay_alu instid0(VALU_DEP_2) | instskip(SKIP_1) | instid1(SALU_CYCLE_1)
	v_cmp_ne_u32_e32 vcc_lo, 0x7c, v5
                                        ; implicit-def: $vgpr5
	s_and_saveexec_b32 s15, vcc_lo
	s_xor_b32 s15, exec_lo, s15
	s_cbranch_execz .LBB4_17465
; %bb.17462:                            ;   in Loop: Header=BB4_16247 Depth=3
	v_bfe_u32 v5, v17, 2, 5
	s_mov_b32 s74, exec_lo
	s_delay_alu instid0(VALU_DEP_1)
	v_cmpx_eq_u32_e32 0, v5
	s_cbranch_execz .LBB4_17464
; %bb.17463:                            ;   in Loop: Header=BB4_16247 Depth=3
	v_clz_i32_u32_e32 v5, v15
	s_delay_alu instid0(VALU_DEP_1) | instskip(SKIP_1) | instid1(VALU_DEP_2)
	v_min_u32_e32 v5, 32, v5
	v_mov_b32_e32 v15, v3
	v_subrev_nc_u32_e32 v17, 29, v5
	v_sub_nc_u32_e32 v5, 30, v5
	s_delay_alu instid0(VALU_DEP_2) | instskip(NEXT) | instid1(VALU_DEP_1)
	v_lshlrev_b64_e32 v[86:87], v17, v[14:15]
	v_and_b32_e32 v15, 3, v86
.LBB4_17464:                            ;   in Loop: Header=BB4_16247 Depth=3
	s_or_b32 exec_lo, exec_lo, s74
	v_lshlrev_b32_e32 v14, 24, v14
	s_delay_alu instid0(VALU_DEP_1) | instskip(NEXT) | instid1(VALU_DEP_1)
	v_and_b32_e32 v14, 0x80000000, v14
	v_lshl_add_u32 v5, v5, 23, v14
                                        ; implicit-def: $vgpr14
	s_delay_alu instid0(VALU_DEP_1) | instskip(NEXT) | instid1(VALU_DEP_1)
	v_lshl_or_b32 v5, v15, 21, v5
                                        ; implicit-def: $vgpr15
	v_add_nc_u32_e32 v5, 0x38000000, v5
.LBB4_17465:                            ;   in Loop: Header=BB4_16247 Depth=3
	s_and_not1_saveexec_b32 s15, s15
; %bb.17466:                            ;   in Loop: Header=BB4_16247 Depth=3
	v_bfe_i32 v5, v14, 0, 8
	s_delay_alu instid0(VALU_DEP_1) | instskip(SKIP_2) | instid1(VALU_DEP_2)
	v_cmp_lt_i16_e32 vcc_lo, -1, v5
	v_cndmask_b32_e32 v5, 0xff800000, v48, vcc_lo
	v_cmp_eq_u32_e32 vcc_lo, 0, v15
	v_cndmask_b32_e32 v5, 0x7f800001, v5, vcc_lo
; %bb.17467:                            ;   in Loop: Header=BB4_16247 Depth=3
	s_or_b32 exec_lo, exec_lo, s15
.LBB4_17468:                            ;   in Loop: Header=BB4_16247 Depth=3
	s_delay_alu instid0(SALU_CYCLE_1)
	s_or_b32 exec_lo, exec_lo, s14
.LBB4_17469:                            ;   in Loop: Header=BB4_16247 Depth=3
	s_delay_alu instid0(SALU_CYCLE_1) | instskip(NEXT) | instid1(SALU_CYCLE_1)
	s_or_b32 exec_lo, exec_lo, s13
	s_mov_b32 s13, exec_lo
	s_wait_loadcnt_dscnt 0x0
	v_cmpx_ne_u16_e32 0, v118
	s_cbranch_execz .LBB4_17479
; %bb.17470:                            ;   in Loop: Header=BB4_16247 Depth=3
	v_bfrev_b32_e32 v4, 1
	s_mov_b32 s14, exec_lo
	v_cmpx_ne_u16_e32 0xff80, v118
	s_cbranch_execz .LBB4_17478
; %bb.17471:                            ;   in Loop: Header=BB4_16247 Depth=3
	v_and_b32_e32 v4, 0x7c, v118
	v_and_b32_e32 v14, 3, v118
	s_delay_alu instid0(VALU_DEP_2) | instskip(SKIP_1) | instid1(SALU_CYCLE_1)
	v_cmp_ne_u32_e32 vcc_lo, 0x7c, v4
                                        ; implicit-def: $vgpr4
	s_and_saveexec_b32 s15, vcc_lo
	s_xor_b32 s15, exec_lo, s15
	s_cbranch_execz .LBB4_17475
; %bb.17472:                            ;   in Loop: Header=BB4_16247 Depth=3
	v_and_b32_e32 v4, 0xff, v118
	s_mov_b32 s74, exec_lo
	s_delay_alu instid0(VALU_DEP_1) | instskip(NEXT) | instid1(VALU_DEP_1)
	v_bfe_u32 v4, v4, 2, 5
	v_cmpx_eq_u32_e32 0, v4
	s_cbranch_execz .LBB4_17474
; %bb.17473:                            ;   in Loop: Header=BB4_16247 Depth=3
	v_clz_i32_u32_e32 v4, v14
	s_delay_alu instid0(VALU_DEP_1) | instskip(SKIP_1) | instid1(VALU_DEP_2)
	v_min_u32_e32 v4, 32, v4
	v_mov_b32_e32 v119, v3
	v_subrev_nc_u32_e32 v14, 29, v4
	v_sub_nc_u32_e32 v4, 30, v4
	s_delay_alu instid0(VALU_DEP_2) | instskip(NEXT) | instid1(VALU_DEP_1)
	v_lshlrev_b64_e32 v[14:15], v14, v[118:119]
	v_and_b32_e32 v14, 3, v14
.LBB4_17474:                            ;   in Loop: Header=BB4_16247 Depth=3
	s_or_b32 exec_lo, exec_lo, s74
	v_bfe_i32 v15, v118, 0, 16
                                        ; implicit-def: $vgpr118
	s_delay_alu instid0(VALU_DEP_1) | instskip(NEXT) | instid1(VALU_DEP_1)
	v_and_b32_e32 v15, 0x80000000, v15
	v_lshl_add_u32 v4, v4, 23, v15
	s_delay_alu instid0(VALU_DEP_1) | instskip(NEXT) | instid1(VALU_DEP_1)
	v_lshl_or_b32 v4, v14, 21, v4
                                        ; implicit-def: $vgpr14
	v_add_nc_u32_e32 v4, 0x38000000, v4
.LBB4_17475:                            ;   in Loop: Header=BB4_16247 Depth=3
	s_and_not1_saveexec_b32 s15, s15
; %bb.17476:                            ;   in Loop: Header=BB4_16247 Depth=3
	v_cmp_lt_i16_e32 vcc_lo, -1, v118
	v_cndmask_b32_e32 v4, 0xff800000, v48, vcc_lo
	v_cmp_eq_u32_e32 vcc_lo, 0, v14
	s_delay_alu instid0(VALU_DEP_2)
	v_cndmask_b32_e32 v4, 0x7f800001, v4, vcc_lo
; %bb.17477:                            ;   in Loop: Header=BB4_16247 Depth=3
	s_or_b32 exec_lo, exec_lo, s15
.LBB4_17478:                            ;   in Loop: Header=BB4_16247 Depth=3
	s_delay_alu instid0(SALU_CYCLE_1)
	s_or_b32 exec_lo, exec_lo, s14
.LBB4_17479:                            ;   in Loop: Header=BB4_16247 Depth=3
	s_delay_alu instid0(SALU_CYCLE_1) | instskip(NEXT) | instid1(VALU_DEP_1)
	s_or_b32 exec_lo, exec_lo, s13
	v_dual_add_f32 v15, v5, v4 :: v_dual_mov_b32 v5, v3
                                        ; implicit-def: $vgpr14
	s_delay_alu instid0(VALU_DEP_1) | instskip(NEXT) | instid1(VALU_DEP_1)
	v_and_b32_e32 v4, 0x7f800000, v15
	v_cmp_ne_u64_e32 vcc_lo, 0x7f800000, v[4:5]
	v_and_b32_e32 v4, 0x7fffff, v15
	s_and_saveexec_b32 s13, vcc_lo
	s_delay_alu instid0(SALU_CYCLE_1)
	s_xor_b32 s14, exec_lo, s13
	s_cbranch_execz .LBB4_17497
; %bb.17480:                            ;   in Loop: Header=BB4_16247 Depth=3
	v_dual_mov_b32 v87, v3 :: v_dual_lshrrev_b32 v14, 24, v15
	v_and_b32_e32 v86, 0x7fffffff, v15
	s_mov_b32 s13, exec_lo
	s_delay_alu instid0(VALU_DEP_2) | instskip(NEXT) | instid1(VALU_DEP_2)
	v_and_b32_e32 v17, 0x80, v14
                                        ; implicit-def: $vgpr14
	v_cmpx_gt_u64_e32 0x47600001, v[86:87]
	s_xor_b32 s15, exec_lo, s13
	s_cbranch_execz .LBB4_17494
; %bb.17481:                            ;   in Loop: Header=BB4_16247 Depth=3
	v_mov_b32_e32 v14, 0
	s_mov_b32 s74, exec_lo
	v_cmpx_ne_u32_e32 0, v15
	s_cbranch_execz .LBB4_17493
; %bb.17482:                            ;   in Loop: Header=BB4_16247 Depth=3
	v_bfe_u32 v65, v15, 23, 8
	v_or_b32_e32 v87, 0x800000, v4
	s_delay_alu instid0(VALU_DEP_2) | instskip(SKIP_1) | instid1(VALU_DEP_2)
	v_sub_nc_u32_e32 v14, 0x71, v65
	v_cmp_gt_u32_e32 vcc_lo, 0x72, v65
	v_cndmask_b32_e32 v14, 0, v14, vcc_lo
	v_cmp_eq_u32_e32 vcc_lo, 0, v65
	v_cndmask_b32_e32 v4, v87, v4, vcc_lo
	s_delay_alu instid0(VALU_DEP_3) | instskip(NEXT) | instid1(VALU_DEP_1)
	v_cndmask_b32_e64 v86, v14, 0x70, vcc_lo
	v_dual_add_nc_u32 v14, 21, v86 :: v_dual_add_nc_u32 v96, 20, v86
	s_delay_alu instid0(VALU_DEP_1) | instskip(NEXT) | instid1(VALU_DEP_2)
	v_lshlrev_b64_e64 v[14:15], v14, -1
	v_lshlrev_b64_e64 v[96:97], v96, 1
	s_delay_alu instid0(VALU_DEP_2) | instskip(SKIP_1) | instid1(VALU_DEP_4)
	v_bfi_b32 v14, v14, 0, v4
	v_lshrrev_b64 v[4:5], v86, v[4:5]
	v_bfi_b32 v15, v15, 0, 0
	s_delay_alu instid0(VALU_DEP_1) | instskip(NEXT) | instid1(VALU_DEP_3)
	v_cmp_eq_u64_e64 s13, v[14:15], v[96:97]
	v_mov_b64_e32 v[14:15], v[4:5]
	s_and_saveexec_b32 s75, s13
; %bb.17483:                            ;   in Loop: Header=BB4_16247 Depth=3
	v_bfe_u32 v14, v4, 21, 1
	v_mov_b32_e32 v15, v3
	s_delay_alu instid0(VALU_DEP_1) | instskip(NEXT) | instid1(VALU_DEP_1)
	v_add_nc_u64_e32 v[14:15], v[4:5], v[14:15]
	v_add_nc_u64_e32 v[14:15], -1, v[14:15]
; %bb.17484:                            ;   in Loop: Header=BB4_16247 Depth=3
	s_or_b32 exec_lo, exec_lo, s75
	v_add_nc_u32_e32 v5, 0xffffff81, v65
	v_lshrrev_b32_e32 v15, 23, v4
	s_mov_b32 s13, exec_lo
	s_delay_alu instid0(VALU_DEP_2) | instskip(NEXT) | instid1(VALU_DEP_1)
	v_cndmask_b32_e64 v5, v5, 0xffffff82, vcc_lo
	v_add3_u32 v65, v86, v5, v15
	v_and_b32_e32 v5, 0x1fffff, v14
                                        ; implicit-def: $vgpr15
	s_delay_alu instid0(VALU_DEP_1) | instskip(SKIP_1) | instid1(VALU_DEP_2)
	v_dual_add_nc_u32 v14, 14, v65 :: v_dual_add_nc_u32 v4, v5, v4
	v_mov_b32_e32 v5, v3
	v_cmpx_ne_u32_e32 0, v14
	s_xor_b32 s13, exec_lo, s13
; %bb.17485:                            ;   in Loop: Header=BB4_16247 Depth=3
	s_delay_alu instid0(VALU_DEP_2) | instskip(SKIP_1) | instid1(VALU_DEP_1)
	v_cmp_lt_u64_e32 vcc_lo, 0xffffff, v[4:5]
	v_add_nc_u32_e32 v15, 15, v65
	v_cndmask_b32_e32 v15, v14, v15, vcc_lo
	v_cndmask_b32_e64 v14, 0, 1, vcc_lo
	s_delay_alu instid0(VALU_DEP_1)
	v_lshrrev_b64 v[4:5], v14, v[4:5]
; %bb.17486:                            ;   in Loop: Header=BB4_16247 Depth=3
	s_and_not1_saveexec_b32 s13, s13
; %bb.17487:                            ;   in Loop: Header=BB4_16247 Depth=3
	s_delay_alu instid0(VALU_DEP_1)
	v_bfe_u32 v15, v4, 23, 1
; %bb.17488:                            ;   in Loop: Header=BB4_16247 Depth=3
	s_or_b32 exec_lo, exec_lo, s13
	s_delay_alu instid0(VALU_DEP_2) | instskip(NEXT) | instid1(VALU_DEP_2)
	v_lshrrev_b64 v[4:5], 21, v[4:5]
	v_cmp_gt_i32_e32 vcc_lo, 32, v15
	v_cmp_ne_u32_e64 s13, 0, v15
                                        ; implicit-def: $vgpr14
	s_delay_alu instid0(VALU_DEP_3) | instskip(NEXT) | instid1(VALU_DEP_1)
	v_dual_cndmask_b32 v5, 0, v5 :: v_dual_cndmask_b32 v4, 3, v4
	v_cmp_ne_u64_e32 vcc_lo, 0, v[4:5]
	s_or_b32 s13, s13, vcc_lo
	s_delay_alu instid0(SALU_CYCLE_1) | instskip(NEXT) | instid1(SALU_CYCLE_1)
	s_and_saveexec_b32 s75, s13
	s_xor_b32 s13, exec_lo, s75
; %bb.17489:                            ;   in Loop: Header=BB4_16247 Depth=3
	v_min_i32_e32 v5, 31, v15
	s_delay_alu instid0(VALU_DEP_1) | instskip(NEXT) | instid1(VALU_DEP_1)
	v_lshl_or_b32 v5, v5, 2, v17
                                        ; implicit-def: $vgpr17
	v_and_or_b32 v14, v4, 3, v5
; %bb.17490:                            ;   in Loop: Header=BB4_16247 Depth=3
	s_and_not1_saveexec_b32 s13, s13
; %bb.17491:                            ;   in Loop: Header=BB4_16247 Depth=3
	v_mov_b32_e32 v14, v17
; %bb.17492:                            ;   in Loop: Header=BB4_16247 Depth=3
	s_or_b32 exec_lo, exec_lo, s13
.LBB4_17493:                            ;   in Loop: Header=BB4_16247 Depth=3
	s_delay_alu instid0(SALU_CYCLE_1)
	s_or_b32 exec_lo, exec_lo, s74
                                        ; implicit-def: $vgpr17
.LBB4_17494:                            ;   in Loop: Header=BB4_16247 Depth=3
	s_and_not1_saveexec_b32 s13, s15
; %bb.17495:                            ;   in Loop: Header=BB4_16247 Depth=3
	v_or_b32_e32 v14, 0x7b, v17
; %bb.17496:                            ;   in Loop: Header=BB4_16247 Depth=3
	s_or_b32 exec_lo, exec_lo, s13
                                        ; implicit-def: $vgpr15
                                        ; implicit-def: $vgpr4_vgpr5
.LBB4_17497:                            ;   in Loop: Header=BB4_16247 Depth=3
	s_and_not1_saveexec_b32 s13, s14
	s_cbranch_execz .LBB4_16246
; %bb.17498:                            ;   in Loop: Header=BB4_16247 Depth=3
	s_mov_b32 s14, exec_lo
                                        ; implicit-def: $vgpr14
	v_cmpx_ne_u64_e32 0, v[4:5]
	s_xor_b32 s14, exec_lo, s14
; %bb.17499:                            ;   in Loop: Header=BB4_16247 Depth=3
	v_lshrrev_b32_e32 v4, 24, v15
                                        ; implicit-def: $vgpr15
	s_delay_alu instid0(VALU_DEP_1)
	v_or_b32_e32 v14, 0x7f, v4
; %bb.17500:                            ;   in Loop: Header=BB4_16247 Depth=3
	s_and_not1_saveexec_b32 s14, s14
	s_cbranch_execz .LBB4_16245
; %bb.17501:                            ;   in Loop: Header=BB4_16247 Depth=3
	v_cmp_lt_i32_e32 vcc_lo, -1, v15
	v_cndmask_b32_e64 v14, -4, 0x7c, vcc_lo
	s_branch .LBB4_16245
.LBB4_17502:                            ;   in Loop: Header=BB4_8155 Depth=2
	s_or_b32 exec_lo, exec_lo, s73
.LBB4_17503:                            ;   in Loop: Header=BB4_8155 Depth=2
	s_delay_alu instid0(SALU_CYCLE_1) | instskip(SKIP_1) | instid1(VALU_DEP_1)
	s_or_b32 exec_lo, exec_lo, s43
	v_lshlrev_b32_e32 v4, 9, v115
	v_cmp_ne_u32_e32 vcc_lo, v66, v4
	s_and_b32 exec_lo, exec_lo, vcc_lo
	s_cbranch_execz .LBB4_17593
; %bb.17504:                            ;   in Loop: Header=BB4_8155 Depth=2
	v_dual_lshlrev_b32 v5, 5, v103 :: v_dual_lshlrev_b32 v8, 5, v113
	s_delay_alu instid0(VALU_DEP_1) | instskip(NEXT) | instid1(VALU_DEP_1)
	v_sub_nc_u32_e32 v5, v67, v5
	v_sub_nc_u32_e32 v5, v5, v8
	s_delay_alu instid0(VALU_DEP_1) | instskip(NEXT) | instid1(VALU_DEP_1)
	v_add_nc_u32_e32 v4, v4, v5
	v_sub_nc_u32_e32 v16, v66, v4
	s_delay_alu instid0(VALU_DEP_1)
	v_cmp_lt_i32_e32 vcc_lo, 0, v16
	s_and_b32 exec_lo, exec_lo, vcc_lo
	s_cbranch_execz .LBB4_17593
; %bb.17505:                            ;   in Loop: Header=BB4_8155 Depth=2
	s_trap 2
	ds_load_b128 v[8:11], v0
	ds_load_b64 v[12:13], v0
	v_add_nc_u32_e32 v14, v4, v2
	s_mov_b32 s43, 0
	s_delay_alu instid0(VALU_DEP_1) | instskip(SKIP_1) | instid1(VALU_DEP_1)
	v_ashrrev_i32_e32 v15, 31, v14
	s_wait_dscnt 0x1
	v_add_nc_u64_e32 v[4:5], v[8:9], v[14:15]
	v_add_nc_u64_e32 v[8:9], v[10:11], v[14:15]
	s_wait_dscnt 0x0
	v_add_nc_u64_e32 v[10:11], v[12:13], v[14:15]
	s_branch .LBB4_17508
.LBB4_17506:                            ;   in Loop: Header=BB4_17508 Depth=3
	s_or_b32 exec_lo, exec_lo, s14
.LBB4_17507:                            ;   in Loop: Header=BB4_17508 Depth=3
	s_delay_alu instid0(SALU_CYCLE_1)
	s_or_b32 exec_lo, exec_lo, s13
	v_sub_nc_u32_e32 v16, v16, v38
	flat_store_b8 v[10:11], v14 th:TH_STORE_NT
	v_add_nc_u64_e32 v[4:5], v[4:5], v[38:39]
	v_add_nc_u64_e32 v[8:9], v[8:9], v[38:39]
	s_wait_xcnt 0x0
	v_add_nc_u64_e32 v[10:11], v[10:11], v[38:39]
	v_cmp_gt_i32_e32 vcc_lo, 1, v16
	s_or_b32 s43, vcc_lo, s43
	s_delay_alu instid0(SALU_CYCLE_1)
	s_and_not1_b32 exec_lo, exec_lo, s43
	s_cbranch_execz .LBB4_17593
.LBB4_17508:                            ;   Parent Loop BB4_47 Depth=1
                                        ;     Parent Loop BB4_8155 Depth=2
                                        ; =>    This Inner Loop Header: Depth=3
	s_trap 2
	ds_load_b64 v[12:13], v0
	s_mov_b32 s13, 0
	s_wait_dscnt 0x0
	v_and_b32_e32 v2, 0xff, v12
	v_readfirstlane_b32 s14, v12
	v_readfirstlane_b32 s15, v13
	s_delay_alu instid0(VALU_DEP_3)
	v_cmp_eq_u32_e32 vcc_lo, 0, v2
	s_cbranch_vccnz .LBB4_17516
; %bb.17509:                            ;   in Loop: Header=BB4_17508 Depth=3
	s_bfe_i32 s74, s14, 0x80000
	s_delay_alu instid0(SALU_CYCLE_1) | instskip(NEXT) | instid1(SALU_CYCLE_1)
	s_and_b32 s13, 0xffff, s74
	s_cmp_eq_u32 s13, 0xff80
	s_brev_b32 s13, 1
	s_cbranch_scc1 .LBB4_17516
; %bb.17510:                            ;   in Loop: Header=BB4_17508 Depth=3
	s_and_b32 s13, s14, 0x7c
	s_and_b32 s73, s14, 3
	s_mov_b32 s75, -1
	s_cmp_lg_u32 s13, 0x7c
	s_sext_i32_i16 s74, s74
                                        ; implicit-def: $sgpr13
	s_cbranch_scc0 .LBB4_17514
; %bb.17511:                            ;   in Loop: Header=BB4_17508 Depth=3
	s_bfe_u32 s13, s14, 0x50002
	s_mov_b32 s75, s73
	s_cmp_lg_u32 s13, 0
	s_cbranch_scc1 .LBB4_17513
; %bb.17512:                            ;   in Loop: Header=BB4_17508 Depth=3
	s_clz_i32_u32 s13, s73
	s_delay_alu instid0(SALU_CYCLE_1) | instskip(NEXT) | instid1(SALU_CYCLE_1)
	s_min_u32 s13, s13, 32
	s_sub_co_i32 s75, s13, 29
	s_sub_co_i32 s13, 30, s13
	s_lshl_b64 s[14:15], s[14:15], s75
	s_delay_alu instid0(SALU_CYCLE_1)
	s_and_b32 s75, s14, 3
.LBB4_17513:                            ;   in Loop: Header=BB4_17508 Depth=3
	s_and_b32 s14, s74, 0x80000000
	s_lshl_b32 s13, s13, 23
	s_lshl_b32 s15, s75, 21
	s_add_co_i32 s13, s13, s14
	s_mov_b32 s75, 0
	s_or_b32 s13, s13, s15
	s_delay_alu instid0(SALU_CYCLE_1)
	s_add_co_i32 s13, s13, 0x38000000
.LBB4_17514:                            ;   in Loop: Header=BB4_17508 Depth=3
	s_and_b32 vcc_lo, exec_lo, s75
	s_cbranch_vccz .LBB4_17516
; %bb.17515:                            ;   in Loop: Header=BB4_17508 Depth=3
	s_cmp_gt_i32 s74, -1
	s_cselect_b32 s13, s47, 0xff800000
	s_cmp_eq_u32 s73, 0
	s_cselect_b32 s13, s13, 0x7f800001
.LBB4_17516:                            ;   in Loop: Header=BB4_17508 Depth=3
	flat_load_i8 v12, v[4:5] th:TH_LOAD_NT
	v_mov_b32_e32 v13, 0
	s_mov_b32 s14, exec_lo
	s_wait_loadcnt_dscnt 0x0
	v_cmpx_ne_u16_e32 0, v12
	s_cbranch_execz .LBB4_17526
; %bb.17517:                            ;   in Loop: Header=BB4_17508 Depth=3
	v_bfrev_b32_e32 v13, 1
	s_mov_b32 s15, exec_lo
	v_cmpx_ne_u16_e32 0xff80, v12
	s_cbranch_execz .LBB4_17525
; %bb.17518:                            ;   in Loop: Header=BB4_17508 Depth=3
	v_and_b32_e32 v13, 0x7c, v12
	v_and_b32_e32 v2, 3, v12
	s_delay_alu instid0(VALU_DEP_2) | instskip(SKIP_1) | instid1(SALU_CYCLE_1)
	v_cmp_ne_u32_e32 vcc_lo, 0x7c, v13
                                        ; implicit-def: $vgpr13
	s_and_saveexec_b32 s73, vcc_lo
	s_xor_b32 s73, exec_lo, s73
	s_cbranch_execz .LBB4_17522
; %bb.17519:                            ;   in Loop: Header=BB4_17508 Depth=3
	v_and_b32_e32 v13, 0xff, v12
	s_mov_b32 s74, exec_lo
	s_delay_alu instid0(VALU_DEP_1) | instskip(NEXT) | instid1(VALU_DEP_1)
	v_bfe_u32 v13, v13, 2, 5
	v_cmpx_eq_u32_e32 0, v13
	s_cbranch_execz .LBB4_17521
; %bb.17520:                            ;   in Loop: Header=BB4_17508 Depth=3
	v_clz_i32_u32_e32 v2, v2
	v_mov_b32_e32 v13, v3
	s_delay_alu instid0(VALU_DEP_2) | instskip(NEXT) | instid1(VALU_DEP_1)
	v_min_u32_e32 v2, 32, v2
	v_subrev_nc_u32_e32 v14, 29, v2
	s_delay_alu instid0(VALU_DEP_1) | instskip(SKIP_1) | instid1(VALU_DEP_2)
	v_lshlrev_b64_e32 v[14:15], v14, v[12:13]
	v_sub_nc_u32_e32 v13, 30, v2
	v_and_b32_e32 v2, 3, v14
.LBB4_17521:                            ;   in Loop: Header=BB4_17508 Depth=3
	s_or_b32 exec_lo, exec_lo, s74
	v_bfe_i32 v12, v12, 0, 16
	s_delay_alu instid0(VALU_DEP_1) | instskip(NEXT) | instid1(VALU_DEP_1)
	v_and_b32_e32 v12, 0x80000000, v12
	v_lshl_add_u32 v12, v13, 23, v12
	s_delay_alu instid0(VALU_DEP_1) | instskip(NEXT) | instid1(VALU_DEP_1)
	v_lshl_or_b32 v2, v2, 21, v12
                                        ; implicit-def: $vgpr12
	v_add_nc_u32_e32 v13, 0x38000000, v2
                                        ; implicit-def: $vgpr2
.LBB4_17522:                            ;   in Loop: Header=BB4_17508 Depth=3
	s_and_not1_saveexec_b32 s73, s73
; %bb.17523:                            ;   in Loop: Header=BB4_17508 Depth=3
	v_cmp_lt_i16_e32 vcc_lo, -1, v12
	v_cndmask_b32_e32 v12, 0xff800000, v48, vcc_lo
	v_cmp_eq_u32_e32 vcc_lo, 0, v2
	s_delay_alu instid0(VALU_DEP_2)
	v_cndmask_b32_e32 v13, 0x7f800001, v12, vcc_lo
; %bb.17524:                            ;   in Loop: Header=BB4_17508 Depth=3
	s_or_b32 exec_lo, exec_lo, s73
.LBB4_17525:                            ;   in Loop: Header=BB4_17508 Depth=3
	s_delay_alu instid0(SALU_CYCLE_1)
	s_or_b32 exec_lo, exec_lo, s15
.LBB4_17526:                            ;   in Loop: Header=BB4_17508 Depth=3
	s_delay_alu instid0(SALU_CYCLE_1) | instskip(NEXT) | instid1(VALU_DEP_1)
	s_or_b32 exec_lo, exec_lo, s14
	v_dual_mul_f32 v13, s13, v13 :: v_dual_mov_b32 v15, v3
                                        ; implicit-def: $vgpr12
	s_delay_alu instid0(VALU_DEP_1) | instskip(NEXT) | instid1(VALU_DEP_1)
	v_and_b32_e32 v14, 0x7f800000, v13
	v_cmp_ne_u64_e32 vcc_lo, 0x7f800000, v[14:15]
	v_and_b32_e32 v14, 0x7fffff, v13
	s_and_saveexec_b32 s13, vcc_lo
	s_delay_alu instid0(SALU_CYCLE_1)
	s_xor_b32 s14, exec_lo, s13
	s_cbranch_execz .LBB4_17544
; %bb.17527:                            ;   in Loop: Header=BB4_17508 Depth=3
	v_dual_mov_b32 v19, v3 :: v_dual_lshrrev_b32 v2, 24, v13
	v_and_b32_e32 v18, 0x7fffffff, v13
                                        ; implicit-def: $vgpr12
	s_mov_b32 s13, exec_lo
	s_delay_alu instid0(VALU_DEP_2) | instskip(NEXT) | instid1(VALU_DEP_2)
	v_and_b32_e32 v2, 0x80, v2
	v_cmpx_gt_u64_e32 0x47600001, v[18:19]
	s_xor_b32 s15, exec_lo, s13
	s_cbranch_execz .LBB4_17541
; %bb.17528:                            ;   in Loop: Header=BB4_17508 Depth=3
	v_mov_b32_e32 v12, 0
	s_mov_b32 s73, exec_lo
	v_cmpx_ne_u32_e32 0, v13
	s_cbranch_execz .LBB4_17540
; %bb.17529:                            ;   in Loop: Header=BB4_17508 Depth=3
	v_bfe_u32 v17, v13, 23, 8
	v_or_b32_e32 v19, 0x800000, v14
	s_mov_b32 s74, exec_lo
	s_delay_alu instid0(VALU_DEP_2) | instskip(SKIP_1) | instid1(VALU_DEP_2)
	v_sub_nc_u32_e32 v12, 0x71, v17
	v_cmp_gt_u32_e32 vcc_lo, 0x72, v17
	v_cndmask_b32_e32 v12, 0, v12, vcc_lo
	v_cmp_eq_u32_e32 vcc_lo, 0, v17
	s_delay_alu instid0(VALU_DEP_2) | instskip(SKIP_1) | instid1(VALU_DEP_2)
	v_cndmask_b32_e64 v18, v12, 0x70, vcc_lo
	v_cndmask_b32_e32 v14, v19, v14, vcc_lo
	v_dual_add_nc_u32 v12, 21, v18 :: v_dual_add_nc_u32 v20, 20, v18
	s_delay_alu instid0(VALU_DEP_1) | instskip(NEXT) | instid1(VALU_DEP_2)
	v_lshlrev_b64_e64 v[12:13], v12, -1
	v_lshlrev_b64_e64 v[20:21], v20, 1
	s_delay_alu instid0(VALU_DEP_2) | instskip(NEXT) | instid1(VALU_DEP_3)
	v_bfi_b32 v31, v13, 0, 0
	v_bfi_b32 v30, v12, 0, v14
	v_lshrrev_b64 v[12:13], v18, v[14:15]
	s_delay_alu instid0(VALU_DEP_1) | instskip(NEXT) | instid1(VALU_DEP_3)
	v_mov_b64_e32 v[14:15], v[12:13]
	v_cmpx_eq_u64_e64 v[30:31], v[20:21]
; %bb.17530:                            ;   in Loop: Header=BB4_17508 Depth=3
	v_bfe_u32 v14, v12, 21, 1
	v_mov_b32_e32 v15, v3
	s_delay_alu instid0(VALU_DEP_1) | instskip(NEXT) | instid1(VALU_DEP_1)
	v_add_nc_u64_e32 v[14:15], v[12:13], v[14:15]
	v_add_nc_u64_e32 v[14:15], -1, v[14:15]
; %bb.17531:                            ;   in Loop: Header=BB4_17508 Depth=3
	s_or_b32 exec_lo, exec_lo, s74
	v_add_nc_u32_e32 v13, 0xffffff81, v17
	v_lshrrev_b32_e32 v15, 23, v12
	s_mov_b32 s13, exec_lo
                                        ; implicit-def: $vgpr17
	s_delay_alu instid0(VALU_DEP_2) | instskip(NEXT) | instid1(VALU_DEP_1)
	v_cndmask_b32_e64 v13, v13, 0xffffff82, vcc_lo
	v_add3_u32 v15, v18, v13, v15
	v_and_b32_e32 v13, 0x1fffff, v14
	s_delay_alu instid0(VALU_DEP_1) | instskip(SKIP_1) | instid1(VALU_DEP_2)
	v_dual_add_nc_u32 v14, 14, v15 :: v_dual_add_nc_u32 v12, v13, v12
	v_mov_b32_e32 v13, v3
	v_cmpx_ne_u32_e32 0, v14
	s_xor_b32 s13, exec_lo, s13
; %bb.17532:                            ;   in Loop: Header=BB4_17508 Depth=3
	s_delay_alu instid0(VALU_DEP_2) | instskip(SKIP_1) | instid1(VALU_DEP_1)
	v_cmp_lt_u64_e32 vcc_lo, 0xffffff, v[12:13]
	v_add_nc_u32_e32 v15, 15, v15
	v_cndmask_b32_e32 v17, v14, v15, vcc_lo
	v_cndmask_b32_e64 v14, 0, 1, vcc_lo
	s_delay_alu instid0(VALU_DEP_1)
	v_lshrrev_b64 v[12:13], v14, v[12:13]
; %bb.17533:                            ;   in Loop: Header=BB4_17508 Depth=3
	s_and_not1_saveexec_b32 s13, s13
; %bb.17534:                            ;   in Loop: Header=BB4_17508 Depth=3
	s_delay_alu instid0(VALU_DEP_1)
	v_bfe_u32 v17, v12, 23, 1
; %bb.17535:                            ;   in Loop: Header=BB4_17508 Depth=3
	s_or_b32 exec_lo, exec_lo, s13
	s_delay_alu instid0(VALU_DEP_2) | instskip(NEXT) | instid1(VALU_DEP_2)
	v_lshrrev_b64 v[12:13], 21, v[12:13]
	v_cmp_gt_i32_e32 vcc_lo, 32, v17
	v_cmp_ne_u32_e64 s13, 0, v17
	s_delay_alu instid0(VALU_DEP_3) | instskip(NEXT) | instid1(VALU_DEP_1)
	v_dual_cndmask_b32 v15, 0, v13 :: v_dual_cndmask_b32 v14, 3, v12
                                        ; implicit-def: $vgpr12
	v_cmp_ne_u64_e32 vcc_lo, 0, v[14:15]
	s_or_b32 s13, s13, vcc_lo
	s_delay_alu instid0(SALU_CYCLE_1) | instskip(NEXT) | instid1(SALU_CYCLE_1)
	s_and_saveexec_b32 s74, s13
	s_xor_b32 s13, exec_lo, s74
; %bb.17536:                            ;   in Loop: Header=BB4_17508 Depth=3
	v_min_i32_e32 v12, 31, v17
	s_delay_alu instid0(VALU_DEP_1) | instskip(NEXT) | instid1(VALU_DEP_1)
	v_lshl_or_b32 v2, v12, 2, v2
	v_and_or_b32 v12, v14, 3, v2
                                        ; implicit-def: $vgpr2
; %bb.17537:                            ;   in Loop: Header=BB4_17508 Depth=3
	s_and_not1_saveexec_b32 s13, s13
; %bb.17538:                            ;   in Loop: Header=BB4_17508 Depth=3
	v_mov_b32_e32 v12, v2
; %bb.17539:                            ;   in Loop: Header=BB4_17508 Depth=3
	s_or_b32 exec_lo, exec_lo, s13
.LBB4_17540:                            ;   in Loop: Header=BB4_17508 Depth=3
	s_delay_alu instid0(SALU_CYCLE_1)
	s_or_b32 exec_lo, exec_lo, s73
                                        ; implicit-def: $vgpr2
.LBB4_17541:                            ;   in Loop: Header=BB4_17508 Depth=3
	s_and_not1_saveexec_b32 s13, s15
; %bb.17542:                            ;   in Loop: Header=BB4_17508 Depth=3
	v_or_b32_e32 v12, 0x7b, v2
; %bb.17543:                            ;   in Loop: Header=BB4_17508 Depth=3
	s_or_b32 exec_lo, exec_lo, s13
                                        ; implicit-def: $vgpr13
                                        ; implicit-def: $vgpr14_vgpr15
.LBB4_17544:                            ;   in Loop: Header=BB4_17508 Depth=3
	s_and_not1_saveexec_b32 s13, s14
	s_cbranch_execz .LBB4_17550
; %bb.17545:                            ;   in Loop: Header=BB4_17508 Depth=3
	s_mov_b32 s14, exec_lo
                                        ; implicit-def: $vgpr12
	v_cmpx_ne_u64_e32 0, v[14:15]
	s_xor_b32 s14, exec_lo, s14
; %bb.17546:                            ;   in Loop: Header=BB4_17508 Depth=3
	v_lshrrev_b32_e32 v2, 24, v13
                                        ; implicit-def: $vgpr13
	s_delay_alu instid0(VALU_DEP_1)
	v_or_b32_e32 v12, 0x7f, v2
; %bb.17547:                            ;   in Loop: Header=BB4_17508 Depth=3
	s_and_not1_saveexec_b32 s14, s14
; %bb.17548:                            ;   in Loop: Header=BB4_17508 Depth=3
	v_cmp_lt_i32_e32 vcc_lo, -1, v13
	v_cndmask_b32_e64 v12, -4, 0x7c, vcc_lo
; %bb.17549:                            ;   in Loop: Header=BB4_17508 Depth=3
	s_or_b32 exec_lo, exec_lo, s14
.LBB4_17550:                            ;   in Loop: Header=BB4_17508 Depth=3
	s_delay_alu instid0(SALU_CYCLE_1)
	s_or_b32 exec_lo, exec_lo, s13
	flat_load_i8 v14, v[8:9] th:TH_LOAD_NT
	v_and_b32_e32 v17, 0xff, v12
	v_dual_mov_b32 v2, 0 :: v_dual_mov_b32 v13, 0
	s_mov_b32 s13, exec_lo
	s_wait_xcnt 0x0
	s_delay_alu instid0(VALU_DEP_2)
	v_cmpx_ne_u16_e32 0, v17
	s_cbranch_execz .LBB4_17560
; %bb.17551:                            ;   in Loop: Header=BB4_17508 Depth=3
	v_bfrev_b32_e32 v13, 1
	s_mov_b32 s14, exec_lo
	v_cmpx_ne_u16_e32 0x80, v17
	s_cbranch_execz .LBB4_17559
; %bb.17552:                            ;   in Loop: Header=BB4_17508 Depth=3
	v_and_b32_e32 v13, 0x7c, v12
	v_and_b32_e32 v15, 3, v12
	s_delay_alu instid0(VALU_DEP_2) | instskip(SKIP_1) | instid1(SALU_CYCLE_1)
	v_cmp_ne_u32_e32 vcc_lo, 0x7c, v13
                                        ; implicit-def: $vgpr13
	s_and_saveexec_b32 s15, vcc_lo
	s_xor_b32 s15, exec_lo, s15
	s_cbranch_execz .LBB4_17556
; %bb.17553:                            ;   in Loop: Header=BB4_17508 Depth=3
	v_bfe_u32 v13, v17, 2, 5
	s_mov_b32 s73, exec_lo
	s_delay_alu instid0(VALU_DEP_1)
	v_cmpx_eq_u32_e32 0, v13
; %bb.17554:                            ;   in Loop: Header=BB4_17508 Depth=3
	v_clz_i32_u32_e32 v13, v15
	s_delay_alu instid0(VALU_DEP_1) | instskip(SKIP_1) | instid1(VALU_DEP_2)
	v_min_u32_e32 v15, 32, v13
	v_mov_b32_e32 v13, v3
	v_subrev_nc_u32_e32 v17, 29, v15
	s_delay_alu instid0(VALU_DEP_1) | instskip(NEXT) | instid1(VALU_DEP_1)
	v_lshlrev_b64_e32 v[18:19], v17, v[12:13]
	v_dual_sub_nc_u32 v13, 30, v15 :: v_dual_bitop2_b32 v15, 3, v18 bitop3:0x40
; %bb.17555:                            ;   in Loop: Header=BB4_17508 Depth=3
	s_or_b32 exec_lo, exec_lo, s73
	v_lshlrev_b32_e32 v12, 24, v12
	s_delay_alu instid0(VALU_DEP_1) | instskip(NEXT) | instid1(VALU_DEP_1)
	v_and_b32_e32 v12, 0x80000000, v12
	v_lshl_add_u32 v12, v13, 23, v12
	s_delay_alu instid0(VALU_DEP_1) | instskip(NEXT) | instid1(VALU_DEP_1)
	v_lshl_or_b32 v12, v15, 21, v12
                                        ; implicit-def: $vgpr15
	v_add_nc_u32_e32 v13, 0x38000000, v12
                                        ; implicit-def: $vgpr12
.LBB4_17556:                            ;   in Loop: Header=BB4_17508 Depth=3
	s_and_not1_saveexec_b32 s15, s15
; %bb.17557:                            ;   in Loop: Header=BB4_17508 Depth=3
	v_bfe_i32 v12, v12, 0, 8
	s_delay_alu instid0(VALU_DEP_1) | instskip(SKIP_2) | instid1(VALU_DEP_2)
	v_cmp_lt_i16_e32 vcc_lo, -1, v12
	v_cndmask_b32_e32 v12, 0xff800000, v48, vcc_lo
	v_cmp_eq_u32_e32 vcc_lo, 0, v15
	v_cndmask_b32_e32 v13, 0x7f800001, v12, vcc_lo
; %bb.17558:                            ;   in Loop: Header=BB4_17508 Depth=3
	s_or_b32 exec_lo, exec_lo, s15
.LBB4_17559:                            ;   in Loop: Header=BB4_17508 Depth=3
	s_delay_alu instid0(SALU_CYCLE_1)
	s_or_b32 exec_lo, exec_lo, s14
.LBB4_17560:                            ;   in Loop: Header=BB4_17508 Depth=3
	s_delay_alu instid0(SALU_CYCLE_1) | instskip(NEXT) | instid1(SALU_CYCLE_1)
	s_or_b32 exec_lo, exec_lo, s13
	s_mov_b32 s13, exec_lo
	s_wait_loadcnt_dscnt 0x0
	v_cmpx_ne_u16_e32 0, v14
	s_cbranch_execz .LBB4_17570
; %bb.17561:                            ;   in Loop: Header=BB4_17508 Depth=3
	v_bfrev_b32_e32 v2, 1
	s_mov_b32 s14, exec_lo
	v_cmpx_ne_u16_e32 0xff80, v14
	s_cbranch_execz .LBB4_17569
; %bb.17562:                            ;   in Loop: Header=BB4_17508 Depth=3
	v_and_b32_e32 v2, 0x7c, v14
	v_and_b32_e32 v12, 3, v14
	s_delay_alu instid0(VALU_DEP_2) | instskip(SKIP_1) | instid1(SALU_CYCLE_1)
	v_cmp_ne_u32_e32 vcc_lo, 0x7c, v2
                                        ; implicit-def: $vgpr2
	s_and_saveexec_b32 s15, vcc_lo
	s_xor_b32 s15, exec_lo, s15
	s_cbranch_execz .LBB4_17566
; %bb.17563:                            ;   in Loop: Header=BB4_17508 Depth=3
	v_and_b32_e32 v2, 0xff, v14
	s_mov_b32 s73, exec_lo
	s_delay_alu instid0(VALU_DEP_1) | instskip(NEXT) | instid1(VALU_DEP_1)
	v_bfe_u32 v2, v2, 2, 5
	v_cmpx_eq_u32_e32 0, v2
	s_cbranch_execz .LBB4_17565
; %bb.17564:                            ;   in Loop: Header=BB4_17508 Depth=3
	v_clz_i32_u32_e32 v2, v12
	s_delay_alu instid0(VALU_DEP_1) | instskip(SKIP_1) | instid1(VALU_DEP_2)
	v_min_u32_e32 v2, 32, v2
	v_mov_b32_e32 v15, v3
	v_subrev_nc_u32_e32 v12, 29, v2
	v_sub_nc_u32_e32 v2, 30, v2
	s_delay_alu instid0(VALU_DEP_2) | instskip(NEXT) | instid1(VALU_DEP_1)
	v_lshlrev_b64_e32 v[18:19], v12, v[14:15]
	v_and_b32_e32 v12, 3, v18
.LBB4_17565:                            ;   in Loop: Header=BB4_17508 Depth=3
	s_or_b32 exec_lo, exec_lo, s73
	v_bfe_i32 v14, v14, 0, 16
	s_delay_alu instid0(VALU_DEP_1) | instskip(NEXT) | instid1(VALU_DEP_1)
	v_and_b32_e32 v14, 0x80000000, v14
	v_lshl_add_u32 v2, v2, 23, v14
                                        ; implicit-def: $vgpr14
	s_delay_alu instid0(VALU_DEP_1) | instskip(NEXT) | instid1(VALU_DEP_1)
	v_lshl_or_b32 v2, v12, 21, v2
                                        ; implicit-def: $vgpr12
	v_add_nc_u32_e32 v2, 0x38000000, v2
.LBB4_17566:                            ;   in Loop: Header=BB4_17508 Depth=3
	s_and_not1_saveexec_b32 s15, s15
; %bb.17567:                            ;   in Loop: Header=BB4_17508 Depth=3
	v_cmp_lt_i16_e32 vcc_lo, -1, v14
	v_cndmask_b32_e32 v2, 0xff800000, v48, vcc_lo
	v_cmp_eq_u32_e32 vcc_lo, 0, v12
	s_delay_alu instid0(VALU_DEP_2)
	v_cndmask_b32_e32 v2, 0x7f800001, v2, vcc_lo
; %bb.17568:                            ;   in Loop: Header=BB4_17508 Depth=3
	s_or_b32 exec_lo, exec_lo, s15
.LBB4_17569:                            ;   in Loop: Header=BB4_17508 Depth=3
	s_delay_alu instid0(SALU_CYCLE_1)
	s_or_b32 exec_lo, exec_lo, s14
.LBB4_17570:                            ;   in Loop: Header=BB4_17508 Depth=3
	s_delay_alu instid0(SALU_CYCLE_1) | instskip(NEXT) | instid1(VALU_DEP_1)
	s_or_b32 exec_lo, exec_lo, s13
	v_dual_add_f32 v15, v13, v2 :: v_dual_mov_b32 v13, v3
                                        ; implicit-def: $vgpr14
	s_delay_alu instid0(VALU_DEP_1) | instskip(NEXT) | instid1(VALU_DEP_1)
	v_and_b32_e32 v12, 0x7f800000, v15
	v_cmp_ne_u64_e32 vcc_lo, 0x7f800000, v[12:13]
	v_and_b32_e32 v12, 0x7fffff, v15
	s_and_saveexec_b32 s13, vcc_lo
	s_delay_alu instid0(SALU_CYCLE_1)
	s_xor_b32 s14, exec_lo, s13
	s_cbranch_execz .LBB4_17588
; %bb.17571:                            ;   in Loop: Header=BB4_17508 Depth=3
	v_dual_mov_b32 v19, v3 :: v_dual_lshrrev_b32 v2, 24, v15
	v_and_b32_e32 v18, 0x7fffffff, v15
                                        ; implicit-def: $vgpr14
	s_mov_b32 s13, exec_lo
	s_delay_alu instid0(VALU_DEP_2) | instskip(NEXT) | instid1(VALU_DEP_2)
	v_and_b32_e32 v2, 0x80, v2
	v_cmpx_gt_u64_e32 0x47600001, v[18:19]
	s_xor_b32 s15, exec_lo, s13
	s_cbranch_execz .LBB4_17585
; %bb.17572:                            ;   in Loop: Header=BB4_17508 Depth=3
	v_mov_b32_e32 v14, 0
	s_mov_b32 s73, exec_lo
	v_cmpx_ne_u32_e32 0, v15
	s_cbranch_execz .LBB4_17584
; %bb.17573:                            ;   in Loop: Header=BB4_17508 Depth=3
	v_bfe_u32 v17, v15, 23, 8
	v_or_b32_e32 v19, 0x800000, v12
	s_delay_alu instid0(VALU_DEP_2) | instskip(SKIP_1) | instid1(VALU_DEP_2)
	v_sub_nc_u32_e32 v14, 0x71, v17
	v_cmp_gt_u32_e32 vcc_lo, 0x72, v17
	v_cndmask_b32_e32 v14, 0, v14, vcc_lo
	v_cmp_eq_u32_e32 vcc_lo, 0, v17
	v_cndmask_b32_e32 v12, v19, v12, vcc_lo
	s_delay_alu instid0(VALU_DEP_3) | instskip(NEXT) | instid1(VALU_DEP_1)
	v_cndmask_b32_e64 v18, v14, 0x70, vcc_lo
	v_dual_add_nc_u32 v14, 21, v18 :: v_dual_add_nc_u32 v20, 20, v18
	s_delay_alu instid0(VALU_DEP_1) | instskip(NEXT) | instid1(VALU_DEP_2)
	v_lshlrev_b64_e64 v[14:15], v14, -1
	v_lshlrev_b64_e64 v[20:21], v20, 1
	s_delay_alu instid0(VALU_DEP_2) | instskip(SKIP_1) | instid1(VALU_DEP_4)
	v_bfi_b32 v14, v14, 0, v12
	v_lshrrev_b64 v[12:13], v18, v[12:13]
	v_bfi_b32 v15, v15, 0, 0
	s_delay_alu instid0(VALU_DEP_1) | instskip(NEXT) | instid1(VALU_DEP_3)
	v_cmp_eq_u64_e64 s13, v[14:15], v[20:21]
	v_mov_b64_e32 v[14:15], v[12:13]
	s_and_saveexec_b32 s74, s13
; %bb.17574:                            ;   in Loop: Header=BB4_17508 Depth=3
	v_bfe_u32 v14, v12, 21, 1
	v_mov_b32_e32 v15, v3
	s_delay_alu instid0(VALU_DEP_1) | instskip(NEXT) | instid1(VALU_DEP_1)
	v_add_nc_u64_e32 v[14:15], v[12:13], v[14:15]
	v_add_nc_u64_e32 v[14:15], -1, v[14:15]
; %bb.17575:                            ;   in Loop: Header=BB4_17508 Depth=3
	s_or_b32 exec_lo, exec_lo, s74
	v_add_nc_u32_e32 v13, 0xffffff81, v17
	v_lshrrev_b32_e32 v15, 23, v12
	s_mov_b32 s13, exec_lo
	s_delay_alu instid0(VALU_DEP_2) | instskip(NEXT) | instid1(VALU_DEP_1)
	v_cndmask_b32_e64 v13, v13, 0xffffff82, vcc_lo
	v_add3_u32 v17, v18, v13, v15
	v_and_b32_e32 v13, 0x1fffff, v14
                                        ; implicit-def: $vgpr15
	s_delay_alu instid0(VALU_DEP_1) | instskip(SKIP_1) | instid1(VALU_DEP_2)
	v_dual_add_nc_u32 v14, 14, v17 :: v_dual_add_nc_u32 v12, v13, v12
	v_mov_b32_e32 v13, v3
	v_cmpx_ne_u32_e32 0, v14
	s_xor_b32 s13, exec_lo, s13
; %bb.17576:                            ;   in Loop: Header=BB4_17508 Depth=3
	s_delay_alu instid0(VALU_DEP_2) | instskip(SKIP_1) | instid1(VALU_DEP_1)
	v_cmp_lt_u64_e32 vcc_lo, 0xffffff, v[12:13]
	v_add_nc_u32_e32 v15, 15, v17
	v_cndmask_b32_e32 v15, v14, v15, vcc_lo
	v_cndmask_b32_e64 v14, 0, 1, vcc_lo
	s_delay_alu instid0(VALU_DEP_1)
	v_lshrrev_b64 v[12:13], v14, v[12:13]
; %bb.17577:                            ;   in Loop: Header=BB4_17508 Depth=3
	s_and_not1_saveexec_b32 s13, s13
; %bb.17578:                            ;   in Loop: Header=BB4_17508 Depth=3
	s_delay_alu instid0(VALU_DEP_1)
	v_bfe_u32 v15, v12, 23, 1
; %bb.17579:                            ;   in Loop: Header=BB4_17508 Depth=3
	s_or_b32 exec_lo, exec_lo, s13
	s_delay_alu instid0(VALU_DEP_2) | instskip(NEXT) | instid1(VALU_DEP_2)
	v_lshrrev_b64 v[12:13], 21, v[12:13]
	v_cmp_gt_i32_e32 vcc_lo, 32, v15
	v_cmp_ne_u32_e64 s13, 0, v15
                                        ; implicit-def: $vgpr14
	s_delay_alu instid0(VALU_DEP_3) | instskip(NEXT) | instid1(VALU_DEP_1)
	v_dual_cndmask_b32 v13, 0, v13 :: v_dual_cndmask_b32 v12, 3, v12
	v_cmp_ne_u64_e32 vcc_lo, 0, v[12:13]
	s_or_b32 s13, s13, vcc_lo
	s_delay_alu instid0(SALU_CYCLE_1) | instskip(NEXT) | instid1(SALU_CYCLE_1)
	s_and_saveexec_b32 s74, s13
	s_xor_b32 s13, exec_lo, s74
; %bb.17580:                            ;   in Loop: Header=BB4_17508 Depth=3
	v_min_i32_e32 v13, 31, v15
	s_delay_alu instid0(VALU_DEP_1) | instskip(NEXT) | instid1(VALU_DEP_1)
	v_lshl_or_b32 v2, v13, 2, v2
	v_and_or_b32 v14, v12, 3, v2
                                        ; implicit-def: $vgpr2
; %bb.17581:                            ;   in Loop: Header=BB4_17508 Depth=3
	s_and_not1_saveexec_b32 s13, s13
; %bb.17582:                            ;   in Loop: Header=BB4_17508 Depth=3
	v_mov_b32_e32 v14, v2
; %bb.17583:                            ;   in Loop: Header=BB4_17508 Depth=3
	s_or_b32 exec_lo, exec_lo, s13
.LBB4_17584:                            ;   in Loop: Header=BB4_17508 Depth=3
	s_delay_alu instid0(SALU_CYCLE_1)
	s_or_b32 exec_lo, exec_lo, s73
                                        ; implicit-def: $vgpr2
.LBB4_17585:                            ;   in Loop: Header=BB4_17508 Depth=3
	s_and_not1_saveexec_b32 s13, s15
; %bb.17586:                            ;   in Loop: Header=BB4_17508 Depth=3
	v_or_b32_e32 v14, 0x7b, v2
; %bb.17587:                            ;   in Loop: Header=BB4_17508 Depth=3
	s_or_b32 exec_lo, exec_lo, s13
                                        ; implicit-def: $vgpr15
                                        ; implicit-def: $vgpr12_vgpr13
.LBB4_17588:                            ;   in Loop: Header=BB4_17508 Depth=3
	s_and_not1_saveexec_b32 s13, s14
	s_cbranch_execz .LBB4_17507
; %bb.17589:                            ;   in Loop: Header=BB4_17508 Depth=3
	s_mov_b32 s14, exec_lo
                                        ; implicit-def: $vgpr14
	v_cmpx_ne_u64_e32 0, v[12:13]
	s_xor_b32 s14, exec_lo, s14
; %bb.17590:                            ;   in Loop: Header=BB4_17508 Depth=3
	v_lshrrev_b32_e32 v2, 24, v15
                                        ; implicit-def: $vgpr15
	s_delay_alu instid0(VALU_DEP_1)
	v_or_b32_e32 v14, 0x7f, v2
; %bb.17591:                            ;   in Loop: Header=BB4_17508 Depth=3
	s_and_not1_saveexec_b32 s14, s14
	s_cbranch_execz .LBB4_17506
; %bb.17592:                            ;   in Loop: Header=BB4_17508 Depth=3
	v_cmp_lt_i32_e32 vcc_lo, -1, v15
	v_cndmask_b32_e64 v14, -4, 0x7c, vcc_lo
	s_branch .LBB4_17506
.LBB4_17593:                            ;   in Loop: Header=BB4_8155 Depth=2
	s_or_b32 exec_lo, exec_lo, s42
.LBB4_17594:                            ;   in Loop: Header=BB4_8155 Depth=2
	v_cmp_lt_i32_e64 s13, 0, v47
	s_wait_xcnt 0x0
	s_and_saveexec_b32 s14, s2
	s_cbranch_execnz .LBB4_17595
; %bb.18267:                            ;   in Loop: Header=BB4_8155 Depth=2
	s_add_pc_i64 .LBB4_8231-.Lpost_addpc37
.Lpost_addpc37:
.LBB4_17595:                            ;   in Loop: Header=BB4_8155 Depth=2
	s_and_saveexec_b32 s15, s3
	s_delay_alu instid0(SALU_CYCLE_1)
	s_xor_b32 s15, exec_lo, s15
	s_cbranch_execz .LBB4_17610
; %bb.17596:                            ;   in Loop: Header=BB4_8155 Depth=2
	s_and_saveexec_b32 s42, s6
	s_cbranch_execz .LBB4_17609
; %bb.17597:                            ;   in Loop: Header=BB4_8155 Depth=2
	s_mov_b32 s73, exec_lo
	s_mov_b32 s43, exec_lo
	v_mbcnt_lo_u32_b32 v2, s73, 0
	global_wb scope:SCOPE_DEV
	s_wait_storecnt 0x0
	s_wait_loadcnt_dscnt 0x0
	global_inv scope:SCOPE_DEV
	v_cmpx_eq_u32_e32 0, v2
	s_cbranch_execz .LBB4_17599
; %bb.17598:                            ;   in Loop: Header=BB4_8155 Depth=2
	s_bcnt1_i32_b32 s73, s73
	s_delay_alu instid0(SALU_CYCLE_1)
	v_dual_mov_b32 v5, v3 :: v_dual_mov_b32 v4, s73
	s_wait_loadcnt 0x0
	ds_add_u64 v0, v[4:5]
	s_trap 2
.LBB4_17599:                            ;   in Loop: Header=BB4_8155 Depth=2
	s_or_b32 exec_lo, exec_lo, s43
	s_trap 2
	ds_load_b64 v[4:5], v0
	s_wait_dscnt 0x0
	v_add_nc_u64_e32 v[32:33], v[32:33], v[36:37]
	s_mov_b32 s43, exec_lo
	s_delay_alu instid0(VALU_DEP_1)
	v_cmpx_lt_u64_e64 v[4:5], v[32:33]
	s_cbranch_execz .LBB4_17608
; %bb.17600:                            ;   in Loop: Header=BB4_8155 Depth=2
	s_mov_b32 s73, 0
	s_mov_b32 s76, 0
                                        ; implicit-def: $sgpr74
                                        ; implicit-def: $sgpr75
	s_branch .LBB4_17602
.LBB4_17601:                            ;   in Loop: Header=BB4_17602 Depth=3
	s_or_b32 exec_lo, exec_lo, s78
	s_delay_alu instid0(SALU_CYCLE_1) | instskip(NEXT) | instid1(SALU_CYCLE_1)
	s_and_b32 s77, exec_lo, s79
	s_or_b32 s73, s77, s73
	s_and_not1_b32 s74, s74, exec_lo
	s_and_b32 s77, s75, exec_lo
	s_delay_alu instid0(SALU_CYCLE_1)
	s_or_b32 s74, s74, s77
	s_and_not1_b32 exec_lo, exec_lo, s73
	s_cbranch_execz .LBB4_17606
.LBB4_17602:                            ;   Parent Loop BB4_47 Depth=1
                                        ;     Parent Loop BB4_8155 Depth=2
                                        ; =>    This Inner Loop Header: Depth=3
	s_add_co_i32 s76, s76, 1
	s_delay_alu instid0(SALU_CYCLE_1) | instskip(SKIP_1) | instid1(SALU_CYCLE_1)
	s_cmp_lg_u32 s76, 0x2710
	s_cselect_b32 s77, -1, 0
	s_and_b32 vcc_lo, exec_lo, s77
	s_cbranch_vccz .LBB4_17604
; %bb.17603:                            ;   in Loop: Header=BB4_17602 Depth=3
	s_mov_b32 s79, -1
	s_or_b32 s75, s75, exec_lo
	s_and_saveexec_b32 s78, s77
	s_cbranch_execz .LBB4_17601
	s_branch .LBB4_17605
.LBB4_17604:                            ;   in Loop: Header=BB4_17602 Depth=3
	s_trap 2
	ds_load_b64 v[4:5], v0
	s_and_not1_b32 s77, s77, exec_lo
	s_mov_b32 s76, 0
	s_wait_loadcnt_dscnt 0x0
	flat_load_b32 v2, v[4:5] scope:SCOPE_SYS
	s_wait_loadcnt_dscnt 0x0
	global_inv scope:SCOPE_SYS
	v_cmp_eq_u32_e32 vcc_lo, 0, v2
	s_and_b32 s78, vcc_lo, exec_lo
	s_delay_alu instid0(SALU_CYCLE_1)
	s_or_b32 s77, s77, s78
	s_mov_b32 s79, -1
	s_or_b32 s75, s75, exec_lo
	s_and_saveexec_b32 s78, s77
	s_cbranch_execz .LBB4_17601
.LBB4_17605:                            ;   in Loop: Header=BB4_17602 Depth=3
	s_sleep 1
	s_trap 2
	ds_load_b64 v[4:5], v0
	s_wait_dscnt 0x0
	s_and_not1_b32 s75, s75, exec_lo
	v_cmp_ge_u64_e32 vcc_lo, v[4:5], v[32:33]
	s_or_not1_b32 s79, vcc_lo, exec_lo
	s_branch .LBB4_17601
.LBB4_17606:                            ;   in Loop: Header=BB4_8155 Depth=2
	s_or_b32 exec_lo, exec_lo, s73
	s_and_saveexec_b32 s73, s74
	s_delay_alu instid0(SALU_CYCLE_1)
	s_xor_b32 s73, exec_lo, s73
	s_cbranch_execz .LBB4_17608
; %bb.17607:                            ;   in Loop: Header=BB4_8155 Depth=2
	ds_store_b32 v0, v1
	s_trap 2
.LBB4_17608:                            ;   in Loop: Header=BB4_8155 Depth=2
	s_or_b32 exec_lo, exec_lo, s43
	;;#ASMSTART
	s_wakeup
	;;#ASMEND
.LBB4_17609:                            ;   in Loop: Header=BB4_8155 Depth=2
	s_or_b32 exec_lo, exec_lo, s42
.LBB4_17610:                            ;   in Loop: Header=BB4_8155 Depth=2
	s_and_not1_saveexec_b32 s15, s15
	s_cbranch_execz .LBB4_17612
; %bb.17611:                            ;   in Loop: Header=BB4_8155 Depth=2
	global_wb scope:SCOPE_DEV
	s_wait_storecnt 0x0
	s_wait_loadcnt_dscnt 0x0
	global_inv scope:SCOPE_DEV
	s_barrier_signal -1
	s_barrier_wait -1
.LBB4_17612:                            ;   in Loop: Header=BB4_8155 Depth=2
	s_or_b32 exec_lo, exec_lo, s15
	s_delay_alu instid0(SALU_CYCLE_1) | instskip(SKIP_1) | instid1(SALU_CYCLE_1)
	s_or_b32 exec_lo, exec_lo, s14
                                        ; implicit-def: $vgpr2
	s_and_saveexec_b32 s14, s12
	s_xor_b32 s14, exec_lo, s14
	s_cbranch_execz .LBB4_17613
; %bb.18269:                            ;   in Loop: Header=BB4_8155 Depth=2
	s_add_pc_i64 .LBB4_8232-.Lpost_addpc38
.Lpost_addpc38:
.LBB4_17613:                            ;   in Loop: Header=BB4_8155 Depth=2
	s_and_not1_saveexec_b32 s13, s14
	s_cbranch_execz .LBB4_17632
.LBB4_17614:                            ;   in Loop: Header=BB4_8155 Depth=2
	s_and_saveexec_b32 s14, s3
	s_delay_alu instid0(SALU_CYCLE_1)
	s_xor_b32 s14, exec_lo, s14
	s_cbranch_execz .LBB4_17629
; %bb.17615:                            ;   in Loop: Header=BB4_8155 Depth=2
	s_and_saveexec_b32 s15, s6
	s_cbranch_execz .LBB4_17628
; %bb.17616:                            ;   in Loop: Header=BB4_8155 Depth=2
	s_mov_b32 s43, exec_lo
	s_mov_b32 s42, exec_lo
	v_mbcnt_lo_u32_b32 v2, s43, 0
	;;#ASMSTART
	s_waitcnt lgkmcnt(0) vmcnt(0)
	;;#ASMEND
	s_delay_alu instid0(VALU_DEP_1)
	v_cmpx_eq_u32_e32 0, v2
	s_cbranch_execz .LBB4_17618
; %bb.17617:                            ;   in Loop: Header=BB4_8155 Depth=2
	s_bcnt1_i32_b32 s43, s43
	s_delay_alu instid0(SALU_CYCLE_1)
	v_dual_mov_b32 v5, v3 :: v_dual_mov_b32 v4, s43
	s_wait_storecnt 0x0
	s_wait_loadcnt_dscnt 0x0
	ds_add_u64 v0, v[4:5]
	s_trap 2
.LBB4_17618:                            ;   in Loop: Header=BB4_8155 Depth=2
	s_or_b32 exec_lo, exec_lo, s42
	s_trap 2
	ds_load_b64 v[4:5], v0
	s_wait_dscnt 0x0
	v_add_nc_u64_e32 v[32:33], v[32:33], v[36:37]
	s_mov_b32 s42, exec_lo
	s_delay_alu instid0(VALU_DEP_1)
	v_cmpx_lt_u64_e64 v[4:5], v[32:33]
	s_cbranch_execz .LBB4_17627
; %bb.17619:                            ;   in Loop: Header=BB4_8155 Depth=2
	s_mov_b32 s43, 0
	s_mov_b32 s75, 0
                                        ; implicit-def: $sgpr73
                                        ; implicit-def: $sgpr74
	s_branch .LBB4_17621
.LBB4_17620:                            ;   in Loop: Header=BB4_17621 Depth=3
	s_or_b32 exec_lo, exec_lo, s77
	s_delay_alu instid0(SALU_CYCLE_1) | instskip(NEXT) | instid1(SALU_CYCLE_1)
	s_and_b32 s76, exec_lo, s78
	s_or_b32 s43, s76, s43
	s_and_not1_b32 s73, s73, exec_lo
	s_and_b32 s76, s74, exec_lo
	s_delay_alu instid0(SALU_CYCLE_1)
	s_or_b32 s73, s73, s76
	s_and_not1_b32 exec_lo, exec_lo, s43
	s_cbranch_execz .LBB4_17625
.LBB4_17621:                            ;   Parent Loop BB4_47 Depth=1
                                        ;     Parent Loop BB4_8155 Depth=2
                                        ; =>    This Inner Loop Header: Depth=3
	s_add_co_i32 s75, s75, 1
	s_delay_alu instid0(SALU_CYCLE_1) | instskip(SKIP_1) | instid1(SALU_CYCLE_1)
	s_cmp_lg_u32 s75, 0x2710
	s_cselect_b32 s76, -1, 0
	s_and_b32 vcc_lo, exec_lo, s76
	s_cbranch_vccz .LBB4_17623
; %bb.17622:                            ;   in Loop: Header=BB4_17621 Depth=3
	s_mov_b32 s78, -1
	s_or_b32 s74, s74, exec_lo
	s_and_saveexec_b32 s77, s76
	s_cbranch_execz .LBB4_17620
	s_branch .LBB4_17624
.LBB4_17623:                            ;   in Loop: Header=BB4_17621 Depth=3
	s_trap 2
	ds_load_b64 v[4:5], v0
	s_and_not1_b32 s76, s76, exec_lo
	s_mov_b32 s75, 0
	s_wait_storecnt 0x0
	s_wait_loadcnt_dscnt 0x0
	flat_load_b32 v2, v[4:5] scope:SCOPE_SYS
	s_wait_loadcnt_dscnt 0x0
	global_inv scope:SCOPE_SYS
	v_cmp_eq_u32_e32 vcc_lo, 0, v2
	s_and_b32 s77, vcc_lo, exec_lo
	s_delay_alu instid0(SALU_CYCLE_1)
	s_or_b32 s76, s76, s77
	s_mov_b32 s78, -1
	s_or_b32 s74, s74, exec_lo
	s_and_saveexec_b32 s77, s76
	s_cbranch_execz .LBB4_17620
.LBB4_17624:                            ;   in Loop: Header=BB4_17621 Depth=3
	s_sleep 1
	s_trap 2
	ds_load_b64 v[4:5], v0
	s_wait_dscnt 0x0
	s_and_not1_b32 s74, s74, exec_lo
	v_cmp_ge_u64_e32 vcc_lo, v[4:5], v[32:33]
	s_or_not1_b32 s78, vcc_lo, exec_lo
	s_branch .LBB4_17620
.LBB4_17625:                            ;   in Loop: Header=BB4_8155 Depth=2
	s_or_b32 exec_lo, exec_lo, s43
	s_and_saveexec_b32 s43, s73
	s_delay_alu instid0(SALU_CYCLE_1)
	s_xor_b32 s43, exec_lo, s43
	s_cbranch_execz .LBB4_17627
; %bb.17626:                            ;   in Loop: Header=BB4_8155 Depth=2
	ds_store_b32 v0, v1
	s_trap 2
.LBB4_17627:                            ;   in Loop: Header=BB4_8155 Depth=2
	s_or_b32 exec_lo, exec_lo, s42
	;;#ASMSTART
	s_wakeup
	;;#ASMEND
.LBB4_17628:                            ;   in Loop: Header=BB4_8155 Depth=2
	s_or_b32 exec_lo, exec_lo, s15
.LBB4_17629:                            ;   in Loop: Header=BB4_8155 Depth=2
	s_and_not1_saveexec_b32 s14, s14
	s_cbranch_execz .LBB4_17631
; %bb.17630:                            ;   in Loop: Header=BB4_8155 Depth=2
	;;#ASMSTART
	s_waitcnt lgkmcnt(0) vmcnt(0)
	;;#ASMEND
	s_barrier_signal -1
	s_barrier_wait -1
.LBB4_17631:                            ;   in Loop: Header=BB4_8155 Depth=2
	s_or_b32 exec_lo, exec_lo, s14
	v_and_b32_e32 v2, 16, v126
.LBB4_17632:                            ;   in Loop: Header=BB4_8155 Depth=2
	s_or_b32 exec_lo, exec_lo, s13
	s_delay_alu instid0(VALU_DEP_1) | instskip(SKIP_1) | instid1(SALU_CYCLE_1)
	v_cmp_ne_u32_e32 vcc_lo, 0, v2
	s_xor_b32 s13, s4, -1
	s_and_b32 s14, vcc_lo, s13
	s_delay_alu instid0(SALU_CYCLE_1)
	s_and_saveexec_b32 s13, s14
	s_cbranch_execz .LBB4_17634
; %bb.17633:                            ;   in Loop: Header=BB4_8155 Depth=2
	global_wb scope:SCOPE_SYS
	s_wait_storecnt 0x0
	s_wait_loadcnt_dscnt 0x0
	flat_store_b32 v[28:29], v1 scope:SCOPE_SYS
.LBB4_17634:                            ;   in Loop: Header=BB4_8155 Depth=2
	s_wait_xcnt 0x0
	s_or_b32 exec_lo, exec_lo, s13
	v_and_b32_e32 v2, 48, v126
	s_mov_b32 s13, exec_lo
	s_delay_alu instid0(VALU_DEP_1)
	v_cmpx_ne_u32_e32 0, v2
	s_cbranch_execnz .LBB4_17635
; %bb.18271:                            ;   in Loop: Header=BB4_8155 Depth=2
	s_add_pc_i64 .LBB4_8154-.Lpost_addpc39
.Lpost_addpc39:
.LBB4_17635:                            ;   in Loop: Header=BB4_8155 Depth=2
	v_add_nc_u64_e32 v[98:99], 2, v[98:99]
	global_wb scope:SCOPE_SYS
	s_wait_storecnt 0x0
	s_wait_loadcnt_dscnt 0x0
	flat_store_b64 v[22:23], v[98:99] scope:SCOPE_SYS
; %bb.18223:                            ;   in Loop: Header=BB4_8155 Depth=2
	s_add_pc_i64 .LBB4_8154-.Lpost_addpc15
.Lpost_addpc15:
.LBB4_17636:                            ;   in Loop: Header=BB4_47 Depth=1
	s_or_b32 exec_lo, exec_lo, s29
.LBB4_17637:                            ;   in Loop: Header=BB4_47 Depth=1
	s_delay_alu instid0(SALU_CYCLE_1) | instskip(NEXT) | instid1(SALU_CYCLE_1)
	s_or_b32 exec_lo, exec_lo, s18
	s_mov_b32 s14, exec_lo
	v_cmpx_gt_i32_e32 2, v2
	s_cbranch_execz .LBB4_17713
; %bb.17638:                            ;   in Loop: Header=BB4_47 Depth=1
	v_cmp_eq_u32_e64 s18, 0, v2
	s_mov_b32 s15, 0
	s_branch .LBB4_17640
.LBB4_17639:                            ;   in Loop: Header=BB4_17640 Depth=2
	s_wait_xcnt 0x0
	s_or_b32 exec_lo, exec_lo, s13
	v_add_nc_u32_e32 v114, v112, v114
	s_mov_b32 s18, 0
	s_and_not1_b32 exec_lo, exec_lo, s15
	s_cbranch_execz .LBB4_17712
.LBB4_17640:                            ;   Parent Loop BB4_47 Depth=1
                                        ; =>  This Loop Header: Depth=2
                                        ;       Child Loop BB4_17646 Depth 3
                                        ;       Child Loop BB4_17674 Depth 3
	;; [unrolled: 1-line block ×3, first 2 shown]
	s_delay_alu instid0(VALU_DEP_1) | instskip(SKIP_2) | instid1(VALU_DEP_2)
	v_sub_nc_u32_e32 v2, v102, v114
	v_and_b32_e32 v4, 12, v126
	s_mov_b32 s29, exec_lo
	v_min_i32_e32 v112, v112, v2
	s_delay_alu instid0(VALU_DEP_2)
	v_cmpx_ne_u32_e32 0, v4
	s_cbranch_execz .LBB4_17666
; %bb.17641:                            ;   in Loop: Header=BB4_17640 Depth=2
	v_dual_mov_b32 v9, v3 :: v_dual_bitop2_b32 v8, 8, v126 bitop3:0x40
	v_add_nc_u64_e32 v[4:5], 2, v[98:99]
	s_mov_b32 s42, exec_lo
	s_wait_loadcnt_dscnt 0x1
	s_delay_alu instid0(VALU_DEP_2) | instskip(NEXT) | instid1(VALU_DEP_1)
	v_add_nc_u64_e32 v[10:11], v[34:35], v[8:9]
	v_cmpx_lt_u64_e64 v[10:11], v[4:5]
	s_cbranch_execz .LBB4_17653
; %bb.17642:                            ;   in Loop: Header=BB4_17640 Depth=2
	v_and_b32_e32 v2, 64, v126
	s_mov_b32 s43, 0
	s_mov_b32 s74, 0
                                        ; implicit-def: $sgpr63
                                        ; implicit-def: $sgpr72
                                        ; implicit-def: $sgpr73
	s_delay_alu instid0(VALU_DEP_1)
	v_cmp_eq_u32_e32 vcc_lo, 0, v2
	s_branch .LBB4_17646
.LBB4_17643:                            ;   in Loop: Header=BB4_17646 Depth=3
	s_wait_loadcnt_dscnt 0x0
	v_add_nc_u64_e32 v[10:11], v[34:35], v[8:9]
	s_or_b32 s77, s77, exec_lo
	s_delay_alu instid0(VALU_DEP_1)
	v_cmp_ge_u64_e64 s13, v[10:11], v[4:5]
	s_or_not1_b32 s76, s13, exec_lo
.LBB4_17644:                            ;   in Loop: Header=BB4_17646 Depth=3
	s_or_b32 exec_lo, exec_lo, s79
	s_delay_alu instid0(SALU_CYCLE_1)
	s_and_not1_b32 s13, s73, exec_lo
	s_and_b32 s73, s77, exec_lo
	s_and_not1_b32 s72, s72, exec_lo
	s_and_b32 s76, s76, exec_lo
	s_or_b32 s73, s13, s73
	s_or_b32 s72, s72, s76
.LBB4_17645:                            ;   in Loop: Header=BB4_17646 Depth=3
	s_or_b32 exec_lo, exec_lo, s75
	s_delay_alu instid0(SALU_CYCLE_1) | instskip(NEXT) | instid1(SALU_CYCLE_1)
	s_and_b32 s13, exec_lo, s72
	s_or_b32 s43, s13, s43
	s_and_not1_b32 s13, s63, exec_lo
	s_and_b32 s63, s73, exec_lo
	s_delay_alu instid0(SALU_CYCLE_1)
	s_or_b32 s63, s13, s63
	s_and_not1_b32 exec_lo, exec_lo, s43
	s_cbranch_execz .LBB4_17650
.LBB4_17646:                            ;   Parent Loop BB4_47 Depth=1
                                        ;     Parent Loop BB4_17640 Depth=2
                                        ; =>    This Inner Loop Header: Depth=3
	s_sleep 1
	s_wait_loadcnt_dscnt 0x0
	flat_load_b64 v[34:35], v[22:23] scope:SCOPE_SYS
	s_or_b32 s73, s73, exec_lo
	s_or_b32 s72, s72, exec_lo
                                        ; implicit-def: $vgpr2
	s_wait_xcnt 0x0
	s_and_saveexec_b32 s75, vcc_lo
	s_cbranch_execz .LBB4_17645
; %bb.17647:                            ;   in Loop: Header=BB4_17646 Depth=3
	s_cmp_lt_i32 s74, 0x270f
	s_mov_b32 s76, -1
	s_cselect_b32 s78, -1, 0
	s_cmp_gt_i32 s74, 0x270e
	s_cbranch_scc0 .LBB4_17649
; %bb.17648:                            ;   in Loop: Header=BB4_17646 Depth=3
	s_trap 2
	ds_load_b64 v[10:11], v0
	s_and_not1_b32 s74, s78, exec_lo
	s_mov_b32 s77, 0
	s_wait_storecnt 0x0
	s_wait_loadcnt_dscnt 0x0
	flat_load_b32 v2, v[10:11] scope:SCOPE_SYS
	s_wait_loadcnt_dscnt 0x0
	global_inv scope:SCOPE_SYS
	v_cmp_eq_u32_e64 s13, 0, v2
	s_and_b32 s13, s13, exec_lo
	s_delay_alu instid0(SALU_CYCLE_1)
	s_or_b32 s78, s74, s13
	s_mov_b32 s74, 0
	s_and_saveexec_b32 s79, s78
	s_cbranch_execz .LBB4_17644
	s_branch .LBB4_17643
.LBB4_17649:                            ;   in Loop: Header=BB4_17646 Depth=3
	s_add_co_i32 s74, s74, 1
	s_mov_b32 s77, -1
                                        ; implicit-def: $vgpr2
	s_and_saveexec_b32 s79, s78
	s_cbranch_execz .LBB4_17644
	s_branch .LBB4_17643
.LBB4_17650:                            ;   in Loop: Header=BB4_17640 Depth=2
	s_or_b32 exec_lo, exec_lo, s43
	s_xor_b32 s13, s63, -1
	s_delay_alu instid0(SALU_CYCLE_1) | instskip(NEXT) | instid1(SALU_CYCLE_1)
	s_and_saveexec_b32 s43, s13
	s_xor_b32 s13, exec_lo, s43
	s_cbranch_execz .LBB4_17652
; %bb.17651:                            ;   in Loop: Header=BB4_17640 Depth=2
	v_or_b32_e32 v126, 64, v126
	s_wait_storecnt 0x0
	s_wait_loadcnt_dscnt 0x0
	ds_store_b32 v0, v2
	s_trap 2
.LBB4_17652:                            ;   in Loop: Header=BB4_17640 Depth=2
	s_or_b32 exec_lo, exec_lo, s13
.LBB4_17653:                            ;   in Loop: Header=BB4_17640 Depth=2
	s_delay_alu instid0(SALU_CYCLE_1) | instskip(SKIP_3) | instid1(VALU_DEP_1)
	s_or_b32 exec_lo, exec_lo, s42
	v_and_b32_e32 v2, 0x108, v126
	s_mov_b32 s13, exec_lo
	;;#ASMSTART
	s_wakeup
	;;#ASMEND
                                        ; implicit-def: $vgpr10_vgpr11
	v_cmpx_ne_u32_e32 0x108, v2
	s_xor_b32 s13, exec_lo, s13
; %bb.17654:                            ;   in Loop: Header=BB4_17640 Depth=2
	v_dual_mov_b32 v11, v3 :: v_dual_bitop2_b32 v10, 7, v98 bitop3:0x40
                                        ; implicit-def: $vgpr98_vgpr99
; %bb.17655:                            ;   in Loop: Header=BB4_17640 Depth=2
	s_and_not1_saveexec_b32 s13, s13
	s_cbranch_execz .LBB4_17657
; %bb.17656:                            ;   in Loop: Header=BB4_17640 Depth=2
	v_dual_ashrrev_i32 v113, 31, v112 :: v_dual_bitop2_b32 v10, 7, v98 bitop3:0x40
	v_mov_b32_e32 v11, v3
	s_delay_alu instid0(VALU_DEP_2)
	v_mad_nc_u64_u32 v[12:13], v10, 24, v[6:7]
	flat_store_b64 v[12:13], v[112:113] offset:8
.LBB4_17657:                            ;   in Loop: Header=BB4_17640 Depth=2
	s_wait_xcnt 0x0
	s_or_b32 exec_lo, exec_lo, s13
	v_and_b32_e32 v2, 0x100, v126
	s_mov_b32 s13, -1
	s_mov_b32 s42, exec_lo
                                        ; implicit-def: $vgpr12_vgpr13
	s_delay_alu instid0(VALU_DEP_1)
	v_cmpx_ne_u32_e32 0, v2
	s_cbranch_execz .LBB4_17661
; %bb.17658:                            ;   in Loop: Header=BB4_17640 Depth=2
	v_mad_nc_u64_u32 v[14:15], v10, 24, v[6:7]
	s_mov_b32 s43, exec_lo
                                        ; implicit-def: $vgpr12_vgpr13
	s_delay_alu instid0(VALU_DEP_1)
	v_mad_u32 v15, v11, 24, v15
	flat_load_b32 v2, v[14:15]
	s_wait_loadcnt_dscnt 0x0
	v_cmp_ne_u32_e32 vcc_lo, 1, v2
	s_wait_xcnt 0x0
	v_cmpx_eq_u32_e32 1, v2
	s_cbranch_execz .LBB4_17660
; %bb.17659:                            ;   in Loop: Header=BB4_17640 Depth=2
	flat_load_b32 v12, v[14:15] offset:4 scope:SCOPE_SYS
	s_wait_loadcnt_dscnt 0x0
	v_ashrrev_i32_e32 v13, 31, v12
.LBB4_17660:                            ;   in Loop: Header=BB4_17640 Depth=2
	s_wait_xcnt 0x0
	s_or_b32 exec_lo, exec_lo, s43
	s_delay_alu instid0(SALU_CYCLE_1)
	s_or_not1_b32 s13, vcc_lo, exec_lo
.LBB4_17661:                            ;   in Loop: Header=BB4_17640 Depth=2
	s_or_b32 exec_lo, exec_lo, s42
	s_and_saveexec_b32 s42, s13
; %bb.17662:                            ;   in Loop: Header=BB4_17640 Depth=2
	v_mul_u64_e32 v[12:13], v[10:11], v[24:25]
; %bb.17663:                            ;   in Loop: Header=BB4_17640 Depth=2
	s_or_b32 exec_lo, exec_lo, s42
	v_cmp_eq_u32_e32 vcc_lo, 0, v8
	v_mov_b32_e32 v2, 0x90
	s_delay_alu instid0(VALU_DEP_3) | instskip(SKIP_2) | instid1(VALU_DEP_3)
	v_add_nc_u64_e32 v[8:9], v[26:27], v[12:13]
	v_and_b32_e32 v10, 0x2000, v126
	s_mov_b32 s13, exec_lo
	v_cndmask_b32_e32 v2, 0xd0, v2, vcc_lo
	s_delay_alu instid0(VALU_DEP_1)
	v_add_nc_u32_e32 v2, v0, v2
	ds_store_b64 v2, v[8:9] offset:584
	v_cmpx_ne_u32_e32 0, v10
	s_cbranch_execz .LBB4_17665
; %bb.17664:                            ;   in Loop: Header=BB4_17640 Depth=2
	ds_load_b64 v[8:9], v0 offset:872
	s_wait_dscnt 0x0
	v_add_nc_u64_e32 v[8:9], 1, v[8:9]
	ds_store_b64 v0, v[8:9] offset:872
.LBB4_17665:                            ;   in Loop: Header=BB4_17640 Depth=2
	s_or_b32 exec_lo, exec_lo, s13
	v_mov_b64_e32 v[98:99], v[4:5]
.LBB4_17666:                            ;   in Loop: Header=BB4_17640 Depth=2
	s_or_b32 exec_lo, exec_lo, s29
	s_xor_b32 s13, s18, -1
	s_delay_alu instid0(SALU_CYCLE_1) | instskip(NEXT) | instid1(SALU_CYCLE_1)
	s_and_b32 s13, exec_lo, s13
	s_or_b32 s15, s13, s15
	s_and_saveexec_b32 s13, s2
	s_cbranch_execz .LBB4_17685
; %bb.17667:                            ;   in Loop: Header=BB4_17640 Depth=2
	s_and_saveexec_b32 s18, s3
	s_delay_alu instid0(SALU_CYCLE_1)
	s_xor_b32 s18, exec_lo, s18
	s_cbranch_execz .LBB4_17682
; %bb.17668:                            ;   in Loop: Header=BB4_17640 Depth=2
	s_and_saveexec_b32 s29, s6
	s_cbranch_execz .LBB4_17681
; %bb.17669:                            ;   in Loop: Header=BB4_17640 Depth=2
	s_mov_b32 s43, exec_lo
	s_mov_b32 s42, exec_lo
	v_mbcnt_lo_u32_b32 v2, s43, 0
	global_wb scope:SCOPE_DEV
	s_wait_storecnt 0x0
	s_wait_loadcnt_dscnt 0x0
	global_inv scope:SCOPE_DEV
	v_cmpx_eq_u32_e32 0, v2
	s_cbranch_execz .LBB4_17671
; %bb.17670:                            ;   in Loop: Header=BB4_17640 Depth=2
	s_bcnt1_i32_b32 s43, s43
	s_delay_alu instid0(SALU_CYCLE_1)
	v_dual_mov_b32 v5, v3 :: v_dual_mov_b32 v4, s43
	s_wait_loadcnt 0x0
	ds_add_u64 v0, v[4:5]
	s_trap 2
.LBB4_17671:                            ;   in Loop: Header=BB4_17640 Depth=2
	s_or_b32 exec_lo, exec_lo, s42
	s_trap 2
	ds_load_b64 v[4:5], v0
	s_wait_dscnt 0x0
	v_add_nc_u64_e32 v[32:33], v[32:33], v[36:37]
	s_mov_b32 s42, exec_lo
	s_delay_alu instid0(VALU_DEP_1)
	v_cmpx_lt_u64_e64 v[4:5], v[32:33]
	s_cbranch_execz .LBB4_17680
; %bb.17672:                            ;   in Loop: Header=BB4_17640 Depth=2
	s_mov_b32 s43, 0
	s_mov_b32 s73, 0
                                        ; implicit-def: $sgpr63
                                        ; implicit-def: $sgpr72
	s_branch .LBB4_17674
.LBB4_17673:                            ;   in Loop: Header=BB4_17674 Depth=3
	s_or_b32 exec_lo, exec_lo, s75
	s_delay_alu instid0(SALU_CYCLE_1) | instskip(NEXT) | instid1(SALU_CYCLE_1)
	s_and_b32 s74, exec_lo, s76
	s_or_b32 s43, s74, s43
	s_and_not1_b32 s63, s63, exec_lo
	s_and_b32 s74, s72, exec_lo
	s_delay_alu instid0(SALU_CYCLE_1)
	s_or_b32 s63, s63, s74
	s_and_not1_b32 exec_lo, exec_lo, s43
	s_cbranch_execz .LBB4_17678
.LBB4_17674:                            ;   Parent Loop BB4_47 Depth=1
                                        ;     Parent Loop BB4_17640 Depth=2
                                        ; =>    This Inner Loop Header: Depth=3
	s_add_co_i32 s73, s73, 1
	s_delay_alu instid0(SALU_CYCLE_1) | instskip(SKIP_1) | instid1(SALU_CYCLE_1)
	s_cmp_lg_u32 s73, 0x2710
	s_cselect_b32 s74, -1, 0
	s_and_b32 vcc_lo, exec_lo, s74
	s_cbranch_vccz .LBB4_17676
; %bb.17675:                            ;   in Loop: Header=BB4_17674 Depth=3
	s_mov_b32 s76, -1
	s_or_b32 s72, s72, exec_lo
	s_and_saveexec_b32 s75, s74
	s_cbranch_execz .LBB4_17673
	s_branch .LBB4_17677
.LBB4_17676:                            ;   in Loop: Header=BB4_17674 Depth=3
	s_trap 2
	ds_load_b64 v[4:5], v0
	s_and_not1_b32 s74, s74, exec_lo
	s_mov_b32 s73, 0
	s_wait_loadcnt_dscnt 0x0
	flat_load_b32 v2, v[4:5] scope:SCOPE_SYS
	s_wait_loadcnt_dscnt 0x0
	global_inv scope:SCOPE_SYS
	v_cmp_eq_u32_e32 vcc_lo, 0, v2
	s_and_b32 s75, vcc_lo, exec_lo
	s_delay_alu instid0(SALU_CYCLE_1)
	s_or_b32 s74, s74, s75
	s_mov_b32 s76, -1
	s_or_b32 s72, s72, exec_lo
	s_and_saveexec_b32 s75, s74
	s_cbranch_execz .LBB4_17673
.LBB4_17677:                            ;   in Loop: Header=BB4_17674 Depth=3
	s_sleep 1
	s_trap 2
	ds_load_b64 v[4:5], v0
	s_wait_dscnt 0x0
	s_and_not1_b32 s72, s72, exec_lo
	v_cmp_ge_u64_e32 vcc_lo, v[4:5], v[32:33]
	s_or_not1_b32 s76, vcc_lo, exec_lo
	s_branch .LBB4_17673
.LBB4_17678:                            ;   in Loop: Header=BB4_17640 Depth=2
	s_or_b32 exec_lo, exec_lo, s43
	s_and_saveexec_b32 s43, s63
	s_delay_alu instid0(SALU_CYCLE_1)
	s_xor_b32 s43, exec_lo, s43
	s_cbranch_execz .LBB4_17680
; %bb.17679:                            ;   in Loop: Header=BB4_17640 Depth=2
	ds_store_b32 v0, v1
	s_trap 2
.LBB4_17680:                            ;   in Loop: Header=BB4_17640 Depth=2
	s_or_b32 exec_lo, exec_lo, s42
	;;#ASMSTART
	s_wakeup
	;;#ASMEND
.LBB4_17681:                            ;   in Loop: Header=BB4_17640 Depth=2
	s_or_b32 exec_lo, exec_lo, s29
.LBB4_17682:                            ;   in Loop: Header=BB4_17640 Depth=2
	s_and_not1_saveexec_b32 s18, s18
	s_cbranch_execz .LBB4_17684
; %bb.17683:                            ;   in Loop: Header=BB4_17640 Depth=2
	global_wb scope:SCOPE_DEV
	s_wait_storecnt 0x0
	s_wait_loadcnt_dscnt 0x0
	global_inv scope:SCOPE_DEV
	s_barrier_signal -1
	s_barrier_wait -1
.LBB4_17684:                            ;   in Loop: Header=BB4_17640 Depth=2
	s_or_b32 exec_lo, exec_lo, s18
.LBB4_17685:                            ;   in Loop: Header=BB4_17640 Depth=2
	s_delay_alu instid0(SALU_CYCLE_1) | instskip(SKIP_1) | instid1(SALU_CYCLE_1)
	s_or_b32 exec_lo, exec_lo, s13
                                        ; implicit-def: $vgpr2
	s_and_saveexec_b32 s13, s12
	s_xor_b32 s18, exec_lo, s13
	s_cbranch_execz .LBB4_17689
; %bb.17686:                            ;   in Loop: Header=BB4_17640 Depth=2
	s_trap 2
	ds_load_b32 v2, v0
	v_cmp_lt_i32_e32 vcc_lo, 0, v112
	s_wait_dscnt 0x0
	v_readfirstlane_b32 s13, v2
	v_and_b32_e32 v2, 16, v126
	s_cmp_eq_u32 s13, 0
	s_delay_alu instid0(VALU_DEP_1) | instskip(SKIP_3) | instid1(SALU_CYCLE_1)
	v_cmp_ne_u32_e64 s13, 0, v2
	s_cselect_b32 s29, -1, 0
	v_and_b32_e32 v2, 16, v126
	s_and_b32 s29, vcc_lo, s29
	s_and_b32 s29, s13, s29
	s_delay_alu instid0(SALU_CYCLE_1)
	s_and_saveexec_b32 s13, s29
	s_cbranch_execz .LBB4_17688
; %bb.17687:                            ;   in Loop: Header=BB4_17640 Depth=2
	v_mov_b32_e32 v2, 1
	global_wb scope:SCOPE_SYS
	s_wait_loadcnt 0x0
	s_wait_storecnt 0x0
	global_inv scope:SCOPE_SYS
.LBB4_17688:                            ;   in Loop: Header=BB4_17640 Depth=2
	s_or_b32 exec_lo, exec_lo, s13
	s_and_not1_saveexec_b32 s13, s18
	s_cbranch_execz .LBB4_17708
	s_branch .LBB4_17690
.LBB4_17689:                            ;   in Loop: Header=BB4_17640 Depth=2
	s_and_not1_saveexec_b32 s13, s18
	s_cbranch_execz .LBB4_17708
.LBB4_17690:                            ;   in Loop: Header=BB4_17640 Depth=2
	s_and_saveexec_b32 s18, s3
	s_delay_alu instid0(SALU_CYCLE_1)
	s_xor_b32 s18, exec_lo, s18
	s_cbranch_execz .LBB4_17705
; %bb.17691:                            ;   in Loop: Header=BB4_17640 Depth=2
	s_and_saveexec_b32 s29, s6
	s_cbranch_execz .LBB4_17704
; %bb.17692:                            ;   in Loop: Header=BB4_17640 Depth=2
	s_mov_b32 s43, exec_lo
	s_mov_b32 s42, exec_lo
	v_mbcnt_lo_u32_b32 v2, s43, 0
	;;#ASMSTART
	s_waitcnt lgkmcnt(0) vmcnt(0)
	;;#ASMEND
	s_delay_alu instid0(VALU_DEP_1)
	v_cmpx_eq_u32_e32 0, v2
	s_cbranch_execz .LBB4_17694
; %bb.17693:                            ;   in Loop: Header=BB4_17640 Depth=2
	s_bcnt1_i32_b32 s43, s43
	s_delay_alu instid0(SALU_CYCLE_1)
	v_dual_mov_b32 v5, v3 :: v_dual_mov_b32 v4, s43
	s_wait_storecnt 0x0
	s_wait_loadcnt_dscnt 0x0
	ds_add_u64 v0, v[4:5]
	s_trap 2
.LBB4_17694:                            ;   in Loop: Header=BB4_17640 Depth=2
	s_or_b32 exec_lo, exec_lo, s42
	s_trap 2
	ds_load_b64 v[4:5], v0
	s_wait_dscnt 0x0
	v_add_nc_u64_e32 v[32:33], v[32:33], v[36:37]
	s_mov_b32 s42, exec_lo
	s_delay_alu instid0(VALU_DEP_1)
	v_cmpx_lt_u64_e64 v[4:5], v[32:33]
	s_cbranch_execz .LBB4_17703
; %bb.17695:                            ;   in Loop: Header=BB4_17640 Depth=2
	s_mov_b32 s43, 0
	s_mov_b32 s73, 0
                                        ; implicit-def: $sgpr63
                                        ; implicit-def: $sgpr72
	s_branch .LBB4_17697
.LBB4_17696:                            ;   in Loop: Header=BB4_17697 Depth=3
	s_or_b32 exec_lo, exec_lo, s75
	s_delay_alu instid0(SALU_CYCLE_1) | instskip(NEXT) | instid1(SALU_CYCLE_1)
	s_and_b32 s74, exec_lo, s76
	s_or_b32 s43, s74, s43
	s_and_not1_b32 s63, s63, exec_lo
	s_and_b32 s74, s72, exec_lo
	s_delay_alu instid0(SALU_CYCLE_1)
	s_or_b32 s63, s63, s74
	s_and_not1_b32 exec_lo, exec_lo, s43
	s_cbranch_execz .LBB4_17701
.LBB4_17697:                            ;   Parent Loop BB4_47 Depth=1
                                        ;     Parent Loop BB4_17640 Depth=2
                                        ; =>    This Inner Loop Header: Depth=3
	s_add_co_i32 s73, s73, 1
	s_delay_alu instid0(SALU_CYCLE_1) | instskip(SKIP_1) | instid1(SALU_CYCLE_1)
	s_cmp_lg_u32 s73, 0x2710
	s_cselect_b32 s74, -1, 0
	s_and_b32 vcc_lo, exec_lo, s74
	s_cbranch_vccz .LBB4_17699
; %bb.17698:                            ;   in Loop: Header=BB4_17697 Depth=3
	s_mov_b32 s76, -1
	s_or_b32 s72, s72, exec_lo
	s_and_saveexec_b32 s75, s74
	s_cbranch_execz .LBB4_17696
	s_branch .LBB4_17700
.LBB4_17699:                            ;   in Loop: Header=BB4_17697 Depth=3
	s_trap 2
	ds_load_b64 v[4:5], v0
	s_and_not1_b32 s74, s74, exec_lo
	s_mov_b32 s73, 0
	s_wait_storecnt 0x0
	s_wait_loadcnt_dscnt 0x0
	flat_load_b32 v2, v[4:5] scope:SCOPE_SYS
	s_wait_loadcnt_dscnt 0x0
	global_inv scope:SCOPE_SYS
	v_cmp_eq_u32_e32 vcc_lo, 0, v2
	s_and_b32 s75, vcc_lo, exec_lo
	s_delay_alu instid0(SALU_CYCLE_1)
	s_or_b32 s74, s74, s75
	s_mov_b32 s76, -1
	s_or_b32 s72, s72, exec_lo
	s_and_saveexec_b32 s75, s74
	s_cbranch_execz .LBB4_17696
.LBB4_17700:                            ;   in Loop: Header=BB4_17697 Depth=3
	s_sleep 1
	s_trap 2
	ds_load_b64 v[4:5], v0
	s_wait_dscnt 0x0
	s_and_not1_b32 s72, s72, exec_lo
	v_cmp_ge_u64_e32 vcc_lo, v[4:5], v[32:33]
	s_or_not1_b32 s76, vcc_lo, exec_lo
	s_branch .LBB4_17696
.LBB4_17701:                            ;   in Loop: Header=BB4_17640 Depth=2
	s_or_b32 exec_lo, exec_lo, s43
	s_and_saveexec_b32 s43, s63
	s_delay_alu instid0(SALU_CYCLE_1)
	s_xor_b32 s43, exec_lo, s43
	s_cbranch_execz .LBB4_17703
; %bb.17702:                            ;   in Loop: Header=BB4_17640 Depth=2
	ds_store_b32 v0, v1
	s_trap 2
.LBB4_17703:                            ;   in Loop: Header=BB4_17640 Depth=2
	s_or_b32 exec_lo, exec_lo, s42
	;;#ASMSTART
	s_wakeup
	;;#ASMEND
.LBB4_17704:                            ;   in Loop: Header=BB4_17640 Depth=2
	s_or_b32 exec_lo, exec_lo, s29
.LBB4_17705:                            ;   in Loop: Header=BB4_17640 Depth=2
	s_and_not1_saveexec_b32 s18, s18
	s_cbranch_execz .LBB4_17707
; %bb.17706:                            ;   in Loop: Header=BB4_17640 Depth=2
	;;#ASMSTART
	s_waitcnt lgkmcnt(0) vmcnt(0)
	;;#ASMEND
	s_barrier_signal -1
	s_barrier_wait -1
.LBB4_17707:                            ;   in Loop: Header=BB4_17640 Depth=2
	s_or_b32 exec_lo, exec_lo, s18
	v_and_b32_e32 v2, 16, v126
.LBB4_17708:                            ;   in Loop: Header=BB4_17640 Depth=2
	s_or_b32 exec_lo, exec_lo, s13
	s_delay_alu instid0(VALU_DEP_1) | instskip(SKIP_1) | instid1(SALU_CYCLE_1)
	v_cmp_ne_u32_e32 vcc_lo, 0, v2
	s_xor_b32 s13, s4, -1
	s_and_b32 s18, vcc_lo, s13
	s_delay_alu instid0(SALU_CYCLE_1)
	s_and_saveexec_b32 s13, s18
	s_cbranch_execz .LBB4_17710
; %bb.17709:                            ;   in Loop: Header=BB4_17640 Depth=2
	global_wb scope:SCOPE_SYS
	s_wait_storecnt 0x0
	s_wait_loadcnt_dscnt 0x0
	flat_store_b32 v[28:29], v1 scope:SCOPE_SYS
.LBB4_17710:                            ;   in Loop: Header=BB4_17640 Depth=2
	s_wait_xcnt 0x0
	s_or_b32 exec_lo, exec_lo, s13
	v_and_b32_e32 v2, 48, v126
	s_mov_b32 s13, exec_lo
	s_delay_alu instid0(VALU_DEP_1)
	v_cmpx_ne_u32_e32 0, v2
	s_cbranch_execz .LBB4_17639
; %bb.17711:                            ;   in Loop: Header=BB4_17640 Depth=2
	v_add_nc_u64_e32 v[98:99], 2, v[98:99]
	global_wb scope:SCOPE_SYS
	s_wait_storecnt 0x0
	s_wait_loadcnt_dscnt 0x0
	flat_store_b64 v[22:23], v[98:99] scope:SCOPE_SYS
	s_branch .LBB4_17639
.LBB4_17712:                            ;   in Loop: Header=BB4_47 Depth=1
	s_or_b32 exec_lo, exec_lo, s15
.LBB4_17713:                            ;   in Loop: Header=BB4_47 Depth=1
	s_delay_alu instid0(SALU_CYCLE_1) | instskip(NEXT) | instid1(SALU_CYCLE_1)
	s_or_b32 exec_lo, exec_lo, s14
	s_and_not1_b32 vcc_lo, exec_lo, s57
	s_cbranch_vccnz .LBB4_17970
; %bb.17714:                            ;   in Loop: Header=BB4_47 Depth=1
	s_mov_b32 s18, 1
.LBB4_17715:                            ;   Parent Loop BB4_47 Depth=1
                                        ; =>  This Loop Header: Depth=2
                                        ;       Child Loop BB4_17718 Depth 3
                                        ;         Child Loop BB4_17726 Depth 4
                                        ;         Child Loop BB4_17754 Depth 4
	;; [unrolled: 1-line block ×5, first 2 shown]
                                        ;           Child Loop BB4_17806 Depth 5
                                        ;         Child Loop BB4_17813 Depth 4
                                        ;         Child Loop BB4_17818 Depth 4
                                        ;           Child Loop BB4_17819 Depth 5
                                        ;         Child Loop BB4_17831 Depth 4
                                        ;         Child Loop BB4_17836 Depth 4
                                        ;         Child Loop BB4_17842 Depth 4
                                        ;         Child Loop BB4_17847 Depth 4
                                        ;         Child Loop BB4_17857 Depth 4
                                        ;         Child Loop BB4_17876 Depth 4
                                        ;       Child Loop BB4_17895 Depth 3
                                        ;         Child Loop BB4_17901 Depth 4
                                        ;         Child Loop BB4_17929 Depth 4
	;; [unrolled: 1-line block ×3, first 2 shown]
	s_clause 0x1
	scratch_load_b64 v[10:11], off, s33 offset:204
	scratch_load_b64 v[8:9], off, s33 offset:196
	s_sub_co_i32 s13, s46, s18
	s_mov_b32 s63, 0
	s_cmp_ge_i32 s13, s16
	v_mov_b32_e32 v14, 0
	s_cselect_b32 s14, s16, 0
	s_delay_alu instid0(SALU_CYCLE_1) | instskip(NEXT) | instid1(SALU_CYCLE_1)
	s_sub_co_i32 s14, s13, s14
	s_ashr_i32 s15, s14, 31
	s_wait_loadcnt 0x1
	v_mul_u64_e32 v[4:5], s[14:15], v[10:11]
	s_wait_loadcnt 0x0
	s_delay_alu instid0(VALU_DEP_1) | instskip(NEXT) | instid1(VALU_DEP_1)
	v_sub_nc_u64_e32 v[8:9], v[8:9], v[4:5]
	v_min_i64 v[10:11], v[10:11], v[8:9]
	s_delay_alu instid0(VALU_DEP_1) | instskip(SKIP_1) | instid1(VALU_DEP_2)
	v_max_i32_e32 v2, 0, v10
	v_cmp_lt_i32_e32 vcc_lo, 0, v10
	v_add_nc_u32_e32 v8, 31, v2
	s_and_b32 s13, s60, vcc_lo
	s_delay_alu instid0(VALU_DEP_1) | instskip(NEXT) | instid1(VALU_DEP_1)
	v_lshrrev_b32_e32 v8, 1, v8
	v_and_b32_e32 v9, 0x3ffffff0, v8
	s_delay_alu instid0(VALU_DEP_1)
	v_dual_mov_b32 v8, 0 :: v_dual_max_i32 v12, s56, v9
	s_wait_xcnt 0x0
	s_and_saveexec_b32 s29, s13
	s_cbranch_execz .LBB4_17892
; %bb.17716:                            ;   in Loop: Header=BB4_17715 Depth=2
	scratch_load_b64 v[8:9], off, s33 offset:188 ; 8-byte Folded Reload
	v_mov_b32_e32 v14, 0
	s_mov_b32 s73, 1
	s_mov_b32 s72, -1
	s_wait_loadcnt 0x0
	v_add_nc_u64_e32 v[16:17], v[4:5], v[8:9]
	s_branch .LBB4_17718
.LBB4_17717:                            ;   in Loop: Header=BB4_17718 Depth=3
	s_wait_xcnt 0x0
	s_or_b32 exec_lo, exec_lo, s13
	v_dual_add_nc_u32 v14, v12, v14 :: v_dual_mov_b32 v8, s73
	s_xor_b32 s13, s72, -1
	s_mov_b32 s72, 0
	s_mov_b32 s73, 2
	s_delay_alu instid0(VALU_DEP_1) | instskip(SKIP_1) | instid1(SALU_CYCLE_1)
	v_cmp_ge_i32_e32 vcc_lo, v14, v2
	s_or_b32 s13, s13, vcc_lo
	s_and_b32 s13, exec_lo, s13
	s_delay_alu instid0(SALU_CYCLE_1) | instskip(NEXT) | instid1(SALU_CYCLE_1)
	s_or_b32 s63, s13, s63
	s_and_not1_b32 exec_lo, exec_lo, s63
	s_cbranch_execz .LBB4_17891
.LBB4_17718:                            ;   Parent Loop BB4_47 Depth=1
                                        ;     Parent Loop BB4_17715 Depth=2
                                        ; =>    This Loop Header: Depth=3
                                        ;         Child Loop BB4_17726 Depth 4
                                        ;         Child Loop BB4_17754 Depth 4
	;; [unrolled: 1-line block ×5, first 2 shown]
                                        ;           Child Loop BB4_17806 Depth 5
                                        ;         Child Loop BB4_17813 Depth 4
                                        ;         Child Loop BB4_17818 Depth 4
                                        ;           Child Loop BB4_17819 Depth 5
                                        ;         Child Loop BB4_17831 Depth 4
                                        ;         Child Loop BB4_17836 Depth 4
	;; [unrolled: 1-line block ×6, first 2 shown]
	s_wait_xcnt 0x0
	s_and_saveexec_b32 s13, s0
	s_cbranch_execz .LBB4_17720
; %bb.17719:                            ;   in Loop: Header=BB4_17718 Depth=3
	s_trap 2
	ds_load_b128 v[8:11], v0
	s_wait_dscnt 0x0
	v_add_nc_u64_e32 v[4:5], v[10:11], v[16:17]
	v_cmp_ne_u64_e32 vcc_lo, 0, v[10:11]
	v_ashrrev_i32_e32 v15, 31, v14
	v_add_nc_u64_e32 v[8:9], v[8:9], v[16:17]
	s_delay_alu instid0(VALU_DEP_2) | instskip(NEXT) | instid1(VALU_DEP_1)
	v_add_nc_u64_e32 v[4:5], v[4:5], v[14:15]
	v_cndmask_b32_e32 v5, 0, v5, vcc_lo
	s_delay_alu instid0(VALU_DEP_3) | instskip(NEXT) | instid1(VALU_DEP_3)
	v_add_nc_u64_e32 v[8:9], v[8:9], v[14:15]
	v_cndmask_b32_e32 v4, 0, v4, vcc_lo
	ds_store_b64 v0, v[8:9]
	ds_store_b64 v0, v[4:5]
.LBB4_17720:                            ;   in Loop: Header=BB4_17718 Depth=3
	s_or_b32 exec_lo, exec_lo, s13
	v_sub_nc_u32_e32 v4, v2, v14
	v_and_b32_e32 v5, 12, v126
	s_mov_b32 s14, exec_lo
	s_delay_alu instid0(VALU_DEP_2) | instskip(NEXT) | instid1(VALU_DEP_2)
	v_min_i32_e32 v12, v12, v4
	v_cmpx_ne_u32_e32 0, v5
	s_cbranch_execz .LBB4_17746
; %bb.17721:                            ;   in Loop: Header=BB4_17718 Depth=3
	v_dual_mov_b32 v9, v3 :: v_dual_bitop2_b32 v8, 8, v126 bitop3:0x40
	v_add_nc_u64_e32 v[4:5], 2, v[98:99]
	s_mov_b32 s15, exec_lo
	s_wait_loadcnt_dscnt 0x1
	s_delay_alu instid0(VALU_DEP_2) | instskip(NEXT) | instid1(VALU_DEP_1)
	v_add_nc_u64_e32 v[10:11], v[34:35], v[8:9]
	v_cmpx_lt_u64_e64 v[10:11], v[4:5]
	s_cbranch_execz .LBB4_17733
; %bb.17722:                            ;   in Loop: Header=BB4_17718 Depth=3
	v_and_b32_e32 v10, 64, v126
	s_mov_b32 s42, 0
	s_mov_b32 s76, 0
                                        ; implicit-def: $sgpr43
                                        ; implicit-def: $sgpr74
                                        ; implicit-def: $sgpr75
	s_delay_alu instid0(VALU_DEP_1)
	v_cmp_eq_u32_e32 vcc_lo, 0, v10
	s_branch .LBB4_17726
.LBB4_17723:                            ;   in Loop: Header=BB4_17726 Depth=4
	s_wait_loadcnt_dscnt 0x0
	v_add_nc_u64_e32 v[18:19], v[34:35], v[8:9]
	s_or_b32 s79, s79, exec_lo
	s_delay_alu instid0(VALU_DEP_1)
	v_cmp_ge_u64_e64 s13, v[18:19], v[4:5]
	s_or_not1_b32 s78, s13, exec_lo
.LBB4_17724:                            ;   in Loop: Header=BB4_17726 Depth=4
	s_or_b32 exec_lo, exec_lo, s89
	s_delay_alu instid0(SALU_CYCLE_1)
	s_and_not1_b32 s13, s75, exec_lo
	s_and_b32 s75, s79, exec_lo
	s_and_not1_b32 s74, s74, exec_lo
	s_and_b32 s78, s78, exec_lo
	s_or_b32 s75, s13, s75
	s_or_b32 s74, s74, s78
.LBB4_17725:                            ;   in Loop: Header=BB4_17726 Depth=4
	s_or_b32 exec_lo, exec_lo, s77
	s_delay_alu instid0(SALU_CYCLE_1) | instskip(NEXT) | instid1(SALU_CYCLE_1)
	s_and_b32 s13, exec_lo, s74
	s_or_b32 s42, s13, s42
	s_and_not1_b32 s13, s43, exec_lo
	s_and_b32 s43, s75, exec_lo
	s_delay_alu instid0(SALU_CYCLE_1)
	s_or_b32 s43, s13, s43
	s_and_not1_b32 exec_lo, exec_lo, s42
	s_cbranch_execz .LBB4_17730
.LBB4_17726:                            ;   Parent Loop BB4_47 Depth=1
                                        ;     Parent Loop BB4_17715 Depth=2
                                        ;       Parent Loop BB4_17718 Depth=3
                                        ; =>      This Inner Loop Header: Depth=4
	s_sleep 1
	s_wait_loadcnt_dscnt 0x0
	flat_load_b64 v[34:35], v[22:23] scope:SCOPE_SYS
	s_or_b32 s75, s75, exec_lo
	s_or_b32 s74, s74, exec_lo
                                        ; implicit-def: $vgpr10
	s_wait_xcnt 0x0
	s_and_saveexec_b32 s77, vcc_lo
	s_cbranch_execz .LBB4_17725
; %bb.17727:                            ;   in Loop: Header=BB4_17726 Depth=4
	s_cmp_lt_i32 s76, 0x270f
	s_mov_b32 s78, -1
	s_cselect_b32 s88, -1, 0
	s_cmp_gt_i32 s76, 0x270e
	s_cbranch_scc0 .LBB4_17729
; %bb.17728:                            ;   in Loop: Header=BB4_17726 Depth=4
	s_trap 2
	ds_load_b64 v[10:11], v0
	s_and_not1_b32 s76, s88, exec_lo
	s_mov_b32 s79, 0
	s_wait_storecnt 0x0
	s_wait_loadcnt_dscnt 0x0
	flat_load_b32 v10, v[10:11] scope:SCOPE_SYS
	s_wait_loadcnt_dscnt 0x0
	global_inv scope:SCOPE_SYS
	v_cmp_eq_u32_e64 s13, 0, v10
	s_and_b32 s13, s13, exec_lo
	s_delay_alu instid0(SALU_CYCLE_1)
	s_or_b32 s88, s76, s13
	s_mov_b32 s76, 0
	s_and_saveexec_b32 s89, s88
	s_cbranch_execz .LBB4_17724
	s_branch .LBB4_17723
.LBB4_17729:                            ;   in Loop: Header=BB4_17726 Depth=4
	s_add_co_i32 s76, s76, 1
	s_mov_b32 s79, -1
                                        ; implicit-def: $vgpr10
	s_and_saveexec_b32 s89, s88
	s_cbranch_execz .LBB4_17724
	s_branch .LBB4_17723
.LBB4_17730:                            ;   in Loop: Header=BB4_17718 Depth=3
	s_or_b32 exec_lo, exec_lo, s42
	s_xor_b32 s13, s43, -1
	s_delay_alu instid0(SALU_CYCLE_1) | instskip(NEXT) | instid1(SALU_CYCLE_1)
	s_and_saveexec_b32 s42, s13
	s_xor_b32 s13, exec_lo, s42
	s_cbranch_execz .LBB4_17732
; %bb.17731:                            ;   in Loop: Header=BB4_17718 Depth=3
	v_or_b32_e32 v126, 64, v126
	s_wait_storecnt 0x0
	s_wait_loadcnt_dscnt 0x0
	ds_store_b32 v0, v10
	s_trap 2
.LBB4_17732:                            ;   in Loop: Header=BB4_17718 Depth=3
	s_or_b32 exec_lo, exec_lo, s13
.LBB4_17733:                            ;   in Loop: Header=BB4_17718 Depth=3
	s_delay_alu instid0(SALU_CYCLE_1) | instskip(SKIP_3) | instid1(VALU_DEP_1)
	s_or_b32 exec_lo, exec_lo, s15
	v_and_b32_e32 v9, 0x108, v126
	s_mov_b32 s13, exec_lo
	;;#ASMSTART
	s_wakeup
	;;#ASMEND
                                        ; implicit-def: $vgpr10_vgpr11
	v_cmpx_ne_u32_e32 0x108, v9
	s_xor_b32 s13, exec_lo, s13
; %bb.17734:                            ;   in Loop: Header=BB4_17718 Depth=3
	v_dual_mov_b32 v11, v3 :: v_dual_bitop2_b32 v10, 7, v98 bitop3:0x40
                                        ; implicit-def: $vgpr98_vgpr99
; %bb.17735:                            ;   in Loop: Header=BB4_17718 Depth=3
	s_and_not1_saveexec_b32 s13, s13
	s_cbranch_execz .LBB4_17737
; %bb.17736:                            ;   in Loop: Header=BB4_17718 Depth=3
	v_dual_ashrrev_i32 v13, 31, v12 :: v_dual_bitop2_b32 v10, 7, v98 bitop3:0x40
	v_mov_b32_e32 v11, v3
	s_delay_alu instid0(VALU_DEP_2)
	v_mad_nc_u64_u32 v[18:19], v10, 24, v[6:7]
	flat_store_b64 v[18:19], v[12:13] offset:8
.LBB4_17737:                            ;   in Loop: Header=BB4_17718 Depth=3
	s_wait_xcnt 0x0
	s_or_b32 exec_lo, exec_lo, s13
	v_and_b32_e32 v9, 0x100, v126
	s_mov_b32 s13, -1
	s_mov_b32 s15, exec_lo
                                        ; implicit-def: $vgpr18_vgpr19
	s_delay_alu instid0(VALU_DEP_1)
	v_cmpx_ne_u32_e32 0, v9
	s_cbranch_execz .LBB4_17741
; %bb.17738:                            ;   in Loop: Header=BB4_17718 Depth=3
	v_mad_nc_u64_u32 v[20:21], v10, 24, v[6:7]
	s_mov_b32 s42, exec_lo
                                        ; implicit-def: $vgpr18_vgpr19
	s_delay_alu instid0(VALU_DEP_1)
	v_mad_u32 v21, v11, 24, v21
	flat_load_b32 v9, v[20:21]
	s_wait_loadcnt_dscnt 0x0
	v_cmp_ne_u32_e32 vcc_lo, 1, v9
	s_wait_xcnt 0x0
	v_cmpx_eq_u32_e32 1, v9
	s_cbranch_execz .LBB4_17740
; %bb.17739:                            ;   in Loop: Header=BB4_17718 Depth=3
	flat_load_b32 v18, v[20:21] offset:4 scope:SCOPE_SYS
	s_wait_loadcnt_dscnt 0x0
	v_ashrrev_i32_e32 v19, 31, v18
.LBB4_17740:                            ;   in Loop: Header=BB4_17718 Depth=3
	s_wait_xcnt 0x0
	s_or_b32 exec_lo, exec_lo, s42
	s_delay_alu instid0(SALU_CYCLE_1)
	s_or_not1_b32 s13, vcc_lo, exec_lo
.LBB4_17741:                            ;   in Loop: Header=BB4_17718 Depth=3
	s_or_b32 exec_lo, exec_lo, s15
	s_and_saveexec_b32 s15, s13
; %bb.17742:                            ;   in Loop: Header=BB4_17718 Depth=3
	v_mul_u64_e32 v[18:19], v[10:11], v[24:25]
; %bb.17743:                            ;   in Loop: Header=BB4_17718 Depth=3
	s_or_b32 exec_lo, exec_lo, s15
	v_cmp_eq_u32_e32 vcc_lo, 0, v8
	v_mov_b32_e32 v8, 0x88
	v_and_b32_e32 v11, 0x2000, v126
	s_mov_b32 s13, exec_lo
	s_delay_alu instid0(VALU_DEP_2) | instskip(SKIP_1) | instid1(VALU_DEP_2)
	v_cndmask_b32_e32 v10, 0xd0, v8, vcc_lo
	v_add_nc_u64_e32 v[8:9], v[26:27], v[18:19]
	v_add_nc_u32_e32 v10, v0, v10
	ds_store_b64 v10, v[8:9] offset:584
	v_cmpx_ne_u32_e32 0, v11
	s_cbranch_execz .LBB4_17745
; %bb.17744:                            ;   in Loop: Header=BB4_17718 Depth=3
	ds_load_b64 v[8:9], v0 offset:872
	s_wait_dscnt 0x0
	v_add_nc_u64_e32 v[8:9], 1, v[8:9]
	ds_store_b64 v0, v[8:9] offset:872
.LBB4_17745:                            ;   in Loop: Header=BB4_17718 Depth=3
	s_or_b32 exec_lo, exec_lo, s13
	v_mov_b64_e32 v[98:99], v[4:5]
.LBB4_17746:                            ;   in Loop: Header=BB4_17718 Depth=3
	s_or_b32 exec_lo, exec_lo, s14
	s_and_saveexec_b32 s13, s2
	s_cbranch_execz .LBB4_17765
; %bb.17747:                            ;   in Loop: Header=BB4_17718 Depth=3
	s_and_saveexec_b32 s14, s3
	s_delay_alu instid0(SALU_CYCLE_1)
	s_xor_b32 s14, exec_lo, s14
	s_cbranch_execz .LBB4_17762
; %bb.17748:                            ;   in Loop: Header=BB4_17718 Depth=3
	s_and_saveexec_b32 s15, s6
	s_cbranch_execz .LBB4_17761
; %bb.17749:                            ;   in Loop: Header=BB4_17718 Depth=3
	s_mov_b32 s43, exec_lo
	s_mov_b32 s42, exec_lo
	v_mbcnt_lo_u32_b32 v4, s43, 0
	global_wb scope:SCOPE_DEV
	s_wait_storecnt 0x0
	s_wait_loadcnt_dscnt 0x0
	global_inv scope:SCOPE_DEV
	v_cmpx_eq_u32_e32 0, v4
	s_cbranch_execz .LBB4_17751
; %bb.17750:                            ;   in Loop: Header=BB4_17718 Depth=3
	s_bcnt1_i32_b32 s43, s43
	s_delay_alu instid0(SALU_CYCLE_1)
	v_dual_mov_b32 v5, v3 :: v_dual_mov_b32 v4, s43
	s_wait_loadcnt 0x0
	ds_add_u64 v0, v[4:5]
	s_trap 2
.LBB4_17751:                            ;   in Loop: Header=BB4_17718 Depth=3
	s_or_b32 exec_lo, exec_lo, s42
	s_trap 2
	ds_load_b64 v[4:5], v0
	s_wait_dscnt 0x0
	v_add_nc_u64_e32 v[32:33], v[32:33], v[36:37]
	s_mov_b32 s42, exec_lo
	s_delay_alu instid0(VALU_DEP_1)
	v_cmpx_lt_u64_e64 v[4:5], v[32:33]
	s_cbranch_execz .LBB4_17760
; %bb.17752:                            ;   in Loop: Header=BB4_17718 Depth=3
	s_mov_b32 s43, 0
	s_mov_b32 s76, 0
                                        ; implicit-def: $sgpr74
                                        ; implicit-def: $sgpr75
	s_branch .LBB4_17754
.LBB4_17753:                            ;   in Loop: Header=BB4_17754 Depth=4
	s_or_b32 exec_lo, exec_lo, s78
	s_delay_alu instid0(SALU_CYCLE_1) | instskip(NEXT) | instid1(SALU_CYCLE_1)
	s_and_b32 s77, exec_lo, s79
	s_or_b32 s43, s77, s43
	s_and_not1_b32 s74, s74, exec_lo
	s_and_b32 s77, s75, exec_lo
	s_delay_alu instid0(SALU_CYCLE_1)
	s_or_b32 s74, s74, s77
	s_and_not1_b32 exec_lo, exec_lo, s43
	s_cbranch_execz .LBB4_17758
.LBB4_17754:                            ;   Parent Loop BB4_47 Depth=1
                                        ;     Parent Loop BB4_17715 Depth=2
                                        ;       Parent Loop BB4_17718 Depth=3
                                        ; =>      This Inner Loop Header: Depth=4
	s_add_co_i32 s76, s76, 1
	s_delay_alu instid0(SALU_CYCLE_1) | instskip(SKIP_1) | instid1(SALU_CYCLE_1)
	s_cmp_lg_u32 s76, 0x2710
	s_cselect_b32 s77, -1, 0
	s_and_b32 vcc_lo, exec_lo, s77
	s_cbranch_vccz .LBB4_17756
; %bb.17755:                            ;   in Loop: Header=BB4_17754 Depth=4
	s_mov_b32 s79, -1
	s_or_b32 s75, s75, exec_lo
	s_and_saveexec_b32 s78, s77
	s_cbranch_execz .LBB4_17753
	s_branch .LBB4_17757
.LBB4_17756:                            ;   in Loop: Header=BB4_17754 Depth=4
	s_trap 2
	ds_load_b64 v[4:5], v0
	s_and_not1_b32 s77, s77, exec_lo
	s_mov_b32 s76, 0
	s_wait_loadcnt_dscnt 0x0
	flat_load_b32 v4, v[4:5] scope:SCOPE_SYS
	s_wait_loadcnt_dscnt 0x0
	global_inv scope:SCOPE_SYS
	v_cmp_eq_u32_e32 vcc_lo, 0, v4
	s_and_b32 s78, vcc_lo, exec_lo
	s_delay_alu instid0(SALU_CYCLE_1)
	s_or_b32 s77, s77, s78
	s_mov_b32 s79, -1
	s_or_b32 s75, s75, exec_lo
	s_and_saveexec_b32 s78, s77
	s_cbranch_execz .LBB4_17753
.LBB4_17757:                            ;   in Loop: Header=BB4_17754 Depth=4
	s_sleep 1
	s_trap 2
	ds_load_b64 v[4:5], v0
	s_wait_dscnt 0x0
	s_and_not1_b32 s75, s75, exec_lo
	v_cmp_ge_u64_e32 vcc_lo, v[4:5], v[32:33]
	s_or_not1_b32 s79, vcc_lo, exec_lo
	s_branch .LBB4_17753
.LBB4_17758:                            ;   in Loop: Header=BB4_17718 Depth=3
	s_or_b32 exec_lo, exec_lo, s43
	s_and_saveexec_b32 s43, s74
	s_delay_alu instid0(SALU_CYCLE_1)
	s_xor_b32 s43, exec_lo, s43
	s_cbranch_execz .LBB4_17760
; %bb.17759:                            ;   in Loop: Header=BB4_17718 Depth=3
	ds_store_b32 v0, v1
	s_trap 2
.LBB4_17760:                            ;   in Loop: Header=BB4_17718 Depth=3
	s_or_b32 exec_lo, exec_lo, s42
	;;#ASMSTART
	s_wakeup
	;;#ASMEND
.LBB4_17761:                            ;   in Loop: Header=BB4_17718 Depth=3
	s_or_b32 exec_lo, exec_lo, s15
.LBB4_17762:                            ;   in Loop: Header=BB4_17718 Depth=3
	s_and_not1_saveexec_b32 s14, s14
	s_cbranch_execz .LBB4_17764
; %bb.17763:                            ;   in Loop: Header=BB4_17718 Depth=3
	global_wb scope:SCOPE_DEV
	s_wait_storecnt 0x0
	s_wait_loadcnt_dscnt 0x0
	global_inv scope:SCOPE_DEV
	s_barrier_signal -1
	s_barrier_wait -1
.LBB4_17764:                            ;   in Loop: Header=BB4_17718 Depth=3
	s_or_b32 exec_lo, exec_lo, s14
.LBB4_17765:                            ;   in Loop: Header=BB4_17718 Depth=3
	s_delay_alu instid0(SALU_CYCLE_1) | instskip(SKIP_4) | instid1(VALU_DEP_1)
	s_or_b32 exec_lo, exec_lo, s13
	s_trap 2
	ds_load_b32 v8, v0
	v_and_b32_e32 v4, 0x4000, v126
	s_xor_b32 s13, s1, -1
	v_cmp_ne_u32_e32 vcc_lo, 0, v4
	s_and_b32 s14, s13, vcc_lo
	s_delay_alu instid0(SALU_CYCLE_1)
	s_and_saveexec_b32 s13, s14
	s_cbranch_execz .LBB4_17784
; %bb.17766:                            ;   in Loop: Header=BB4_17718 Depth=3
	s_and_saveexec_b32 s14, s3
	s_delay_alu instid0(SALU_CYCLE_1)
	s_xor_b32 s14, exec_lo, s14
	s_cbranch_execz .LBB4_17781
; %bb.17767:                            ;   in Loop: Header=BB4_17718 Depth=3
	s_and_saveexec_b32 s15, s6
	s_cbranch_execz .LBB4_17780
; %bb.17768:                            ;   in Loop: Header=BB4_17718 Depth=3
	s_mov_b32 s43, exec_lo
	s_mov_b32 s42, exec_lo
	v_mbcnt_lo_u32_b32 v4, s43, 0
	global_wb scope:SCOPE_DEV
	s_wait_storecnt 0x0
	s_wait_loadcnt_dscnt 0x0
	global_inv scope:SCOPE_DEV
	v_cmpx_eq_u32_e32 0, v4
	s_cbranch_execz .LBB4_17770
; %bb.17769:                            ;   in Loop: Header=BB4_17718 Depth=3
	s_bcnt1_i32_b32 s43, s43
	s_delay_alu instid0(SALU_CYCLE_1)
	v_dual_mov_b32 v5, v3 :: v_dual_mov_b32 v4, s43
	s_wait_loadcnt 0x0
	ds_add_u64 v0, v[4:5]
	s_trap 2
.LBB4_17770:                            ;   in Loop: Header=BB4_17718 Depth=3
	s_or_b32 exec_lo, exec_lo, s42
	s_trap 2
	ds_load_b64 v[4:5], v0
	s_wait_dscnt 0x0
	v_add_nc_u64_e32 v[32:33], v[32:33], v[36:37]
	s_mov_b32 s42, exec_lo
	s_delay_alu instid0(VALU_DEP_1)
	v_cmpx_lt_u64_e64 v[4:5], v[32:33]
	s_cbranch_execz .LBB4_17779
; %bb.17771:                            ;   in Loop: Header=BB4_17718 Depth=3
	s_mov_b32 s43, 0
	s_mov_b32 s76, 0
                                        ; implicit-def: $sgpr74
                                        ; implicit-def: $sgpr75
	s_branch .LBB4_17773
.LBB4_17772:                            ;   in Loop: Header=BB4_17773 Depth=4
	s_or_b32 exec_lo, exec_lo, s78
	s_delay_alu instid0(SALU_CYCLE_1) | instskip(NEXT) | instid1(SALU_CYCLE_1)
	s_and_b32 s77, exec_lo, s79
	s_or_b32 s43, s77, s43
	s_and_not1_b32 s74, s74, exec_lo
	s_and_b32 s77, s75, exec_lo
	s_delay_alu instid0(SALU_CYCLE_1)
	s_or_b32 s74, s74, s77
	s_and_not1_b32 exec_lo, exec_lo, s43
	s_cbranch_execz .LBB4_17777
.LBB4_17773:                            ;   Parent Loop BB4_47 Depth=1
                                        ;     Parent Loop BB4_17715 Depth=2
                                        ;       Parent Loop BB4_17718 Depth=3
                                        ; =>      This Inner Loop Header: Depth=4
	s_add_co_i32 s76, s76, 1
	s_delay_alu instid0(SALU_CYCLE_1) | instskip(SKIP_1) | instid1(SALU_CYCLE_1)
	s_cmp_lg_u32 s76, 0x2710
	s_cselect_b32 s77, -1, 0
	s_and_b32 vcc_lo, exec_lo, s77
	s_cbranch_vccz .LBB4_17775
; %bb.17774:                            ;   in Loop: Header=BB4_17773 Depth=4
	s_mov_b32 s79, -1
	s_or_b32 s75, s75, exec_lo
	s_and_saveexec_b32 s78, s77
	s_cbranch_execz .LBB4_17772
	s_branch .LBB4_17776
.LBB4_17775:                            ;   in Loop: Header=BB4_17773 Depth=4
	s_trap 2
	ds_load_b64 v[4:5], v0
	s_and_not1_b32 s77, s77, exec_lo
	s_mov_b32 s76, 0
	s_wait_loadcnt_dscnt 0x0
	flat_load_b32 v4, v[4:5] scope:SCOPE_SYS
	s_wait_loadcnt_dscnt 0x0
	global_inv scope:SCOPE_SYS
	v_cmp_eq_u32_e32 vcc_lo, 0, v4
	s_and_b32 s78, vcc_lo, exec_lo
	s_delay_alu instid0(SALU_CYCLE_1)
	s_or_b32 s77, s77, s78
	s_mov_b32 s79, -1
	s_or_b32 s75, s75, exec_lo
	s_and_saveexec_b32 s78, s77
	s_cbranch_execz .LBB4_17772
.LBB4_17776:                            ;   in Loop: Header=BB4_17773 Depth=4
	s_sleep 1
	s_trap 2
	ds_load_b64 v[4:5], v0
	s_wait_dscnt 0x0
	s_and_not1_b32 s75, s75, exec_lo
	v_cmp_ge_u64_e32 vcc_lo, v[4:5], v[32:33]
	s_or_not1_b32 s79, vcc_lo, exec_lo
	s_branch .LBB4_17772
.LBB4_17777:                            ;   in Loop: Header=BB4_17718 Depth=3
	s_or_b32 exec_lo, exec_lo, s43
	s_and_saveexec_b32 s43, s74
	s_delay_alu instid0(SALU_CYCLE_1)
	s_xor_b32 s43, exec_lo, s43
	s_cbranch_execz .LBB4_17779
; %bb.17778:                            ;   in Loop: Header=BB4_17718 Depth=3
	ds_store_b32 v0, v1
	s_trap 2
.LBB4_17779:                            ;   in Loop: Header=BB4_17718 Depth=3
	s_or_b32 exec_lo, exec_lo, s42
	;;#ASMSTART
	s_wakeup
	;;#ASMEND
.LBB4_17780:                            ;   in Loop: Header=BB4_17718 Depth=3
	s_or_b32 exec_lo, exec_lo, s15
.LBB4_17781:                            ;   in Loop: Header=BB4_17718 Depth=3
	s_and_not1_saveexec_b32 s14, s14
	s_cbranch_execz .LBB4_17783
; %bb.17782:                            ;   in Loop: Header=BB4_17718 Depth=3
	global_wb scope:SCOPE_DEV
	s_wait_storecnt 0x0
	s_wait_loadcnt_dscnt 0x0
	global_inv scope:SCOPE_DEV
	s_barrier_signal -1
	s_barrier_wait -1
.LBB4_17783:                            ;   in Loop: Header=BB4_17718 Depth=3
	s_or_b32 exec_lo, exec_lo, s14
.LBB4_17784:                            ;   in Loop: Header=BB4_17718 Depth=3
	s_delay_alu instid0(SALU_CYCLE_1)
	s_or_b32 exec_lo, exec_lo, s13
	s_trap 2
	ds_load_b64 v[4:5], v0
	s_wait_dscnt 0x0
	v_cmp_eq_u64_e32 vcc_lo, 0, v[4:5]
	s_cbranch_vccnz .LBB4_17793
; %bb.17785:                            ;   in Loop: Header=BB4_17718 Depth=3
	s_trap 2
	ds_load_b64 v[18:19], v0
	s_wait_dscnt 0x0
	v_cmp_eq_u64_e32 vcc_lo, 0, v[18:19]
	s_cbranch_vccnz .LBB4_17793
; %bb.17786:                            ;   in Loop: Header=BB4_17718 Depth=3
	s_trap 2
	ds_load_b64 v[20:21], v0
	v_cmp_eq_u32_e64 s13, 0, v8
	s_delay_alu instid0(VALU_DEP_1)
	v_cndmask_b32_e64 v13, 0, v12, s13
	s_mov_b32 s13, -1
	s_wait_dscnt 0x0
	v_cmp_ne_u64_e32 vcc_lo, 0, v[20:21]
	s_cbranch_vccz .LBB4_17822
; %bb.17787:                            ;   in Loop: Header=BB4_17718 Depth=3
	s_and_saveexec_b32 s14, s10
	s_cbranch_execz .LBB4_17789
; %bb.17788:                            ;   in Loop: Header=BB4_17718 Depth=3
	ds_load_b32 v8, v0 offset:720
	s_wait_dscnt 0x0
	v_and_b32_e32 v8, 15, v8
	s_delay_alu instid0(VALU_DEP_1)
	v_cmp_eq_u32_e32 vcc_lo, 0, v8
	s_or_not1_b32 s13, vcc_lo, exec_lo
.LBB4_17789:                            ;   in Loop: Header=BB4_17718 Depth=3
	s_or_b32 exec_lo, exec_lo, s14
	s_and_saveexec_b32 s14, s11
	s_cbranch_execz .LBB4_17791
; %bb.17790:                            ;   in Loop: Header=BB4_17718 Depth=3
	ds_load_b32 v8, v0 offset:784
	s_wait_dscnt 0x0
	v_and_b32_e32 v8, 15, v8
	s_delay_alu instid0(VALU_DEP_1) | instskip(SKIP_3) | instid1(SALU_CYCLE_1)
	v_cmp_eq_u32_e32 vcc_lo, 0, v8
	s_and_b32 s15, s13, vcc_lo
	s_and_not1_b32 s13, s13, exec_lo
	s_and_b32 s15, s15, exec_lo
	s_or_b32 s13, s13, s15
.LBB4_17791:                            ;   in Loop: Header=BB4_17718 Depth=3
	s_or_b32 exec_lo, exec_lo, s14
	s_xor_b32 s13, s13, -1
	v_dual_mov_b32 v15, 0 :: v_dual_mov_b32 v30, v13
	v_cndmask_b32_e64 v8, 0, 1, s13
	v_mov_b32_e32 v31, v0
	s_mov_b32 s13, -1
	s_delay_alu instid0(VALU_DEP_2)
	v_cmp_ne_u32_e32 vcc_lo, 0, v8
	s_cbranch_vccz .LBB4_17798
; %bb.17792:                            ;   in Loop: Header=BB4_17718 Depth=3
	s_and_saveexec_b32 s15, s13
	s_cbranch_execnz .LBB4_17811
	s_branch .LBB4_17821
.LBB4_17793:                            ;   in Loop: Header=BB4_17718 Depth=3
	s_mov_b32 s13, 0
	s_and_saveexec_b32 s14, s2
	s_cbranch_execnz .LBB4_17850
.LBB4_17794:                            ;   in Loop: Header=BB4_17718 Depth=3
	s_or_b32 exec_lo, exec_lo, s14
                                        ; implicit-def: $vgpr4
	s_and_saveexec_b32 s14, s12
	s_delay_alu instid0(SALU_CYCLE_1)
	s_xor_b32 s14, exec_lo, s14
	s_cbranch_execz .LBB4_17868
.LBB4_17795:                            ;   in Loop: Header=BB4_17718 Depth=3
	v_and_b32_e32 v4, 16, v126
	s_delay_alu instid0(VALU_DEP_1) | instskip(SKIP_2) | instid1(SALU_CYCLE_1)
	v_cmp_ne_u32_e32 vcc_lo, 0, v4
	v_and_b32_e32 v4, 16, v126
	s_and_b32 s15, vcc_lo, s13
	s_and_saveexec_b32 s13, s15
	s_cbranch_execz .LBB4_17797
; %bb.17796:                            ;   in Loop: Header=BB4_17718 Depth=3
	v_mov_b32_e32 v4, 1
	global_wb scope:SCOPE_SYS
	s_wait_storecnt 0x0
	s_wait_loadcnt_dscnt 0x0
	global_inv scope:SCOPE_SYS
.LBB4_17797:                            ;   in Loop: Header=BB4_17718 Depth=3
	s_or_b32 exec_lo, exec_lo, s13
	s_and_not1_saveexec_b32 s13, s14
	s_cbranch_execz .LBB4_17887
	s_branch .LBB4_17869
.LBB4_17798:                            ;   in Loop: Header=BB4_17718 Depth=3
	v_ashrrev_i32_e32 v8, 31, v13
	s_mov_b32 s13, exec_lo
	s_delay_alu instid0(VALU_DEP_1) | instskip(NEXT) | instid1(VALU_DEP_1)
	v_lshrrev_b32_e32 v8, 22, v8
	v_add_nc_u32_e32 v8, v13, v8
	s_delay_alu instid0(VALU_DEP_1) | instskip(SKIP_1) | instid1(VALU_DEP_1)
	v_ashrrev_i32_e32 v15, 10, v8
	v_lshrrev_b32_e32 v8, 5, v0
	v_sub_nc_u32_e32 v50, v15, v8
	s_delay_alu instid0(VALU_DEP_1)
	v_cmpx_lt_i32_e32 0, v50
	s_cbranch_execz .LBB4_17802
; %bb.17799:                            ;   in Loop: Header=BB4_17718 Depth=3
	scratch_load_b64 v[30:31], off, s33 offset:212 ; 8-byte Folded Reload
	s_mov_b32 s14, 0
	s_wait_loadcnt 0x0
	v_add_nc_u64_e32 v[8:9], v[4:5], v[30:31]
	v_add_nc_u64_e32 v[10:11], v[18:19], v[30:31]
	;; [unrolled: 1-line block ×3, first 2 shown]
.LBB4_17800:                            ;   Parent Loop BB4_47 Depth=1
                                        ;     Parent Loop BB4_17715 Depth=2
                                        ;       Parent Loop BB4_17718 Depth=3
                                        ; =>      This Inner Loop Header: Depth=4
	s_clause 0x1
	global_load_b128 v[64:67], v[8:9], off th:TH_LOAD_NT
	global_load_b128 v[100:103], v[8:9], off offset:512 th:TH_LOAD_NT
	v_sub_nc_u32_e32 v50, v50, v36
	s_wait_xcnt 0x0
	v_add_nc_u64_e32 v[8:9], v[8:9], v[68:69]
	s_wait_loadcnt 0x1
	global_store_b128 v[10:11], v[64:67], off th:TH_STORE_NT
	s_wait_loadcnt 0x0
	global_store_b128 v[10:11], v[100:103], off offset:512 th:TH_STORE_NT
	s_clause 0x1
	global_store_b128 v[30:31], v[64:67], off th:TH_STORE_NT
	global_store_b128 v[30:31], v[100:103], off offset:512 th:TH_STORE_NT
	v_cmp_gt_i32_e32 vcc_lo, 1, v50
	s_wait_xcnt 0x2
	v_add_nc_u64_e32 v[10:11], v[10:11], v[68:69]
	s_wait_xcnt 0x0
	v_add_nc_u64_e32 v[30:31], v[30:31], v[68:69]
	s_or_b32 s14, vcc_lo, s14
	s_delay_alu instid0(SALU_CYCLE_1)
	s_and_not1_b32 exec_lo, exec_lo, s14
	s_cbranch_execnz .LBB4_17800
; %bb.17801:                            ;   in Loop: Header=BB4_17718 Depth=3
	s_or_b32 exec_lo, exec_lo, s14
.LBB4_17802:                            ;   in Loop: Header=BB4_17718 Depth=3
	s_delay_alu instid0(SALU_CYCLE_1) | instskip(SKIP_3) | instid1(VALU_DEP_1)
	s_or_b32 exec_lo, exec_lo, s13
	v_dual_mov_b32 v15, 0 :: v_dual_lshlrev_b32 v66, 10, v15
	s_mov_b32 s13, 0
	s_mov_b32 s74, exec_lo
                                        ; implicit-def: $vgpr30
                                        ; implicit-def: $vgpr31
	v_cmpx_ne_u32_e64 v13, v66
	s_cbranch_execz .LBB4_17810
; %bb.17803:                            ;   in Loop: Header=BB4_17718 Depth=3
	v_dual_lshlrev_b32 v8, 5, v50 :: v_dual_bitop2_b32 v9, 31, v0 bitop3:0x40
	s_mov_b32 s75, exec_lo
	v_sub_nc_u32_e32 v10, v13, v66
	s_delay_alu instid0(VALU_DEP_2) | instskip(NEXT) | instid1(VALU_DEP_1)
	v_sub_nc_u32_e32 v8, v9, v8
	v_ashrrev_i32_e32 v9, 31, v8
	s_delay_alu instid0(VALU_DEP_1) | instskip(NEXT) | instid1(VALU_DEP_1)
	v_dual_lshrrev_b32 v9, 27, v9 :: v_dual_ashrrev_i32 v11, 31, v10
	v_dual_add_nc_u32 v9, v8, v9 :: v_dual_lshrrev_b32 v11, 23, v11
	s_delay_alu instid0(VALU_DEP_1) | instskip(NEXT) | instid1(VALU_DEP_1)
	v_and_b32_e32 v15, 0xffffffe0, v9
	v_dual_ashrrev_i32 v9, 5, v9 :: v_dual_sub_nc_u32 v67, v8, v15
	s_delay_alu instid0(VALU_DEP_1) | instskip(NEXT) | instid1(VALU_DEP_1)
	v_lshlrev_b32_e32 v8, 4, v67
	v_lshl_add_u32 v8, v9, 9, v8
	s_delay_alu instid0(VALU_DEP_1) | instskip(NEXT) | instid1(VALU_DEP_1)
	v_dual_add_nc_u32 v11, v10, v11 :: v_dual_sub_nc_u32 v102, v10, v8
	v_and_b32_e32 v15, 0xfffffe00, v11
	v_ashrrev_i32_e32 v11, 9, v11
	s_delay_alu instid0(VALU_DEP_2) | instskip(NEXT) | instid1(VALU_DEP_1)
	v_sub_nc_u32_e32 v100, v10, v15
	v_cmp_lt_i32_e64 s13, 15, v100
	s_delay_alu instid0(VALU_DEP_1) | instskip(NEXT) | instid1(VALU_DEP_1)
	v_add_co_ci_u32_e64 v11, null, 0, v11, s13
	v_sub_nc_u32_e32 v101, v11, v9
	v_cmpx_lt_i32_e32 15, v102
	s_cbranch_execz .LBB4_17809
; %bb.17804:                            ;   in Loop: Header=BB4_17718 Depth=3
	v_add_nc_u32_e32 v8, v8, v66
	s_mov_b32 s76, 0
	s_delay_alu instid0(VALU_DEP_1) | instskip(NEXT) | instid1(VALU_DEP_1)
	v_ashrrev_i32_e32 v9, 31, v8
	v_add_nc_u64_e32 v[30:31], v[8:9], v[4:5]
	v_add_nc_u64_e32 v[50:51], v[8:9], v[18:19]
	;; [unrolled: 1-line block ×3, first 2 shown]
.LBB4_17805:                            ;   Parent Loop BB4_47 Depth=1
                                        ;     Parent Loop BB4_17715 Depth=2
                                        ;       Parent Loop BB4_17718 Depth=3
                                        ; =>      This Loop Header: Depth=4
                                        ;           Child Loop BB4_17806 Depth 5
	global_load_b128 v[8:11], v[30:31], off th:TH_LOAD_NT
	s_mov_b64 s[42:43], 0
	s_mov_b32 s77, -1
.LBB4_17806:                            ;   Parent Loop BB4_47 Depth=1
                                        ;     Parent Loop BB4_17715 Depth=2
                                        ;       Parent Loop BB4_17718 Depth=3
                                        ;         Parent Loop BB4_17805 Depth=4
                                        ; =>        This Inner Loop Header: Depth=5
	s_cmp_eq_u32 s42, 1
	s_cselect_b32 vcc_lo, -1, 0
	s_cmp_eq_u32 s42, 0
	s_wait_xcnt 0x0
	v_dual_cndmask_b32 v87, v51, v65 :: v_dual_cndmask_b32 v86, v50, v64
	s_cselect_b32 s14, -1, 0
	s_and_b32 s15, exec_lo, s77
	s_mov_b64 s[42:43], 1
	s_mov_b32 s77, 0
	v_add_nc_u64_e32 v[96:97], 0x200, v[86:87]
	s_wait_loadcnt 0x0
	global_store_b128 v[86:87], v[8:11], off th:TH_STORE_NT
	v_dual_cndmask_b32 v65, v65, v97 :: v_dual_cndmask_b32 v64, v64, v96
	v_dual_cndmask_b32 v51, v51, v97, s14 :: v_dual_cndmask_b32 v50, v50, v96, s14
	s_mov_b32 vcc_lo, s15
	s_cbranch_vccnz .LBB4_17806
; %bb.17807:                            ;   in Loop: Header=BB4_17805 Depth=4
	s_wait_xcnt 0x0
	v_add_nc_u64_e32 v[8:9], 0x200, v[82:83]
	v_dual_sub_nc_u32 v102, v102, v54 :: v_dual_sub_nc_u32 v101, v101, v36
	v_add_nc_u64_e32 v[50:51], v[50:51], v[82:83]
	v_add_nc_u64_e32 v[64:65], v[64:65], v[82:83]
	s_delay_alu instid0(VALU_DEP_3) | instskip(SKIP_2) | instid1(SALU_CYCLE_1)
	v_cmp_gt_i32_e32 vcc_lo, 16, v102
	v_add_nc_u64_e32 v[30:31], v[8:9], v[30:31]
	s_or_b32 s76, vcc_lo, s76
	s_and_not1_b32 exec_lo, exec_lo, s76
	s_cbranch_execnz .LBB4_17805
; %bb.17808:                            ;   in Loop: Header=BB4_17718 Depth=3
	s_or_b32 exec_lo, exec_lo, s76
.LBB4_17809:                            ;   in Loop: Header=BB4_17718 Depth=3
	s_delay_alu instid0(SALU_CYCLE_1) | instskip(NEXT) | instid1(VALU_DEP_2)
	s_or_b32 exec_lo, exec_lo, s75
	v_cmp_lt_i32_e32 vcc_lo, 0, v101
	v_dual_cndmask_b32 v10, 0, v36, vcc_lo :: v_dual_bitop2_b32 v8, 15, v13 bitop3:0x40
	s_delay_alu instid0(VALU_DEP_1) | instskip(NEXT) | instid1(VALU_DEP_1)
	v_dual_sub_nc_u32 v9, v100, v8 :: v_dual_cndmask_b32 v30, v100, v8, s13
	v_cndmask_b32_e64 v8, 0, v9, s13
	s_delay_alu instid0(VALU_DEP_3) | instskip(NEXT) | instid1(VALU_DEP_3)
	v_sub_nc_u32_e32 v9, v10, v101
	v_cmp_ne_u32_e32 vcc_lo, 0, v30
	s_delay_alu instid0(VALU_DEP_3) | instskip(NEXT) | instid1(VALU_DEP_3)
	v_add3_u32 v15, v15, v66, v8
	v_lshl_add_u32 v31, v9, 5, v67
	s_and_b32 s13, vcc_lo, exec_lo
.LBB4_17810:                            ;   in Loop: Header=BB4_17718 Depth=3
	s_or_b32 exec_lo, exec_lo, s74
	s_and_saveexec_b32 s15, s13
	s_cbranch_execz .LBB4_17821
.LBB4_17811:                            ;   in Loop: Header=BB4_17718 Depth=3
	v_dual_ashrrev_i32 v8, 31, v31 :: v_dual_ashrrev_i32 v9, 31, v30
	s_mov_b32 s13, exec_lo
	s_delay_alu instid0(VALU_DEP_1) | instskip(NEXT) | instid1(VALU_DEP_1)
	v_dual_lshrrev_b32 v8, 27, v8 :: v_dual_lshrrev_b32 v9, 23, v9
	v_dual_add_nc_u32 v8, v31, v8 :: v_dual_add_nc_u32 v9, v30, v9
	s_delay_alu instid0(VALU_DEP_1) | instskip(NEXT) | instid1(VALU_DEP_1)
	v_dual_ashrrev_i32 v50, 5, v8 :: v_dual_ashrrev_i32 v64, 9, v9
	v_sub_nc_u32_e32 v51, v64, v50
	s_delay_alu instid0(VALU_DEP_1)
	v_cmpx_lt_i32_e32 0, v51
	s_cbranch_execz .LBB4_17815
; %bb.17812:                            ;   in Loop: Header=BB4_17718 Depth=3
	v_and_b32_e32 v8, 0xffffffe0, v8
	v_lshlrev_b32_e32 v9, 9, v50
	v_add_nc_u64_e32 v[86:87], 0x1e0, v[4:5]
	s_mov_b32 s14, 0
	s_delay_alu instid0(VALU_DEP_3) | instskip(NEXT) | instid1(VALU_DEP_1)
	v_sub_nc_u32_e32 v8, v31, v8
	v_add3_u32 v66, v15, v8, v9
	s_delay_alu instid0(VALU_DEP_1) | instskip(NEXT) | instid1(VALU_DEP_1)
	v_ashrrev_i32_e32 v67, 31, v66
	v_add_nc_u64_e32 v[8:9], v[66:67], v[18:19]
	v_add_nc_u64_e32 v[10:11], v[66:67], v[20:21]
	;; [unrolled: 1-line block ×3, first 2 shown]
.LBB4_17813:                            ;   Parent Loop BB4_47 Depth=1
                                        ;     Parent Loop BB4_17715 Depth=2
                                        ;       Parent Loop BB4_17718 Depth=3
                                        ; =>      This Inner Loop Header: Depth=4
	s_clause 0xf
	flat_load_u8 v65, v[20:21] offset:-480 th:TH_LOAD_NT
	flat_load_u8 v66, v[20:21] offset:-448 th:TH_LOAD_NT
	;; [unrolled: 1-line block ×15, first 2 shown]
	flat_load_u8 v116, v[20:21] th:TH_LOAD_NT
	v_sub_nc_u32_e32 v51, v51, v36
	s_wait_xcnt 0x0
	v_add_nc_u64_e32 v[20:21], v[20:21], v[54:55]
	s_wait_loadcnt_dscnt 0xf0f
	flat_store_b8 v[8:9], v65 th:TH_STORE_NT
	s_wait_loadcnt_dscnt 0xe0f
	flat_store_b8 v[8:9], v66 offset:32 th:TH_STORE_NT
	s_wait_loadcnt_dscnt 0xd0f
	flat_store_b8 v[8:9], v67 offset:64 th:TH_STORE_NT
	;; [unrolled: 2-line block ×15, first 2 shown]
	s_clause 0xf
	flat_store_b8 v[10:11], v65 th:TH_STORE_NT
	flat_store_b8 v[10:11], v66 offset:32 th:TH_STORE_NT
	flat_store_b8 v[10:11], v67 offset:64 th:TH_STORE_NT
	;; [unrolled: 1-line block ×15, first 2 shown]
	v_cmp_gt_i32_e32 vcc_lo, 1, v51
	s_wait_xcnt 0x10
	v_add_nc_u64_e32 v[8:9], v[8:9], v[54:55]
	s_wait_xcnt 0x0
	v_add_nc_u64_e32 v[10:11], v[10:11], v[54:55]
	s_or_b32 s14, vcc_lo, s14
	s_delay_alu instid0(SALU_CYCLE_1)
	s_and_not1_b32 exec_lo, exec_lo, s14
	s_cbranch_execnz .LBB4_17813
; %bb.17814:                            ;   in Loop: Header=BB4_17718 Depth=3
	s_or_b32 exec_lo, exec_lo, s14
.LBB4_17815:                            ;   in Loop: Header=BB4_17718 Depth=3
	s_delay_alu instid0(SALU_CYCLE_1) | instskip(SKIP_1) | instid1(VALU_DEP_1)
	s_or_b32 exec_lo, exec_lo, s13
	v_lshlrev_b32_e32 v8, 9, v64
	v_cmp_ne_u32_e32 vcc_lo, v30, v8
	s_and_b32 exec_lo, exec_lo, vcc_lo
	s_cbranch_execz .LBB4_17821
; %bb.17816:                            ;   in Loop: Header=BB4_17718 Depth=3
	v_dual_lshlrev_b32 v9, 5, v50 :: v_dual_lshlrev_b32 v10, 5, v51
	s_delay_alu instid0(VALU_DEP_1) | instskip(NEXT) | instid1(VALU_DEP_1)
	v_sub_nc_u32_e32 v9, v31, v9
	v_sub_nc_u32_e32 v9, v9, v10
	s_delay_alu instid0(VALU_DEP_1) | instskip(NEXT) | instid1(VALU_DEP_1)
	v_add_nc_u32_e32 v8, v8, v9
	v_sub_nc_u32_e32 v30, v30, v8
	s_delay_alu instid0(VALU_DEP_1)
	v_cmp_lt_i32_e32 vcc_lo, 0, v30
	s_and_b32 exec_lo, exec_lo, vcc_lo
	s_cbranch_execz .LBB4_17821
; %bb.17817:                            ;   in Loop: Header=BB4_17718 Depth=3
	s_trap 2
	ds_load_b64 v[10:11], v0
	ds_load_b128 v[64:67], v0
	v_add_nc_u32_e32 v20, v8, v15
	s_mov_b32 s74, 0
	s_delay_alu instid0(VALU_DEP_1) | instskip(SKIP_1) | instid1(VALU_DEP_1)
	v_ashrrev_i32_e32 v21, 31, v20
	s_wait_dscnt 0x1
	v_add_nc_u64_e32 v[8:9], v[10:11], v[20:21]
	s_wait_dscnt 0x0
	v_add_nc_u64_e32 v[10:11], v[64:65], v[20:21]
	v_add_nc_u64_e32 v[20:21], v[66:67], v[20:21]
.LBB4_17818:                            ;   Parent Loop BB4_47 Depth=1
                                        ;     Parent Loop BB4_17715 Depth=2
                                        ;       Parent Loop BB4_17718 Depth=3
                                        ; =>      This Loop Header: Depth=4
                                        ;           Child Loop BB4_17819 Depth 5
	flat_load_u8 v15, v[8:9] th:TH_LOAD_NT
	s_mov_b64 s[42:43], 0
	s_mov_b32 s75, -1
.LBB4_17819:                            ;   Parent Loop BB4_47 Depth=1
                                        ;     Parent Loop BB4_17715 Depth=2
                                        ;       Parent Loop BB4_17718 Depth=3
                                        ;         Parent Loop BB4_17818 Depth=4
                                        ; =>        This Inner Loop Header: Depth=5
	s_cmp_eq_u32 s42, 1
	s_cselect_b32 vcc_lo, -1, 0
	s_cmp_eq_u32 s42, 0
	s_wait_xcnt 0x0
	v_dual_cndmask_b32 v51, v11, v21 :: v_dual_cndmask_b32 v50, v10, v20
	s_cselect_b32 s13, -1, 0
	s_and_b32 s14, exec_lo, s75
	s_mov_b64 s[42:43], 1
	s_mov_b32 s75, 0
	v_add_nc_u64_e32 v[64:65], 32, v[50:51]
	s_wait_loadcnt_dscnt 0x0
	flat_store_b8 v[50:51], v15 th:TH_STORE_NT
	v_dual_cndmask_b32 v21, v21, v65 :: v_dual_cndmask_b32 v20, v20, v64
	v_dual_cndmask_b32 v11, v11, v65, s13 :: v_dual_cndmask_b32 v10, v10, v64, s13
	s_mov_b32 vcc_lo, s14
	s_cbranch_vccnz .LBB4_17819
; %bb.17820:                            ;   in Loop: Header=BB4_17818 Depth=4
	v_sub_nc_u32_e32 v30, v30, v38
	s_delay_alu instid0(VALU_DEP_2)
	v_add_nc_u64_e32 v[10:11], v[10:11], v[70:71]
	v_add_nc_u64_e32 v[20:21], v[20:21], v[70:71]
	s_wait_xcnt 0x1
	v_add_nc_u64_e32 v[8:9], v[84:85], v[8:9]
	v_cmp_gt_i32_e32 vcc_lo, 1, v30
	s_or_b32 s74, vcc_lo, s74
	s_wait_xcnt 0x0
	s_and_not1_b32 exec_lo, exec_lo, s74
	s_cbranch_execnz .LBB4_17818
.LBB4_17821:                            ;   in Loop: Header=BB4_17718 Depth=3
	s_or_b32 exec_lo, exec_lo, s15
	s_mov_b32 s13, 0
.LBB4_17822:                            ;   in Loop: Header=BB4_17718 Depth=3
	s_delay_alu instid0(SALU_CYCLE_1)
	s_and_b32 vcc_lo, exec_lo, s13
	s_cbranch_vccz .LBB4_17849
; %bb.17823:                            ;   in Loop: Header=BB4_17718 Depth=3
	s_mov_b32 s13, -1
	s_and_saveexec_b32 s14, s10
	s_cbranch_execz .LBB4_17825
; %bb.17824:                            ;   in Loop: Header=BB4_17718 Depth=3
	ds_load_b32 v8, v0 offset:720
	s_wait_dscnt 0x0
	v_and_b32_e32 v8, 15, v8
	s_delay_alu instid0(VALU_DEP_1)
	v_cmp_eq_u32_e32 vcc_lo, 0, v8
	s_or_not1_b32 s13, vcc_lo, exec_lo
.LBB4_17825:                            ;   in Loop: Header=BB4_17718 Depth=3
	s_or_b32 exec_lo, exec_lo, s14
	s_and_saveexec_b32 s14, s7
	s_cbranch_execz .LBB4_17827
; %bb.17826:                            ;   in Loop: Header=BB4_17718 Depth=3
	ds_load_b32 v8, v0 offset:784
	s_wait_dscnt 0x0
	v_and_b32_e32 v8, 15, v8
	s_delay_alu instid0(VALU_DEP_1) | instskip(SKIP_3) | instid1(SALU_CYCLE_1)
	v_cmp_eq_u32_e32 vcc_lo, 0, v8
	s_and_b32 s15, s13, vcc_lo
	s_and_not1_b32 s13, s13, exec_lo
	s_and_b32 s15, s15, exec_lo
	s_or_b32 s13, s13, s15
.LBB4_17827:                            ;   in Loop: Header=BB4_17718 Depth=3
	s_or_b32 exec_lo, exec_lo, s14
	s_xor_b32 s13, s13, -1
	v_dual_mov_b32 v10, 0 :: v_dual_mov_b32 v11, v13
	v_cndmask_b32_e64 v8, 0, 1, s13
	v_mov_b32_e32 v15, v0
	s_mov_b32 s15, -1
	s_delay_alu instid0(VALU_DEP_2)
	v_cmp_ne_u32_e32 vcc_lo, 0, v8
	s_cbranch_vccz .LBB4_17829
; %bb.17828:                            ;   in Loop: Header=BB4_17718 Depth=3
	s_and_saveexec_b32 s13, s15
	s_cbranch_execnz .LBB4_17840
	s_branch .LBB4_17848
.LBB4_17829:                            ;   in Loop: Header=BB4_17718 Depth=3
	v_ashrrev_i32_e32 v8, 31, v13
	s_mov_b32 s13, exec_lo
	s_delay_alu instid0(VALU_DEP_1) | instskip(NEXT) | instid1(VALU_DEP_1)
	v_lshrrev_b32_e32 v8, 21, v8
	v_add_nc_u32_e32 v8, v13, v8
	s_delay_alu instid0(VALU_DEP_1) | instskip(SKIP_1) | instid1(VALU_DEP_1)
	v_ashrrev_i32_e32 v15, 11, v8
	v_lshrrev_b32_e32 v8, 5, v0
	v_sub_nc_u32_e32 v21, v15, v8
	s_delay_alu instid0(VALU_DEP_1)
	v_cmpx_lt_i32_e32 0, v21
	s_cbranch_execz .LBB4_17833
; %bb.17830:                            ;   in Loop: Header=BB4_17718 Depth=3
	v_mov_b64_e32 v[8:9], v[18:19]
	v_mov_b64_e32 v[10:11], v[4:5]
	s_mov_b32 s14, 0
.LBB4_17831:                            ;   Parent Loop BB4_47 Depth=1
                                        ;     Parent Loop BB4_17715 Depth=2
                                        ;       Parent Loop BB4_17718 Depth=3
                                        ; =>      This Inner Loop Header: Depth=4
	s_delay_alu instid0(VALU_DEP_1)
	v_add_nc_u64_e32 v[30:31], v[80:81], v[10:11]
	v_sub_nc_u32_e32 v21, v21, v36
	v_add_nc_u64_e32 v[10:11], v[10:11], v[52:53]
	s_clause 0x3
	global_load_b128 v[64:67], v[30:31], off th:TH_LOAD_NT
	global_load_b128 v[100:103], v[30:31], off offset:512 th:TH_LOAD_NT
	global_load_b128 v[112:115], v[30:31], off offset:1024 th:TH_LOAD_NT
	;; [unrolled: 1-line block ×3, first 2 shown]
	s_wait_xcnt 0x0
	v_add_nc_u64_e32 v[30:31], v[80:81], v[8:9]
	v_cmp_gt_i32_e32 vcc_lo, 1, v21
	v_add_nc_u64_e32 v[8:9], v[8:9], v[52:53]
	s_wait_loadcnt 0x3
	global_store_b128 v[30:31], v[64:67], off th:TH_STORE_NT
	s_wait_loadcnt 0x2
	global_store_b128 v[30:31], v[100:103], off offset:512 th:TH_STORE_NT
	s_wait_loadcnt 0x1
	global_store_b128 v[30:31], v[112:115], off offset:1024 th:TH_STORE_NT
	;; [unrolled: 2-line block ×3, first 2 shown]
	s_or_b32 s14, vcc_lo, s14
	s_wait_xcnt 0x0
	s_and_not1_b32 exec_lo, exec_lo, s14
	s_cbranch_execnz .LBB4_17831
; %bb.17832:                            ;   in Loop: Header=BB4_17718 Depth=3
	s_or_b32 exec_lo, exec_lo, s14
.LBB4_17833:                            ;   in Loop: Header=BB4_17718 Depth=3
	s_delay_alu instid0(SALU_CYCLE_1) | instskip(SKIP_3) | instid1(VALU_DEP_1)
	s_or_b32 exec_lo, exec_lo, s13
	v_dual_lshlrev_b32 v20, 11, v15 :: v_dual_mov_b32 v10, 0
	s_mov_b32 s15, 0
	s_mov_b32 s14, exec_lo
                                        ; implicit-def: $vgpr11
                                        ; implicit-def: $vgpr15
	v_cmpx_ne_u32_e64 v13, v20
	s_cbranch_execz .LBB4_17839
; %bb.17834:                            ;   in Loop: Header=BB4_17718 Depth=3
	v_dual_lshlrev_b32 v8, 5, v21 :: v_dual_bitop2_b32 v9, 31, v0 bitop3:0x40
	s_mov_b32 s15, exec_lo
	s_delay_alu instid0(VALU_DEP_1) | instskip(SKIP_1) | instid1(VALU_DEP_1)
	v_sub_nc_u32_e32 v8, v9, v8
	v_sub_nc_u32_e32 v21, v13, v20
	v_dual_ashrrev_i32 v9, 31, v8 :: v_dual_ashrrev_i32 v10, 31, v21
	s_delay_alu instid0(VALU_DEP_1) | instskip(NEXT) | instid1(VALU_DEP_1)
	v_lshrrev_b32_e32 v9, 27, v9
	v_add_nc_u32_e32 v9, v8, v9
	s_delay_alu instid0(VALU_DEP_1) | instskip(NEXT) | instid1(VALU_DEP_4)
	v_and_b32_e32 v11, 0xffffffe0, v9
	v_dual_lshrrev_b32 v10, 23, v10 :: v_dual_ashrrev_i32 v9, 5, v9
	s_delay_alu instid0(VALU_DEP_1) | instskip(NEXT) | instid1(VALU_DEP_1)
	v_dual_sub_nc_u32 v15, v8, v11 :: v_dual_add_nc_u32 v30, v21, v10
	v_and_b32_e32 v10, 0xfffffe00, v30
	s_delay_alu instid0(VALU_DEP_2) | instskip(NEXT) | instid1(VALU_DEP_2)
	v_dual_lshlrev_b32 v8, 4, v15 :: v_dual_ashrrev_i32 v30, 9, v30
	v_sub_nc_u32_e32 v11, v21, v10
	s_delay_alu instid0(VALU_DEP_2) | instskip(NEXT) | instid1(VALU_DEP_2)
	v_lshl_add_u32 v8, v9, 9, v8
	v_cmp_lt_i32_e32 vcc_lo, 15, v11
	s_delay_alu instid0(VALU_DEP_4) | instskip(NEXT) | instid1(VALU_DEP_1)
	v_add_co_ci_u32_e64 v31, null, 0, v30, vcc_lo
	v_dual_sub_nc_u32 v30, v21, v8 :: v_dual_sub_nc_u32 v21, v31, v9
	s_delay_alu instid0(VALU_DEP_1)
	v_cmpx_lt_i32_e32 15, v30
	s_cbranch_execz .LBB4_17838
; %bb.17835:                            ;   in Loop: Header=BB4_17718 Depth=3
	v_add_nc_u32_e32 v8, v8, v20
	s_mov_b32 s42, 0
	s_delay_alu instid0(VALU_DEP_1)
	v_ashrrev_i32_e32 v9, 31, v8
.LBB4_17836:                            ;   Parent Loop BB4_47 Depth=1
                                        ;     Parent Loop BB4_17715 Depth=2
                                        ;       Parent Loop BB4_17718 Depth=3
                                        ; =>      This Inner Loop Header: Depth=4
	s_delay_alu instid0(VALU_DEP_1) | instskip(SKIP_1) | instid1(VALU_DEP_1)
	v_add_nc_u64_e32 v[50:51], v[4:5], v[8:9]
	v_dual_sub_nc_u32 v30, v30, v54 :: v_dual_sub_nc_u32 v21, v21, v36
	v_cmp_gt_i32_e64 s13, 16, v30
	global_load_b128 v[64:67], v[50:51], off th:TH_LOAD_NT
	s_wait_xcnt 0x0
	v_add_nc_u64_e32 v[50:51], v[18:19], v[8:9]
	v_add_nc_u64_e32 v[8:9], v[8:9], v[54:55]
	s_or_b32 s42, s13, s42
	s_wait_loadcnt 0x0
	global_store_b128 v[50:51], v[64:67], off th:TH_STORE_NT
	s_wait_xcnt 0x0
	s_and_not1_b32 exec_lo, exec_lo, s42
	s_cbranch_execnz .LBB4_17836
; %bb.17837:                            ;   in Loop: Header=BB4_17718 Depth=3
	s_or_b32 exec_lo, exec_lo, s42
.LBB4_17838:                            ;   in Loop: Header=BB4_17718 Depth=3
	s_delay_alu instid0(SALU_CYCLE_1) | instskip(NEXT) | instid1(VALU_DEP_2)
	s_or_b32 exec_lo, exec_lo, s15
	v_cmp_lt_i32_e64 s13, 0, v21
	s_delay_alu instid0(VALU_DEP_1) | instskip(NEXT) | instid1(VALU_DEP_1)
	v_dual_cndmask_b32 v30, 0, v36, s13 :: v_dual_bitop2_b32 v8, 15, v13 bitop3:0x40
	v_dual_sub_nc_u32 v9, v11, v8 :: v_dual_cndmask_b32 v11, v11, v8, vcc_lo
	s_delay_alu instid0(VALU_DEP_1) | instskip(NEXT) | instid1(VALU_DEP_3)
	v_cndmask_b32_e32 v8, 0, v9, vcc_lo
	v_sub_nc_u32_e32 v9, v30, v21
	s_delay_alu instid0(VALU_DEP_3) | instskip(NEXT) | instid1(VALU_DEP_3)
	v_cmp_ne_u32_e32 vcc_lo, 0, v11
	v_add3_u32 v10, v10, v20, v8
	s_delay_alu instid0(VALU_DEP_3)
	v_lshl_add_u32 v15, v9, 5, v15
	s_and_b32 s15, vcc_lo, exec_lo
.LBB4_17839:                            ;   in Loop: Header=BB4_17718 Depth=3
	s_or_b32 exec_lo, exec_lo, s14
	s_and_saveexec_b32 s13, s15
	s_cbranch_execz .LBB4_17848
.LBB4_17840:                            ;   in Loop: Header=BB4_17718 Depth=3
	v_ashrrev_i32_e32 v9, 31, v11
	v_ashrrev_i32_e32 v8, 31, v15
	s_mov_b32 s14, exec_lo
	s_delay_alu instid0(VALU_DEP_1) | instskip(NEXT) | instid1(VALU_DEP_1)
	v_dual_lshrrev_b32 v9, 23, v9 :: v_dual_lshrrev_b32 v8, 27, v8
	v_add_nc_u32_e32 v9, v11, v9
	s_delay_alu instid0(VALU_DEP_1) | instskip(NEXT) | instid1(VALU_DEP_1)
	v_dual_add_nc_u32 v8, v15, v8 :: v_dual_ashrrev_i32 v30, 9, v9
	v_ashrrev_i32_e32 v20, 5, v8
	s_delay_alu instid0(VALU_DEP_1) | instskip(NEXT) | instid1(VALU_DEP_1)
	v_sub_nc_u32_e32 v21, v30, v20
	v_cmpx_lt_i32_e32 0, v21
	s_cbranch_execz .LBB4_17844
; %bb.17841:                            ;   in Loop: Header=BB4_17718 Depth=3
	v_and_b32_e32 v8, 0xffffffe0, v8
	v_lshlrev_b32_e32 v9, 9, v20
	s_mov_b32 s15, 0
	s_delay_alu instid0(VALU_DEP_2) | instskip(NEXT) | instid1(VALU_DEP_1)
	v_sub_nc_u32_e32 v8, v15, v8
	v_add3_u32 v8, v10, v8, v9
	s_delay_alu instid0(VALU_DEP_1)
	v_ashrrev_i32_e32 v9, 31, v8
.LBB4_17842:                            ;   Parent Loop BB4_47 Depth=1
                                        ;     Parent Loop BB4_17715 Depth=2
                                        ;       Parent Loop BB4_17718 Depth=3
                                        ; =>      This Inner Loop Header: Depth=4
	s_delay_alu instid0(VALU_DEP_1)
	v_add_nc_u64_e32 v[50:51], v[8:9], v[4:5]
	v_sub_nc_u32_e32 v21, v21, v36
	v_add_nc_u64_e32 v[4:5], v[4:5], v[54:55]
	s_clause 0xf
	flat_load_u8 v31, v[50:51] th:TH_LOAD_NT
	flat_load_u8 v64, v[50:51] offset:32 th:TH_LOAD_NT
	flat_load_u8 v65, v[50:51] offset:64 th:TH_LOAD_NT
	;; [unrolled: 1-line block ×15, first 2 shown]
	s_wait_xcnt 0x0
	v_add_nc_u64_e32 v[50:51], v[8:9], v[18:19]
	v_add_nc_u64_e32 v[18:19], v[18:19], v[54:55]
	v_cmp_gt_i32_e32 vcc_lo, 1, v21
	s_wait_loadcnt_dscnt 0xf0f
	flat_store_b8 v[50:51], v31 th:TH_STORE_NT
	s_wait_loadcnt_dscnt 0xe0f
	flat_store_b8 v[50:51], v64 offset:32 th:TH_STORE_NT
	s_wait_loadcnt_dscnt 0xd0f
	flat_store_b8 v[50:51], v65 offset:64 th:TH_STORE_NT
	;; [unrolled: 2-line block ×15, first 2 shown]
	s_or_b32 s15, vcc_lo, s15
	s_wait_xcnt 0x0
	s_and_not1_b32 exec_lo, exec_lo, s15
	s_cbranch_execnz .LBB4_17842
; %bb.17843:                            ;   in Loop: Header=BB4_17718 Depth=3
	s_or_b32 exec_lo, exec_lo, s15
.LBB4_17844:                            ;   in Loop: Header=BB4_17718 Depth=3
	s_delay_alu instid0(SALU_CYCLE_1) | instskip(SKIP_1) | instid1(VALU_DEP_1)
	s_or_b32 exec_lo, exec_lo, s14
	v_lshlrev_b32_e32 v4, 9, v30
	v_cmp_ne_u32_e32 vcc_lo, v11, v4
	s_and_b32 exec_lo, exec_lo, vcc_lo
	s_cbranch_execz .LBB4_17848
; %bb.17845:                            ;   in Loop: Header=BB4_17718 Depth=3
	v_dual_lshlrev_b32 v5, 5, v20 :: v_dual_lshlrev_b32 v8, 5, v21
	s_delay_alu instid0(VALU_DEP_1) | instskip(NEXT) | instid1(VALU_DEP_1)
	v_sub_nc_u32_e32 v5, v15, v5
	v_sub_nc_u32_e32 v5, v5, v8
	s_delay_alu instid0(VALU_DEP_1) | instskip(NEXT) | instid1(VALU_DEP_1)
	v_add_nc_u32_e32 v8, v4, v5
	v_sub_nc_u32_e32 v11, v11, v8
	s_delay_alu instid0(VALU_DEP_1)
	v_cmp_lt_i32_e32 vcc_lo, 0, v11
	s_and_b32 exec_lo, exec_lo, vcc_lo
	s_cbranch_execz .LBB4_17848
; %bb.17846:                            ;   in Loop: Header=BB4_17718 Depth=3
	s_trap 2
	ds_load_b64 v[4:5], v0
	v_add_nc_u32_e32 v8, v8, v10
	s_mov_b32 s14, 0
	s_delay_alu instid0(VALU_DEP_1)
	v_ashrrev_i32_e32 v9, 31, v8
.LBB4_17847:                            ;   Parent Loop BB4_47 Depth=1
                                        ;     Parent Loop BB4_17715 Depth=2
                                        ;       Parent Loop BB4_17718 Depth=3
                                        ; =>      This Inner Loop Header: Depth=4
	s_wait_dscnt 0x0
	s_delay_alu instid0(VALU_DEP_1) | instskip(SKIP_2) | instid1(VALU_DEP_2)
	v_add_nc_u64_e32 v[18:19], v[4:5], v[8:9]
	v_sub_nc_u32_e32 v11, v11, v38
	v_add_nc_u64_e32 v[8:9], v[8:9], v[38:39]
	v_cmp_gt_i32_e32 vcc_lo, 1, v11
	flat_load_u8 v10, v[18:19] th:TH_LOAD_NT
	s_or_b32 s14, vcc_lo, s14
	s_wait_loadcnt_dscnt 0x0
	flat_store_b8 v[18:19], v10 th:TH_STORE_NT
	s_wait_xcnt 0x0
	s_and_not1_b32 exec_lo, exec_lo, s14
	s_cbranch_execnz .LBB4_17847
.LBB4_17848:                            ;   in Loop: Header=BB4_17718 Depth=3
	s_or_b32 exec_lo, exec_lo, s13
.LBB4_17849:                            ;   in Loop: Header=BB4_17718 Depth=3
	v_cmp_lt_i32_e64 s13, 0, v13
	s_and_saveexec_b32 s14, s2
	s_cbranch_execz .LBB4_17794
.LBB4_17850:                            ;   in Loop: Header=BB4_17718 Depth=3
	s_and_saveexec_b32 s15, s3
	s_delay_alu instid0(SALU_CYCLE_1)
	s_xor_b32 s15, exec_lo, s15
	s_cbranch_execz .LBB4_17865
; %bb.17851:                            ;   in Loop: Header=BB4_17718 Depth=3
	s_and_saveexec_b32 s42, s6
	s_cbranch_execz .LBB4_17864
; %bb.17852:                            ;   in Loop: Header=BB4_17718 Depth=3
	s_mov_b32 s74, exec_lo
	s_mov_b32 s43, exec_lo
	v_mbcnt_lo_u32_b32 v4, s74, 0
	global_wb scope:SCOPE_DEV
	s_wait_storecnt 0x0
	s_wait_loadcnt_dscnt 0x0
	global_inv scope:SCOPE_DEV
	v_cmpx_eq_u32_e32 0, v4
	s_cbranch_execz .LBB4_17854
; %bb.17853:                            ;   in Loop: Header=BB4_17718 Depth=3
	s_bcnt1_i32_b32 s74, s74
	s_delay_alu instid0(SALU_CYCLE_1)
	v_dual_mov_b32 v5, v3 :: v_dual_mov_b32 v4, s74
	s_wait_loadcnt 0x0
	ds_add_u64 v0, v[4:5]
	s_trap 2
.LBB4_17854:                            ;   in Loop: Header=BB4_17718 Depth=3
	s_or_b32 exec_lo, exec_lo, s43
	s_trap 2
	ds_load_b64 v[4:5], v0
	s_wait_dscnt 0x0
	v_add_nc_u64_e32 v[32:33], v[32:33], v[36:37]
	s_mov_b32 s43, exec_lo
	s_delay_alu instid0(VALU_DEP_1)
	v_cmpx_lt_u64_e64 v[4:5], v[32:33]
	s_cbranch_execz .LBB4_17863
; %bb.17855:                            ;   in Loop: Header=BB4_17718 Depth=3
	s_mov_b32 s74, 0
	s_mov_b32 s77, 0
                                        ; implicit-def: $sgpr75
                                        ; implicit-def: $sgpr76
	s_branch .LBB4_17857
.LBB4_17856:                            ;   in Loop: Header=BB4_17857 Depth=4
	s_or_b32 exec_lo, exec_lo, s79
	s_delay_alu instid0(SALU_CYCLE_1) | instskip(NEXT) | instid1(SALU_CYCLE_1)
	s_and_b32 s78, exec_lo, s88
	s_or_b32 s74, s78, s74
	s_and_not1_b32 s75, s75, exec_lo
	s_and_b32 s78, s76, exec_lo
	s_delay_alu instid0(SALU_CYCLE_1)
	s_or_b32 s75, s75, s78
	s_and_not1_b32 exec_lo, exec_lo, s74
	s_cbranch_execz .LBB4_17861
.LBB4_17857:                            ;   Parent Loop BB4_47 Depth=1
                                        ;     Parent Loop BB4_17715 Depth=2
                                        ;       Parent Loop BB4_17718 Depth=3
                                        ; =>      This Inner Loop Header: Depth=4
	s_add_co_i32 s77, s77, 1
	s_delay_alu instid0(SALU_CYCLE_1) | instskip(SKIP_1) | instid1(SALU_CYCLE_1)
	s_cmp_lg_u32 s77, 0x2710
	s_cselect_b32 s78, -1, 0
	s_and_b32 vcc_lo, exec_lo, s78
	s_cbranch_vccz .LBB4_17859
; %bb.17858:                            ;   in Loop: Header=BB4_17857 Depth=4
	s_mov_b32 s88, -1
	s_or_b32 s76, s76, exec_lo
	s_and_saveexec_b32 s79, s78
	s_cbranch_execz .LBB4_17856
	s_branch .LBB4_17860
.LBB4_17859:                            ;   in Loop: Header=BB4_17857 Depth=4
	s_trap 2
	ds_load_b64 v[4:5], v0
	s_and_not1_b32 s78, s78, exec_lo
	s_mov_b32 s77, 0
	s_wait_loadcnt_dscnt 0x0
	flat_load_b32 v4, v[4:5] scope:SCOPE_SYS
	s_wait_loadcnt_dscnt 0x0
	global_inv scope:SCOPE_SYS
	v_cmp_eq_u32_e32 vcc_lo, 0, v4
	s_and_b32 s79, vcc_lo, exec_lo
	s_delay_alu instid0(SALU_CYCLE_1)
	s_or_b32 s78, s78, s79
	s_mov_b32 s88, -1
	s_or_b32 s76, s76, exec_lo
	s_and_saveexec_b32 s79, s78
	s_cbranch_execz .LBB4_17856
.LBB4_17860:                            ;   in Loop: Header=BB4_17857 Depth=4
	s_sleep 1
	s_trap 2
	ds_load_b64 v[4:5], v0
	s_wait_dscnt 0x0
	s_and_not1_b32 s76, s76, exec_lo
	v_cmp_ge_u64_e32 vcc_lo, v[4:5], v[32:33]
	s_or_not1_b32 s88, vcc_lo, exec_lo
	s_branch .LBB4_17856
.LBB4_17861:                            ;   in Loop: Header=BB4_17718 Depth=3
	s_or_b32 exec_lo, exec_lo, s74
	s_and_saveexec_b32 s74, s75
	s_delay_alu instid0(SALU_CYCLE_1)
	s_xor_b32 s74, exec_lo, s74
	s_cbranch_execz .LBB4_17863
; %bb.17862:                            ;   in Loop: Header=BB4_17718 Depth=3
	ds_store_b32 v0, v1
	s_trap 2
.LBB4_17863:                            ;   in Loop: Header=BB4_17718 Depth=3
	s_or_b32 exec_lo, exec_lo, s43
	;;#ASMSTART
	s_wakeup
	;;#ASMEND
.LBB4_17864:                            ;   in Loop: Header=BB4_17718 Depth=3
	s_or_b32 exec_lo, exec_lo, s42
.LBB4_17865:                            ;   in Loop: Header=BB4_17718 Depth=3
	s_and_not1_saveexec_b32 s15, s15
	s_cbranch_execz .LBB4_17867
; %bb.17866:                            ;   in Loop: Header=BB4_17718 Depth=3
	global_wb scope:SCOPE_DEV
	s_wait_storecnt 0x0
	s_wait_loadcnt_dscnt 0x0
	global_inv scope:SCOPE_DEV
	s_barrier_signal -1
	s_barrier_wait -1
.LBB4_17867:                            ;   in Loop: Header=BB4_17718 Depth=3
	s_or_b32 exec_lo, exec_lo, s15
	s_delay_alu instid0(SALU_CYCLE_1) | instskip(SKIP_1) | instid1(SALU_CYCLE_1)
	s_or_b32 exec_lo, exec_lo, s14
                                        ; implicit-def: $vgpr4
	s_and_saveexec_b32 s14, s12
	s_xor_b32 s14, exec_lo, s14
	s_cbranch_execnz .LBB4_17795
.LBB4_17868:                            ;   in Loop: Header=BB4_17718 Depth=3
	s_and_not1_saveexec_b32 s13, s14
	s_cbranch_execz .LBB4_17887
.LBB4_17869:                            ;   in Loop: Header=BB4_17718 Depth=3
	s_and_saveexec_b32 s14, s3
	s_delay_alu instid0(SALU_CYCLE_1)
	s_xor_b32 s14, exec_lo, s14
	s_cbranch_execz .LBB4_17884
; %bb.17870:                            ;   in Loop: Header=BB4_17718 Depth=3
	s_and_saveexec_b32 s15, s6
	s_cbranch_execz .LBB4_17883
; %bb.17871:                            ;   in Loop: Header=BB4_17718 Depth=3
	s_mov_b32 s43, exec_lo
	s_mov_b32 s42, exec_lo
	v_mbcnt_lo_u32_b32 v4, s43, 0
	;;#ASMSTART
	s_waitcnt lgkmcnt(0) vmcnt(0)
	;;#ASMEND
	s_delay_alu instid0(VALU_DEP_1)
	v_cmpx_eq_u32_e32 0, v4
	s_cbranch_execz .LBB4_17873
; %bb.17872:                            ;   in Loop: Header=BB4_17718 Depth=3
	s_bcnt1_i32_b32 s43, s43
	s_delay_alu instid0(SALU_CYCLE_1)
	v_dual_mov_b32 v5, v3 :: v_dual_mov_b32 v4, s43
	s_wait_storecnt 0x0
	s_wait_loadcnt_dscnt 0x0
	ds_add_u64 v0, v[4:5]
	s_trap 2
.LBB4_17873:                            ;   in Loop: Header=BB4_17718 Depth=3
	s_or_b32 exec_lo, exec_lo, s42
	s_trap 2
	ds_load_b64 v[4:5], v0
	s_wait_dscnt 0x0
	v_add_nc_u64_e32 v[32:33], v[32:33], v[36:37]
	s_mov_b32 s42, exec_lo
	s_delay_alu instid0(VALU_DEP_1)
	v_cmpx_lt_u64_e64 v[4:5], v[32:33]
	s_cbranch_execz .LBB4_17882
; %bb.17874:                            ;   in Loop: Header=BB4_17718 Depth=3
	s_mov_b32 s43, 0
	s_mov_b32 s76, 0
                                        ; implicit-def: $sgpr74
                                        ; implicit-def: $sgpr75
	s_branch .LBB4_17876
.LBB4_17875:                            ;   in Loop: Header=BB4_17876 Depth=4
	s_or_b32 exec_lo, exec_lo, s78
	s_delay_alu instid0(SALU_CYCLE_1) | instskip(NEXT) | instid1(SALU_CYCLE_1)
	s_and_b32 s77, exec_lo, s79
	s_or_b32 s43, s77, s43
	s_and_not1_b32 s74, s74, exec_lo
	s_and_b32 s77, s75, exec_lo
	s_delay_alu instid0(SALU_CYCLE_1)
	s_or_b32 s74, s74, s77
	s_and_not1_b32 exec_lo, exec_lo, s43
	s_cbranch_execz .LBB4_17880
.LBB4_17876:                            ;   Parent Loop BB4_47 Depth=1
                                        ;     Parent Loop BB4_17715 Depth=2
                                        ;       Parent Loop BB4_17718 Depth=3
                                        ; =>      This Inner Loop Header: Depth=4
	s_add_co_i32 s76, s76, 1
	s_delay_alu instid0(SALU_CYCLE_1) | instskip(SKIP_1) | instid1(SALU_CYCLE_1)
	s_cmp_lg_u32 s76, 0x2710
	s_cselect_b32 s77, -1, 0
	s_and_b32 vcc_lo, exec_lo, s77
	s_cbranch_vccz .LBB4_17878
; %bb.17877:                            ;   in Loop: Header=BB4_17876 Depth=4
	s_mov_b32 s79, -1
	s_or_b32 s75, s75, exec_lo
	s_and_saveexec_b32 s78, s77
	s_cbranch_execz .LBB4_17875
	s_branch .LBB4_17879
.LBB4_17878:                            ;   in Loop: Header=BB4_17876 Depth=4
	s_trap 2
	ds_load_b64 v[4:5], v0
	s_and_not1_b32 s77, s77, exec_lo
	s_mov_b32 s76, 0
	s_wait_storecnt 0x0
	s_wait_loadcnt_dscnt 0x0
	flat_load_b32 v4, v[4:5] scope:SCOPE_SYS
	s_wait_loadcnt_dscnt 0x0
	global_inv scope:SCOPE_SYS
	v_cmp_eq_u32_e32 vcc_lo, 0, v4
	s_and_b32 s78, vcc_lo, exec_lo
	s_delay_alu instid0(SALU_CYCLE_1)
	s_or_b32 s77, s77, s78
	s_mov_b32 s79, -1
	s_or_b32 s75, s75, exec_lo
	s_and_saveexec_b32 s78, s77
	s_cbranch_execz .LBB4_17875
.LBB4_17879:                            ;   in Loop: Header=BB4_17876 Depth=4
	s_sleep 1
	s_trap 2
	ds_load_b64 v[4:5], v0
	s_wait_dscnt 0x0
	s_and_not1_b32 s75, s75, exec_lo
	v_cmp_ge_u64_e32 vcc_lo, v[4:5], v[32:33]
	s_or_not1_b32 s79, vcc_lo, exec_lo
	s_branch .LBB4_17875
.LBB4_17880:                            ;   in Loop: Header=BB4_17718 Depth=3
	s_or_b32 exec_lo, exec_lo, s43
	s_and_saveexec_b32 s43, s74
	s_delay_alu instid0(SALU_CYCLE_1)
	s_xor_b32 s43, exec_lo, s43
	s_cbranch_execz .LBB4_17882
; %bb.17881:                            ;   in Loop: Header=BB4_17718 Depth=3
	ds_store_b32 v0, v1
	s_trap 2
.LBB4_17882:                            ;   in Loop: Header=BB4_17718 Depth=3
	s_or_b32 exec_lo, exec_lo, s42
	;;#ASMSTART
	s_wakeup
	;;#ASMEND
.LBB4_17883:                            ;   in Loop: Header=BB4_17718 Depth=3
	s_or_b32 exec_lo, exec_lo, s15
.LBB4_17884:                            ;   in Loop: Header=BB4_17718 Depth=3
	s_and_not1_saveexec_b32 s14, s14
	s_cbranch_execz .LBB4_17886
; %bb.17885:                            ;   in Loop: Header=BB4_17718 Depth=3
	;;#ASMSTART
	s_waitcnt lgkmcnt(0) vmcnt(0)
	;;#ASMEND
	s_barrier_signal -1
	s_barrier_wait -1
.LBB4_17886:                            ;   in Loop: Header=BB4_17718 Depth=3
	s_or_b32 exec_lo, exec_lo, s14
	v_and_b32_e32 v4, 16, v126
.LBB4_17887:                            ;   in Loop: Header=BB4_17718 Depth=3
	s_or_b32 exec_lo, exec_lo, s13
	s_delay_alu instid0(VALU_DEP_1) | instskip(SKIP_1) | instid1(SALU_CYCLE_1)
	v_cmp_ne_u32_e32 vcc_lo, 0, v4
	s_xor_b32 s13, s4, -1
	s_and_b32 s14, vcc_lo, s13
	s_delay_alu instid0(SALU_CYCLE_1)
	s_and_saveexec_b32 s13, s14
	s_cbranch_execz .LBB4_17889
; %bb.17888:                            ;   in Loop: Header=BB4_17718 Depth=3
	global_wb scope:SCOPE_SYS
	s_wait_storecnt 0x0
	s_wait_loadcnt_dscnt 0x0
	flat_store_b32 v[28:29], v1 scope:SCOPE_SYS
.LBB4_17889:                            ;   in Loop: Header=BB4_17718 Depth=3
	s_wait_xcnt 0x0
	s_or_b32 exec_lo, exec_lo, s13
	v_and_b32_e32 v4, 48, v126
	s_mov_b32 s13, exec_lo
	s_delay_alu instid0(VALU_DEP_1)
	v_cmpx_ne_u32_e32 0, v4
	s_cbranch_execz .LBB4_17717
; %bb.17890:                            ;   in Loop: Header=BB4_17718 Depth=3
	v_add_nc_u64_e32 v[98:99], 2, v[98:99]
	global_wb scope:SCOPE_SYS
	s_wait_storecnt 0x0
	s_wait_loadcnt_dscnt 0x0
	flat_store_b64 v[22:23], v[98:99] scope:SCOPE_SYS
	s_branch .LBB4_17717
.LBB4_17891:                            ;   in Loop: Header=BB4_17715 Depth=2
	s_or_b32 exec_lo, exec_lo, s63
.LBB4_17892:                            ;   in Loop: Header=BB4_17715 Depth=2
	s_delay_alu instid0(SALU_CYCLE_1) | instskip(NEXT) | instid1(SALU_CYCLE_1)
	s_or_b32 exec_lo, exec_lo, s29
	s_mov_b32 s14, exec_lo
	v_cmpx_gt_i32_e32 2, v8
	s_cbranch_execz .LBB4_17968
; %bb.17893:                            ;   in Loop: Header=BB4_17715 Depth=2
	v_cmp_eq_u32_e64 s29, 0, v8
	s_mov_b32 s15, 0
	s_branch .LBB4_17895
.LBB4_17894:                            ;   in Loop: Header=BB4_17895 Depth=3
	s_wait_xcnt 0x0
	s_or_b32 exec_lo, exec_lo, s13
	v_add_nc_u32_e32 v14, v12, v14
	s_mov_b32 s29, 0
	s_and_not1_b32 exec_lo, exec_lo, s15
	s_cbranch_execz .LBB4_17967
.LBB4_17895:                            ;   Parent Loop BB4_47 Depth=1
                                        ;     Parent Loop BB4_17715 Depth=2
                                        ; =>    This Loop Header: Depth=3
                                        ;         Child Loop BB4_17901 Depth 4
                                        ;         Child Loop BB4_17929 Depth 4
	;; [unrolled: 1-line block ×3, first 2 shown]
	s_delay_alu instid0(VALU_DEP_1) | instskip(SKIP_2) | instid1(VALU_DEP_2)
	v_sub_nc_u32_e32 v4, v2, v14
	v_and_b32_e32 v5, 12, v126
	s_mov_b32 s42, exec_lo
	v_min_i32_e32 v12, v12, v4
	s_delay_alu instid0(VALU_DEP_2)
	v_cmpx_ne_u32_e32 0, v5
	s_cbranch_execz .LBB4_17921
; %bb.17896:                            ;   in Loop: Header=BB4_17895 Depth=3
	v_dual_mov_b32 v9, v3 :: v_dual_bitop2_b32 v8, 8, v126 bitop3:0x40
	v_add_nc_u64_e32 v[4:5], 2, v[98:99]
	s_mov_b32 s43, exec_lo
	s_wait_loadcnt_dscnt 0x1
	s_delay_alu instid0(VALU_DEP_2) | instskip(NEXT) | instid1(VALU_DEP_1)
	v_add_nc_u64_e32 v[10:11], v[34:35], v[8:9]
	v_cmpx_lt_u64_e64 v[10:11], v[4:5]
	s_cbranch_execz .LBB4_17908
; %bb.17897:                            ;   in Loop: Header=BB4_17895 Depth=3
	v_and_b32_e32 v10, 64, v126
	s_mov_b32 s63, 0
	s_mov_b32 s75, 0
                                        ; implicit-def: $sgpr72
                                        ; implicit-def: $sgpr73
                                        ; implicit-def: $sgpr74
	s_delay_alu instid0(VALU_DEP_1)
	v_cmp_eq_u32_e32 vcc_lo, 0, v10
	s_branch .LBB4_17901
.LBB4_17898:                            ;   in Loop: Header=BB4_17901 Depth=4
	s_wait_loadcnt_dscnt 0x0
	v_add_nc_u64_e32 v[16:17], v[34:35], v[8:9]
	s_or_b32 s78, s78, exec_lo
	s_delay_alu instid0(VALU_DEP_1)
	v_cmp_ge_u64_e64 s13, v[16:17], v[4:5]
	s_or_not1_b32 s77, s13, exec_lo
.LBB4_17899:                            ;   in Loop: Header=BB4_17901 Depth=4
	s_or_b32 exec_lo, exec_lo, s88
	s_delay_alu instid0(SALU_CYCLE_1)
	s_and_not1_b32 s13, s74, exec_lo
	s_and_b32 s74, s78, exec_lo
	s_and_not1_b32 s73, s73, exec_lo
	s_and_b32 s77, s77, exec_lo
	s_or_b32 s74, s13, s74
	s_or_b32 s73, s73, s77
.LBB4_17900:                            ;   in Loop: Header=BB4_17901 Depth=4
	s_or_b32 exec_lo, exec_lo, s76
	s_delay_alu instid0(SALU_CYCLE_1) | instskip(NEXT) | instid1(SALU_CYCLE_1)
	s_and_b32 s13, exec_lo, s73
	s_or_b32 s63, s13, s63
	s_and_not1_b32 s13, s72, exec_lo
	s_and_b32 s72, s74, exec_lo
	s_delay_alu instid0(SALU_CYCLE_1)
	s_or_b32 s72, s13, s72
	s_and_not1_b32 exec_lo, exec_lo, s63
	s_cbranch_execz .LBB4_17905
.LBB4_17901:                            ;   Parent Loop BB4_47 Depth=1
                                        ;     Parent Loop BB4_17715 Depth=2
                                        ;       Parent Loop BB4_17895 Depth=3
                                        ; =>      This Inner Loop Header: Depth=4
	s_sleep 1
	s_wait_loadcnt_dscnt 0x0
	flat_load_b64 v[34:35], v[22:23] scope:SCOPE_SYS
	s_or_b32 s74, s74, exec_lo
	s_or_b32 s73, s73, exec_lo
                                        ; implicit-def: $vgpr10
	s_wait_xcnt 0x0
	s_and_saveexec_b32 s76, vcc_lo
	s_cbranch_execz .LBB4_17900
; %bb.17902:                            ;   in Loop: Header=BB4_17901 Depth=4
	s_cmp_lt_i32 s75, 0x270f
	s_mov_b32 s77, -1
	s_cselect_b32 s79, -1, 0
	s_cmp_gt_i32 s75, 0x270e
	s_cbranch_scc0 .LBB4_17904
; %bb.17903:                            ;   in Loop: Header=BB4_17901 Depth=4
	s_trap 2
	ds_load_b64 v[10:11], v0
	s_and_not1_b32 s75, s79, exec_lo
	s_mov_b32 s78, 0
	s_wait_storecnt 0x0
	s_wait_loadcnt_dscnt 0x0
	flat_load_b32 v10, v[10:11] scope:SCOPE_SYS
	s_wait_loadcnt_dscnt 0x0
	global_inv scope:SCOPE_SYS
	v_cmp_eq_u32_e64 s13, 0, v10
	s_and_b32 s13, s13, exec_lo
	s_delay_alu instid0(SALU_CYCLE_1)
	s_or_b32 s79, s75, s13
	s_mov_b32 s75, 0
	s_and_saveexec_b32 s88, s79
	s_cbranch_execz .LBB4_17899
	s_branch .LBB4_17898
.LBB4_17904:                            ;   in Loop: Header=BB4_17901 Depth=4
	s_add_co_i32 s75, s75, 1
	s_mov_b32 s78, -1
                                        ; implicit-def: $vgpr10
	s_and_saveexec_b32 s88, s79
	s_cbranch_execz .LBB4_17899
	s_branch .LBB4_17898
.LBB4_17905:                            ;   in Loop: Header=BB4_17895 Depth=3
	s_or_b32 exec_lo, exec_lo, s63
	s_xor_b32 s13, s72, -1
	s_delay_alu instid0(SALU_CYCLE_1) | instskip(NEXT) | instid1(SALU_CYCLE_1)
	s_and_saveexec_b32 s63, s13
	s_xor_b32 s13, exec_lo, s63
	s_cbranch_execz .LBB4_17907
; %bb.17906:                            ;   in Loop: Header=BB4_17895 Depth=3
	v_or_b32_e32 v126, 64, v126
	s_wait_storecnt 0x0
	s_wait_loadcnt_dscnt 0x0
	ds_store_b32 v0, v10
	s_trap 2
.LBB4_17907:                            ;   in Loop: Header=BB4_17895 Depth=3
	s_or_b32 exec_lo, exec_lo, s13
.LBB4_17908:                            ;   in Loop: Header=BB4_17895 Depth=3
	s_delay_alu instid0(SALU_CYCLE_1) | instskip(SKIP_3) | instid1(VALU_DEP_1)
	s_or_b32 exec_lo, exec_lo, s43
	v_and_b32_e32 v9, 0x108, v126
	s_mov_b32 s13, exec_lo
	;;#ASMSTART
	s_wakeup
	;;#ASMEND
                                        ; implicit-def: $vgpr10_vgpr11
	v_cmpx_ne_u32_e32 0x108, v9
	s_xor_b32 s13, exec_lo, s13
; %bb.17909:                            ;   in Loop: Header=BB4_17895 Depth=3
	v_dual_mov_b32 v11, v3 :: v_dual_bitop2_b32 v10, 7, v98 bitop3:0x40
                                        ; implicit-def: $vgpr98_vgpr99
; %bb.17910:                            ;   in Loop: Header=BB4_17895 Depth=3
	s_and_not1_saveexec_b32 s13, s13
	s_cbranch_execz .LBB4_17912
; %bb.17911:                            ;   in Loop: Header=BB4_17895 Depth=3
	v_dual_ashrrev_i32 v13, 31, v12 :: v_dual_bitop2_b32 v10, 7, v98 bitop3:0x40
	v_mov_b32_e32 v11, v3
	s_delay_alu instid0(VALU_DEP_2)
	v_mad_nc_u64_u32 v[16:17], v10, 24, v[6:7]
	flat_store_b64 v[16:17], v[12:13] offset:8
.LBB4_17912:                            ;   in Loop: Header=BB4_17895 Depth=3
	s_wait_xcnt 0x0
	s_or_b32 exec_lo, exec_lo, s13
	v_and_b32_e32 v9, 0x100, v126
	s_mov_b32 s13, -1
	s_mov_b32 s43, exec_lo
                                        ; implicit-def: $vgpr16_vgpr17
	s_delay_alu instid0(VALU_DEP_1)
	v_cmpx_ne_u32_e32 0, v9
	s_cbranch_execz .LBB4_17916
; %bb.17913:                            ;   in Loop: Header=BB4_17895 Depth=3
	v_mad_nc_u64_u32 v[18:19], v10, 24, v[6:7]
	s_mov_b32 s63, exec_lo
                                        ; implicit-def: $vgpr16_vgpr17
	s_delay_alu instid0(VALU_DEP_1)
	v_mad_u32 v19, v11, 24, v19
	flat_load_b32 v9, v[18:19]
	s_wait_loadcnt_dscnt 0x0
	v_cmp_ne_u32_e32 vcc_lo, 1, v9
	s_wait_xcnt 0x0
	v_cmpx_eq_u32_e32 1, v9
	s_cbranch_execz .LBB4_17915
; %bb.17914:                            ;   in Loop: Header=BB4_17895 Depth=3
	flat_load_b32 v16, v[18:19] offset:4 scope:SCOPE_SYS
	s_wait_loadcnt_dscnt 0x0
	v_ashrrev_i32_e32 v17, 31, v16
.LBB4_17915:                            ;   in Loop: Header=BB4_17895 Depth=3
	s_wait_xcnt 0x0
	s_or_b32 exec_lo, exec_lo, s63
	s_delay_alu instid0(SALU_CYCLE_1)
	s_or_not1_b32 s13, vcc_lo, exec_lo
.LBB4_17916:                            ;   in Loop: Header=BB4_17895 Depth=3
	s_or_b32 exec_lo, exec_lo, s43
	s_and_saveexec_b32 s43, s13
; %bb.17917:                            ;   in Loop: Header=BB4_17895 Depth=3
	v_mul_u64_e32 v[16:17], v[10:11], v[24:25]
; %bb.17918:                            ;   in Loop: Header=BB4_17895 Depth=3
	s_or_b32 exec_lo, exec_lo, s43
	v_cmp_eq_u32_e32 vcc_lo, 0, v8
	v_mov_b32_e32 v8, 0x88
	v_and_b32_e32 v11, 0x2000, v126
	s_mov_b32 s13, exec_lo
	s_delay_alu instid0(VALU_DEP_2) | instskip(SKIP_1) | instid1(VALU_DEP_2)
	v_cndmask_b32_e32 v10, 0xd0, v8, vcc_lo
	v_add_nc_u64_e32 v[8:9], v[26:27], v[16:17]
	v_add_nc_u32_e32 v10, v0, v10
	ds_store_b64 v10, v[8:9] offset:584
	v_cmpx_ne_u32_e32 0, v11
	s_cbranch_execz .LBB4_17920
; %bb.17919:                            ;   in Loop: Header=BB4_17895 Depth=3
	ds_load_b64 v[8:9], v0 offset:872
	s_wait_dscnt 0x0
	v_add_nc_u64_e32 v[8:9], 1, v[8:9]
	ds_store_b64 v0, v[8:9] offset:872
.LBB4_17920:                            ;   in Loop: Header=BB4_17895 Depth=3
	s_or_b32 exec_lo, exec_lo, s13
	v_mov_b64_e32 v[98:99], v[4:5]
.LBB4_17921:                            ;   in Loop: Header=BB4_17895 Depth=3
	s_or_b32 exec_lo, exec_lo, s42
	s_xor_b32 s13, s29, -1
	s_delay_alu instid0(SALU_CYCLE_1) | instskip(NEXT) | instid1(SALU_CYCLE_1)
	s_and_b32 s13, exec_lo, s13
	s_or_b32 s15, s13, s15
	s_and_saveexec_b32 s13, s2
	s_cbranch_execz .LBB4_17940
; %bb.17922:                            ;   in Loop: Header=BB4_17895 Depth=3
	s_and_saveexec_b32 s29, s3
	s_delay_alu instid0(SALU_CYCLE_1)
	s_xor_b32 s29, exec_lo, s29
	s_cbranch_execz .LBB4_17937
; %bb.17923:                            ;   in Loop: Header=BB4_17895 Depth=3
	s_and_saveexec_b32 s42, s6
	s_cbranch_execz .LBB4_17936
; %bb.17924:                            ;   in Loop: Header=BB4_17895 Depth=3
	s_mov_b32 s63, exec_lo
	s_mov_b32 s43, exec_lo
	v_mbcnt_lo_u32_b32 v4, s63, 0
	global_wb scope:SCOPE_DEV
	s_wait_storecnt 0x0
	s_wait_loadcnt_dscnt 0x0
	global_inv scope:SCOPE_DEV
	v_cmpx_eq_u32_e32 0, v4
	s_cbranch_execz .LBB4_17926
; %bb.17925:                            ;   in Loop: Header=BB4_17895 Depth=3
	s_bcnt1_i32_b32 s63, s63
	s_delay_alu instid0(SALU_CYCLE_1)
	v_dual_mov_b32 v5, v3 :: v_dual_mov_b32 v4, s63
	s_wait_loadcnt 0x0
	ds_add_u64 v0, v[4:5]
	s_trap 2
.LBB4_17926:                            ;   in Loop: Header=BB4_17895 Depth=3
	s_or_b32 exec_lo, exec_lo, s43
	s_trap 2
	ds_load_b64 v[4:5], v0
	s_wait_dscnt 0x0
	v_add_nc_u64_e32 v[32:33], v[32:33], v[36:37]
	s_mov_b32 s43, exec_lo
	s_delay_alu instid0(VALU_DEP_1)
	v_cmpx_lt_u64_e64 v[4:5], v[32:33]
	s_cbranch_execz .LBB4_17935
; %bb.17927:                            ;   in Loop: Header=BB4_17895 Depth=3
	s_mov_b32 s63, 0
	s_mov_b32 s74, 0
                                        ; implicit-def: $sgpr72
                                        ; implicit-def: $sgpr73
	s_branch .LBB4_17929
.LBB4_17928:                            ;   in Loop: Header=BB4_17929 Depth=4
	s_or_b32 exec_lo, exec_lo, s76
	s_delay_alu instid0(SALU_CYCLE_1) | instskip(NEXT) | instid1(SALU_CYCLE_1)
	s_and_b32 s75, exec_lo, s77
	s_or_b32 s63, s75, s63
	s_and_not1_b32 s72, s72, exec_lo
	s_and_b32 s75, s73, exec_lo
	s_delay_alu instid0(SALU_CYCLE_1)
	s_or_b32 s72, s72, s75
	s_and_not1_b32 exec_lo, exec_lo, s63
	s_cbranch_execz .LBB4_17933
.LBB4_17929:                            ;   Parent Loop BB4_47 Depth=1
                                        ;     Parent Loop BB4_17715 Depth=2
                                        ;       Parent Loop BB4_17895 Depth=3
                                        ; =>      This Inner Loop Header: Depth=4
	s_add_co_i32 s74, s74, 1
	s_delay_alu instid0(SALU_CYCLE_1) | instskip(SKIP_1) | instid1(SALU_CYCLE_1)
	s_cmp_lg_u32 s74, 0x2710
	s_cselect_b32 s75, -1, 0
	s_and_b32 vcc_lo, exec_lo, s75
	s_cbranch_vccz .LBB4_17931
; %bb.17930:                            ;   in Loop: Header=BB4_17929 Depth=4
	s_mov_b32 s77, -1
	s_or_b32 s73, s73, exec_lo
	s_and_saveexec_b32 s76, s75
	s_cbranch_execz .LBB4_17928
	s_branch .LBB4_17932
.LBB4_17931:                            ;   in Loop: Header=BB4_17929 Depth=4
	s_trap 2
	ds_load_b64 v[4:5], v0
	s_and_not1_b32 s75, s75, exec_lo
	s_mov_b32 s74, 0
	s_wait_loadcnt_dscnt 0x0
	flat_load_b32 v4, v[4:5] scope:SCOPE_SYS
	s_wait_loadcnt_dscnt 0x0
	global_inv scope:SCOPE_SYS
	v_cmp_eq_u32_e32 vcc_lo, 0, v4
	s_and_b32 s76, vcc_lo, exec_lo
	s_delay_alu instid0(SALU_CYCLE_1)
	s_or_b32 s75, s75, s76
	s_mov_b32 s77, -1
	s_or_b32 s73, s73, exec_lo
	s_and_saveexec_b32 s76, s75
	s_cbranch_execz .LBB4_17928
.LBB4_17932:                            ;   in Loop: Header=BB4_17929 Depth=4
	s_sleep 1
	s_trap 2
	ds_load_b64 v[4:5], v0
	s_wait_dscnt 0x0
	s_and_not1_b32 s73, s73, exec_lo
	v_cmp_ge_u64_e32 vcc_lo, v[4:5], v[32:33]
	s_or_not1_b32 s77, vcc_lo, exec_lo
	s_branch .LBB4_17928
.LBB4_17933:                            ;   in Loop: Header=BB4_17895 Depth=3
	s_or_b32 exec_lo, exec_lo, s63
	s_and_saveexec_b32 s63, s72
	s_delay_alu instid0(SALU_CYCLE_1)
	s_xor_b32 s63, exec_lo, s63
	s_cbranch_execz .LBB4_17935
; %bb.17934:                            ;   in Loop: Header=BB4_17895 Depth=3
	ds_store_b32 v0, v1
	s_trap 2
.LBB4_17935:                            ;   in Loop: Header=BB4_17895 Depth=3
	s_or_b32 exec_lo, exec_lo, s43
	;;#ASMSTART
	s_wakeup
	;;#ASMEND
.LBB4_17936:                            ;   in Loop: Header=BB4_17895 Depth=3
	s_or_b32 exec_lo, exec_lo, s42
.LBB4_17937:                            ;   in Loop: Header=BB4_17895 Depth=3
	s_and_not1_saveexec_b32 s29, s29
	s_cbranch_execz .LBB4_17939
; %bb.17938:                            ;   in Loop: Header=BB4_17895 Depth=3
	global_wb scope:SCOPE_DEV
	s_wait_storecnt 0x0
	s_wait_loadcnt_dscnt 0x0
	global_inv scope:SCOPE_DEV
	s_barrier_signal -1
	s_barrier_wait -1
.LBB4_17939:                            ;   in Loop: Header=BB4_17895 Depth=3
	s_or_b32 exec_lo, exec_lo, s29
.LBB4_17940:                            ;   in Loop: Header=BB4_17895 Depth=3
	s_delay_alu instid0(SALU_CYCLE_1) | instskip(SKIP_1) | instid1(SALU_CYCLE_1)
	s_or_b32 exec_lo, exec_lo, s13
                                        ; implicit-def: $vgpr4
	s_and_saveexec_b32 s13, s12
	s_xor_b32 s29, exec_lo, s13
	s_cbranch_execz .LBB4_17944
; %bb.17941:                            ;   in Loop: Header=BB4_17895 Depth=3
	s_trap 2
	ds_load_b32 v4, v0
	v_cmp_lt_i32_e32 vcc_lo, 0, v12
	s_wait_dscnt 0x0
	v_readfirstlane_b32 s13, v4
	v_and_b32_e32 v4, 16, v126
	s_cmp_eq_u32 s13, 0
	s_delay_alu instid0(VALU_DEP_1) | instskip(SKIP_3) | instid1(SALU_CYCLE_1)
	v_cmp_ne_u32_e64 s13, 0, v4
	s_cselect_b32 s42, -1, 0
	v_and_b32_e32 v4, 16, v126
	s_and_b32 s42, vcc_lo, s42
	s_and_b32 s42, s13, s42
	s_delay_alu instid0(SALU_CYCLE_1)
	s_and_saveexec_b32 s13, s42
	s_cbranch_execz .LBB4_17943
; %bb.17942:                            ;   in Loop: Header=BB4_17895 Depth=3
	v_mov_b32_e32 v4, 1
	global_wb scope:SCOPE_SYS
	s_wait_loadcnt 0x0
	s_wait_storecnt 0x0
	global_inv scope:SCOPE_SYS
.LBB4_17943:                            ;   in Loop: Header=BB4_17895 Depth=3
	s_or_b32 exec_lo, exec_lo, s13
	s_and_not1_saveexec_b32 s13, s29
	s_cbranch_execz .LBB4_17963
	s_branch .LBB4_17945
.LBB4_17944:                            ;   in Loop: Header=BB4_17895 Depth=3
	s_and_not1_saveexec_b32 s13, s29
	s_cbranch_execz .LBB4_17963
.LBB4_17945:                            ;   in Loop: Header=BB4_17895 Depth=3
	s_and_saveexec_b32 s29, s3
	s_delay_alu instid0(SALU_CYCLE_1)
	s_xor_b32 s29, exec_lo, s29
	s_cbranch_execz .LBB4_17960
; %bb.17946:                            ;   in Loop: Header=BB4_17895 Depth=3
	s_and_saveexec_b32 s42, s6
	s_cbranch_execz .LBB4_17959
; %bb.17947:                            ;   in Loop: Header=BB4_17895 Depth=3
	s_mov_b32 s63, exec_lo
	s_mov_b32 s43, exec_lo
	v_mbcnt_lo_u32_b32 v4, s63, 0
	;;#ASMSTART
	s_waitcnt lgkmcnt(0) vmcnt(0)
	;;#ASMEND
	s_delay_alu instid0(VALU_DEP_1)
	v_cmpx_eq_u32_e32 0, v4
	s_cbranch_execz .LBB4_17949
; %bb.17948:                            ;   in Loop: Header=BB4_17895 Depth=3
	s_bcnt1_i32_b32 s63, s63
	s_delay_alu instid0(SALU_CYCLE_1)
	v_dual_mov_b32 v5, v3 :: v_dual_mov_b32 v4, s63
	s_wait_storecnt 0x0
	s_wait_loadcnt_dscnt 0x0
	ds_add_u64 v0, v[4:5]
	s_trap 2
.LBB4_17949:                            ;   in Loop: Header=BB4_17895 Depth=3
	s_or_b32 exec_lo, exec_lo, s43
	s_trap 2
	ds_load_b64 v[4:5], v0
	s_wait_dscnt 0x0
	v_add_nc_u64_e32 v[32:33], v[32:33], v[36:37]
	s_mov_b32 s43, exec_lo
	s_delay_alu instid0(VALU_DEP_1)
	v_cmpx_lt_u64_e64 v[4:5], v[32:33]
	s_cbranch_execz .LBB4_17958
; %bb.17950:                            ;   in Loop: Header=BB4_17895 Depth=3
	s_mov_b32 s63, 0
	s_mov_b32 s74, 0
                                        ; implicit-def: $sgpr72
                                        ; implicit-def: $sgpr73
	s_branch .LBB4_17952
.LBB4_17951:                            ;   in Loop: Header=BB4_17952 Depth=4
	s_or_b32 exec_lo, exec_lo, s76
	s_delay_alu instid0(SALU_CYCLE_1) | instskip(NEXT) | instid1(SALU_CYCLE_1)
	s_and_b32 s75, exec_lo, s77
	s_or_b32 s63, s75, s63
	s_and_not1_b32 s72, s72, exec_lo
	s_and_b32 s75, s73, exec_lo
	s_delay_alu instid0(SALU_CYCLE_1)
	s_or_b32 s72, s72, s75
	s_and_not1_b32 exec_lo, exec_lo, s63
	s_cbranch_execz .LBB4_17956
.LBB4_17952:                            ;   Parent Loop BB4_47 Depth=1
                                        ;     Parent Loop BB4_17715 Depth=2
                                        ;       Parent Loop BB4_17895 Depth=3
                                        ; =>      This Inner Loop Header: Depth=4
	s_add_co_i32 s74, s74, 1
	s_delay_alu instid0(SALU_CYCLE_1) | instskip(SKIP_1) | instid1(SALU_CYCLE_1)
	s_cmp_lg_u32 s74, 0x2710
	s_cselect_b32 s75, -1, 0
	s_and_b32 vcc_lo, exec_lo, s75
	s_cbranch_vccz .LBB4_17954
; %bb.17953:                            ;   in Loop: Header=BB4_17952 Depth=4
	s_mov_b32 s77, -1
	s_or_b32 s73, s73, exec_lo
	s_and_saveexec_b32 s76, s75
	s_cbranch_execz .LBB4_17951
	s_branch .LBB4_17955
.LBB4_17954:                            ;   in Loop: Header=BB4_17952 Depth=4
	s_trap 2
	ds_load_b64 v[4:5], v0
	s_and_not1_b32 s75, s75, exec_lo
	s_mov_b32 s74, 0
	s_wait_storecnt 0x0
	s_wait_loadcnt_dscnt 0x0
	flat_load_b32 v4, v[4:5] scope:SCOPE_SYS
	s_wait_loadcnt_dscnt 0x0
	global_inv scope:SCOPE_SYS
	v_cmp_eq_u32_e32 vcc_lo, 0, v4
	s_and_b32 s76, vcc_lo, exec_lo
	s_delay_alu instid0(SALU_CYCLE_1)
	s_or_b32 s75, s75, s76
	s_mov_b32 s77, -1
	s_or_b32 s73, s73, exec_lo
	s_and_saveexec_b32 s76, s75
	s_cbranch_execz .LBB4_17951
.LBB4_17955:                            ;   in Loop: Header=BB4_17952 Depth=4
	s_sleep 1
	s_trap 2
	ds_load_b64 v[4:5], v0
	s_wait_dscnt 0x0
	s_and_not1_b32 s73, s73, exec_lo
	v_cmp_ge_u64_e32 vcc_lo, v[4:5], v[32:33]
	s_or_not1_b32 s77, vcc_lo, exec_lo
	s_branch .LBB4_17951
.LBB4_17956:                            ;   in Loop: Header=BB4_17895 Depth=3
	s_or_b32 exec_lo, exec_lo, s63
	s_and_saveexec_b32 s63, s72
	s_delay_alu instid0(SALU_CYCLE_1)
	s_xor_b32 s63, exec_lo, s63
	s_cbranch_execz .LBB4_17958
; %bb.17957:                            ;   in Loop: Header=BB4_17895 Depth=3
	ds_store_b32 v0, v1
	s_trap 2
.LBB4_17958:                            ;   in Loop: Header=BB4_17895 Depth=3
	s_or_b32 exec_lo, exec_lo, s43
	;;#ASMSTART
	s_wakeup
	;;#ASMEND
.LBB4_17959:                            ;   in Loop: Header=BB4_17895 Depth=3
	s_or_b32 exec_lo, exec_lo, s42
.LBB4_17960:                            ;   in Loop: Header=BB4_17895 Depth=3
	s_and_not1_saveexec_b32 s29, s29
	s_cbranch_execz .LBB4_17962
; %bb.17961:                            ;   in Loop: Header=BB4_17895 Depth=3
	;;#ASMSTART
	s_waitcnt lgkmcnt(0) vmcnt(0)
	;;#ASMEND
	s_barrier_signal -1
	s_barrier_wait -1
.LBB4_17962:                            ;   in Loop: Header=BB4_17895 Depth=3
	s_or_b32 exec_lo, exec_lo, s29
	v_and_b32_e32 v4, 16, v126
.LBB4_17963:                            ;   in Loop: Header=BB4_17895 Depth=3
	s_or_b32 exec_lo, exec_lo, s13
	s_delay_alu instid0(VALU_DEP_1) | instskip(SKIP_1) | instid1(SALU_CYCLE_1)
	v_cmp_ne_u32_e32 vcc_lo, 0, v4
	s_xor_b32 s13, s4, -1
	s_and_b32 s29, vcc_lo, s13
	s_delay_alu instid0(SALU_CYCLE_1)
	s_and_saveexec_b32 s13, s29
	s_cbranch_execz .LBB4_17965
; %bb.17964:                            ;   in Loop: Header=BB4_17895 Depth=3
	global_wb scope:SCOPE_SYS
	s_wait_storecnt 0x0
	s_wait_loadcnt_dscnt 0x0
	flat_store_b32 v[28:29], v1 scope:SCOPE_SYS
.LBB4_17965:                            ;   in Loop: Header=BB4_17895 Depth=3
	s_wait_xcnt 0x0
	s_or_b32 exec_lo, exec_lo, s13
	v_and_b32_e32 v4, 48, v126
	s_mov_b32 s13, exec_lo
	s_delay_alu instid0(VALU_DEP_1)
	v_cmpx_ne_u32_e32 0, v4
	s_cbranch_execz .LBB4_17894
; %bb.17966:                            ;   in Loop: Header=BB4_17895 Depth=3
	v_add_nc_u64_e32 v[98:99], 2, v[98:99]
	global_wb scope:SCOPE_SYS
	s_wait_storecnt 0x0
	s_wait_loadcnt_dscnt 0x0
	flat_store_b64 v[22:23], v[98:99] scope:SCOPE_SYS
	s_branch .LBB4_17894
.LBB4_17967:                            ;   in Loop: Header=BB4_17715 Depth=2
	s_or_b32 exec_lo, exec_lo, s15
.LBB4_17968:                            ;   in Loop: Header=BB4_17715 Depth=2
	s_delay_alu instid0(SALU_CYCLE_1)
	s_or_b32 exec_lo, exec_lo, s14
	s_add_co_i32 s13, s18, 1
	s_cmp_eq_u32 s18, s59
	s_cbranch_scc1 .LBB4_17970
; %bb.17969:                            ;   in Loop: Header=BB4_17715 Depth=2
	s_mov_b32 s18, s13
	s_branch .LBB4_17715
.LBB4_17970:                            ;   in Loop: Header=BB4_47 Depth=1
	s_clause 0x1
	scratch_load_b64 v[10:11], off, s33 offset:204
	scratch_load_b64 v[8:9], off, s33 offset:196 th:TH_LOAD_LU
	s_wait_loadcnt 0x1
	v_mul_u64_e32 v[4:5], s[40:41], v[10:11]
	s_wait_loadcnt 0x0
	s_delay_alu instid0(VALU_DEP_1) | instskip(NEXT) | instid1(VALU_DEP_1)
	v_sub_nc_u64_e32 v[8:9], v[8:9], v[4:5]
	v_min_i64 v[8:9], v[10:11], v[8:9]
	s_delay_alu instid0(VALU_DEP_1) | instskip(SKIP_1) | instid1(VALU_DEP_2)
	v_max_i32_e32 v2, 0, v8
	v_cmp_lt_i32_e32 vcc_lo, 0, v8
	v_dual_mov_b32 v8, 0 :: v_dual_add_nc_u32 v9, 31, v2
	s_and_b32 s13, s60, vcc_lo
	s_delay_alu instid0(VALU_DEP_1) | instskip(NEXT) | instid1(VALU_DEP_1)
	v_lshrrev_b32_e32 v9, 1, v9
	v_and_b32_e32 v10, 0x3ffffff0, v9
	s_delay_alu instid0(VALU_DEP_1)
	v_dual_mov_b32 v9, 0 :: v_dual_max_i32 v18, s56, v10
	s_wait_xcnt 0x0
	s_and_saveexec_b32 s14, s13
	s_cbranch_execz .LBB4_18108
; %bb.17971:                            ;   in Loop: Header=BB4_47 Depth=1
	scratch_load_b64 v[8:9], off, s33 offset:188 th:TH_LOAD_LU ; 8-byte Folded Reload
	s_mov_b32 s29, 1
	s_mov_b32 s18, -1
	s_mov_b32 s15, 0
	s_wait_loadcnt 0x0
	v_add_nc_u64_e32 v[4:5], v[4:5], v[8:9]
	v_mov_b32_e32 v8, 0
	s_branch .LBB4_17973
.LBB4_17972:                            ;   in Loop: Header=BB4_17973 Depth=2
	s_wait_xcnt 0x0
	s_or_b32 exec_lo, exec_lo, s13
	v_dual_mov_b32 v9, s29 :: v_dual_add_nc_u32 v8, v18, v8
	s_xor_b32 s13, s18, -1
	s_mov_b32 s18, 0
	s_mov_b32 s29, 2
	s_delay_alu instid0(VALU_DEP_1) | instskip(SKIP_1) | instid1(SALU_CYCLE_1)
	v_cmp_ge_i32_e32 vcc_lo, v8, v2
	s_or_b32 s13, s13, vcc_lo
	s_and_b32 s13, exec_lo, s13
	s_delay_alu instid0(SALU_CYCLE_1) | instskip(NEXT) | instid1(SALU_CYCLE_1)
	s_or_b32 s15, s13, s15
	s_and_not1_b32 exec_lo, exec_lo, s15
	s_cbranch_execz .LBB4_18107
.LBB4_17973:                            ;   Parent Loop BB4_47 Depth=1
                                        ; =>  This Loop Header: Depth=2
                                        ;       Child Loop BB4_17981 Depth 3
                                        ;       Child Loop BB4_18005 Depth 3
	;; [unrolled: 1-line block ×9, first 2 shown]
	s_wait_xcnt 0x0
	s_and_saveexec_b32 s13, s0
	s_cbranch_execz .LBB4_17975
; %bb.17974:                            ;   in Loop: Header=BB4_17973 Depth=2
	s_trap 2
	ds_load_b128 v[10:13], v0
	s_wait_dscnt 0x0
	v_add_nc_u64_e32 v[14:15], v[12:13], v[4:5]
	v_cmp_ne_u64_e32 vcc_lo, 0, v[12:13]
	v_ashrrev_i32_e32 v9, 31, v8
	v_add_nc_u64_e32 v[10:11], v[10:11], v[4:5]
	s_delay_alu instid0(VALU_DEP_2) | instskip(NEXT) | instid1(VALU_DEP_1)
	v_add_nc_u64_e32 v[14:15], v[14:15], v[8:9]
	v_cndmask_b32_e32 v13, 0, v15, vcc_lo
	s_delay_alu instid0(VALU_DEP_3) | instskip(NEXT) | instid1(VALU_DEP_3)
	v_add_nc_u64_e32 v[10:11], v[10:11], v[8:9]
	v_cndmask_b32_e32 v12, 0, v14, vcc_lo
	ds_store_b64 v0, v[10:11]
	ds_store_b64 v0, v[12:13]
.LBB4_17975:                            ;   in Loop: Header=BB4_17973 Depth=2
	s_or_b32 exec_lo, exec_lo, s13
	v_and_b32_e32 v9, 4, v126
	s_mov_b32 s42, exec_lo
	s_delay_alu instid0(VALU_DEP_1)
	v_cmpx_ne_u32_e32 0, v9
	s_cbranch_execz .LBB4_17997
; %bb.17976:                            ;   in Loop: Header=BB4_17973 Depth=2
	v_add_nc_u64_e32 v[10:11], 2, v[98:99]
	s_mov_b32 s43, exec_lo
	s_wait_loadcnt_dscnt 0x1
	s_delay_alu instid0(VALU_DEP_1)
	v_cmpx_lt_u64_e64 v[34:35], v[10:11]
	s_cbranch_execz .LBB4_17988
; %bb.17977:                            ;   in Loop: Header=BB4_17973 Depth=2
	v_and_b32_e32 v9, 64, v126
	s_mov_b32 s63, 0
	s_mov_b32 s75, 0
                                        ; implicit-def: $sgpr72
                                        ; implicit-def: $sgpr73
                                        ; implicit-def: $sgpr74
	s_delay_alu instid0(VALU_DEP_1)
	v_cmp_eq_u32_e32 vcc_lo, 0, v9
	s_branch .LBB4_17981
.LBB4_17978:                            ;   in Loop: Header=BB4_17981 Depth=3
	s_wait_loadcnt_dscnt 0x0
	v_cmp_ge_u64_e64 s13, v[34:35], v[10:11]
	s_or_b32 s78, s78, exec_lo
	s_or_not1_b32 s77, s13, exec_lo
.LBB4_17979:                            ;   in Loop: Header=BB4_17981 Depth=3
	s_or_b32 exec_lo, exec_lo, s88
	s_delay_alu instid0(SALU_CYCLE_1)
	s_and_not1_b32 s13, s74, exec_lo
	s_and_b32 s74, s78, exec_lo
	s_and_not1_b32 s73, s73, exec_lo
	s_and_b32 s77, s77, exec_lo
	s_or_b32 s74, s13, s74
	s_or_b32 s73, s73, s77
.LBB4_17980:                            ;   in Loop: Header=BB4_17981 Depth=3
	s_or_b32 exec_lo, exec_lo, s76
	s_delay_alu instid0(SALU_CYCLE_1) | instskip(NEXT) | instid1(SALU_CYCLE_1)
	s_and_b32 s13, exec_lo, s73
	s_or_b32 s63, s13, s63
	s_and_not1_b32 s13, s72, exec_lo
	s_and_b32 s72, s74, exec_lo
	s_delay_alu instid0(SALU_CYCLE_1)
	s_or_b32 s72, s13, s72
	s_and_not1_b32 exec_lo, exec_lo, s63
	s_cbranch_execz .LBB4_17985
.LBB4_17981:                            ;   Parent Loop BB4_47 Depth=1
                                        ;     Parent Loop BB4_17973 Depth=2
                                        ; =>    This Inner Loop Header: Depth=3
	s_sleep 1
	s_wait_loadcnt_dscnt 0x0
	flat_load_b64 v[34:35], v[22:23] scope:SCOPE_SYS
	s_or_b32 s74, s74, exec_lo
	s_or_b32 s73, s73, exec_lo
                                        ; implicit-def: $vgpr9
	s_wait_xcnt 0x0
	s_and_saveexec_b32 s76, vcc_lo
	s_cbranch_execz .LBB4_17980
; %bb.17982:                            ;   in Loop: Header=BB4_17981 Depth=3
	s_cmp_lt_i32 s75, 0x270f
	s_mov_b32 s77, -1
	s_cselect_b32 s79, -1, 0
	s_cmp_gt_i32 s75, 0x270e
	s_cbranch_scc0 .LBB4_17984
; %bb.17983:                            ;   in Loop: Header=BB4_17981 Depth=3
	s_trap 2
	ds_load_b64 v[12:13], v0
	s_and_not1_b32 s75, s79, exec_lo
	s_mov_b32 s78, 0
	s_wait_storecnt 0x0
	s_wait_loadcnt_dscnt 0x0
	flat_load_b32 v9, v[12:13] scope:SCOPE_SYS
	s_wait_loadcnt_dscnt 0x0
	global_inv scope:SCOPE_SYS
	v_cmp_eq_u32_e64 s13, 0, v9
	s_and_b32 s13, s13, exec_lo
	s_delay_alu instid0(SALU_CYCLE_1)
	s_or_b32 s79, s75, s13
	s_mov_b32 s75, 0
	s_and_saveexec_b32 s88, s79
	s_cbranch_execz .LBB4_17979
	s_branch .LBB4_17978
.LBB4_17984:                            ;   in Loop: Header=BB4_17981 Depth=3
	s_add_co_i32 s75, s75, 1
	s_mov_b32 s78, -1
                                        ; implicit-def: $vgpr9
	s_and_saveexec_b32 s88, s79
	s_cbranch_execz .LBB4_17979
	s_branch .LBB4_17978
.LBB4_17985:                            ;   in Loop: Header=BB4_17973 Depth=2
	s_or_b32 exec_lo, exec_lo, s63
	s_xor_b32 s13, s72, -1
	s_delay_alu instid0(SALU_CYCLE_1) | instskip(NEXT) | instid1(SALU_CYCLE_1)
	s_and_saveexec_b32 s63, s13
	s_xor_b32 s13, exec_lo, s63
	s_cbranch_execz .LBB4_17987
; %bb.17986:                            ;   in Loop: Header=BB4_17973 Depth=2
	v_or_b32_e32 v126, 64, v126
	s_wait_storecnt 0x0
	s_wait_loadcnt_dscnt 0x0
	ds_store_b32 v0, v9
	s_trap 2
.LBB4_17987:                            ;   in Loop: Header=BB4_17973 Depth=2
	s_or_b32 exec_lo, exec_lo, s13
.LBB4_17988:                            ;   in Loop: Header=BB4_17973 Depth=2
	s_delay_alu instid0(SALU_CYCLE_1)
	s_or_b32 exec_lo, exec_lo, s43
	v_and_b32_e32 v9, 0x100, v126
	v_dual_mov_b32 v13, v3 :: v_dual_bitop2_b32 v12, 7, v98 bitop3:0x40
	s_mov_b32 s13, -1
	s_mov_b32 s43, exec_lo
	;;#ASMSTART
	s_wakeup
	;;#ASMEND
                                        ; implicit-def: $vgpr14_vgpr15
	v_cmpx_ne_u32_e32 0, v9
	s_cbranch_execz .LBB4_17992
; %bb.17989:                            ;   in Loop: Header=BB4_17973 Depth=2
	v_mad_nc_u64_u32 v[16:17], v12, 24, v[6:7]
	s_mov_b32 s63, exec_lo
                                        ; implicit-def: $vgpr14_vgpr15
	flat_load_b32 v9, v[16:17]
	s_wait_loadcnt_dscnt 0x0
	v_cmp_ne_u32_e32 vcc_lo, 1, v9
	s_wait_xcnt 0x0
	v_cmpx_eq_u32_e32 1, v9
	s_cbranch_execz .LBB4_17991
; %bb.17990:                            ;   in Loop: Header=BB4_17973 Depth=2
	flat_load_b32 v14, v[16:17] offset:4 scope:SCOPE_SYS
	s_wait_loadcnt_dscnt 0x0
	v_ashrrev_i32_e32 v15, 31, v14
.LBB4_17991:                            ;   in Loop: Header=BB4_17973 Depth=2
	s_wait_xcnt 0x0
	s_or_b32 exec_lo, exec_lo, s63
	s_delay_alu instid0(SALU_CYCLE_1)
	s_or_not1_b32 s13, vcc_lo, exec_lo
.LBB4_17992:                            ;   in Loop: Header=BB4_17973 Depth=2
	s_or_b32 exec_lo, exec_lo, s43
	s_and_saveexec_b32 s43, s13
; %bb.17993:                            ;   in Loop: Header=BB4_17973 Depth=2
	v_mul_u64_e32 v[14:15], v[12:13], v[24:25]
; %bb.17994:                            ;   in Loop: Header=BB4_17973 Depth=2
	s_or_b32 exec_lo, exec_lo, s43
	s_delay_alu instid0(VALU_DEP_1)
	v_add_nc_u64_e32 v[12:13], v[26:27], v[14:15]
	v_and_b32_e32 v9, 0x2000, v126
	s_mov_b32 s13, exec_lo
	ds_store_b64 v0, v[12:13] offset:720
	v_cmpx_ne_u32_e32 0, v9
	s_cbranch_execz .LBB4_17996
; %bb.17995:                            ;   in Loop: Header=BB4_17973 Depth=2
	ds_load_b64 v[12:13], v0 offset:872
	s_wait_dscnt 0x0
	v_add_nc_u64_e32 v[12:13], 1, v[12:13]
	ds_store_b64 v0, v[12:13] offset:872
.LBB4_17996:                            ;   in Loop: Header=BB4_17973 Depth=2
	s_or_b32 exec_lo, exec_lo, s13
	v_mov_b64_e32 v[98:99], v[10:11]
.LBB4_17997:                            ;   in Loop: Header=BB4_17973 Depth=2
	s_or_b32 exec_lo, exec_lo, s42
	s_and_saveexec_b32 s13, s2
	s_cbranch_execz .LBB4_18016
; %bb.17998:                            ;   in Loop: Header=BB4_17973 Depth=2
	s_and_saveexec_b32 s42, s3
	s_delay_alu instid0(SALU_CYCLE_1)
	s_xor_b32 s42, exec_lo, s42
	s_cbranch_execz .LBB4_18013
; %bb.17999:                            ;   in Loop: Header=BB4_17973 Depth=2
	s_and_saveexec_b32 s43, s6
	s_cbranch_execz .LBB4_18012
; %bb.18000:                            ;   in Loop: Header=BB4_17973 Depth=2
	s_mov_b32 s72, exec_lo
	s_mov_b32 s63, exec_lo
	v_mbcnt_lo_u32_b32 v9, s72, 0
	global_wb scope:SCOPE_DEV
	s_wait_storecnt 0x0
	s_wait_loadcnt_dscnt 0x0
	global_inv scope:SCOPE_DEV
	v_cmpx_eq_u32_e32 0, v9
	s_cbranch_execz .LBB4_18002
; %bb.18001:                            ;   in Loop: Header=BB4_17973 Depth=2
	s_bcnt1_i32_b32 s72, s72
	s_delay_alu instid0(SALU_CYCLE_1)
	v_dual_mov_b32 v11, v3 :: v_dual_mov_b32 v10, s72
	s_wait_loadcnt 0x0
	ds_add_u64 v0, v[10:11]
	s_trap 2
.LBB4_18002:                            ;   in Loop: Header=BB4_17973 Depth=2
	s_or_b32 exec_lo, exec_lo, s63
	s_trap 2
	ds_load_b64 v[10:11], v0
	s_wait_dscnt 0x0
	v_add_nc_u64_e32 v[32:33], v[32:33], v[36:37]
	s_mov_b32 s63, exec_lo
	s_delay_alu instid0(VALU_DEP_1)
	v_cmpx_lt_u64_e64 v[10:11], v[32:33]
	s_cbranch_execz .LBB4_18011
; %bb.18003:                            ;   in Loop: Header=BB4_17973 Depth=2
	s_mov_b32 s72, 0
	s_mov_b32 s75, 0
                                        ; implicit-def: $sgpr73
                                        ; implicit-def: $sgpr74
	s_branch .LBB4_18005
.LBB4_18004:                            ;   in Loop: Header=BB4_18005 Depth=3
	s_or_b32 exec_lo, exec_lo, s77
	s_delay_alu instid0(SALU_CYCLE_1) | instskip(NEXT) | instid1(SALU_CYCLE_1)
	s_and_b32 s76, exec_lo, s78
	s_or_b32 s72, s76, s72
	s_and_not1_b32 s73, s73, exec_lo
	s_and_b32 s76, s74, exec_lo
	s_delay_alu instid0(SALU_CYCLE_1)
	s_or_b32 s73, s73, s76
	s_and_not1_b32 exec_lo, exec_lo, s72
	s_cbranch_execz .LBB4_18009
.LBB4_18005:                            ;   Parent Loop BB4_47 Depth=1
                                        ;     Parent Loop BB4_17973 Depth=2
                                        ; =>    This Inner Loop Header: Depth=3
	s_add_co_i32 s75, s75, 1
	s_delay_alu instid0(SALU_CYCLE_1) | instskip(SKIP_1) | instid1(SALU_CYCLE_1)
	s_cmp_lg_u32 s75, 0x2710
	s_cselect_b32 s76, -1, 0
	s_and_b32 vcc_lo, exec_lo, s76
	s_cbranch_vccz .LBB4_18007
; %bb.18006:                            ;   in Loop: Header=BB4_18005 Depth=3
	s_mov_b32 s78, -1
	s_or_b32 s74, s74, exec_lo
	s_and_saveexec_b32 s77, s76
	s_cbranch_execz .LBB4_18004
	s_branch .LBB4_18008
.LBB4_18007:                            ;   in Loop: Header=BB4_18005 Depth=3
	s_trap 2
	ds_load_b64 v[10:11], v0
	s_and_not1_b32 s76, s76, exec_lo
	s_mov_b32 s75, 0
	s_wait_loadcnt_dscnt 0x0
	flat_load_b32 v9, v[10:11] scope:SCOPE_SYS
	s_wait_loadcnt_dscnt 0x0
	global_inv scope:SCOPE_SYS
	v_cmp_eq_u32_e32 vcc_lo, 0, v9
	s_and_b32 s77, vcc_lo, exec_lo
	s_delay_alu instid0(SALU_CYCLE_1)
	s_or_b32 s76, s76, s77
	s_mov_b32 s78, -1
	s_or_b32 s74, s74, exec_lo
	s_and_saveexec_b32 s77, s76
	s_cbranch_execz .LBB4_18004
.LBB4_18008:                            ;   in Loop: Header=BB4_18005 Depth=3
	s_sleep 1
	s_trap 2
	ds_load_b64 v[10:11], v0
	s_wait_dscnt 0x0
	s_and_not1_b32 s74, s74, exec_lo
	v_cmp_ge_u64_e32 vcc_lo, v[10:11], v[32:33]
	s_or_not1_b32 s78, vcc_lo, exec_lo
	s_branch .LBB4_18004
.LBB4_18009:                            ;   in Loop: Header=BB4_17973 Depth=2
	s_or_b32 exec_lo, exec_lo, s72
	s_and_saveexec_b32 s72, s73
	s_delay_alu instid0(SALU_CYCLE_1)
	s_xor_b32 s72, exec_lo, s72
	s_cbranch_execz .LBB4_18011
; %bb.18010:                            ;   in Loop: Header=BB4_17973 Depth=2
	ds_store_b32 v0, v1
	s_trap 2
.LBB4_18011:                            ;   in Loop: Header=BB4_17973 Depth=2
	s_or_b32 exec_lo, exec_lo, s63
	;;#ASMSTART
	s_wakeup
	;;#ASMEND
.LBB4_18012:                            ;   in Loop: Header=BB4_17973 Depth=2
	s_or_b32 exec_lo, exec_lo, s43
.LBB4_18013:                            ;   in Loop: Header=BB4_17973 Depth=2
	s_and_not1_saveexec_b32 s42, s42
	s_cbranch_execz .LBB4_18015
; %bb.18014:                            ;   in Loop: Header=BB4_17973 Depth=2
	global_wb scope:SCOPE_DEV
	s_wait_storecnt 0x0
	s_wait_loadcnt_dscnt 0x0
	global_inv scope:SCOPE_DEV
	s_barrier_signal -1
	s_barrier_wait -1
.LBB4_18015:                            ;   in Loop: Header=BB4_17973 Depth=2
	s_or_b32 exec_lo, exec_lo, s42
.LBB4_18016:                            ;   in Loop: Header=BB4_17973 Depth=2
	s_delay_alu instid0(SALU_CYCLE_1) | instskip(SKIP_4) | instid1(VALU_DEP_1)
	s_or_b32 exec_lo, exec_lo, s13
	s_trap 2
	ds_load_b32 v9, v0
	v_and_b32_e32 v10, 0x4000, v126
	s_xor_b32 s13, s1, -1
	v_cmp_ne_u32_e32 vcc_lo, 0, v10
	s_and_b32 s42, s13, vcc_lo
	s_delay_alu instid0(SALU_CYCLE_1)
	s_and_saveexec_b32 s13, s42
	s_cbranch_execz .LBB4_18035
; %bb.18017:                            ;   in Loop: Header=BB4_17973 Depth=2
	s_and_saveexec_b32 s42, s3
	s_delay_alu instid0(SALU_CYCLE_1)
	s_xor_b32 s42, exec_lo, s42
	s_cbranch_execz .LBB4_18032
; %bb.18018:                            ;   in Loop: Header=BB4_17973 Depth=2
	s_and_saveexec_b32 s43, s6
	s_cbranch_execz .LBB4_18031
; %bb.18019:                            ;   in Loop: Header=BB4_17973 Depth=2
	s_mov_b32 s72, exec_lo
	s_mov_b32 s63, exec_lo
	v_mbcnt_lo_u32_b32 v10, s72, 0
	global_wb scope:SCOPE_DEV
	s_wait_storecnt 0x0
	s_wait_loadcnt_dscnt 0x0
	global_inv scope:SCOPE_DEV
	v_cmpx_eq_u32_e32 0, v10
	s_cbranch_execz .LBB4_18021
; %bb.18020:                            ;   in Loop: Header=BB4_17973 Depth=2
	s_bcnt1_i32_b32 s72, s72
	s_delay_alu instid0(SALU_CYCLE_1)
	v_dual_mov_b32 v11, v3 :: v_dual_mov_b32 v10, s72
	s_wait_loadcnt 0x0
	ds_add_u64 v0, v[10:11]
	s_trap 2
.LBB4_18021:                            ;   in Loop: Header=BB4_17973 Depth=2
	s_or_b32 exec_lo, exec_lo, s63
	s_trap 2
	ds_load_b64 v[10:11], v0
	s_wait_dscnt 0x0
	v_add_nc_u64_e32 v[32:33], v[32:33], v[36:37]
	s_mov_b32 s63, exec_lo
	s_delay_alu instid0(VALU_DEP_1)
	v_cmpx_lt_u64_e64 v[10:11], v[32:33]
	s_cbranch_execz .LBB4_18030
; %bb.18022:                            ;   in Loop: Header=BB4_17973 Depth=2
	s_mov_b32 s72, 0
	s_mov_b32 s75, 0
                                        ; implicit-def: $sgpr73
                                        ; implicit-def: $sgpr74
	s_branch .LBB4_18024
.LBB4_18023:                            ;   in Loop: Header=BB4_18024 Depth=3
	s_or_b32 exec_lo, exec_lo, s77
	s_delay_alu instid0(SALU_CYCLE_1) | instskip(NEXT) | instid1(SALU_CYCLE_1)
	s_and_b32 s76, exec_lo, s78
	s_or_b32 s72, s76, s72
	s_and_not1_b32 s73, s73, exec_lo
	s_and_b32 s76, s74, exec_lo
	s_delay_alu instid0(SALU_CYCLE_1)
	s_or_b32 s73, s73, s76
	s_and_not1_b32 exec_lo, exec_lo, s72
	s_cbranch_execz .LBB4_18028
.LBB4_18024:                            ;   Parent Loop BB4_47 Depth=1
                                        ;     Parent Loop BB4_17973 Depth=2
                                        ; =>    This Inner Loop Header: Depth=3
	s_add_co_i32 s75, s75, 1
	s_delay_alu instid0(SALU_CYCLE_1) | instskip(SKIP_1) | instid1(SALU_CYCLE_1)
	s_cmp_lg_u32 s75, 0x2710
	s_cselect_b32 s76, -1, 0
	s_and_b32 vcc_lo, exec_lo, s76
	s_cbranch_vccz .LBB4_18026
; %bb.18025:                            ;   in Loop: Header=BB4_18024 Depth=3
	s_mov_b32 s78, -1
	s_or_b32 s74, s74, exec_lo
	s_and_saveexec_b32 s77, s76
	s_cbranch_execz .LBB4_18023
	s_branch .LBB4_18027
.LBB4_18026:                            ;   in Loop: Header=BB4_18024 Depth=3
	s_trap 2
	ds_load_b64 v[10:11], v0
	s_and_not1_b32 s76, s76, exec_lo
	s_mov_b32 s75, 0
	s_wait_loadcnt_dscnt 0x0
	flat_load_b32 v10, v[10:11] scope:SCOPE_SYS
	s_wait_loadcnt_dscnt 0x0
	global_inv scope:SCOPE_SYS
	v_cmp_eq_u32_e32 vcc_lo, 0, v10
	s_and_b32 s77, vcc_lo, exec_lo
	s_delay_alu instid0(SALU_CYCLE_1)
	s_or_b32 s76, s76, s77
	s_mov_b32 s78, -1
	s_or_b32 s74, s74, exec_lo
	s_and_saveexec_b32 s77, s76
	s_cbranch_execz .LBB4_18023
.LBB4_18027:                            ;   in Loop: Header=BB4_18024 Depth=3
	s_sleep 1
	s_trap 2
	ds_load_b64 v[10:11], v0
	s_wait_dscnt 0x0
	s_and_not1_b32 s74, s74, exec_lo
	v_cmp_ge_u64_e32 vcc_lo, v[10:11], v[32:33]
	s_or_not1_b32 s78, vcc_lo, exec_lo
	s_branch .LBB4_18023
.LBB4_18028:                            ;   in Loop: Header=BB4_17973 Depth=2
	s_or_b32 exec_lo, exec_lo, s72
	s_and_saveexec_b32 s72, s73
	s_delay_alu instid0(SALU_CYCLE_1)
	s_xor_b32 s72, exec_lo, s72
	s_cbranch_execz .LBB4_18030
; %bb.18029:                            ;   in Loop: Header=BB4_17973 Depth=2
	ds_store_b32 v0, v1
	s_trap 2
.LBB4_18030:                            ;   in Loop: Header=BB4_17973 Depth=2
	s_or_b32 exec_lo, exec_lo, s63
	;;#ASMSTART
	s_wakeup
	;;#ASMEND
.LBB4_18031:                            ;   in Loop: Header=BB4_17973 Depth=2
	s_or_b32 exec_lo, exec_lo, s43
.LBB4_18032:                            ;   in Loop: Header=BB4_17973 Depth=2
	s_and_not1_saveexec_b32 s42, s42
	s_cbranch_execz .LBB4_18034
; %bb.18033:                            ;   in Loop: Header=BB4_17973 Depth=2
	global_wb scope:SCOPE_DEV
	s_wait_storecnt 0x0
	s_wait_loadcnt_dscnt 0x0
	global_inv scope:SCOPE_DEV
	s_barrier_signal -1
	s_barrier_wait -1
.LBB4_18034:                            ;   in Loop: Header=BB4_17973 Depth=2
	s_or_b32 exec_lo, exec_lo, s42
.LBB4_18035:                            ;   in Loop: Header=BB4_17973 Depth=2
	s_delay_alu instid0(SALU_CYCLE_1) | instskip(SKIP_3) | instid1(VALU_DEP_1)
	s_or_b32 exec_lo, exec_lo, s13
	s_trap 2
	ds_load_b64 v[10:11], v0
	v_sub_nc_u32_e32 v12, v2, v8
	v_min_i32_e32 v18, v18, v12
	s_wait_dscnt 0x0
	v_cmp_eq_u64_e32 vcc_lo, 0, v[10:11]
	s_cbranch_vccnz .LBB4_18043
; %bb.18036:                            ;   in Loop: Header=BB4_17973 Depth=2
	s_trap 2
	ds_load_b64 v[12:13], v0
	s_wait_dscnt 0x0
	v_cmp_eq_u64_e32 vcc_lo, 0, v[12:13]
	s_cbranch_vccnz .LBB4_18043
; %bb.18037:                            ;   in Loop: Header=BB4_17973 Depth=2
	s_mov_b32 s13, -1
	s_and_saveexec_b32 s42, s10
	s_cbranch_execz .LBB4_18039
; %bb.18038:                            ;   in Loop: Header=BB4_17973 Depth=2
	ds_load_b32 v14, v0 offset:720
	s_wait_dscnt 0x0
	v_and_b32_e32 v14, 15, v14
	s_delay_alu instid0(VALU_DEP_1)
	v_cmp_eq_u32_e32 vcc_lo, 0, v14
	s_or_not1_b32 s13, vcc_lo, exec_lo
.LBB4_18039:                            ;   in Loop: Header=BB4_17973 Depth=2
	s_or_b32 exec_lo, exec_lo, s42
	s_and_saveexec_b32 s42, s7
	s_cbranch_execz .LBB4_18041
; %bb.18040:                            ;   in Loop: Header=BB4_17973 Depth=2
	ds_load_b32 v14, v0 offset:784
	s_wait_dscnt 0x0
	v_and_b32_e32 v14, 15, v14
	s_delay_alu instid0(VALU_DEP_1) | instskip(SKIP_3) | instid1(SALU_CYCLE_1)
	v_cmp_eq_u32_e32 vcc_lo, 0, v14
	s_and_b32 s43, s13, vcc_lo
	s_and_not1_b32 s13, s13, exec_lo
	s_and_b32 s43, s43, exec_lo
	s_or_b32 s13, s13, s43
.LBB4_18041:                            ;   in Loop: Header=BB4_17973 Depth=2
	s_or_b32 exec_lo, exec_lo, s42
	v_cmp_eq_u32_e32 vcc_lo, 0, v9
	s_xor_b32 s13, s13, -1
	s_mov_b32 s43, -1
	v_cndmask_b32_e64 v14, 0, 1, s13
	v_dual_mov_b32 v16, 0 :: v_dual_cndmask_b32 v9, 0, v18
	v_mov_b32_e32 v19, v0
	s_delay_alu instid0(VALU_DEP_3) | instskip(NEXT) | instid1(VALU_DEP_3)
	v_cmp_ne_u32_e32 vcc_lo, 0, v14
	v_mov_b32_e32 v17, v9
	s_cbranch_vccz .LBB4_18048
; %bb.18042:                            ;   in Loop: Header=BB4_17973 Depth=2
	s_and_saveexec_b32 s13, s43
	s_cbranch_execnz .LBB4_18059
	s_branch .LBB4_18067
.LBB4_18043:                            ;   in Loop: Header=BB4_17973 Depth=2
	s_mov_b32 s13, 0
	s_and_saveexec_b32 s42, s2
	s_cbranch_execnz .LBB4_18068
.LBB4_18044:                            ;   in Loop: Header=BB4_17973 Depth=2
	s_or_b32 exec_lo, exec_lo, s42
	s_and_saveexec_b32 s42, s12
	s_delay_alu instid0(SALU_CYCLE_1)
	s_xor_b32 s42, exec_lo, s42
	s_cbranch_execz .LBB4_18086
.LBB4_18045:                            ;   in Loop: Header=BB4_17973 Depth=2
	v_and_b32_e32 v9, 16, v126
	s_delay_alu instid0(VALU_DEP_1) | instskip(SKIP_1) | instid1(SALU_CYCLE_1)
	v_cmp_ne_u32_e32 vcc_lo, 0, v9
	s_and_b32 s43, vcc_lo, s13
	s_and_saveexec_b32 s13, s43
	s_cbranch_execz .LBB4_18047
; %bb.18046:                            ;   in Loop: Header=BB4_17973 Depth=2
	global_wb scope:SCOPE_SYS
	s_wait_storecnt 0x0
	s_wait_loadcnt_dscnt 0x0
	global_inv scope:SCOPE_SYS
.LBB4_18047:                            ;   in Loop: Header=BB4_17973 Depth=2
	s_or_b32 exec_lo, exec_lo, s13
	s_and_not1_saveexec_b32 s13, s42
	s_cbranch_execz .LBB4_18105
	s_branch .LBB4_18087
.LBB4_18048:                            ;   in Loop: Header=BB4_17973 Depth=2
	v_ashrrev_i32_e32 v14, 31, v9
	s_mov_b32 s13, exec_lo
	s_delay_alu instid0(VALU_DEP_1) | instskip(NEXT) | instid1(VALU_DEP_1)
	v_lshrrev_b32_e32 v14, 21, v14
	v_add_nc_u32_e32 v14, v9, v14
	s_delay_alu instid0(VALU_DEP_1) | instskip(NEXT) | instid1(VALU_DEP_1)
	v_dual_ashrrev_i32 v19, 11, v14 :: v_dual_lshrrev_b32 v14, 5, v0
	v_sub_nc_u32_e32 v21, v19, v14
	s_delay_alu instid0(VALU_DEP_1)
	v_cmpx_lt_i32_e32 0, v21
	s_cbranch_execz .LBB4_18052
; %bb.18049:                            ;   in Loop: Header=BB4_17973 Depth=2
	v_mov_b64_e32 v[14:15], v[12:13]
	v_mov_b64_e32 v[16:17], v[10:11]
	s_mov_b32 s42, 0
.LBB4_18050:                            ;   Parent Loop BB4_47 Depth=1
                                        ;     Parent Loop BB4_17973 Depth=2
                                        ; =>    This Inner Loop Header: Depth=3
	s_delay_alu instid0(VALU_DEP_1)
	v_add_nc_u64_e32 v[30:31], v[80:81], v[16:17]
	v_sub_nc_u32_e32 v21, v21, v36
	v_add_nc_u64_e32 v[16:17], v[16:17], v[52:53]
	s_clause 0x3
	global_load_b128 v[64:67], v[30:31], off th:TH_LOAD_NT
	global_load_b128 v[100:103], v[30:31], off offset:512 th:TH_LOAD_NT
	global_load_b128 v[112:115], v[30:31], off offset:1024 th:TH_LOAD_NT
	;; [unrolled: 1-line block ×3, first 2 shown]
	s_wait_xcnt 0x0
	v_add_nc_u64_e32 v[30:31], v[80:81], v[14:15]
	v_cmp_gt_i32_e32 vcc_lo, 1, v21
	v_add_nc_u64_e32 v[14:15], v[14:15], v[52:53]
	s_wait_loadcnt 0x3
	global_store_b128 v[30:31], v[64:67], off th:TH_STORE_NT
	s_wait_loadcnt 0x2
	global_store_b128 v[30:31], v[100:103], off offset:512 th:TH_STORE_NT
	s_wait_loadcnt 0x1
	global_store_b128 v[30:31], v[112:115], off offset:1024 th:TH_STORE_NT
	;; [unrolled: 2-line block ×3, first 2 shown]
	s_or_b32 s42, vcc_lo, s42
	s_wait_xcnt 0x0
	s_and_not1_b32 exec_lo, exec_lo, s42
	s_cbranch_execnz .LBB4_18050
; %bb.18051:                            ;   in Loop: Header=BB4_17973 Depth=2
	s_or_b32 exec_lo, exec_lo, s42
.LBB4_18052:                            ;   in Loop: Header=BB4_17973 Depth=2
	s_delay_alu instid0(SALU_CYCLE_1) | instskip(SKIP_3) | instid1(VALU_DEP_1)
	s_or_b32 exec_lo, exec_lo, s13
	v_dual_lshlrev_b32 v20, 11, v19 :: v_dual_mov_b32 v16, 0
	s_mov_b32 s43, 0
	s_mov_b32 s42, exec_lo
                                        ; implicit-def: $vgpr17
                                        ; implicit-def: $vgpr19
	v_cmpx_ne_u32_e64 v9, v20
	s_cbranch_execz .LBB4_18058
; %bb.18053:                            ;   in Loop: Header=BB4_17973 Depth=2
	v_dual_lshlrev_b32 v14, 5, v21 :: v_dual_bitop2_b32 v15, 31, v0 bitop3:0x40
	s_mov_b32 s43, exec_lo
	s_delay_alu instid0(VALU_DEP_1) | instskip(NEXT) | instid1(VALU_DEP_1)
	v_dual_sub_nc_u32 v21, v9, v20 :: v_dual_sub_nc_u32 v14, v15, v14
	v_dual_ashrrev_i32 v16, 31, v21 :: v_dual_ashrrev_i32 v15, 31, v14
	s_delay_alu instid0(VALU_DEP_1) | instskip(NEXT) | instid1(VALU_DEP_1)
	v_dual_lshrrev_b32 v16, 23, v16 :: v_dual_lshrrev_b32 v15, 27, v15
	v_dual_add_nc_u32 v30, v21, v16 :: v_dual_add_nc_u32 v15, v14, v15
	s_delay_alu instid0(VALU_DEP_1) | instskip(NEXT) | instid1(VALU_DEP_2)
	v_and_b32_e32 v16, 0xfffffe00, v30
	v_and_b32_e32 v17, 0xffffffe0, v15
	v_dual_ashrrev_i32 v15, 5, v15 :: v_dual_ashrrev_i32 v30, 9, v30
	s_delay_alu instid0(VALU_DEP_2) | instskip(NEXT) | instid1(VALU_DEP_1)
	v_dual_sub_nc_u32 v19, v14, v17 :: v_dual_sub_nc_u32 v17, v21, v16
	v_lshlrev_b32_e32 v14, 4, v19
	s_delay_alu instid0(VALU_DEP_2) | instskip(NEXT) | instid1(VALU_DEP_2)
	v_cmp_lt_i32_e32 vcc_lo, 15, v17
	v_lshl_add_u32 v14, v15, 9, v14
	v_add_co_ci_u32_e64 v31, null, 0, v30, vcc_lo
	s_delay_alu instid0(VALU_DEP_1) | instskip(NEXT) | instid1(VALU_DEP_1)
	v_dual_sub_nc_u32 v30, v21, v14 :: v_dual_sub_nc_u32 v21, v31, v15
	v_cmpx_lt_i32_e32 15, v30
	s_cbranch_execz .LBB4_18057
; %bb.18054:                            ;   in Loop: Header=BB4_17973 Depth=2
	v_add_nc_u32_e32 v14, v14, v20
	s_mov_b32 s63, 0
	s_delay_alu instid0(VALU_DEP_1)
	v_ashrrev_i32_e32 v15, 31, v14
.LBB4_18055:                            ;   Parent Loop BB4_47 Depth=1
                                        ;     Parent Loop BB4_17973 Depth=2
                                        ; =>    This Inner Loop Header: Depth=3
	s_delay_alu instid0(VALU_DEP_1) | instskip(SKIP_1) | instid1(VALU_DEP_1)
	v_add_nc_u64_e32 v[50:51], v[10:11], v[14:15]
	v_dual_sub_nc_u32 v30, v30, v54 :: v_dual_sub_nc_u32 v21, v21, v36
	v_cmp_gt_i32_e64 s13, 16, v30
	global_load_b128 v[64:67], v[50:51], off th:TH_LOAD_NT
	s_wait_xcnt 0x0
	v_add_nc_u64_e32 v[50:51], v[12:13], v[14:15]
	v_add_nc_u64_e32 v[14:15], v[14:15], v[54:55]
	s_or_b32 s63, s13, s63
	s_wait_loadcnt 0x0
	global_store_b128 v[50:51], v[64:67], off th:TH_STORE_NT
	s_wait_xcnt 0x0
	s_and_not1_b32 exec_lo, exec_lo, s63
	s_cbranch_execnz .LBB4_18055
; %bb.18056:                            ;   in Loop: Header=BB4_17973 Depth=2
	s_or_b32 exec_lo, exec_lo, s63
.LBB4_18057:                            ;   in Loop: Header=BB4_17973 Depth=2
	s_delay_alu instid0(SALU_CYCLE_1) | instskip(NEXT) | instid1(VALU_DEP_2)
	s_or_b32 exec_lo, exec_lo, s43
	v_cmp_lt_i32_e64 s13, 0, v21
	s_delay_alu instid0(VALU_DEP_1) | instskip(NEXT) | instid1(VALU_DEP_1)
	v_dual_cndmask_b32 v30, 0, v36, s13 :: v_dual_bitop2_b32 v14, 15, v9 bitop3:0x40
	v_dual_sub_nc_u32 v15, v17, v14 :: v_dual_cndmask_b32 v17, v17, v14, vcc_lo
	s_delay_alu instid0(VALU_DEP_1) | instskip(NEXT) | instid1(VALU_DEP_2)
	v_dual_cndmask_b32 v14, 0, v15 :: v_dual_sub_nc_u32 v15, v30, v21
	v_cmp_ne_u32_e32 vcc_lo, 0, v17
	s_delay_alu instid0(VALU_DEP_2) | instskip(NEXT) | instid1(VALU_DEP_3)
	v_add3_u32 v16, v16, v20, v14
	v_lshl_add_u32 v19, v15, 5, v19
	s_and_b32 s43, vcc_lo, exec_lo
.LBB4_18058:                            ;   in Loop: Header=BB4_17973 Depth=2
	s_or_b32 exec_lo, exec_lo, s42
	s_and_saveexec_b32 s13, s43
	s_cbranch_execz .LBB4_18067
.LBB4_18059:                            ;   in Loop: Header=BB4_17973 Depth=2
	v_dual_ashrrev_i32 v14, 31, v19 :: v_dual_ashrrev_i32 v15, 31, v17
	s_mov_b32 s42, exec_lo
	s_delay_alu instid0(VALU_DEP_1) | instskip(NEXT) | instid1(VALU_DEP_1)
	v_dual_lshrrev_b32 v14, 27, v14 :: v_dual_lshrrev_b32 v15, 23, v15
	v_dual_add_nc_u32 v14, v19, v14 :: v_dual_add_nc_u32 v15, v17, v15
	s_delay_alu instid0(VALU_DEP_1) | instskip(NEXT) | instid1(VALU_DEP_1)
	v_dual_ashrrev_i32 v20, 5, v14 :: v_dual_ashrrev_i32 v30, 9, v15
	v_sub_nc_u32_e32 v21, v30, v20
	s_delay_alu instid0(VALU_DEP_1)
	v_cmpx_lt_i32_e32 0, v21
	s_cbranch_execz .LBB4_18063
; %bb.18060:                            ;   in Loop: Header=BB4_17973 Depth=2
	v_and_b32_e32 v14, 0xffffffe0, v14
	s_mov_b32 s43, 0
	s_delay_alu instid0(VALU_DEP_1) | instskip(NEXT) | instid1(VALU_DEP_1)
	v_dual_lshlrev_b32 v15, 9, v20 :: v_dual_sub_nc_u32 v14, v19, v14
	v_add3_u32 v14, v16, v14, v15
	s_delay_alu instid0(VALU_DEP_1)
	v_ashrrev_i32_e32 v15, 31, v14
.LBB4_18061:                            ;   Parent Loop BB4_47 Depth=1
                                        ;     Parent Loop BB4_17973 Depth=2
                                        ; =>    This Inner Loop Header: Depth=3
	s_delay_alu instid0(VALU_DEP_1)
	v_add_nc_u64_e32 v[50:51], v[14:15], v[10:11]
	v_sub_nc_u32_e32 v21, v21, v36
	v_add_nc_u64_e32 v[10:11], v[10:11], v[54:55]
	s_clause 0xf
	flat_load_u8 v31, v[50:51] th:TH_LOAD_NT
	flat_load_u8 v64, v[50:51] offset:32 th:TH_LOAD_NT
	flat_load_u8 v65, v[50:51] offset:64 th:TH_LOAD_NT
	;; [unrolled: 1-line block ×15, first 2 shown]
	s_wait_xcnt 0x0
	v_add_nc_u64_e32 v[50:51], v[14:15], v[12:13]
	v_add_nc_u64_e32 v[12:13], v[12:13], v[54:55]
	v_cmp_gt_i32_e32 vcc_lo, 1, v21
	s_wait_loadcnt_dscnt 0xf0f
	flat_store_b8 v[50:51], v31 th:TH_STORE_NT
	s_wait_loadcnt_dscnt 0xe0f
	flat_store_b8 v[50:51], v64 offset:32 th:TH_STORE_NT
	s_wait_loadcnt_dscnt 0xd0f
	flat_store_b8 v[50:51], v65 offset:64 th:TH_STORE_NT
	;; [unrolled: 2-line block ×15, first 2 shown]
	s_or_b32 s43, vcc_lo, s43
	s_wait_xcnt 0x0
	s_and_not1_b32 exec_lo, exec_lo, s43
	s_cbranch_execnz .LBB4_18061
; %bb.18062:                            ;   in Loop: Header=BB4_17973 Depth=2
	s_or_b32 exec_lo, exec_lo, s43
.LBB4_18063:                            ;   in Loop: Header=BB4_17973 Depth=2
	s_delay_alu instid0(SALU_CYCLE_1) | instskip(SKIP_1) | instid1(VALU_DEP_1)
	s_or_b32 exec_lo, exec_lo, s42
	v_lshlrev_b32_e32 v10, 9, v30
	v_cmp_ne_u32_e32 vcc_lo, v17, v10
	s_and_b32 exec_lo, exec_lo, vcc_lo
	s_cbranch_execz .LBB4_18067
; %bb.18064:                            ;   in Loop: Header=BB4_17973 Depth=2
	v_dual_lshlrev_b32 v11, 5, v20 :: v_dual_lshlrev_b32 v12, 5, v21
	s_delay_alu instid0(VALU_DEP_1) | instskip(NEXT) | instid1(VALU_DEP_1)
	v_sub_nc_u32_e32 v11, v19, v11
	v_sub_nc_u32_e32 v11, v11, v12
	s_delay_alu instid0(VALU_DEP_1) | instskip(NEXT) | instid1(VALU_DEP_1)
	v_add_nc_u32_e32 v12, v10, v11
	v_sub_nc_u32_e32 v14, v17, v12
	s_delay_alu instid0(VALU_DEP_1)
	v_cmp_lt_i32_e32 vcc_lo, 0, v14
	s_and_b32 exec_lo, exec_lo, vcc_lo
	s_cbranch_execz .LBB4_18067
; %bb.18065:                            ;   in Loop: Header=BB4_17973 Depth=2
	s_trap 2
	ds_load_b64 v[10:11], v0
	v_add_nc_u32_e32 v12, v12, v16
	s_mov_b32 s42, 0
	s_delay_alu instid0(VALU_DEP_1)
	v_ashrrev_i32_e32 v13, 31, v12
.LBB4_18066:                            ;   Parent Loop BB4_47 Depth=1
                                        ;     Parent Loop BB4_17973 Depth=2
                                        ; =>    This Inner Loop Header: Depth=3
	s_wait_dscnt 0x0
	s_delay_alu instid0(VALU_DEP_1) | instskip(SKIP_2) | instid1(VALU_DEP_2)
	v_add_nc_u64_e32 v[16:17], v[10:11], v[12:13]
	v_sub_nc_u32_e32 v14, v14, v38
	v_add_nc_u64_e32 v[12:13], v[12:13], v[38:39]
	v_cmp_gt_i32_e32 vcc_lo, 1, v14
	flat_load_u8 v15, v[16:17] th:TH_LOAD_NT
	s_or_b32 s42, vcc_lo, s42
	s_wait_loadcnt_dscnt 0x0
	flat_store_b8 v[16:17], v15 th:TH_STORE_NT
	s_wait_xcnt 0x0
	s_and_not1_b32 exec_lo, exec_lo, s42
	s_cbranch_execnz .LBB4_18066
.LBB4_18067:                            ;   in Loop: Header=BB4_17973 Depth=2
	s_or_b32 exec_lo, exec_lo, s13
	v_cmp_lt_i32_e64 s13, 0, v9
	s_and_saveexec_b32 s42, s2
	s_cbranch_execz .LBB4_18044
.LBB4_18068:                            ;   in Loop: Header=BB4_17973 Depth=2
	s_and_saveexec_b32 s43, s3
	s_delay_alu instid0(SALU_CYCLE_1)
	s_xor_b32 s43, exec_lo, s43
	s_cbranch_execz .LBB4_18083
; %bb.18069:                            ;   in Loop: Header=BB4_17973 Depth=2
	s_and_saveexec_b32 s63, s6
	s_cbranch_execz .LBB4_18082
; %bb.18070:                            ;   in Loop: Header=BB4_17973 Depth=2
	s_mov_b32 s73, exec_lo
	s_mov_b32 s72, exec_lo
	v_mbcnt_lo_u32_b32 v9, s73, 0
	global_wb scope:SCOPE_DEV
	s_wait_storecnt 0x0
	s_wait_loadcnt_dscnt 0x0
	global_inv scope:SCOPE_DEV
	v_cmpx_eq_u32_e32 0, v9
	s_cbranch_execz .LBB4_18072
; %bb.18071:                            ;   in Loop: Header=BB4_17973 Depth=2
	s_bcnt1_i32_b32 s73, s73
	s_delay_alu instid0(SALU_CYCLE_1)
	v_dual_mov_b32 v11, v3 :: v_dual_mov_b32 v10, s73
	s_wait_loadcnt 0x0
	ds_add_u64 v0, v[10:11]
	s_trap 2
.LBB4_18072:                            ;   in Loop: Header=BB4_17973 Depth=2
	s_or_b32 exec_lo, exec_lo, s72
	s_trap 2
	ds_load_b64 v[10:11], v0
	s_wait_dscnt 0x0
	v_add_nc_u64_e32 v[32:33], v[32:33], v[36:37]
	s_mov_b32 s72, exec_lo
	s_delay_alu instid0(VALU_DEP_1)
	v_cmpx_lt_u64_e64 v[10:11], v[32:33]
	s_cbranch_execz .LBB4_18081
; %bb.18073:                            ;   in Loop: Header=BB4_17973 Depth=2
	s_mov_b32 s73, 0
	s_mov_b32 s76, 0
                                        ; implicit-def: $sgpr74
                                        ; implicit-def: $sgpr75
	s_branch .LBB4_18075
.LBB4_18074:                            ;   in Loop: Header=BB4_18075 Depth=3
	s_or_b32 exec_lo, exec_lo, s78
	s_delay_alu instid0(SALU_CYCLE_1) | instskip(NEXT) | instid1(SALU_CYCLE_1)
	s_and_b32 s77, exec_lo, s79
	s_or_b32 s73, s77, s73
	s_and_not1_b32 s74, s74, exec_lo
	s_and_b32 s77, s75, exec_lo
	s_delay_alu instid0(SALU_CYCLE_1)
	s_or_b32 s74, s74, s77
	s_and_not1_b32 exec_lo, exec_lo, s73
	s_cbranch_execz .LBB4_18079
.LBB4_18075:                            ;   Parent Loop BB4_47 Depth=1
                                        ;     Parent Loop BB4_17973 Depth=2
                                        ; =>    This Inner Loop Header: Depth=3
	s_add_co_i32 s76, s76, 1
	s_delay_alu instid0(SALU_CYCLE_1) | instskip(SKIP_1) | instid1(SALU_CYCLE_1)
	s_cmp_lg_u32 s76, 0x2710
	s_cselect_b32 s77, -1, 0
	s_and_b32 vcc_lo, exec_lo, s77
	s_cbranch_vccz .LBB4_18077
; %bb.18076:                            ;   in Loop: Header=BB4_18075 Depth=3
	s_mov_b32 s79, -1
	s_or_b32 s75, s75, exec_lo
	s_and_saveexec_b32 s78, s77
	s_cbranch_execz .LBB4_18074
	s_branch .LBB4_18078
.LBB4_18077:                            ;   in Loop: Header=BB4_18075 Depth=3
	s_trap 2
	ds_load_b64 v[10:11], v0
	s_and_not1_b32 s77, s77, exec_lo
	s_mov_b32 s76, 0
	s_wait_loadcnt_dscnt 0x0
	flat_load_b32 v9, v[10:11] scope:SCOPE_SYS
	s_wait_loadcnt_dscnt 0x0
	global_inv scope:SCOPE_SYS
	v_cmp_eq_u32_e32 vcc_lo, 0, v9
	s_and_b32 s78, vcc_lo, exec_lo
	s_delay_alu instid0(SALU_CYCLE_1)
	s_or_b32 s77, s77, s78
	s_mov_b32 s79, -1
	s_or_b32 s75, s75, exec_lo
	s_and_saveexec_b32 s78, s77
	s_cbranch_execz .LBB4_18074
.LBB4_18078:                            ;   in Loop: Header=BB4_18075 Depth=3
	s_sleep 1
	s_trap 2
	ds_load_b64 v[10:11], v0
	s_wait_dscnt 0x0
	s_and_not1_b32 s75, s75, exec_lo
	v_cmp_ge_u64_e32 vcc_lo, v[10:11], v[32:33]
	s_or_not1_b32 s79, vcc_lo, exec_lo
	s_branch .LBB4_18074
.LBB4_18079:                            ;   in Loop: Header=BB4_17973 Depth=2
	s_or_b32 exec_lo, exec_lo, s73
	s_and_saveexec_b32 s73, s74
	s_delay_alu instid0(SALU_CYCLE_1)
	s_xor_b32 s73, exec_lo, s73
	s_cbranch_execz .LBB4_18081
; %bb.18080:                            ;   in Loop: Header=BB4_17973 Depth=2
	ds_store_b32 v0, v1
	s_trap 2
.LBB4_18081:                            ;   in Loop: Header=BB4_17973 Depth=2
	s_or_b32 exec_lo, exec_lo, s72
	;;#ASMSTART
	s_wakeup
	;;#ASMEND
.LBB4_18082:                            ;   in Loop: Header=BB4_17973 Depth=2
	s_or_b32 exec_lo, exec_lo, s63
.LBB4_18083:                            ;   in Loop: Header=BB4_17973 Depth=2
	s_and_not1_saveexec_b32 s43, s43
	s_cbranch_execz .LBB4_18085
; %bb.18084:                            ;   in Loop: Header=BB4_17973 Depth=2
	global_wb scope:SCOPE_DEV
	s_wait_storecnt 0x0
	s_wait_loadcnt_dscnt 0x0
	global_inv scope:SCOPE_DEV
	s_barrier_signal -1
	s_barrier_wait -1
.LBB4_18085:                            ;   in Loop: Header=BB4_17973 Depth=2
	s_or_b32 exec_lo, exec_lo, s43
	s_delay_alu instid0(SALU_CYCLE_1) | instskip(SKIP_1) | instid1(SALU_CYCLE_1)
	s_or_b32 exec_lo, exec_lo, s42
	s_and_saveexec_b32 s42, s12
	s_xor_b32 s42, exec_lo, s42
	s_cbranch_execnz .LBB4_18045
.LBB4_18086:                            ;   in Loop: Header=BB4_17973 Depth=2
	s_and_not1_saveexec_b32 s13, s42
	s_cbranch_execz .LBB4_18105
.LBB4_18087:                            ;   in Loop: Header=BB4_17973 Depth=2
	s_and_saveexec_b32 s42, s3
	s_delay_alu instid0(SALU_CYCLE_1)
	s_xor_b32 s42, exec_lo, s42
	s_cbranch_execz .LBB4_18102
; %bb.18088:                            ;   in Loop: Header=BB4_17973 Depth=2
	s_and_saveexec_b32 s43, s6
	s_cbranch_execz .LBB4_18101
; %bb.18089:                            ;   in Loop: Header=BB4_17973 Depth=2
	s_mov_b32 s72, exec_lo
	s_mov_b32 s63, exec_lo
	v_mbcnt_lo_u32_b32 v9, s72, 0
	;;#ASMSTART
	s_waitcnt lgkmcnt(0) vmcnt(0)
	;;#ASMEND
	s_delay_alu instid0(VALU_DEP_1)
	v_cmpx_eq_u32_e32 0, v9
	s_cbranch_execz .LBB4_18091
; %bb.18090:                            ;   in Loop: Header=BB4_17973 Depth=2
	s_bcnt1_i32_b32 s72, s72
	s_delay_alu instid0(SALU_CYCLE_1)
	v_dual_mov_b32 v11, v3 :: v_dual_mov_b32 v10, s72
	s_wait_storecnt 0x0
	s_wait_loadcnt_dscnt 0x0
	ds_add_u64 v0, v[10:11]
	s_trap 2
.LBB4_18091:                            ;   in Loop: Header=BB4_17973 Depth=2
	s_or_b32 exec_lo, exec_lo, s63
	s_trap 2
	ds_load_b64 v[10:11], v0
	s_wait_dscnt 0x0
	v_add_nc_u64_e32 v[32:33], v[32:33], v[36:37]
	s_mov_b32 s63, exec_lo
	s_delay_alu instid0(VALU_DEP_1)
	v_cmpx_lt_u64_e64 v[10:11], v[32:33]
	s_cbranch_execz .LBB4_18100
; %bb.18092:                            ;   in Loop: Header=BB4_17973 Depth=2
	s_mov_b32 s72, 0
	s_mov_b32 s75, 0
                                        ; implicit-def: $sgpr73
                                        ; implicit-def: $sgpr74
	s_branch .LBB4_18094
.LBB4_18093:                            ;   in Loop: Header=BB4_18094 Depth=3
	s_or_b32 exec_lo, exec_lo, s77
	s_delay_alu instid0(SALU_CYCLE_1) | instskip(NEXT) | instid1(SALU_CYCLE_1)
	s_and_b32 s76, exec_lo, s78
	s_or_b32 s72, s76, s72
	s_and_not1_b32 s73, s73, exec_lo
	s_and_b32 s76, s74, exec_lo
	s_delay_alu instid0(SALU_CYCLE_1)
	s_or_b32 s73, s73, s76
	s_and_not1_b32 exec_lo, exec_lo, s72
	s_cbranch_execz .LBB4_18098
.LBB4_18094:                            ;   Parent Loop BB4_47 Depth=1
                                        ;     Parent Loop BB4_17973 Depth=2
                                        ; =>    This Inner Loop Header: Depth=3
	s_add_co_i32 s75, s75, 1
	s_delay_alu instid0(SALU_CYCLE_1) | instskip(SKIP_1) | instid1(SALU_CYCLE_1)
	s_cmp_lg_u32 s75, 0x2710
	s_cselect_b32 s76, -1, 0
	s_and_b32 vcc_lo, exec_lo, s76
	s_cbranch_vccz .LBB4_18096
; %bb.18095:                            ;   in Loop: Header=BB4_18094 Depth=3
	s_mov_b32 s78, -1
	s_or_b32 s74, s74, exec_lo
	s_and_saveexec_b32 s77, s76
	s_cbranch_execz .LBB4_18093
	s_branch .LBB4_18097
.LBB4_18096:                            ;   in Loop: Header=BB4_18094 Depth=3
	s_trap 2
	ds_load_b64 v[10:11], v0
	s_and_not1_b32 s76, s76, exec_lo
	s_mov_b32 s75, 0
	s_wait_storecnt 0x0
	s_wait_loadcnt_dscnt 0x0
	flat_load_b32 v9, v[10:11] scope:SCOPE_SYS
	s_wait_loadcnt_dscnt 0x0
	global_inv scope:SCOPE_SYS
	v_cmp_eq_u32_e32 vcc_lo, 0, v9
	s_and_b32 s77, vcc_lo, exec_lo
	s_delay_alu instid0(SALU_CYCLE_1)
	s_or_b32 s76, s76, s77
	s_mov_b32 s78, -1
	s_or_b32 s74, s74, exec_lo
	s_and_saveexec_b32 s77, s76
	s_cbranch_execz .LBB4_18093
.LBB4_18097:                            ;   in Loop: Header=BB4_18094 Depth=3
	s_sleep 1
	s_trap 2
	ds_load_b64 v[10:11], v0
	s_wait_dscnt 0x0
	s_and_not1_b32 s74, s74, exec_lo
	v_cmp_ge_u64_e32 vcc_lo, v[10:11], v[32:33]
	s_or_not1_b32 s78, vcc_lo, exec_lo
	s_branch .LBB4_18093
.LBB4_18098:                            ;   in Loop: Header=BB4_17973 Depth=2
	s_or_b32 exec_lo, exec_lo, s72
	s_and_saveexec_b32 s72, s73
	s_delay_alu instid0(SALU_CYCLE_1)
	s_xor_b32 s72, exec_lo, s72
	s_cbranch_execz .LBB4_18100
; %bb.18099:                            ;   in Loop: Header=BB4_17973 Depth=2
	ds_store_b32 v0, v1
	s_trap 2
.LBB4_18100:                            ;   in Loop: Header=BB4_17973 Depth=2
	s_or_b32 exec_lo, exec_lo, s63
	;;#ASMSTART
	s_wakeup
	;;#ASMEND
.LBB4_18101:                            ;   in Loop: Header=BB4_17973 Depth=2
	s_or_b32 exec_lo, exec_lo, s43
.LBB4_18102:                            ;   in Loop: Header=BB4_17973 Depth=2
	s_and_not1_saveexec_b32 s42, s42
	s_cbranch_execz .LBB4_18104
; %bb.18103:                            ;   in Loop: Header=BB4_17973 Depth=2
	;;#ASMSTART
	s_waitcnt lgkmcnt(0) vmcnt(0)
	;;#ASMEND
	s_barrier_signal -1
	s_barrier_wait -1
.LBB4_18104:                            ;   in Loop: Header=BB4_17973 Depth=2
	s_or_b32 exec_lo, exec_lo, s42
.LBB4_18105:                            ;   in Loop: Header=BB4_17973 Depth=2
	s_delay_alu instid0(SALU_CYCLE_1) | instskip(SKIP_2) | instid1(VALU_DEP_1)
	s_or_b32 exec_lo, exec_lo, s13
	v_and_b32_e32 v9, 32, v126
	s_mov_b32 s13, exec_lo
	v_cmpx_ne_u32_e32 0, v9
	s_cbranch_execz .LBB4_17972
; %bb.18106:                            ;   in Loop: Header=BB4_17973 Depth=2
	v_add_nc_u64_e32 v[98:99], 2, v[98:99]
	global_wb scope:SCOPE_SYS
	s_wait_storecnt 0x0
	s_wait_loadcnt_dscnt 0x0
	flat_store_b64 v[22:23], v[98:99] scope:SCOPE_SYS
	s_branch .LBB4_17972
.LBB4_18107:                            ;   in Loop: Header=BB4_47 Depth=1
	s_or_b32 exec_lo, exec_lo, s15
.LBB4_18108:                            ;   in Loop: Header=BB4_47 Depth=1
	s_delay_alu instid0(SALU_CYCLE_1) | instskip(NEXT) | instid1(SALU_CYCLE_1)
	s_or_b32 exec_lo, exec_lo, s14
	s_mov_b32 s14, exec_lo
	v_cmpx_gt_i32_e32 2, v9
	s_cbranch_execnz .LBB4_18109
; %bb.18273:                            ;   in Loop: Header=BB4_47 Depth=1
	s_add_pc_i64 .LBB4_46-.Lpost_addpc40
.Lpost_addpc40:
.LBB4_18109:                            ;   in Loop: Header=BB4_47 Depth=1
	v_cmp_eq_u32_e64 s18, 0, v9
	s_mov_b32 s15, 0
	s_branch .LBB4_18111
.LBB4_18110:                            ;   in Loop: Header=BB4_18111 Depth=2
	s_wait_xcnt 0x0
	s_or_b32 exec_lo, exec_lo, s13
	v_add_nc_u32_e32 v8, v18, v8
	s_mov_b32 s18, 0
	s_and_not1_b32 exec_lo, exec_lo, s15
	s_cbranch_execnz .LBB4_18111
; %bb.18275:                            ;   in Loop: Header=BB4_47 Depth=1
	s_add_pc_i64 .LBB4_45-.Lpost_addpc41
.Lpost_addpc41:
.LBB4_18111:                            ;   Parent Loop BB4_47 Depth=1
                                        ; =>  This Loop Header: Depth=2
                                        ;       Child Loop BB4_18117 Depth 3
                                        ;       Child Loop BB4_18141 Depth 3
	;; [unrolled: 1-line block ×3, first 2 shown]
	v_and_b32_e32 v4, 4, v126
	s_mov_b32 s29, exec_lo
	s_delay_alu instid0(VALU_DEP_1)
	v_cmpx_ne_u32_e32 0, v4
	s_cbranch_execz .LBB4_18133
; %bb.18112:                            ;   in Loop: Header=BB4_18111 Depth=2
	v_add_nc_u64_e32 v[4:5], 2, v[98:99]
	s_mov_b32 s42, exec_lo
	s_wait_loadcnt_dscnt 0x1
	s_delay_alu instid0(VALU_DEP_1)
	v_cmpx_lt_u64_e64 v[34:35], v[4:5]
	s_cbranch_execz .LBB4_18124
; %bb.18113:                            ;   in Loop: Header=BB4_18111 Depth=2
	v_and_b32_e32 v9, 64, v126
	s_mov_b32 s43, 0
	s_mov_b32 s74, 0
                                        ; implicit-def: $sgpr63
                                        ; implicit-def: $sgpr72
                                        ; implicit-def: $sgpr73
	s_delay_alu instid0(VALU_DEP_1)
	v_cmp_eq_u32_e32 vcc_lo, 0, v9
	s_branch .LBB4_18117
.LBB4_18114:                            ;   in Loop: Header=BB4_18117 Depth=3
	s_wait_loadcnt_dscnt 0x0
	v_cmp_ge_u64_e64 s13, v[34:35], v[4:5]
	s_or_b32 s77, s77, exec_lo
	s_or_not1_b32 s76, s13, exec_lo
.LBB4_18115:                            ;   in Loop: Header=BB4_18117 Depth=3
	s_or_b32 exec_lo, exec_lo, s79
	s_delay_alu instid0(SALU_CYCLE_1)
	s_and_not1_b32 s13, s73, exec_lo
	s_and_b32 s73, s77, exec_lo
	s_and_not1_b32 s72, s72, exec_lo
	s_and_b32 s76, s76, exec_lo
	s_or_b32 s73, s13, s73
	s_or_b32 s72, s72, s76
.LBB4_18116:                            ;   in Loop: Header=BB4_18117 Depth=3
	s_or_b32 exec_lo, exec_lo, s75
	s_delay_alu instid0(SALU_CYCLE_1) | instskip(NEXT) | instid1(SALU_CYCLE_1)
	s_and_b32 s13, exec_lo, s72
	s_or_b32 s43, s13, s43
	s_and_not1_b32 s13, s63, exec_lo
	s_and_b32 s63, s73, exec_lo
	s_delay_alu instid0(SALU_CYCLE_1)
	s_or_b32 s63, s13, s63
	s_and_not1_b32 exec_lo, exec_lo, s43
	s_cbranch_execz .LBB4_18121
.LBB4_18117:                            ;   Parent Loop BB4_47 Depth=1
                                        ;     Parent Loop BB4_18111 Depth=2
                                        ; =>    This Inner Loop Header: Depth=3
	s_sleep 1
	s_wait_loadcnt_dscnt 0x0
	flat_load_b64 v[34:35], v[22:23] scope:SCOPE_SYS
	s_or_b32 s73, s73, exec_lo
	s_or_b32 s72, s72, exec_lo
                                        ; implicit-def: $vgpr9
	s_wait_xcnt 0x0
	s_and_saveexec_b32 s75, vcc_lo
	s_cbranch_execz .LBB4_18116
; %bb.18118:                            ;   in Loop: Header=BB4_18117 Depth=3
	s_cmp_lt_i32 s74, 0x270f
	s_mov_b32 s76, -1
	s_cselect_b32 s78, -1, 0
	s_cmp_gt_i32 s74, 0x270e
	s_cbranch_scc0 .LBB4_18120
; %bb.18119:                            ;   in Loop: Header=BB4_18117 Depth=3
	s_trap 2
	ds_load_b64 v[10:11], v0
	s_and_not1_b32 s74, s78, exec_lo
	s_mov_b32 s77, 0
	s_wait_storecnt 0x0
	s_wait_loadcnt_dscnt 0x0
	flat_load_b32 v9, v[10:11] scope:SCOPE_SYS
	s_wait_loadcnt_dscnt 0x0
	global_inv scope:SCOPE_SYS
	v_cmp_eq_u32_e64 s13, 0, v9
	s_and_b32 s13, s13, exec_lo
	s_delay_alu instid0(SALU_CYCLE_1)
	s_or_b32 s78, s74, s13
	s_mov_b32 s74, 0
	s_and_saveexec_b32 s79, s78
	s_cbranch_execz .LBB4_18115
	s_branch .LBB4_18114
.LBB4_18120:                            ;   in Loop: Header=BB4_18117 Depth=3
	s_add_co_i32 s74, s74, 1
	s_mov_b32 s77, -1
                                        ; implicit-def: $vgpr9
	s_and_saveexec_b32 s79, s78
	s_cbranch_execz .LBB4_18115
	s_branch .LBB4_18114
.LBB4_18121:                            ;   in Loop: Header=BB4_18111 Depth=2
	s_or_b32 exec_lo, exec_lo, s43
	s_xor_b32 s13, s63, -1
	s_delay_alu instid0(SALU_CYCLE_1) | instskip(NEXT) | instid1(SALU_CYCLE_1)
	s_and_saveexec_b32 s43, s13
	s_xor_b32 s13, exec_lo, s43
	s_cbranch_execz .LBB4_18123
; %bb.18122:                            ;   in Loop: Header=BB4_18111 Depth=2
	v_or_b32_e32 v126, 64, v126
	s_wait_storecnt 0x0
	s_wait_loadcnt_dscnt 0x0
	ds_store_b32 v0, v9
	s_trap 2
.LBB4_18123:                            ;   in Loop: Header=BB4_18111 Depth=2
	s_or_b32 exec_lo, exec_lo, s13
.LBB4_18124:                            ;   in Loop: Header=BB4_18111 Depth=2
	s_delay_alu instid0(SALU_CYCLE_1)
	s_or_b32 exec_lo, exec_lo, s42
	v_and_b32_e32 v9, 0x100, v126
	v_dual_mov_b32 v11, v3 :: v_dual_bitop2_b32 v10, 7, v98 bitop3:0x40
	s_mov_b32 s13, -1
	s_mov_b32 s42, exec_lo
	;;#ASMSTART
	s_wakeup
	;;#ASMEND
                                        ; implicit-def: $vgpr12_vgpr13
	v_cmpx_ne_u32_e32 0, v9
	s_cbranch_execz .LBB4_18128
; %bb.18125:                            ;   in Loop: Header=BB4_18111 Depth=2
	v_mad_nc_u64_u32 v[14:15], v10, 24, v[6:7]
	s_mov_b32 s43, exec_lo
                                        ; implicit-def: $vgpr12_vgpr13
	flat_load_b32 v9, v[14:15]
	s_wait_loadcnt_dscnt 0x0
	v_cmp_ne_u32_e32 vcc_lo, 1, v9
	s_wait_xcnt 0x0
	v_cmpx_eq_u32_e32 1, v9
	s_cbranch_execz .LBB4_18127
; %bb.18126:                            ;   in Loop: Header=BB4_18111 Depth=2
	flat_load_b32 v12, v[14:15] offset:4 scope:SCOPE_SYS
	s_wait_loadcnt_dscnt 0x0
	v_ashrrev_i32_e32 v13, 31, v12
.LBB4_18127:                            ;   in Loop: Header=BB4_18111 Depth=2
	s_wait_xcnt 0x0
	s_or_b32 exec_lo, exec_lo, s43
	s_delay_alu instid0(SALU_CYCLE_1)
	s_or_not1_b32 s13, vcc_lo, exec_lo
.LBB4_18128:                            ;   in Loop: Header=BB4_18111 Depth=2
	s_or_b32 exec_lo, exec_lo, s42
	s_and_saveexec_b32 s42, s13
; %bb.18129:                            ;   in Loop: Header=BB4_18111 Depth=2
	v_mul_u64_e32 v[12:13], v[10:11], v[24:25]
; %bb.18130:                            ;   in Loop: Header=BB4_18111 Depth=2
	s_or_b32 exec_lo, exec_lo, s42
	s_delay_alu instid0(VALU_DEP_1)
	v_add_nc_u64_e32 v[10:11], v[26:27], v[12:13]
	v_and_b32_e32 v9, 0x2000, v126
	s_mov_b32 s13, exec_lo
	ds_store_b64 v0, v[10:11] offset:720
	v_cmpx_ne_u32_e32 0, v9
	s_cbranch_execz .LBB4_18132
; %bb.18131:                            ;   in Loop: Header=BB4_18111 Depth=2
	ds_load_b64 v[10:11], v0 offset:872
	s_wait_dscnt 0x0
	v_add_nc_u64_e32 v[10:11], 1, v[10:11]
	ds_store_b64 v0, v[10:11] offset:872
.LBB4_18132:                            ;   in Loop: Header=BB4_18111 Depth=2
	s_or_b32 exec_lo, exec_lo, s13
	v_mov_b64_e32 v[98:99], v[4:5]
.LBB4_18133:                            ;   in Loop: Header=BB4_18111 Depth=2
	s_or_b32 exec_lo, exec_lo, s29
	s_xor_b32 s13, s18, -1
	s_delay_alu instid0(SALU_CYCLE_1) | instskip(NEXT) | instid1(SALU_CYCLE_1)
	s_and_b32 s13, exec_lo, s13
	s_or_b32 s15, s13, s15
	s_and_saveexec_b32 s13, s2
	s_cbranch_execz .LBB4_18152
; %bb.18134:                            ;   in Loop: Header=BB4_18111 Depth=2
	s_and_saveexec_b32 s18, s3
	s_delay_alu instid0(SALU_CYCLE_1)
	s_xor_b32 s18, exec_lo, s18
	s_cbranch_execz .LBB4_18149
; %bb.18135:                            ;   in Loop: Header=BB4_18111 Depth=2
	s_and_saveexec_b32 s29, s6
	s_cbranch_execz .LBB4_18148
; %bb.18136:                            ;   in Loop: Header=BB4_18111 Depth=2
	s_mov_b32 s43, exec_lo
	s_mov_b32 s42, exec_lo
	v_mbcnt_lo_u32_b32 v4, s43, 0
	global_wb scope:SCOPE_DEV
	s_wait_storecnt 0x0
	s_wait_loadcnt_dscnt 0x0
	global_inv scope:SCOPE_DEV
	v_cmpx_eq_u32_e32 0, v4
	s_cbranch_execz .LBB4_18138
; %bb.18137:                            ;   in Loop: Header=BB4_18111 Depth=2
	s_bcnt1_i32_b32 s43, s43
	s_delay_alu instid0(SALU_CYCLE_1)
	v_dual_mov_b32 v5, v3 :: v_dual_mov_b32 v4, s43
	s_wait_loadcnt 0x0
	ds_add_u64 v0, v[4:5]
	s_trap 2
.LBB4_18138:                            ;   in Loop: Header=BB4_18111 Depth=2
	s_or_b32 exec_lo, exec_lo, s42
	s_trap 2
	ds_load_b64 v[4:5], v0
	s_wait_dscnt 0x0
	v_add_nc_u64_e32 v[32:33], v[32:33], v[36:37]
	s_mov_b32 s42, exec_lo
	s_delay_alu instid0(VALU_DEP_1)
	v_cmpx_lt_u64_e64 v[4:5], v[32:33]
	s_cbranch_execz .LBB4_18147
; %bb.18139:                            ;   in Loop: Header=BB4_18111 Depth=2
	s_mov_b32 s43, 0
	s_mov_b32 s73, 0
                                        ; implicit-def: $sgpr63
                                        ; implicit-def: $sgpr72
	s_branch .LBB4_18141
.LBB4_18140:                            ;   in Loop: Header=BB4_18141 Depth=3
	s_or_b32 exec_lo, exec_lo, s75
	s_delay_alu instid0(SALU_CYCLE_1) | instskip(NEXT) | instid1(SALU_CYCLE_1)
	s_and_b32 s74, exec_lo, s76
	s_or_b32 s43, s74, s43
	s_and_not1_b32 s63, s63, exec_lo
	s_and_b32 s74, s72, exec_lo
	s_delay_alu instid0(SALU_CYCLE_1)
	s_or_b32 s63, s63, s74
	s_and_not1_b32 exec_lo, exec_lo, s43
	s_cbranch_execz .LBB4_18145
.LBB4_18141:                            ;   Parent Loop BB4_47 Depth=1
                                        ;     Parent Loop BB4_18111 Depth=2
                                        ; =>    This Inner Loop Header: Depth=3
	s_add_co_i32 s73, s73, 1
	s_delay_alu instid0(SALU_CYCLE_1) | instskip(SKIP_1) | instid1(SALU_CYCLE_1)
	s_cmp_lg_u32 s73, 0x2710
	s_cselect_b32 s74, -1, 0
	s_and_b32 vcc_lo, exec_lo, s74
	s_cbranch_vccz .LBB4_18143
; %bb.18142:                            ;   in Loop: Header=BB4_18141 Depth=3
	s_mov_b32 s76, -1
	s_or_b32 s72, s72, exec_lo
	s_and_saveexec_b32 s75, s74
	s_cbranch_execz .LBB4_18140
	s_branch .LBB4_18144
.LBB4_18143:                            ;   in Loop: Header=BB4_18141 Depth=3
	s_trap 2
	ds_load_b64 v[4:5], v0
	s_and_not1_b32 s74, s74, exec_lo
	s_mov_b32 s73, 0
	s_wait_loadcnt_dscnt 0x0
	flat_load_b32 v4, v[4:5] scope:SCOPE_SYS
	s_wait_loadcnt_dscnt 0x0
	global_inv scope:SCOPE_SYS
	v_cmp_eq_u32_e32 vcc_lo, 0, v4
	s_and_b32 s75, vcc_lo, exec_lo
	s_delay_alu instid0(SALU_CYCLE_1)
	s_or_b32 s74, s74, s75
	s_mov_b32 s76, -1
	s_or_b32 s72, s72, exec_lo
	s_and_saveexec_b32 s75, s74
	s_cbranch_execz .LBB4_18140
.LBB4_18144:                            ;   in Loop: Header=BB4_18141 Depth=3
	s_sleep 1
	s_trap 2
	ds_load_b64 v[4:5], v0
	s_wait_dscnt 0x0
	s_and_not1_b32 s72, s72, exec_lo
	v_cmp_ge_u64_e32 vcc_lo, v[4:5], v[32:33]
	s_or_not1_b32 s76, vcc_lo, exec_lo
	s_branch .LBB4_18140
.LBB4_18145:                            ;   in Loop: Header=BB4_18111 Depth=2
	s_or_b32 exec_lo, exec_lo, s43
	s_and_saveexec_b32 s43, s63
	s_delay_alu instid0(SALU_CYCLE_1)
	s_xor_b32 s43, exec_lo, s43
	s_cbranch_execz .LBB4_18147
; %bb.18146:                            ;   in Loop: Header=BB4_18111 Depth=2
	ds_store_b32 v0, v1
	s_trap 2
.LBB4_18147:                            ;   in Loop: Header=BB4_18111 Depth=2
	s_or_b32 exec_lo, exec_lo, s42
	;;#ASMSTART
	s_wakeup
	;;#ASMEND
.LBB4_18148:                            ;   in Loop: Header=BB4_18111 Depth=2
	s_or_b32 exec_lo, exec_lo, s29
.LBB4_18149:                            ;   in Loop: Header=BB4_18111 Depth=2
	s_and_not1_saveexec_b32 s18, s18
	s_cbranch_execz .LBB4_18151
; %bb.18150:                            ;   in Loop: Header=BB4_18111 Depth=2
	global_wb scope:SCOPE_DEV
	s_wait_storecnt 0x0
	s_wait_loadcnt_dscnt 0x0
	global_inv scope:SCOPE_DEV
	s_barrier_signal -1
	s_barrier_wait -1
.LBB4_18151:                            ;   in Loop: Header=BB4_18111 Depth=2
	s_or_b32 exec_lo, exec_lo, s18
.LBB4_18152:                            ;   in Loop: Header=BB4_18111 Depth=2
	s_delay_alu instid0(SALU_CYCLE_1) | instskip(SKIP_1) | instid1(VALU_DEP_1)
	s_or_b32 exec_lo, exec_lo, s13
	v_sub_nc_u32_e32 v4, v2, v8
	v_min_i32_e32 v18, v18, v4
	s_and_saveexec_b32 s13, s12
	s_delay_alu instid0(SALU_CYCLE_1)
	s_xor_b32 s18, exec_lo, s13
	s_cbranch_execz .LBB4_18156
; %bb.18153:                            ;   in Loop: Header=BB4_18111 Depth=2
	s_trap 2
	ds_load_b32 v4, v0
	v_cmp_lt_i32_e32 vcc_lo, 0, v18
	s_wait_dscnt 0x0
	v_readfirstlane_b32 s13, v4
	v_and_b32_e32 v4, 16, v126
	s_cmp_eq_u32 s13, 0
	s_delay_alu instid0(VALU_DEP_1) | instskip(SKIP_1) | instid1(SALU_CYCLE_1)
	v_cmp_ne_u32_e64 s13, 0, v4
	s_cselect_b32 s29, -1, 0
	s_and_b32 s29, vcc_lo, s29
	s_delay_alu instid0(SALU_CYCLE_1) | instskip(NEXT) | instid1(SALU_CYCLE_1)
	s_and_b32 s29, s13, s29
	s_and_saveexec_b32 s13, s29
	s_cbranch_execz .LBB4_18155
; %bb.18154:                            ;   in Loop: Header=BB4_18111 Depth=2
	global_wb scope:SCOPE_SYS
	s_wait_loadcnt 0x0
	s_wait_storecnt 0x0
	global_inv scope:SCOPE_SYS
.LBB4_18155:                            ;   in Loop: Header=BB4_18111 Depth=2
	s_or_b32 exec_lo, exec_lo, s13
.LBB4_18156:                            ;   in Loop: Header=BB4_18111 Depth=2
	s_and_not1_saveexec_b32 s13, s18
	s_cbranch_execz .LBB4_18175
; %bb.18157:                            ;   in Loop: Header=BB4_18111 Depth=2
	s_and_saveexec_b32 s18, s3
	s_delay_alu instid0(SALU_CYCLE_1)
	s_xor_b32 s18, exec_lo, s18
	s_cbranch_execz .LBB4_18172
; %bb.18158:                            ;   in Loop: Header=BB4_18111 Depth=2
	s_and_saveexec_b32 s29, s6
	s_cbranch_execz .LBB4_18171
; %bb.18159:                            ;   in Loop: Header=BB4_18111 Depth=2
	s_mov_b32 s43, exec_lo
	s_mov_b32 s42, exec_lo
	v_mbcnt_lo_u32_b32 v4, s43, 0
	;;#ASMSTART
	s_waitcnt lgkmcnt(0) vmcnt(0)
	;;#ASMEND
	s_delay_alu instid0(VALU_DEP_1)
	v_cmpx_eq_u32_e32 0, v4
	s_cbranch_execz .LBB4_18161
; %bb.18160:                            ;   in Loop: Header=BB4_18111 Depth=2
	s_bcnt1_i32_b32 s43, s43
	s_delay_alu instid0(SALU_CYCLE_1)
	v_dual_mov_b32 v5, v3 :: v_dual_mov_b32 v4, s43
	s_wait_storecnt 0x0
	s_wait_loadcnt_dscnt 0x0
	ds_add_u64 v0, v[4:5]
	s_trap 2
.LBB4_18161:                            ;   in Loop: Header=BB4_18111 Depth=2
	s_or_b32 exec_lo, exec_lo, s42
	s_trap 2
	ds_load_b64 v[4:5], v0
	s_wait_dscnt 0x0
	v_add_nc_u64_e32 v[32:33], v[32:33], v[36:37]
	s_mov_b32 s42, exec_lo
	s_delay_alu instid0(VALU_DEP_1)
	v_cmpx_lt_u64_e64 v[4:5], v[32:33]
	s_cbranch_execz .LBB4_18170
; %bb.18162:                            ;   in Loop: Header=BB4_18111 Depth=2
	s_mov_b32 s43, 0
	s_mov_b32 s73, 0
                                        ; implicit-def: $sgpr63
                                        ; implicit-def: $sgpr72
	s_branch .LBB4_18164
.LBB4_18163:                            ;   in Loop: Header=BB4_18164 Depth=3
	s_or_b32 exec_lo, exec_lo, s75
	s_delay_alu instid0(SALU_CYCLE_1) | instskip(NEXT) | instid1(SALU_CYCLE_1)
	s_and_b32 s74, exec_lo, s76
	s_or_b32 s43, s74, s43
	s_and_not1_b32 s63, s63, exec_lo
	s_and_b32 s74, s72, exec_lo
	s_delay_alu instid0(SALU_CYCLE_1)
	s_or_b32 s63, s63, s74
	s_and_not1_b32 exec_lo, exec_lo, s43
	s_cbranch_execz .LBB4_18168
.LBB4_18164:                            ;   Parent Loop BB4_47 Depth=1
                                        ;     Parent Loop BB4_18111 Depth=2
                                        ; =>    This Inner Loop Header: Depth=3
	s_add_co_i32 s73, s73, 1
	s_delay_alu instid0(SALU_CYCLE_1) | instskip(SKIP_1) | instid1(SALU_CYCLE_1)
	s_cmp_lg_u32 s73, 0x2710
	s_cselect_b32 s74, -1, 0
	s_and_b32 vcc_lo, exec_lo, s74
	s_cbranch_vccz .LBB4_18166
; %bb.18165:                            ;   in Loop: Header=BB4_18164 Depth=3
	s_mov_b32 s76, -1
	s_or_b32 s72, s72, exec_lo
	s_and_saveexec_b32 s75, s74
	s_cbranch_execz .LBB4_18163
	s_branch .LBB4_18167
.LBB4_18166:                            ;   in Loop: Header=BB4_18164 Depth=3
	s_trap 2
	ds_load_b64 v[4:5], v0
	s_and_not1_b32 s74, s74, exec_lo
	s_mov_b32 s73, 0
	s_wait_storecnt 0x0
	s_wait_loadcnt_dscnt 0x0
	flat_load_b32 v4, v[4:5] scope:SCOPE_SYS
	s_wait_loadcnt_dscnt 0x0
	global_inv scope:SCOPE_SYS
	v_cmp_eq_u32_e32 vcc_lo, 0, v4
	s_and_b32 s75, vcc_lo, exec_lo
	s_delay_alu instid0(SALU_CYCLE_1)
	s_or_b32 s74, s74, s75
	s_mov_b32 s76, -1
	s_or_b32 s72, s72, exec_lo
	s_and_saveexec_b32 s75, s74
	s_cbranch_execz .LBB4_18163
.LBB4_18167:                            ;   in Loop: Header=BB4_18164 Depth=3
	s_sleep 1
	s_trap 2
	ds_load_b64 v[4:5], v0
	s_wait_dscnt 0x0
	s_and_not1_b32 s72, s72, exec_lo
	v_cmp_ge_u64_e32 vcc_lo, v[4:5], v[32:33]
	s_or_not1_b32 s76, vcc_lo, exec_lo
	s_branch .LBB4_18163
.LBB4_18168:                            ;   in Loop: Header=BB4_18111 Depth=2
	s_or_b32 exec_lo, exec_lo, s43
	s_and_saveexec_b32 s43, s63
	s_delay_alu instid0(SALU_CYCLE_1)
	s_xor_b32 s43, exec_lo, s43
	s_cbranch_execz .LBB4_18170
; %bb.18169:                            ;   in Loop: Header=BB4_18111 Depth=2
	ds_store_b32 v0, v1
	s_trap 2
.LBB4_18170:                            ;   in Loop: Header=BB4_18111 Depth=2
	s_or_b32 exec_lo, exec_lo, s42
	;;#ASMSTART
	s_wakeup
	;;#ASMEND
.LBB4_18171:                            ;   in Loop: Header=BB4_18111 Depth=2
	s_or_b32 exec_lo, exec_lo, s29
.LBB4_18172:                            ;   in Loop: Header=BB4_18111 Depth=2
	s_and_not1_saveexec_b32 s18, s18
	s_cbranch_execz .LBB4_18174
; %bb.18173:                            ;   in Loop: Header=BB4_18111 Depth=2
	;;#ASMSTART
	s_waitcnt lgkmcnt(0) vmcnt(0)
	;;#ASMEND
	s_barrier_signal -1
	s_barrier_wait -1
.LBB4_18174:                            ;   in Loop: Header=BB4_18111 Depth=2
	s_or_b32 exec_lo, exec_lo, s18
.LBB4_18175:                            ;   in Loop: Header=BB4_18111 Depth=2
	s_delay_alu instid0(SALU_CYCLE_1) | instskip(SKIP_2) | instid1(VALU_DEP_1)
	s_or_b32 exec_lo, exec_lo, s13
	v_and_b32_e32 v4, 32, v126
	s_mov_b32 s13, exec_lo
	v_cmpx_ne_u32_e32 0, v4
	s_cbranch_execz .LBB4_18110
; %bb.18176:                            ;   in Loop: Header=BB4_18111 Depth=2
	v_add_nc_u64_e32 v[98:99], 2, v[98:99]
	global_wb scope:SCOPE_SYS
	s_wait_storecnt 0x0
	s_wait_loadcnt_dscnt 0x0
	flat_store_b64 v[22:23], v[98:99] scope:SCOPE_SYS
	s_branch .LBB4_18110
.LBB4_18177:
	s_or_b32 exec_lo, exec_lo, s62
	s_clause 0x3
	scratch_load_b32 v19, off, s33 offset:284
	scratch_load_b32 v31, off, s33 offset:288
	scratch_load_b64 v[20:21], off, s33 offset:292
	scratch_load_b32 v8, off, s33 offset:300
.LBB4_18178:
	s_wait_xcnt 0x0
	s_or_b32 exec_lo, exec_lo, s45
	v_and_b32_e32 v0, 0x800, v126
	s_mov_b32 s1, exec_lo
	s_delay_alu instid0(VALU_DEP_1)
	v_cmpx_eq_u32_e32 0, v0
	s_cbranch_execz .LBB4_18211
; %bb.18179:
	v_and_b32_e32 v0, 48, v126
	s_mov_b32 s0, exec_lo
	s_delay_alu instid0(VALU_DEP_1)
	v_cmpx_ne_u32_e32 0, v0
	s_cbranch_execz .LBB4_18181
; %bb.18180:
	s_wait_loadcnt 0x1
	flat_store_b64 v[20:21], v[98:99] offset:104
.LBB4_18181:
	s_wait_xcnt 0x0
	s_or_b32 exec_lo, exec_lo, s0
	v_and_b32_e32 v0, 0x88, v126
	s_mov_b32 s2, exec_lo
	s_delay_alu instid0(VALU_DEP_1)
	v_cmpx_eq_u32_e32 0x88, v0
	s_cbranch_execz .LBB4_18191
; %bb.18182:
	v_add_nc_u32_e32 v0, 6, v98
	v_and_b32_e32 v4, 64, v126
	s_mov_b32 s3, 0
	s_delay_alu instid0(VALU_DEP_2) | instskip(NEXT) | instid1(VALU_DEP_2)
	v_and_b32_e32 v0, 7, v0
	v_cmp_eq_u32_e64 s0, 0, v4
	s_delay_alu instid0(VALU_DEP_2)
	v_mad_nc_u64_u32 v[2:3], v0, 24, v[6:7]
	flat_load_b64 v[0:1], v[2:3] offset:8 scope:SCOPE_SYS
	s_wait_loadcnt_dscnt 0x0
	v_cmp_ne_u64_e32 vcc_lo, -1, v[0:1]
	s_and_b32 s0, vcc_lo, s0
	s_wait_xcnt 0x0
	s_and_b32 exec_lo, exec_lo, s0
	s_cbranch_execz .LBB4_18191
; %bb.18183:
	s_mov_b32 s5, 0
                                        ; implicit-def: $sgpr0
                                        ; implicit-def: $sgpr4
	s_branch .LBB4_18186
.LBB4_18184:                            ;   in Loop: Header=BB4_18186 Depth=1
	flat_load_b64 v[4:5], v[2:3] offset:8 scope:SCOPE_SYS
	s_wait_loadcnt 0x0
	s_and_not1_b32 s4, s4, exec_lo
	s_wait_dscnt 0x0
	v_cmp_eq_u64_e32 vcc_lo, -1, v[4:5]
	s_or_not1_b32 s7, vcc_lo, exec_lo
.LBB4_18185:                            ;   in Loop: Header=BB4_18186 Depth=1
	s_wait_xcnt 0x0
	s_or_b32 exec_lo, exec_lo, s10
	s_delay_alu instid0(SALU_CYCLE_1) | instskip(NEXT) | instid1(SALU_CYCLE_1)
	s_and_b32 s6, exec_lo, s7
	s_or_b32 s3, s6, s3
	s_and_not1_b32 s0, s0, exec_lo
	s_and_b32 s6, s4, exec_lo
	s_delay_alu instid0(SALU_CYCLE_1)
	s_or_b32 s0, s0, s6
	s_and_not1_b32 exec_lo, exec_lo, s3
	s_cbranch_execz .LBB4_18189
.LBB4_18186:                            ; =>This Inner Loop Header: Depth=1
	s_cmp_lt_i32 s5, 0x270f
	s_cselect_b32 s6, -1, 0
	s_delay_alu instid0(SALU_CYCLE_1)
	s_and_b32 vcc_lo, exec_lo, s6
	s_cbranch_vccnz .LBB4_18188
; %bb.18187:                            ;   in Loop: Header=BB4_18186 Depth=1
	s_trap 2
	ds_load_b64 v[0:1], v0
	s_and_not1_b32 s6, s6, exec_lo
	s_mov_b32 s5, 0
	s_wait_storecnt_dscnt 0x0
	flat_load_b32 v0, v[0:1] scope:SCOPE_SYS
	s_wait_loadcnt_dscnt 0x0
	global_inv scope:SCOPE_SYS
	v_cmp_eq_u32_e32 vcc_lo, 0, v0
	s_and_b32 s7, vcc_lo, exec_lo
	s_delay_alu instid0(SALU_CYCLE_1)
	s_or_b32 s6, s6, s7
	s_mov_b32 s7, -1
	s_or_b32 s4, s4, exec_lo
	s_wait_xcnt 0x0
	s_and_saveexec_b32 s10, s6
	s_cbranch_execz .LBB4_18185
	s_branch .LBB4_18184
.LBB4_18188:                            ;   in Loop: Header=BB4_18186 Depth=1
	s_add_co_i32 s5, s5, 1
                                        ; implicit-def: $vgpr0
	s_mov_b32 s7, -1
	s_or_b32 s4, s4, exec_lo
	s_and_saveexec_b32 s10, s6
	s_cbranch_execz .LBB4_18185
	s_branch .LBB4_18184
.LBB4_18189:
	s_or_b32 exec_lo, exec_lo, s3
	s_and_saveexec_b32 s3, s0
	s_delay_alu instid0(SALU_CYCLE_1)
	s_xor_b32 s3, exec_lo, s3
	s_cbranch_execz .LBB4_18191
; %bb.18190:
	s_wait_loadcnt 0x0
	s_wait_storecnt 0x0
	ds_store_b32 v0, v0
	s_trap 2
.LBB4_18191:
	s_or_b32 exec_lo, exec_lo, s2
	v_and_b32_e32 v0, 0x2000, v126
	s_mov_b32 s0, exec_lo
	s_delay_alu instid0(VALU_DEP_1)
	v_cmpx_ne_u32_e32 0, v0
	s_cbranch_execz .LBB4_18193
; %bb.18192:
	s_trap 2
	scratch_load_b64 v[2:3], off, s33 offset:304 th:TH_LOAD_LU ; 8-byte Folded Reload
	ds_load_b64 v[0:1], v0
	s_wait_loadcnt_dscnt 0x0
	flat_store_b64 v[2:3], v[0:1] offset:16
.LBB4_18193:
	s_wait_xcnt 0x0
	s_or_b32 exec_lo, exec_lo, s0
	s_wait_loadcnt 0x3
	v_cmp_ne_u32_e32 vcc_lo, 32, v19
	s_and_b32 exec_lo, exec_lo, vcc_lo
	s_cbranch_execz .LBB4_18211
; %bb.18194:
	s_mov_b32 s0, exec_lo
	s_wait_loadcnt 0x0
	v_cmpx_ne_u32_e64 v19, v8
	s_xor_b32 s0, exec_lo, s0
	s_cbranch_execz .LBB4_18209
; %bb.18195:
	v_and_b32_e32 v0, 31, v31
	s_mov_b32 s2, exec_lo
	s_delay_alu instid0(VALU_DEP_1)
	v_cmpx_eq_u32_e32 0, v0
	s_cbranch_execz .LBB4_18208
; %bb.18196:
	s_mov_b32 s4, exec_lo
	s_mov_b32 s3, exec_lo
	v_mbcnt_lo_u32_b32 v0, s4, 0
	global_wb scope:SCOPE_DEV
	s_wait_storecnt_dscnt 0x0
	global_inv scope:SCOPE_DEV
	v_cmpx_eq_u32_e32 0, v0
	s_cbranch_execz .LBB4_18198
; %bb.18197:
	s_bcnt1_i32_b32 s4, s4
	s_delay_alu instid0(SALU_CYCLE_1)
	v_dual_mov_b32 v1, 0 :: v_dual_mov_b32 v0, s4
	s_wait_loadcnt 0x0
	ds_add_u64 v0, v[0:1]
	s_trap 2
.LBB4_18198:
	s_or_b32 exec_lo, exec_lo, s3
	s_trap 2
	ds_load_b64 v[2:3], v0
	s_wait_dscnt 0x0
	v_dual_mov_b32 v1, 0 :: v_dual_lshrrev_b32 v0, 5, v19
	s_mov_b32 s3, exec_lo
	s_delay_alu instid0(VALU_DEP_1) | instskip(NEXT) | instid1(VALU_DEP_1)
	v_add_nc_u64_e32 v[0:1], v[32:33], v[0:1]
	v_cmpx_lt_u64_e64 v[2:3], v[0:1]
	s_cbranch_execz .LBB4_18207
; %bb.18199:
	s_mov_b32 s4, 0
	s_mov_b32 s7, 0
                                        ; implicit-def: $sgpr5
                                        ; implicit-def: $sgpr6
	s_branch .LBB4_18201
.LBB4_18200:                            ;   in Loop: Header=BB4_18201 Depth=1
	s_or_b32 exec_lo, exec_lo, s11
	s_delay_alu instid0(SALU_CYCLE_1) | instskip(NEXT) | instid1(SALU_CYCLE_1)
	s_and_b32 s10, exec_lo, s12
	s_or_b32 s4, s10, s4
	s_and_not1_b32 s5, s5, exec_lo
	s_and_b32 s10, s6, exec_lo
	s_delay_alu instid0(SALU_CYCLE_1)
	s_or_b32 s5, s5, s10
	s_and_not1_b32 exec_lo, exec_lo, s4
	s_cbranch_execz .LBB4_18205
.LBB4_18201:                            ; =>This Inner Loop Header: Depth=1
	s_add_co_i32 s7, s7, 1
	s_delay_alu instid0(SALU_CYCLE_1) | instskip(SKIP_1) | instid1(SALU_CYCLE_1)
	s_cmp_lg_u32 s7, 0x2710
	s_cselect_b32 s10, -1, 0
	s_and_b32 vcc_lo, exec_lo, s10
	s_cbranch_vccz .LBB4_18203
; %bb.18202:                            ;   in Loop: Header=BB4_18201 Depth=1
	s_mov_b32 s12, -1
	s_or_b32 s6, s6, exec_lo
	s_and_saveexec_b32 s11, s10
	s_cbranch_execz .LBB4_18200
	s_branch .LBB4_18204
.LBB4_18203:                            ;   in Loop: Header=BB4_18201 Depth=1
	s_trap 2
	ds_load_b64 v[2:3], v0
	s_and_not1_b32 s10, s10, exec_lo
	s_mov_b32 s7, 0
	s_wait_loadcnt_dscnt 0x0
	flat_load_b32 v2, v[2:3] scope:SCOPE_SYS
	s_wait_loadcnt_dscnt 0x0
	global_inv scope:SCOPE_SYS
	v_cmp_eq_u32_e32 vcc_lo, 0, v2
	s_and_b32 s11, vcc_lo, exec_lo
	s_delay_alu instid0(SALU_CYCLE_1)
	s_or_b32 s10, s10, s11
	s_mov_b32 s12, -1
	s_or_b32 s6, s6, exec_lo
	s_and_saveexec_b32 s11, s10
	s_cbranch_execz .LBB4_18200
.LBB4_18204:                            ;   in Loop: Header=BB4_18201 Depth=1
	s_sleep 1
	s_trap 2
	ds_load_b64 v[2:3], v0
	s_wait_dscnt 0x0
	s_and_not1_b32 s6, s6, exec_lo
	v_cmp_ge_u64_e32 vcc_lo, v[2:3], v[0:1]
	s_or_not1_b32 s12, vcc_lo, exec_lo
	s_branch .LBB4_18200
.LBB4_18205:
	s_or_b32 exec_lo, exec_lo, s4
	s_and_saveexec_b32 s4, s5
	s_delay_alu instid0(SALU_CYCLE_1)
	s_xor_b32 s4, exec_lo, s4
	s_cbranch_execz .LBB4_18207
; %bb.18206:
	v_mov_b32_e32 v0, 1
	ds_store_b32 v0, v0
	s_trap 2
.LBB4_18207:
	s_or_b32 exec_lo, exec_lo, s3
	;;#ASMSTART
	s_wakeup
	;;#ASMEND
.LBB4_18208:
	s_or_b32 exec_lo, exec_lo, s2
.LBB4_18209:
	s_and_not1_saveexec_b32 s0, s0
	s_cbranch_execz .LBB4_18211
; %bb.18210:
	global_wb scope:SCOPE_DEV
	s_wait_storecnt 0x0
	s_wait_loadcnt_dscnt 0x0
	global_inv scope:SCOPE_DEV
	s_barrier_signal -1
	s_barrier_wait -1
.LBB4_18211:
	s_or_b32 exec_lo, exec_lo, s1
.LBB4_18212:
	s_and_not1_saveexec_b32 s21, s44
	s_cbranch_execz .LBB4_18214
; %bb.18213:
	s_get_pc_i64 s[0:1]
	s_add_nc_u64 s[0:1], s[0:1], __PRETTY_FUNCTION__._ZN10PrimitivesI14__hip_fp8_e5m213FuncPreMulSumIS0_E12FanSymmetricILi1EELi0E11ProtoSimpleILi2ELi2ELi0ELi2ELi0ELi0EELi0ELb0ELi0ELi0ELi0EEC2EiiPKiS9_PKvPvmhhhP15ncclDevWorkCollP14ncclDevWorkP2pii@rel64+4
	s_get_pc_i64 s[2:3]
	s_add_nc_u64 s[2:3], s[2:3], __assert_fail@rel64+4
	v_dual_mov_b32 v0, s0 :: v_dual_mov_b32 v1, s1
	s_swap_pc_i64 s[30:31], s[2:3]
	; divergent unreachable
.LBB4_18214:
	s_or_b32 exec_lo, exec_lo, s21
	s_clause 0x2e
	scratch_load_b32 v126, off, s33
	scratch_load_b32 v125, off, s33 offset:4
	scratch_load_b32 v124, off, s33 offset:8
	;; [unrolled: 1-line block ×46, first 2 shown]
	v_readlane_b32 s30, v127, 0
	v_readlane_b32 s31, v127, 1
	s_mov_b32 s32, s33
	s_wait_xcnt 0x0
	s_or_saveexec_b32 s0, -1
	scratch_load_b32 v127, off, s33 offset:312 ; 4-byte Folded Reload
	s_wait_xcnt 0x0
	s_mov_b32 exec_lo, s0
	s_mov_b32 s33, s90
	s_wait_loadcnt_dscnt 0x0
	s_set_pc_i64 s[30:31]
.Lfunc_end4:
	.size	_ZN12_GLOBAL__N_17runRingI14__hip_fp8_e5m213FuncPreMulSumIS1_E11ProtoSimpleILi2ELi2ELi0ELi2ELi0ELi0EELi0ELi0ELi2ELi0EEEviiP15ncclDevWorkColl, .Lfunc_end4-_ZN12_GLOBAL__N_17runRingI14__hip_fp8_e5m213FuncPreMulSumIS1_E11ProtoSimpleILi2ELi2ELi0ELi2ELi0ELi0EELi0ELi0ELi2ELi0EEEviiP15ncclDevWorkColl
                                        ; -- End function
	.set .L_ZN12_GLOBAL__N_17runRingI14__hip_fp8_e5m213FuncPreMulSumIS1_E11ProtoSimpleILi2ELi2ELi0ELi2ELi0ELi0EELi0ELi0ELi2ELi0EEEviiP15ncclDevWorkColl.num_vgpr, max(128, .L__assert_fail.num_vgpr)
	.set .L_ZN12_GLOBAL__N_17runRingI14__hip_fp8_e5m213FuncPreMulSumIS1_E11ProtoSimpleILi2ELi2ELi0ELi2ELi0ELi0EELi0ELi0ELi2ELi0EEEviiP15ncclDevWorkColl.num_agpr, max(0, .L__assert_fail.num_agpr)
	.set .L_ZN12_GLOBAL__N_17runRingI14__hip_fp8_e5m213FuncPreMulSumIS1_E11ProtoSimpleILi2ELi2ELi0ELi2ELi0ELi0EELi0ELi0ELi2ELi0EEEviiP15ncclDevWorkColl.numbered_sgpr, max(91, .L__assert_fail.numbered_sgpr)
	.set .L_ZN12_GLOBAL__N_17runRingI14__hip_fp8_e5m213FuncPreMulSumIS1_E11ProtoSimpleILi2ELi2ELi0ELi2ELi0ELi0EELi0ELi0ELi2ELi0EEEviiP15ncclDevWorkColl.num_named_barrier, max(0, .L__assert_fail.num_named_barrier)
	.set .L_ZN12_GLOBAL__N_17runRingI14__hip_fp8_e5m213FuncPreMulSumIS1_E11ProtoSimpleILi2ELi2ELi0ELi2ELi0ELi0EELi0ELi0ELi2ELi0EEEviiP15ncclDevWorkColl.private_seg_size, 320+max(.L__assert_fail.private_seg_size)
	.set .L_ZN12_GLOBAL__N_17runRingI14__hip_fp8_e5m213FuncPreMulSumIS1_E11ProtoSimpleILi2ELi2ELi0ELi2ELi0ELi0EELi0ELi0ELi2ELi0EEEviiP15ncclDevWorkColl.uses_vcc, or(1, .L__assert_fail.uses_vcc)
	.set .L_ZN12_GLOBAL__N_17runRingI14__hip_fp8_e5m213FuncPreMulSumIS1_E11ProtoSimpleILi2ELi2ELi0ELi2ELi0ELi0EELi0ELi0ELi2ELi0EEEviiP15ncclDevWorkColl.uses_flat_scratch, or(1, .L__assert_fail.uses_flat_scratch)
	.set .L_ZN12_GLOBAL__N_17runRingI14__hip_fp8_e5m213FuncPreMulSumIS1_E11ProtoSimpleILi2ELi2ELi0ELi2ELi0ELi0EELi0ELi0ELi2ELi0EEEviiP15ncclDevWorkColl.has_dyn_sized_stack, or(0, .L__assert_fail.has_dyn_sized_stack)
	.set .L_ZN12_GLOBAL__N_17runRingI14__hip_fp8_e5m213FuncPreMulSumIS1_E11ProtoSimpleILi2ELi2ELi0ELi2ELi0ELi0EELi0ELi0ELi2ELi0EEEviiP15ncclDevWorkColl.has_recursion, or(1, .L__assert_fail.has_recursion)
	.set .L_ZN12_GLOBAL__N_17runRingI14__hip_fp8_e5m213FuncPreMulSumIS1_E11ProtoSimpleILi2ELi2ELi0ELi2ELi0ELi0EELi0ELi0ELi2ELi0EEEviiP15ncclDevWorkColl.has_indirect_call, or(0, .L__assert_fail.has_indirect_call)
	.section	.AMDGPU.csdata,"",@progbits
; Function info:
; codeLenInByte = 519964
; TotalNumSgprs: 93
; NumVgprs: 128
; ScratchSize: 384
; MemoryBound: 1
	.text
	.p2align	2                               ; -- Begin function _Z56ncclDevFunc_AllReduce_RING_SIMPLE_PreMulSum_f8e5m2_0_0_2v
	.type	_Z56ncclDevFunc_AllReduce_RING_SIMPLE_PreMulSum_f8e5m2_0_0_2v,@function
_Z56ncclDevFunc_AllReduce_RING_SIMPLE_PreMulSum_f8e5m2_0_0_2v: ; @_Z56ncclDevFunc_AllReduce_RING_SIMPLE_PreMulSum_f8e5m2_0_0_2v
; %bb.0:
	s_wait_loadcnt_dscnt 0x0
	s_wait_kmcnt 0x0
	s_mov_b32 s0, s33
	s_mov_b32 s33, s32
	s_or_saveexec_b32 s1, -1
	scratch_store_b32 off, v42, s33 offset:12 ; 4-byte Folded Spill
	s_wait_xcnt 0x0
	s_mov_b32 exec_lo, s1
	v_writelane_b32 v42, s0, 3
	s_add_co_i32 s32, s32, 32
	s_clause 0x2
	scratch_store_b32 off, v40, s33 offset:8
	; meta instruction
	scratch_store_b32 off, v41, s33 offset:4
	; meta instruction
	scratch_store_b32 off, v127, s33
	v_writelane_b32 v42, s34, 0
	v_writelane_b32 v42, s30, 1
	;; [unrolled: 1-line block ×3, first 2 shown]
	s_trap 2
	ds_load_b32 v0, v0
	s_wait_xcnt 0x2
	v_mov_b32_e32 v40, v31
	s_mov_b32 s91, s12
	s_mov_b64 s[92:93], s[8:9]
	s_mov_b32 s2, exec_lo
	s_wait_xcnt 0x1
	v_and_b32_e32 v41, 0x3ff, v40
	s_wait_dscnt 0x0
	s_wait_xcnt 0x0
	s_delay_alu instid0(VALU_DEP_1)
	v_cmpx_lt_i32_e64 v41, v0
	s_cbranch_execz .LBB5_5
; %bb.1:
	s_load_b32 s0, s[92:93], 0x0
	s_bfe_u32 s1, ttmp6, 0x4000c
	s_and_b32 s3, ttmp6, 15
	s_add_co_i32 s1, s1, 1
	s_getreg_b32 s4, hwreg(HW_REG_IB_STS2, 6, 4)
	s_mul_i32 s1, ttmp9, s1
	v_mov_b32_e32 v2, v41
	s_add_co_i32 s3, s3, s1
	s_cmp_eq_u32 s4, 0
                                        ; implicit-def: $vgpr3
	s_cselect_b32 s1, ttmp9, s3
	s_mov_b32 s3, 0
	s_wait_kmcnt 0x0
	s_cmp_lt_u32 s1, s0
	s_mov_b32 s1, 0
	s_cselect_b32 s0, 12, 18
	s_delay_alu instid0(SALU_CYCLE_1)
	s_add_nc_u64 s[4:5], s[92:93], s[0:1]
	s_load_u16 s0, s[4:5], 0x0
	s_trap 2
	ds_load_b32 v1, v0
	s_wait_dscnt 0x0
	s_wait_kmcnt 0x0
	v_mul_lo_u32 v1, v1, s0
	s_branch .LBB5_3
.LBB5_2:                                ;   in Loop: Header=BB5_3 Depth=1
	s_or_b32 exec_lo, exec_lo, s4
	v_dual_add_nc_u32 v2, s0, v2 :: v_dual_add_nc_u32 v3, v3, v1
	s_delay_alu instid0(VALU_DEP_1) | instskip(SKIP_1) | instid1(SALU_CYCLE_1)
	v_cmp_ge_i32_e32 vcc_lo, v2, v0
	s_or_b32 s3, vcc_lo, s3
	s_and_not1_b32 exec_lo, exec_lo, s3
	s_cbranch_execz .LBB5_5
.LBB5_3:                                ; =>This Inner Loop Header: Depth=1
	ds_load_b32 v4, v3
	s_mov_b32 s4, exec_lo
	s_wait_dscnt 0x0
	v_and_b32_e32 v4, 0x1000000, v4
	s_delay_alu instid0(VALU_DEP_1)
	v_cmpx_ne_u32_e32 0, v4
	s_cbranch_execz .LBB5_2
; %bb.4:                                ;   in Loop: Header=BB5_3 Depth=1
	ds_load_b64 v[4:5], v3 offset:104
	s_wait_dscnt 0x0
	flat_load_u8 v4, v[4:5]
	s_wait_xcnt 0x0
	v_mov_b32_e32 v5, s1
	s_wait_loadcnt_dscnt 0x0
	v_and_b32_e32 v4, 0xffff, v4
	ds_store_b64 v3, v[4:5] offset:104
	s_branch .LBB5_2
.LBB5_5:
	s_or_b32 exec_lo, exec_lo, s2
	s_wait_storecnt_dscnt 0x0
	s_barrier_signal -1
	s_barrier_wait -1
	s_trap 2
	ds_load_b32 v0, v0
	s_wait_dscnt 0x0
	v_cmp_gt_i32_e32 vcc_lo, 1, v0
	s_cbranch_vccnz .LBB5_13
; %bb.6:
	s_mov_b32 vcc_hi, 0
	s_get_pc_i64 s[94:95]
	s_add_nc_u64 s[94:95], s[94:95], _ZN12_GLOBAL__N_17runRingI14__hip_fp8_e5m213FuncPreMulSumIS1_E11ProtoSimpleILi2ELi2ELi0ELi2ELi0ELi0EELi0ELi0ELi2ELi0EEEviiP15ncclDevWorkColl@rel64+4
	s_branch .LBB5_8
.LBB5_7:                                ;   in Loop: Header=BB5_8 Depth=1
	s_or_b32 exec_lo, exec_lo, s34
	s_trap 2
	ds_load_b32 v0, v0
	s_add_co_i32 vcc_hi, vcc_hi, 1
	s_wait_dscnt 0x0
	v_cmp_lt_i32_e32 vcc_lo, vcc_hi, v0
	s_cbranch_vccz .LBB5_13
.LBB5_8:                                ; =>This Inner Loop Header: Depth=1
	s_trap 2
	ds_load_b32 v0, v0
	s_cmp_eq_u32 vcc_hi, 0
	s_cbranch_scc1 .LBB5_11
; %bb.9:                                ;   in Loop: Header=BB5_8 Depth=1
	s_trap 2
	s_wait_dscnt 0x0
	ds_load_b32 v1, v0
	s_wait_dscnt 0x0
	v_xor_b32_e32 v1, v1, v0
	s_delay_alu instid0(VALU_DEP_1) | instskip(NEXT) | instid1(VALU_DEP_1)
	v_and_b32_e32 v1, 0xff0000, v1
	v_cmp_eq_u32_e32 vcc_lo, 0, v1
	s_cbranch_vccnz .LBB5_11
; %bb.10:                               ;   in Loop: Header=BB5_8 Depth=1
	s_barrier_signal -1
	s_barrier_wait -1
	ds_load_b32 v0, v0
.LBB5_11:                               ;   in Loop: Header=BB5_8 Depth=1
	s_wait_dscnt 0x0
	v_lshrrev_b32_e32 v0, 11, v0
	s_mov_b32 s34, exec_lo
	s_delay_alu instid0(VALU_DEP_1) | instskip(NEXT) | instid1(VALU_DEP_1)
	v_and_b32_e32 v1, 0x1fe0, v0
	v_cmpx_lt_u32_e64 v41, v1
	s_cbranch_execz .LBB5_7
; %bb.12:                               ;   in Loop: Header=BB5_8 Depth=1
	s_mov_b64 s[0:1], src_shared_base
	v_dual_mov_b32 v31, v40 :: v_dual_mov_b32 v0, v41
	v_mov_b32_e32 v3, s1
	s_mov_b64 s[8:9], s[92:93]
	s_mov_b32 s12, s91
	s_swap_pc_i64 s[30:31], s[94:95]
	s_branch .LBB5_7
.LBB5_13:
	s_clause 0x2
	scratch_load_b32 v127, off, s33
	scratch_load_b32 v41, off, s33 offset:4
	scratch_load_b32 v40, off, s33 offset:8
	v_readlane_b32 s30, v42, 1
	v_readlane_b32 s31, v42, 2
	;; [unrolled: 1-line block ×3, first 2 shown]
	s_mov_b32 s32, s33
	v_readlane_b32 s0, v42, 3
	s_wait_xcnt 0x0
	s_or_saveexec_b32 s1, -1
	scratch_load_b32 v42, off, s33 offset:12 ; 4-byte Folded Reload
	s_wait_xcnt 0x0
	s_mov_b32 exec_lo, s1
	s_mov_b32 s33, s0
	s_wait_loadcnt 0x0
	s_set_pc_i64 s[30:31]
.Lfunc_end5:
	.size	_Z56ncclDevFunc_AllReduce_RING_SIMPLE_PreMulSum_f8e5m2_0_0_2v, .Lfunc_end5-_Z56ncclDevFunc_AllReduce_RING_SIMPLE_PreMulSum_f8e5m2_0_0_2v
                                        ; -- End function
	.set .L_Z56ncclDevFunc_AllReduce_RING_SIMPLE_PreMulSum_f8e5m2_0_0_2v.num_vgpr, max(128, .L_ZN12_GLOBAL__N_17runRingI14__hip_fp8_e5m213FuncPreMulSumIS1_E11ProtoSimpleILi2ELi2ELi0ELi2ELi0ELi0EELi0ELi0ELi2ELi0EEEviiP15ncclDevWorkColl.num_vgpr)
	.set .L_Z56ncclDevFunc_AllReduce_RING_SIMPLE_PreMulSum_f8e5m2_0_0_2v.num_agpr, max(0, .L_ZN12_GLOBAL__N_17runRingI14__hip_fp8_e5m213FuncPreMulSumIS1_E11ProtoSimpleILi2ELi2ELi0ELi2ELi0ELi0EELi0ELi0ELi2ELi0EEEviiP15ncclDevWorkColl.num_agpr)
	.set .L_Z56ncclDevFunc_AllReduce_RING_SIMPLE_PreMulSum_f8e5m2_0_0_2v.numbered_sgpr, max(96, .L_ZN12_GLOBAL__N_17runRingI14__hip_fp8_e5m213FuncPreMulSumIS1_E11ProtoSimpleILi2ELi2ELi0ELi2ELi0ELi0EELi0ELi0ELi2ELi0EEEviiP15ncclDevWorkColl.numbered_sgpr)
	.set .L_Z56ncclDevFunc_AllReduce_RING_SIMPLE_PreMulSum_f8e5m2_0_0_2v.num_named_barrier, max(0, .L_ZN12_GLOBAL__N_17runRingI14__hip_fp8_e5m213FuncPreMulSumIS1_E11ProtoSimpleILi2ELi2ELi0ELi2ELi0ELi0EELi0ELi0ELi2ELi0EEEviiP15ncclDevWorkColl.num_named_barrier)
	.set .L_Z56ncclDevFunc_AllReduce_RING_SIMPLE_PreMulSum_f8e5m2_0_0_2v.private_seg_size, 32+max(.L_ZN12_GLOBAL__N_17runRingI14__hip_fp8_e5m213FuncPreMulSumIS1_E11ProtoSimpleILi2ELi2ELi0ELi2ELi0ELi0EELi0ELi0ELi2ELi0EEEviiP15ncclDevWorkColl.private_seg_size)
	.set .L_Z56ncclDevFunc_AllReduce_RING_SIMPLE_PreMulSum_f8e5m2_0_0_2v.uses_vcc, or(1, .L_ZN12_GLOBAL__N_17runRingI14__hip_fp8_e5m213FuncPreMulSumIS1_E11ProtoSimpleILi2ELi2ELi0ELi2ELi0ELi0EELi0ELi0ELi2ELi0EEEviiP15ncclDevWorkColl.uses_vcc)
	.set .L_Z56ncclDevFunc_AllReduce_RING_SIMPLE_PreMulSum_f8e5m2_0_0_2v.uses_flat_scratch, or(1, .L_ZN12_GLOBAL__N_17runRingI14__hip_fp8_e5m213FuncPreMulSumIS1_E11ProtoSimpleILi2ELi2ELi0ELi2ELi0ELi0EELi0ELi0ELi2ELi0EEEviiP15ncclDevWorkColl.uses_flat_scratch)
	.set .L_Z56ncclDevFunc_AllReduce_RING_SIMPLE_PreMulSum_f8e5m2_0_0_2v.has_dyn_sized_stack, or(0, .L_ZN12_GLOBAL__N_17runRingI14__hip_fp8_e5m213FuncPreMulSumIS1_E11ProtoSimpleILi2ELi2ELi0ELi2ELi0ELi0EELi0ELi0ELi2ELi0EEEviiP15ncclDevWorkColl.has_dyn_sized_stack)
	.set .L_Z56ncclDevFunc_AllReduce_RING_SIMPLE_PreMulSum_f8e5m2_0_0_2v.has_recursion, or(1, .L_ZN12_GLOBAL__N_17runRingI14__hip_fp8_e5m213FuncPreMulSumIS1_E11ProtoSimpleILi2ELi2ELi0ELi2ELi0ELi0EELi0ELi0ELi2ELi0EEEviiP15ncclDevWorkColl.has_recursion)
	.set .L_Z56ncclDevFunc_AllReduce_RING_SIMPLE_PreMulSum_f8e5m2_0_0_2v.has_indirect_call, or(0, .L_ZN12_GLOBAL__N_17runRingI14__hip_fp8_e5m213FuncPreMulSumIS1_E11ProtoSimpleILi2ELi2ELi0ELi2ELi0ELi0EELi0ELi0ELi2ELi0EEEviiP15ncclDevWorkColl.has_indirect_call)
	.section	.AMDGPU.csdata,"",@progbits
; Function info:
; codeLenInByte = 788
; TotalNumSgprs: 98
; NumVgprs: 128
; ScratchSize: 416
; MemoryBound: 0
	.text
	.p2align	2                               ; -- Begin function _ZN12_GLOBAL__N_17runRingI14__hip_fp8_e5m213FuncPreMulSumIS1_E11ProtoSimpleILi2ELi2ELi0ELi4ELi0ELi0EELi0ELi0ELi4ELi0EEEviiP15ncclDevWorkColl
	.type	_ZN12_GLOBAL__N_17runRingI14__hip_fp8_e5m213FuncPreMulSumIS1_E11ProtoSimpleILi2ELi2ELi0ELi4ELi0ELi0EELi0ELi0ELi4ELi0EEEviiP15ncclDevWorkColl,@function
_ZN12_GLOBAL__N_17runRingI14__hip_fp8_e5m213FuncPreMulSumIS1_E11ProtoSimpleILi2ELi2ELi0ELi4ELi0ELi0EELi0ELi0ELi4ELi0EEEviiP15ncclDevWorkColl: ; @_ZN12_GLOBAL__N_17runRingI14__hip_fp8_e5m213FuncPreMulSumIS1_E11ProtoSimpleILi2ELi2ELi0ELi4ELi0ELi0EELi0ELi0ELi4ELi0EEEviiP15ncclDevWorkColl
; %bb.0:
	s_wait_loadcnt_dscnt 0x0
	s_wait_kmcnt 0x0
	s_mov_b32 s90, s33
	s_mov_b32 s33, s32
	s_or_saveexec_b32 s0, -1
	scratch_store_b32 off, v127, s33 offset:628 ; 4-byte Folded Spill
	s_wait_xcnt 0x0
	s_mov_b32 exec_lo, s0
	s_addk_co_i32 s32, 0x280
	s_clause 0x2e
	scratch_store_b32 off, v40, s33 offset:184
	; meta instruction
	scratch_store_b32 off, v41, s33 offset:180
	; meta instruction
	;; [unrolled: 2-line block ×46, first 2 shown]
	scratch_store_b32 off, v126, s33
	v_writelane_b32 v127, s30, 0
	v_writelane_b32 v127, s31, 1
	scratch_store_b32 off, v0, s33 offset:384 ; 4-byte Folded Spill
	s_trap 2
	flat_load_b32 v4, v[2:3]
	ds_load_b32 v5, v0
	s_mov_b32 s0, exec_lo
                                        ; implicit-def: $vgpr18_vgpr19
                                        ; implicit-def: $vgpr8_vgpr9
                                        ; kill: killed $vgpr8_vgpr9
                                        ; implicit-def: $vgpr20_vgpr21
	s_wait_dscnt 0x0
	v_readfirstlane_b32 s16, v5
	s_wait_loadcnt 0x0
	v_and_b32_e32 v7, 0xff, v4
	s_wait_xcnt 0x0
	s_delay_alu instid0(VALU_DEP_1)
	v_cmpx_ne_u32_e64 v5, v7
	s_xor_b32 s0, exec_lo, s0
	s_cbranch_execz .LBB6_6
; %bb.1:
	v_bfe_u32 v6, v4, 8, 8
	v_not_b32_e32 v4, v7
	s_mov_b32 s1, exec_lo
                                        ; implicit-def: $vgpr18_vgpr19
                                        ; implicit-def: $vgpr8_vgpr9
                                        ; kill: killed $vgpr8_vgpr9
                                        ; implicit-def: $vgpr20_vgpr21
	s_delay_alu instid0(VALU_DEP_2)
	v_cmpx_ne_u32_e64 v5, v6
	s_xor_b32 s1, exec_lo, s1
	s_cbranch_execz .LBB6_3
; %bb.2:
	s_clause 0x1
	flat_load_b128 v[6:9], v[2:3] offset:72
	flat_load_b64 v[10:11], v[2:3] offset:96
	v_add_nc_u32_e32 v4, v5, v4
	s_wait_loadcnt_dscnt 0x101
	s_delay_alu instid0(VALU_DEP_1) | instskip(SKIP_3) | instid1(VALU_DEP_3)
	v_mad_nc_u64_u32 v[6:7], v8, v4, v[6:7]
	s_wait_loadcnt_dscnt 0x0
	v_lshrrev_b64 v[18:19], 12, v[10:11]
	v_mov_b64_e32 v[20:21], v[8:9]
	v_mad_u32 v5, v9, v4, v7
	v_ashrrev_i32_e32 v4, 31, v4
	s_delay_alu instid0(VALU_DEP_1)
	v_mad_u32 v7, v8, v4, v5
                                        ; implicit-def: $vgpr4
	scratch_store_b64 off, v[6:7], s33 offset:568 ; 8-byte Folded Spill
                                        ; implicit-def: $vgpr6
.LBB6_3:
	s_wait_xcnt 0x0
	s_and_not1_saveexec_b32 s1, s1
	s_cbranch_execz .LBB6_5
; %bb.4:
	s_clause 0x1
	flat_load_b128 v[8:11], v[2:3] offset:72
	flat_load_b128 v[20:23], v[2:3] offset:88
	s_wait_loadcnt_dscnt 0x0
	v_dual_add_nc_u32 v0, v6, v4 :: v_dual_lshrrev_b32 v18, 1, v23
	s_delay_alu instid0(VALU_DEP_1) | instskip(NEXT) | instid1(VALU_DEP_1)
	v_mad_nc_u64_u32 v[6:7], v10, v0, v[8:9]
	v_mad_u32 v4, v11, v0, v7
	v_ashrrev_i32_e32 v0, 31, v0
	s_delay_alu instid0(VALU_DEP_1)
	v_mad_u32 v7, v10, v0, v4
	scratch_store_b64 off, v[6:7], s33 offset:568 ; 8-byte Folded Spill
.LBB6_5:
	s_wait_xcnt 0x0
	s_or_b32 exec_lo, exec_lo, s1
.LBB6_6:
	s_and_not1_saveexec_b32 s0, s0
	s_cbranch_execz .LBB6_8
; %bb.7:
	s_clause 0x1
	flat_load_b64 v[4:5], v[2:3] offset:96
	flat_load_b64 v[20:21], v[2:3] offset:72
	s_wait_loadcnt_dscnt 0x101
	v_lshlrev_b64_e32 v[18:19], 9, v[4:5]
	v_mov_b64_e32 v[4:5], 0
	scratch_store_b64 off, v[4:5], s33 offset:568 ; 8-byte Folded Spill
.LBB6_8:
	s_wait_xcnt 0x0
	s_or_b32 exec_lo, exec_lo, s0
	s_trap 2
	ds_load_b64 v[4:5], v0
	s_mov_b32 s1, 0
	s_mov_b32 s2, exec_lo
	s_wait_dscnt 0x0
	v_cmp_ne_u32_e32 vcc_lo, -1, v4
	v_cndmask_b32_e64 v19, 0, 1, vcc_lo
	v_cmp_ne_u32_e32 vcc_lo, -1, v5
	s_delay_alu instid0(VALU_DEP_2) | instskip(NEXT) | instid1(VALU_DEP_1)
	v_add_co_ci_u32_e64 v9, null, 0, v19, vcc_lo
	v_lshlrev_b32_e32 v4, 1, v9
	s_delay_alu instid0(VALU_DEP_1)
	v_cmpx_le_u32_e64 v4, v1
	s_xor_b32 s44, exec_lo, s2
	s_cbranch_execnz .LBB6_9
; %bb.31166:
	s_add_pc_i64 .LBB6_31141-.Lpost_addpc53
.Lpost_addpc53:
.LBB6_9:
	s_clause 0x3
	flat_load_b128 v[10:13], v[2:3] offset:16
	flat_load_b64 v[4:5], v[2:3] offset:104
	flat_load_u16 v7, v[2:3] offset:8
	flat_load_b32 v6, v[2:3] offset:4
	s_trap 2
	s_load_b32 s0, s[8:9], 0x0
	s_bfe_u32 s2, ttmp6, 0x4000c
	s_and_b32 s3, ttmp6, 15
	s_add_co_i32 s2, s2, 1
	s_getreg_b32 s4, hwreg(HW_REG_IB_STS2, 6, 4)
	s_mul_i32 s2, ttmp9, s2
	v_dual_mov_b32 v8, 0 :: v_dual_mov_b32 v22, 4
	s_add_co_i32 s3, s3, s2
	s_cmp_eq_u32 s4, 0
	ds_load_b32 v14, v0
	s_cselect_b32 s2, ttmp9, s3
	scratch_load_b32 v0, off, s33 offset:384 ; 4-byte Folded Reload
	s_wait_kmcnt 0x0
	s_cmp_lt_u32 s2, s0
	s_cselect_b32 s0, 12, 18
	s_delay_alu instid0(SALU_CYCLE_1)
	s_add_nc_u64 s[0:1], s[8:9], s[0:1]
	global_load_u16 v8, v8, s[0:1]
	s_wait_xcnt 0x0
	s_mov_b32 s1, exec_lo
	s_wait_dscnt 0x0
	v_readfirstlane_b32 s12, v14
	s_wait_loadcnt 0x1
	v_cmpx_ge_u32_e64 v0, v19
	s_cbranch_execz .LBB6_19
; %bb.10:
	scratch_load_b32 v0, off, s33 offset:384 ; 4-byte Folded Reload
                                        ; implicit-def: $vgpr22
	s_wait_loadcnt 0x0
	v_cmp_ge_u32_e64 s0, v0, v9
	s_wait_xcnt 0x0
	s_and_saveexec_b32 s2, s0
	s_delay_alu instid0(SALU_CYCLE_1)
	s_xor_b32 s0, exec_lo, s2
	s_cbranch_execz .LBB6_16
; %bb.11:
	scratch_load_b32 v0, off, s33 offset:384 ; 4-byte Folded Reload
	v_cndmask_b32_e64 v14, 0, 1, vcc_lo
	s_mov_b32 s2, exec_lo
	s_delay_alu instid0(VALU_DEP_1) | instskip(SKIP_1) | instid1(VALU_DEP_1)
	v_sub_nc_u32_e32 v14, v1, v14
	s_wait_loadcnt 0x0
	v_cmpx_ge_u32_e64 v0, v14
	s_xor_b32 s2, exec_lo, s2
; %bb.12:
                                        ; implicit-def: $vgpr9
; %bb.13:
	s_delay_alu instid0(SALU_CYCLE_1)
	s_or_saveexec_b32 s2, s2
	v_mov_b32_e32 v22, 16
	s_xor_b32 exec_lo, exec_lo, s2
	s_cbranch_execz .LBB6_15
; %bb.14:
	scratch_load_b32 v0, off, s33 offset:384 ; 4-byte Folded Reload
	v_sub_nc_u32_e32 v9, v1, v9
	s_wait_loadcnt 0x0
	s_delay_alu instid0(VALU_DEP_1)
	v_cmp_lt_i32_e32 vcc_lo, v0, v9
	v_cndmask_b32_e64 v22, 32, 0, vcc_lo
.LBB6_15:
	s_wait_xcnt 0x0
	s_or_b32 exec_lo, exec_lo, s2
.LBB6_16:
	s_and_not1_saveexec_b32 s0, s0
; %bb.17:
	v_mov_b32_e32 v22, 8
; %bb.18:
	s_or_b32 exec_lo, exec_lo, s0
.LBB6_19:
	s_delay_alu instid0(SALU_CYCLE_1) | instskip(NEXT) | instid1(VALU_DEP_1)
	s_or_b32 exec_lo, exec_lo, s1
	v_and_b32_e32 v9, 36, v22
	s_delay_alu instid0(VALU_DEP_1)
	v_cmp_ne_u32_e32 vcc_lo, 0, v9
	v_mov_b32_e32 v9, -1
	s_and_saveexec_b32 s0, vcc_lo
	s_cbranch_execz .LBB6_21
; %bb.20:
	s_trap 2
	ds_load_b32 v9, v0
.LBB6_21:
	s_or_b32 exec_lo, exec_lo, s0
	v_and_b32_e32 v14, 24, v22
	s_mov_b32 s1, exec_lo
	s_delay_alu instid0(VALU_DEP_1)
	v_cmpx_ne_u32_e32 0, v14
	s_cbranch_execz .LBB6_23
; %bb.22:
	s_trap 2
	s_wait_dscnt 0x0
	ds_load_b32 v9, v0
.LBB6_23:
	s_or_b32 exec_lo, exec_lo, s1
	v_lshrrev_b64 v[6:7], 31, v[6:7]
	v_mov_b64_e32 v[16:17], 0
	v_mov_b64_e32 v[14:15], 0
                                        ; implicit-def: $vgpr0
	s_clause 0x1
	scratch_store_b64 off, v[0:1], s33 offset:360
	scratch_store_b128 off, v[14:17], s33 offset:312
	s_wait_xcnt 0x0
	v_and_b32_e32 v14, 3, v6
                                        ; implicit-def: $vgpr6_vgpr7
                                        ; kill: killed $vgpr6_vgpr7
                                        ; implicit-def: $vgpr6_vgpr7
                                        ; kill: killed $vgpr6_vgpr7
	;; [unrolled: 2-line block ×5, first 2 shown]
	s_and_saveexec_b32 s0, vcc_lo
	s_cbranch_execz .LBB6_33
; %bb.24:
	s_trap 2
	ds_load_b64 v[6:7], v0
	v_and_b32_e32 v15, 0xffff, v14
	s_mov_b32 s1, exec_lo
                                        ; implicit-def: $vgpr16_vgpr17
                                        ; kill: killed $vgpr16_vgpr17
	s_wait_dscnt 0x0
	v_readfirstlane_b32 s2, v6
	v_readfirstlane_b32 s3, v7
	flat_load_b64 v[6:7], v9, s[2:3] scale_offset
	s_wait_loadcnt_dscnt 0x0
	v_mad_nc_u64_u32 v[6:7], 0xa8, v15, v[6:7]
	flat_load_b32 v15, v[6:7] offset:640
	s_wait_loadcnt_dscnt 0x0
	v_cmpx_eq_u32_e32 1, v15
	s_cbranch_execz .LBB6_26
; %bb.25:
	flat_load_b64 v[24:25], v[6:7] offset:648
	v_or_b32_e32 v22, 0x2000, v22
	s_wait_loadcnt_dscnt 0x0
	flat_load_b64 v[16:17], v[24:25]
	s_trap 2
	scratch_store_b64 off, v[24:25], s33 offset:620 ; 8-byte Folded Spill
	s_wait_loadcnt_dscnt 0x0
	ds_store_b64 v0, v[16:17]
	flat_load_b64 v[16:17], v[24:25] offset:8
	s_wait_loadcnt_dscnt 0x0
	ds_store_b64 v0, v[16:17]
	flat_load_b64 v[16:17], v[24:25] offset:16
	s_wait_loadcnt_dscnt 0x0
	ds_store_b64 v0, v[16:17]
.LBB6_26:
	s_wait_xcnt 0x0
	s_or_b32 exec_lo, exec_lo, s1
	flat_load_b64 v[16:17], v[6:7] offset:608
	v_and_b32_e32 v15, 32, v22
	s_mov_b32 s1, exec_lo
	s_wait_loadcnt_dscnt 0x0
	v_add_nc_u64_e32 v[16:17], 3, v[16:17]
	s_delay_alu instid0(VALU_DEP_1)
	v_and_b32_e32 v16, -4, v16
	scratch_store_b64 off, v[16:17], s33 offset:264 ; 8-byte Folded Spill
                                        ; implicit-def: $vgpr16_vgpr17
                                        ; kill: killed $vgpr16_vgpr17
	s_wait_xcnt 0x0
	v_cmpx_ne_u32_e32 0, v15
	s_cbranch_execz .LBB6_28
; %bb.27:
	flat_load_b64 v[16:17], v[6:7] offset:560
	scratch_load_b64 v[24:25], off, s33 offset:264 ; 8-byte Folded Reload
	s_wait_loadcnt_dscnt 0x100
	scratch_store_b64 off, v[16:17], s33 offset:196 ; 8-byte Folded Spill
	global_wb scope:SCOPE_SYS
	s_wait_loadcnt 0x0
	s_wait_storecnt 0x0
	s_wait_xcnt 0x0
	flat_store_b64 v[16:17], v[24:25] scope:SCOPE_SYS
.LBB6_28:
	s_wait_xcnt 0x0
	s_or_b32 exec_lo, exec_lo, s1
	v_mov_b64_e32 v[24:25], 0
	v_add_nc_u64_e32 v[16:17], 0x1f8, v[6:7]
	v_and_b32_e32 v15, 4, v22
	s_mov_b32 s1, exec_lo
	s_clause 0x1
	scratch_store_b128 off, v[24:27], s33 offset:312
	; meta instruction
	scratch_store_b64 off, v[0:1], s33 offset:360
                                        ; implicit-def: $vgpr24_vgpr25
                                        ; kill: killed $vgpr24_vgpr25
                                        ; implicit-def: $vgpr24_vgpr25
                                        ; kill: killed $vgpr24_vgpr25
	s_wait_xcnt 0x0
	v_cmpx_ne_u32_e32 0, v15
	s_cbranch_execz .LBB6_32
; %bb.29:
	v_and_b32_e32 v15, 0x800, v22
	s_mov_b32 s2, exec_lo
	s_delay_alu instid0(VALU_DEP_1)
	v_cmpx_eq_u32_e32 0, v15
	s_cbranch_execz .LBB6_31
; %bb.30:
	s_trap 2
	ds_store_b64 v0, v[16:17]
.LBB6_31:
	s_or_b32 exec_lo, exec_lo, s2
	flat_load_b64 v[24:25], v[6:7] offset:552
                                        ; kill: killed $vgpr6_vgpr7
	s_wait_loadcnt_dscnt 0x0
	scratch_store_b64 off, v[24:25], s33 offset:196 ; 8-byte Folded Spill
	flat_load_b64 v[24:25], v[24:25] scope:SCOPE_SYS
	s_wait_loadcnt_dscnt 0x0
	scratch_store_b64 off, v[24:25], s33 offset:188 ; 8-byte Folded Spill
	s_clause 0x2
	flat_load_b64 v[26:27], v[6:7] offset:600
	flat_load_b32 v0, v[6:7] offset:576
	flat_load_b64 v[24:25], v[6:7] offset:520
	s_wait_xcnt 0x0
	v_or_b32_e32 v6, 0x100, v22
	s_wait_loadcnt_dscnt 0x202
	v_cmp_eq_u64_e32 vcc_lo, 0, v[26:27]
	s_wait_loadcnt_dscnt 0x101
	scratch_store_b64 off, v[0:1], s33 offset:360 ; 8-byte Folded Spill
	s_wait_loadcnt_dscnt 0x0
	scratch_store_b64 off, v[24:25], s33 offset:304 ; 8-byte Folded Spill
	s_wait_xcnt 0x0
	v_mov_b64_e32 v[24:25], v[26:27]
	v_cndmask_b32_e32 v22, v6, v22, vcc_lo
	scratch_store_b128 off, v[24:27], s33 offset:312 ; 16-byte Folded Spill
.LBB6_32:
	s_wait_xcnt 0x0
	s_or_b32 exec_lo, exec_lo, s1
.LBB6_33:
	s_delay_alu instid0(SALU_CYCLE_1) | instskip(SKIP_1) | instid1(VALU_DEP_1)
	s_or_b32 exec_lo, exec_lo, s0
	v_and_b32_e32 v6, 24, v22
	v_cmp_ne_u32_e32 vcc_lo, 0, v6
                                        ; implicit-def: $vgpr6_vgpr7
                                        ; kill: killed $vgpr6_vgpr7
	s_and_saveexec_b32 s0, vcc_lo
	s_cbranch_execz .LBB6_41
; %bb.34:
	s_trap 2
	ds_load_b64 v[6:7], v0
	s_wait_dscnt 0x0
	v_readfirstlane_b32 s2, v6
	v_readfirstlane_b32 s3, v7
	flat_load_b64 v[6:7], v9, s[2:3] scale_offset
	s_wait_xcnt 0x0
	v_and_b32_e32 v9, 0xffff, v14
	s_wait_loadcnt_dscnt 0x0
	s_delay_alu instid0(VALU_DEP_1)
	v_mad_nc_u64_u32 v[16:17], 0xa8, v9, v[6:7]
	v_or_b32_e32 v6, 0x100, v22
	flat_load_b128 v[24:27], v[16:17] offset:96
	s_wait_loadcnt_dscnt 0x0
	v_cmp_eq_u64_e32 vcc_lo, 0, v[24:25]
	scratch_store_b128 off, v[24:27], s33 offset:312 ; 16-byte Folded Spill
	v_cndmask_b32_e32 v22, v6, v22, vcc_lo
	s_delay_alu instid0(VALU_DEP_1) | instskip(NEXT) | instid1(VALU_DEP_1)
	v_and_b32_e32 v6, 16, v22
	v_cmp_ne_u32_e32 vcc_lo, 0, v6
                                        ; implicit-def: $vgpr6_vgpr7
                                        ; kill: killed $vgpr6_vgpr7
	s_wait_xcnt 0x0
	s_and_saveexec_b32 s1, vcc_lo
	s_cbranch_execz .LBB6_36
; %bb.35:
	flat_load_b64 v[6:7], v[16:17] offset:48
	s_wait_loadcnt_dscnt 0x0
	scratch_store_b64 off, v[6:7], s33 offset:196 ; 8-byte Folded Spill
	flat_load_b64 v[6:7], v[16:17] offset:120
	s_wait_loadcnt_dscnt 0x0
	scratch_store_b64 off, v[6:7], s33 offset:328 ; 8-byte Folded Spill
	flat_load_b64 v[6:7], v[16:17] offset:16
	s_wait_loadcnt_dscnt 0x0
	scratch_store_b64 off, v[6:7], s33 offset:304 ; 8-byte Folded Spill
.LBB6_36:
	s_wait_xcnt 0x0
	s_or_b32 exec_lo, exec_lo, s1
	scratch_load_b128 v[24:27], off, s33 offset:312 ; 16-byte Folded Reload
	v_and_b32_e32 v6, 8, v22
	s_mov_b32 s1, exec_lo
	s_wait_loadcnt 0x0
	v_add_nc_u64_e32 v[14:15], 3, v[26:27]
	s_delay_alu instid0(VALU_DEP_1)
	v_and_b32_e32 v14, -4, v14
	scratch_store_b64 off, v[14:15], s33 offset:264 ; 8-byte Folded Spill
	s_wait_xcnt 0x0
	v_cmpx_ne_u32_e32 0, v6
	s_cbranch_execz .LBB6_40
; %bb.37:
	v_and_b32_e32 v6, 0x800, v22
	s_mov_b32 s2, exec_lo
	s_delay_alu instid0(VALU_DEP_1)
	v_cmpx_eq_u32_e32 0, v6
	s_cbranch_execz .LBB6_39
; %bb.38:
	s_trap 2
	ds_store_b64 v0, v[16:17]
.LBB6_39:
	s_or_b32 exec_lo, exec_lo, s2
	flat_load_b64 v[6:7], v[16:17] offset:56
	s_wait_loadcnt_dscnt 0x0
	scratch_store_b64 off, v[6:7], s33 offset:196 ; 8-byte Folded Spill
	flat_load_b64 v[6:7], v[6:7] scope:SCOPE_SYS
	flat_load_b32 v0, v[16:17] offset:72
	s_wait_loadcnt_dscnt 0x101
	scratch_store_b64 off, v[6:7], s33 offset:188 ; 8-byte Folded Spill
	flat_load_b64 v[6:7], v[16:17] offset:16
	s_wait_loadcnt_dscnt 0x101
	scratch_store_b64 off, v[0:1], s33 offset:360 ; 8-byte Folded Spill
	s_wait_loadcnt_dscnt 0x0
	scratch_store_b64 off, v[6:7], s33 offset:304 ; 8-byte Folded Spill
.LBB6_40:
	s_wait_xcnt 0x0
	s_or_b32 exec_lo, exec_lo, s1
.LBB6_41:
	s_delay_alu instid0(SALU_CYCLE_1)
	s_or_b32 exec_lo, exec_lo, s0
	scratch_load_b32 v0, off, s33 offset:384 ; 4-byte Folded Reload
	s_wait_loadcnt 0x0
	v_cmp_eq_u32_e64 s0, 0, v0
	s_wait_xcnt 0x0
	s_and_saveexec_b32 s1, s0
	s_cbranch_execz .LBB6_43
; %bb.42:
	flat_load_b64 v[6:7], v[2:3] offset:32
	ds_store_2addr_b64 v0, v[12:13], v[10:11] offset1:1
	s_trap 2
	s_wait_loadcnt_dscnt 0x1
	ds_store_b64 v0, v[6:7]
	ds_store_b64 v0, v[4:5]
.LBB6_43:
	s_wait_xcnt 0x0
	s_or_b32 exec_lo, exec_lo, s1
	v_mov_b64_e32 v[4:5], 0
	v_and_b32_e32 v0, 0xffff, v8
	s_mov_b32 s45, exec_lo
	s_clause 0x1
	scratch_store_b32 off, v0, s33 offset:600
	scratch_store_b64 off, v[4:5], s33 offset:208
	s_wait_xcnt 0x0
	v_cmpx_lt_i64_e32 0, v[20:21]
	s_cbranch_execnz .LBB6_44
; %bb.31168:
	s_add_pc_i64 .LBB6_31107-.Lpost_addpc54
.Lpost_addpc54:
.LBB6_44:
	s_clause 0x2
	scratch_store_b64 off, v[16:17], s33 offset:612
	scratch_store_b32 off, v22, s33 offset:204
	scratch_load_b64 v[4:5], off, s33 offset:360
	v_dual_mov_b32 v113, 0 :: v_dual_bitop2_b32 v0, 31, v31 bitop3:0x40
	flat_load_b32 v2, v[2:3] offset:4
	s_wait_xcnt 0x3
	v_and_b32_e32 v16, 0x3ffffe00, v18
	scratch_load_b32 v3, off, s33 offset:384 ; 4-byte Folded Reload
	v_dual_mov_b32 v17, v113 :: v_dual_mov_b32 v7, v113
	s_ashr_i32 s17, s16, 31
	s_add_co_i32 s46, s16, s16
	s_not_b32 s6, s16
	s_cmp_gt_i32 s16, 0
	v_and_b32_e32 v10, 0x1fe0, v1
	s_cselect_b32 s6, s6, -1
	s_ashr_i32 s7, s12, 31
	s_add_co_i32 s26, s6, s46
	v_cmp_eq_u32_e64 s6, 0, v0
	s_lshr_b32 s13, s7, 25
	v_cmp_eq_u32_e64 s1, 32, v1
	v_cmp_ne_u32_e64 s2, 32, v1
	s_add_co_i32 s12, s12, s13
	s_ashr_i32 s27, s26, 31
	s_ashr_i32 s56, s12, 7
	s_cmp_gt_i32 s16, 2
	v_mov_b64_e32 v[12:13], 0
	s_cselect_b32 s57, -1, 0
	s_add_co_i32 s13, s16, 1
	s_mov_b32 s19, 0
	s_mov_b64 s[20:21], 0xffffffff
	s_mov_b32 s47, 0x7f800000
	s_mov_b64 s[22:23], 0xffffffffffffff
	s_add_nc_u64 s[24:25], s[16:17], -1
	s_mov_b32 s62, 0
	v_dual_mov_b32 v11, v113 :: v_dual_lshrrev_b32 v6, 5, v1
	v_mov_b32_e32 v15, v113
	scratch_store_b64 off, v[16:17], s33 offset:516 ; 8-byte Folded Spill
	v_lshlrev_b32_e32 v14, 10, v6
	scratch_store_b64 off, v[6:7], s33 offset:272 ; 8-byte Folded Spill
	s_wait_loadcnt 0x2
	v_ashrrev_i32_e32 v5, 31, v4
	s_clause 0x2
	scratch_store_b64 off, v[4:5], s33 offset:360
	scratch_store_b32 off, v31, s33 offset:608
	scratch_load_b32 v4, off, s33 offset:600
	s_wait_loadcnt 0x0
	v_cmp_ne_u32_e64 s3, v1, v4
	scratch_load_b64 v[4:5], off, s33 offset:328 ; 8-byte Folded Reload
	v_and_b32_e32 v8, 31, v3
	v_cmp_ge_u32_e32 vcc_lo, v3, v1
	v_lshrrev_b32_e32 v3, 5, v3
	scratch_store_b32 off, v1, s33 offset:604 ; 4-byte Folded Spill
	s_wait_dscnt 0x0
	s_wait_xcnt 0x0
	v_dual_lshlrev_b32 v0, 4, v8 :: v_dual_bitop2_b32 v1, 1, v2 bitop3:0x40
	v_cmp_eq_u32_e64 s7, 0, v8
	v_cmp_lt_u32_e64 s10, v8, v19
	scratch_store_b32 off, v8, s33 offset:504 ; 4-byte Folded Spill
	v_cmp_le_u32_e64 s11, v8, v19
	s_wait_xcnt 0x0
	v_mul_u64_e32 v[8:9], s[16:17], v[16:17]
	s_wait_loadcnt 0x0
	v_cmp_eq_u64_e64 s4, 0, v[4:5]
	v_cmp_ne_u64_e64 s5, 0, v[4:5]
	v_mov_b64_e32 v[4:5], 0
	s_clause 0x1
	scratch_store_b64 off, v[4:5], s33 offset:208
	scratch_store_b64 off, v[14:15], s33 offset:280
	s_wait_xcnt 0x1
	v_dual_mov_b32 v5, v113 :: v_dual_lshlrev_b32 v4, 12, v6
	s_wait_xcnt 0x0
	v_lshl_or_b32 v14, v3, 11, v0
	scratch_store_b64 off, v[4:5], s33 offset:496 ; 8-byte Folded Spill
	s_wait_xcnt 0x0
	v_dual_lshlrev_b32 v4, 9, v6 :: v_dual_lshlrev_b32 v6, 11, v6
	s_clause 0x1
	scratch_store_b64 off, v[6:7], s33 offset:296
	scratch_store_b64 off, v[10:11], s33 offset:288
	s_wait_xcnt 0x1
	v_subrev_nc_u32_e32 v6, 32, v10
	v_add_nc_u32_e32 v2, 0xfffffe00, v4
	s_clause 0x1
	scratch_store_b64 off, v[14:15], s33 offset:524
	scratch_store_b64 off, v[4:5], s33 offset:336
	s_wait_xcnt 0x2
	v_lshl_or_b32 v10, v3, 12, v0
	scratch_store_b32 off, v3, s33 offset:420 ; 4-byte Folded Spill
	v_ashrrev_i32_e32 v7, 31, v6
	s_wait_xcnt 0x0
	v_ashrrev_i32_e32 v3, 31, v2
	v_cmp_eq_u32_e64 s12, 1, v1
	scratch_store_b64 off, v[10:11], s33 offset:424 ; 8-byte Folded Spill
	v_add_nc_u64_e32 v[0:1], 32, v[6:7]
	scratch_store_b64 off, v[6:7], s33 offset:368 ; 8-byte Folded Spill
	s_xor_b32 s58, s12, -1
	s_cmp_ge_i32 s13, s16
	s_cselect_b32 s14, s16, 0
	s_add_co_i32 s59, s16, -2
	scratch_store_b64 off, v[0:1], s33 offset:376 ; 8-byte Folded Spill
	s_wait_xcnt 0x0
	v_add_nc_u64_e32 v[0:1], 0x200, v[2:3]
	s_sub_co_i32 s40, s13, s14
	s_xor_b32 s60, vcc_lo, -1
	s_ashr_i32 s28, s17, 31
	s_sub_co_i32 s61, 0, s16
	s_ashr_i32 s41, s40, 31
	s_clause 0x1
	scratch_store_b64 off, v[2:3], s33 offset:388
	scratch_store_b64 off, v[0:1], s33 offset:396
	s_trap 2
	s_clause 0x1
	scratch_store_b128 off, v[20:23], s33 offset:576
	scratch_store_b64 off, v[8:9], s33 offset:592
	s_branch .LBB6_47
.LBB6_45:                               ;   in Loop: Header=BB6_47 Depth=1
	s_or_b32 exec_lo, exec_lo, s15
.LBB6_46:                               ;   in Loop: Header=BB6_47 Depth=1
	s_delay_alu instid0(SALU_CYCLE_1)
	s_or_b32 exec_lo, exec_lo, s14
	s_clause 0x2
	scratch_load_b64 v[12:13], off, s33 offset:532 th:TH_LOAD_LU
	scratch_load_b64 v[8:9], off, s33 offset:592
	scratch_load_b128 v[20:23], off, s33 offset:576
	s_wait_loadcnt 0x1
	v_add_nc_u64_e32 v[12:13], v[12:13], v[8:9]
	s_wait_loadcnt 0x0
	s_delay_alu instid0(VALU_DEP_1)
	v_cmp_ge_i64_e32 vcc_lo, v[12:13], v[20:21]
	s_or_b32 s62, vcc_lo, s62
	s_wait_xcnt 0x0
	s_and_not1_b32 exec_lo, exec_lo, s62
	s_cbranch_execnz .LBB6_47
; %bb.31170:
	s_add_pc_i64 .LBB6_31106-.Lpost_addpc55
.Lpost_addpc55:
.LBB6_47:                               ; =>This Loop Header: Depth=1
                                        ;     Child Loop BB6_57 Depth 2
                                        ;       Child Loop BB6_65 Depth 3
                                        ;       Child Loop BB6_89 Depth 3
	;; [unrolled: 1-line block ×9, first 2 shown]
                                        ;     Child Loop BB6_5671 Depth 2
                                        ;       Child Loop BB6_5677 Depth 3
                                        ;       Child Loop BB6_5701 Depth 3
	;; [unrolled: 1-line block ×3, first 2 shown]
                                        ;     Child Loop BB6_5743 Depth 2
                                        ;       Child Loop BB6_5746 Depth 3
                                        ;         Child Loop BB6_5754 Depth 4
                                        ;         Child Loop BB6_5782 Depth 4
	;; [unrolled: 1-line block ×9, first 2 shown]
                                        ;       Child Loop BB6_14033 Depth 3
                                        ;         Child Loop BB6_14039 Depth 4
                                        ;         Child Loop BB6_14067 Depth 4
	;; [unrolled: 1-line block ×3, first 2 shown]
                                        ;     Child Loop BB6_14108 Depth 2
                                        ;       Child Loop BB6_14116 Depth 3
                                        ;       Child Loop BB6_14144 Depth 3
	;; [unrolled: 1-line block ×5, first 2 shown]
                                        ;         Child Loop BB6_19724 Depth 4
                                        ;       Child Loop BB6_19757 Depth 3
                                        ;       Child Loop BB6_22264 Depth 3
                                        ;         Child Loop BB6_22351 Depth 4
                                        ;       Child Loop BB6_22365 Depth 3
                                        ;       Child Loop BB6_26858 Depth 3
	;; [unrolled: 1-line block ×6, first 2 shown]
                                        ;     Child Loop BB6_30569 Depth 2
                                        ;       Child Loop BB6_30575 Depth 3
                                        ;       Child Loop BB6_30603 Depth 3
	;; [unrolled: 1-line block ×3, first 2 shown]
                                        ;     Child Loop BB6_30644 Depth 2
                                        ;       Child Loop BB6_30647 Depth 3
                                        ;         Child Loop BB6_30655 Depth 4
                                        ;         Child Loop BB6_30683 Depth 4
	;; [unrolled: 1-line block ×5, first 2 shown]
                                        ;           Child Loop BB6_30735 Depth 5
                                        ;         Child Loop BB6_30742 Depth 4
                                        ;         Child Loop BB6_30747 Depth 4
                                        ;           Child Loop BB6_30748 Depth 5
                                        ;         Child Loop BB6_30760 Depth 4
                                        ;         Child Loop BB6_30765 Depth 4
	;; [unrolled: 1-line block ×6, first 2 shown]
                                        ;       Child Loop BB6_30824 Depth 3
                                        ;         Child Loop BB6_30830 Depth 4
                                        ;         Child Loop BB6_30858 Depth 4
	;; [unrolled: 1-line block ×3, first 2 shown]
                                        ;     Child Loop BB6_30902 Depth 2
                                        ;       Child Loop BB6_30910 Depth 3
                                        ;       Child Loop BB6_30934 Depth 3
	;; [unrolled: 1-line block ×9, first 2 shown]
                                        ;     Child Loop BB6_31040 Depth 2
                                        ;       Child Loop BB6_31046 Depth 3
                                        ;       Child Loop BB6_31070 Depth 3
	;; [unrolled: 1-line block ×3, first 2 shown]
	s_wait_xcnt 0x2
	v_sub_nc_u64_e32 v[0:1], v[20:21], v[12:13]
	s_mov_b32 s42, exec_lo
	s_clause 0x1
	scratch_store_b64 off, v[12:13], s33 offset:532
	scratch_store_b64 off, v[0:1], s33 offset:508
	s_wait_xcnt 0x0
	v_cmpx_lt_i64_e64 v[0:1], v[8:9]
	s_cbranch_execz .LBB6_53
; %bb.48:                               ;   in Loop: Header=BB6_47 Depth=1
	scratch_load_b64 v[0:1], off, s33 offset:508 ; 8-byte Folded Reload
	v_mov_b32_e32 v2, v113
	s_wait_loadcnt 0x0
	v_add_nc_u64_e32 v[0:1], s[24:25], v[0:1]
	s_delay_alu instid0(VALU_DEP_1) | instskip(NEXT) | instid1(VALU_DEP_1)
	v_or_b32_e32 v3, s17, v1
	v_cmp_ne_u64_e32 vcc_lo, 0, v[2:3]
                                        ; implicit-def: $vgpr2_vgpr3
	s_wait_xcnt 0x0
	s_and_saveexec_b32 s13, vcc_lo
	s_delay_alu instid0(SALU_CYCLE_1)
	s_xor_b32 s43, exec_lo, s13
	s_cbranch_execz .LBB6_50
; %bb.49:                               ;   in Loop: Header=BB6_47 Depth=1
	s_mov_b32 s29, s28
	v_dual_mov_b32 v5, v113 :: v_dual_ashrrev_i32 v2, 31, v1
	s_add_nc_u64 s[14:15], s[16:17], s[28:29]
	v_dual_mov_b32 v9, v113 :: v_dual_mov_b32 v13, v113
	s_xor_b64 s[14:15], s[14:15], s[28:29]
	s_delay_alu instid0(VALU_DEP_2) | instskip(SKIP_3) | instid1(VALU_DEP_1)
	v_mov_b32_e32 v3, v2
	s_cvt_f32_u32 s13, s14
	s_cvt_f32_u32 s18, s15
	s_sub_nc_u64 s[74:75], 0, s[14:15]
	v_add_nc_u64_e32 v[0:1], v[0:1], v[2:3]
	s_delay_alu instid0(SALU_CYCLE_1) | instskip(NEXT) | instid1(SALU_CYCLE_3)
	s_fmamk_f32 s13, s18, 0x4f800000, s13
	v_s_rcp_f32 s13, s13
	s_delay_alu instid0(VALU_DEP_1) | instskip(NEXT) | instid1(VALU_DEP_2)
	v_xor_b32_e32 v4, v0, v2
	v_xor_b32_e32 v8, v1, v2
	s_delay_alu instid0(TRANS32_DEP_1) | instskip(NEXT) | instid1(SALU_CYCLE_3)
	s_mul_f32 s13, s13, 0x5f7ffffc
	s_mul_f32 s18, s13, 0x2f800000
	s_delay_alu instid0(SALU_CYCLE_3) | instskip(NEXT) | instid1(SALU_CYCLE_3)
	s_trunc_f32 s18, s18
	s_fmamk_f32 s13, s18, 0xcf800000, s13
	s_cvt_u32_f32 s73, s18
	s_delay_alu instid0(SALU_CYCLE_2) | instskip(NEXT) | instid1(SALU_CYCLE_3)
	s_cvt_u32_f32 s72, s13
	s_mul_u64 s[76:77], s[74:75], s[72:73]
	s_delay_alu instid0(SALU_CYCLE_1)
	s_mul_hi_u32 s79, s72, s77
	s_mul_i32 s78, s72, s77
	s_mul_hi_u32 s18, s72, s76
	s_mul_i32 s29, s73, s76
	s_add_nc_u64 s[78:79], s[18:19], s[78:79]
	s_mul_hi_u32 s13, s73, s76
	s_mul_hi_u32 s63, s73, s77
	s_add_co_u32 s18, s78, s29
	s_add_co_ci_u32 s18, s79, s13
	s_mul_i32 s76, s73, s77
	s_add_co_ci_u32 s77, s63, 0
	s_delay_alu instid0(SALU_CYCLE_1) | instskip(NEXT) | instid1(SALU_CYCLE_1)
	s_add_nc_u64 s[76:77], s[18:19], s[76:77]
	s_add_co_u32 s72, s72, s76
	s_cselect_b32 s13, -1, 0
	s_delay_alu instid0(SALU_CYCLE_1) | instskip(SKIP_1) | instid1(SALU_CYCLE_1)
	s_cmp_lg_u32 s13, 0
	s_add_co_ci_u32 s73, s73, s77
	s_mul_u64 s[74:75], s[74:75], s[72:73]
	s_delay_alu instid0(SALU_CYCLE_1)
	s_mul_hi_u32 s77, s72, s75
	s_mul_i32 s76, s72, s75
	s_mul_hi_u32 s18, s72, s74
	s_mul_i32 s29, s73, s74
	s_add_nc_u64 s[76:77], s[18:19], s[76:77]
	s_mul_hi_u32 s13, s73, s74
	s_mul_hi_u32 s63, s73, s75
	s_add_co_u32 s18, s76, s29
	s_add_co_ci_u32 s18, s77, s13
	s_mul_i32 s74, s73, s75
	s_add_co_ci_u32 s75, s63, 0
	s_delay_alu instid0(SALU_CYCLE_1) | instskip(NEXT) | instid1(SALU_CYCLE_1)
	s_add_nc_u64 s[74:75], s[18:19], s[74:75]
	s_add_co_u32 s72, s72, s74
	s_cselect_b32 s13, -1, 0
	v_mul_hi_u32 v12, v4, s72
	s_cmp_lg_u32 s13, 0
	s_add_co_ci_u32 s18, s73, s75
	s_and_b64 s[74:75], s[72:73], s[20:21]
	v_mul_u64_e32 v[6:7], s[18:19], v[4:5]
	v_mul_u64_e32 v[0:1], s[74:75], v[8:9]
	;; [unrolled: 1-line block ×3, first 2 shown]
	s_delay_alu instid0(VALU_DEP_3) | instskip(NEXT) | instid1(VALU_DEP_1)
	v_add_nc_u64_e32 v[6:7], v[12:13], v[6:7]
	v_add_co_u32 v0, vcc_lo, v6, v0
	s_delay_alu instid0(VALU_DEP_2) | instskip(NEXT) | instid1(VALU_DEP_4)
	v_add_co_ci_u32_e32 v12, vcc_lo, v7, v1, vcc_lo
	v_add_co_ci_u32_e32 v11, vcc_lo, 0, v11, vcc_lo
	s_delay_alu instid0(VALU_DEP_1) | instskip(NEXT) | instid1(VALU_DEP_1)
	v_add_nc_u64_e32 v[0:1], v[12:13], v[10:11]
	v_mul_u64_e32 v[6:7], s[14:15], v[0:1]
	s_delay_alu instid0(VALU_DEP_1) | instskip(NEXT) | instid1(VALU_DEP_2)
	v_sub_nc_u32_e32 v3, v8, v7
	v_sub_co_u32 v4, vcc_lo, v4, v6
	s_delay_alu instid0(VALU_DEP_1) | instskip(NEXT) | instid1(VALU_DEP_3)
	v_sub_co_ci_u32_e64 v8, null, v8, v7, vcc_lo
	v_subrev_co_ci_u32_e64 v3, null, s15, v3, vcc_lo
	s_delay_alu instid0(VALU_DEP_3) | instskip(NEXT) | instid1(VALU_DEP_1)
	v_sub_co_u32 v5, s13, v4, s14
	v_subrev_co_ci_u32_e64 v3, null, 0, v3, s13
	s_delay_alu instid0(VALU_DEP_2) | instskip(SKIP_1) | instid1(VALU_DEP_3)
	v_cmp_le_u32_e32 vcc_lo, s14, v5
	v_cndmask_b32_e64 v5, 0, -1, vcc_lo
	v_cmp_le_u32_e32 vcc_lo, s15, v3
	v_cndmask_b32_e64 v6, 0, -1, vcc_lo
	;; [unrolled: 2-line block ×4, first 2 shown]
	v_cmp_eq_u32_e32 vcc_lo, s15, v3
	v_cndmask_b32_e32 v3, v6, v5, vcc_lo
	v_cmp_eq_u32_e32 vcc_lo, s15, v8
	v_add_nc_u64_e32 v[4:5], 2, v[0:1]
	v_add_nc_u64_e32 v[6:7], 1, v[0:1]
	v_cndmask_b32_e32 v8, v10, v9, vcc_lo
	v_cmp_ne_u32_e32 vcc_lo, 0, v3
	s_delay_alu instid0(VALU_DEP_2) | instskip(NEXT) | instid1(VALU_DEP_4)
	v_cmp_ne_u32_e64 s13, 0, v8
	v_dual_cndmask_b32 v3, v7, v5 :: v_dual_cndmask_b32 v4, v6, v4
	s_delay_alu instid0(VALU_DEP_1) | instskip(NEXT) | instid1(VALU_DEP_1)
	v_dual_cndmask_b32 v1, v1, v3, s13 :: v_dual_bitop2_b32 v2, s28, v2 bitop3:0x14
	v_dual_cndmask_b32 v0, v0, v4, s13 :: v_dual_mov_b32 v3, v2
	s_delay_alu instid0(VALU_DEP_2) | instskip(NEXT) | instid1(VALU_DEP_2)
	v_xor_b32_e32 v1, v1, v2
	v_xor_b32_e32 v0, v0, v2
	s_delay_alu instid0(VALU_DEP_1)
	v_sub_nc_u64_e32 v[2:3], v[0:1], v[2:3]
                                        ; implicit-def: $vgpr0_vgpr1
.LBB6_50:                               ;   in Loop: Header=BB6_47 Depth=1
	s_and_not1_saveexec_b32 s13, s43
	s_cbranch_execz .LBB6_52
; %bb.51:                               ;   in Loop: Header=BB6_47 Depth=1
	v_cvt_f32_u32_e32 v1, s16
	s_delay_alu instid0(VALU_DEP_1) | instskip(SKIP_1) | instid1(TRANS32_DEP_1)
	v_rcp_iflag_f32_e32 v1, v1
	v_nop
	v_mul_f32_e32 v1, 0x4f7ffffe, v1
	s_delay_alu instid0(VALU_DEP_1) | instskip(NEXT) | instid1(VALU_DEP_1)
	v_cvt_u32_f32_e32 v1, v1
	v_mul_lo_u32 v2, s61, v1
	s_delay_alu instid0(VALU_DEP_1) | instskip(NEXT) | instid1(VALU_DEP_1)
	v_mul_hi_u32 v2, v1, v2
	v_add_nc_u32_e32 v1, v1, v2
	s_delay_alu instid0(VALU_DEP_1) | instskip(NEXT) | instid1(VALU_DEP_1)
	v_mul_hi_u32 v1, v0, v1
	v_mul_lo_u32 v2, v1, s16
	s_delay_alu instid0(VALU_DEP_1) | instskip(NEXT) | instid1(VALU_DEP_1)
	v_dual_sub_nc_u32 v0, v0, v2 :: v_dual_add_nc_u32 v2, 1, v1
	v_subrev_nc_u32_e32 v3, s16, v0
	v_cmp_le_u32_e32 vcc_lo, s16, v0
	s_delay_alu instid0(VALU_DEP_2) | instskip(NEXT) | instid1(VALU_DEP_4)
	v_dual_cndmask_b32 v0, v0, v3 :: v_dual_mov_b32 v3, v113
	v_cndmask_b32_e32 v1, v1, v2, vcc_lo
	s_delay_alu instid0(VALU_DEP_2) | instskip(NEXT) | instid1(VALU_DEP_2)
	v_cmp_le_u32_e32 vcc_lo, s16, v0
	v_add_nc_u32_e32 v2, 1, v1
	s_delay_alu instid0(VALU_DEP_1)
	v_cndmask_b32_e32 v2, v1, v2, vcc_lo
.LBB6_52:                               ;   in Loop: Header=BB6_47 Depth=1
	s_or_b32 exec_lo, exec_lo, s13
	s_delay_alu instid0(VALU_DEP_1) | instskip(NEXT) | instid1(VALU_DEP_1)
	v_add_nc_u64_e32 v[0:1], 15, v[2:3]
	v_and_b32_e32 v0, -16, v0
	scratch_store_b64 off, v[0:1], s33 offset:516 ; 8-byte Folded Spill
.LBB6_53:                               ;   in Loop: Header=BB6_47 Depth=1
	s_wait_xcnt 0x0
	s_or_b32 exec_lo, exec_lo, s42
	s_clause 0x3
	scratch_load_b64 v[2:3], off, s33 offset:516
	scratch_load_b64 v[0:1], off, s33 offset:508
	;; [unrolled: 1-line block ×4, first 2 shown]
	v_mov_b32_e32 v44, 0
	s_wait_loadcnt 0x3
	v_mul_u64_e32 v[70:71], s[26:27], v[2:3]
	s_wait_loadcnt 0x0
	v_add_nc_u64_e32 v[4:5], v[6:7], v[4:5]
	scratch_store_b64 off, v[4:5], s33 offset:404 ; 8-byte Folded Spill
	v_sub_nc_u64_e32 v[0:1], v[0:1], v[70:71]
	s_delay_alu instid0(VALU_DEP_1) | instskip(NEXT) | instid1(VALU_DEP_1)
	v_min_i64 v[2:3], v[2:3], v[0:1]
	v_max_i32_e32 v66, 0, v2
	v_cmp_lt_i32_e32 vcc_lo, 0, v2
	s_delay_alu instid0(VALU_DEP_2) | instskip(SKIP_1) | instid1(VALU_DEP_1)
	v_add_nc_u32_e32 v0, 31, v66
	s_and_b32 s13, s60, vcc_lo
	v_lshrrev_b32_e32 v0, 1, v0
	s_delay_alu instid0(VALU_DEP_1) | instskip(NEXT) | instid1(VALU_DEP_1)
	v_and_b32_e32 v1, 0x3ffffff0, v0
	v_dual_mov_b32 v0, 0 :: v_dual_max_i32 v68, s56, v1
	s_wait_xcnt 0x0
	s_and_saveexec_b32 s18, s13
	s_cbranch_execnz .LBB6_54
; %bb.31172:                            ;   in Loop: Header=BB6_47 Depth=1
	s_add_pc_i64 .LBB6_5667-.Lpost_addpc56
.Lpost_addpc56:
.LBB6_54:                               ;   in Loop: Header=BB6_47 Depth=1
	v_mov_b32_e32 v44, 0
	s_mov_b32 s43, 1
	s_mov_b32 s42, -1
	s_mov_b32 s29, 0
	s_clause 0x1
	scratch_store_b32 off, v66, s33 offset:556
	scratch_store_b64 off, v[70:71], s33 offset:560
	s_branch .LBB6_57
.LBB6_55:                               ;   in Loop: Header=BB6_57 Depth=2
	s_wait_xcnt 0x0
	s_or_b32 exec_lo, exec_lo, s14
	s_clause 0x1
	scratch_load_b64 v[2:3], off, s33 offset:264 th:TH_LOAD_LU
	scratch_load_b64 v[0:1], off, s33 offset:196
	s_wait_loadcnt 0x1
	v_add_nc_u64_e32 v[2:3], 2, v[2:3]
	scratch_store_b64 off, v[2:3], s33 offset:264 ; 8-byte Folded Spill
	global_wb scope:SCOPE_SYS
	s_wait_storecnt 0x0
	s_wait_xcnt 0x0
	s_wait_loadcnt_dscnt 0x0
	flat_store_b64 v[0:1], v[2:3] scope:SCOPE_SYS
.LBB6_56:                               ;   in Loop: Header=BB6_57 Depth=2
	s_wait_xcnt 0x0
	s_or_b32 exec_lo, exec_lo, s13
	v_dual_add_nc_u32 v44, v68, v44 :: v_dual_mov_b32 v0, s43
	s_xor_b32 s13, s42, -1
	s_mov_b32 s42, 0
	s_mov_b32 s43, 2
	s_delay_alu instid0(VALU_DEP_1) | instskip(SKIP_1) | instid1(SALU_CYCLE_1)
	v_cmp_ge_i32_e32 vcc_lo, v44, v66
	s_or_b32 s13, s13, vcc_lo
	s_and_b32 s13, exec_lo, s13
	s_delay_alu instid0(SALU_CYCLE_1) | instskip(NEXT) | instid1(SALU_CYCLE_1)
	s_or_b32 s29, s13, s29
	s_and_not1_b32 exec_lo, exec_lo, s29
	s_cbranch_execnz .LBB6_57
; %bb.31174:                            ;   in Loop: Header=BB6_47 Depth=1
	s_add_pc_i64 .LBB6_5666-.Lpost_addpc57
.Lpost_addpc57:
.LBB6_57:                               ;   Parent Loop BB6_47 Depth=1
                                        ; =>  This Loop Header: Depth=2
                                        ;       Child Loop BB6_65 Depth 3
                                        ;       Child Loop BB6_89 Depth 3
	;; [unrolled: 1-line block ×9, first 2 shown]
	s_wait_xcnt 0x0
	s_and_saveexec_b32 s13, s0
	s_cbranch_execz .LBB6_59
; %bb.58:                               ;   in Loop: Header=BB6_57 Depth=2
	s_trap 2
	scratch_load_b64 v[2:3], off, s33 offset:404 ; 8-byte Folded Reload
	ds_load_b64 v[0:1], v0
	v_ashrrev_i32_e32 v45, 31, v44
	s_wait_loadcnt_dscnt 0x0
	v_add_nc_u64_e32 v[0:1], v[0:1], v[2:3]
	s_delay_alu instid0(VALU_DEP_1) | instskip(NEXT) | instid1(VALU_DEP_1)
	v_add_nc_u64_e32 v[0:1], v[0:1], v[70:71]
	v_add_nc_u64_e32 v[0:1], v[0:1], v[44:45]
	ds_store_b64 v0, v[0:1]
	v_mov_b64_e32 v[0:1], 0
	ds_store_b64 v0, v[0:1]
.LBB6_59:                               ;   in Loop: Header=BB6_57 Depth=2
	s_wait_xcnt 0x0
	s_or_b32 exec_lo, exec_lo, s13
	scratch_load_b32 v1, off, s33 offset:204 ; 4-byte Folded Reload
	v_sub_nc_u32_e32 v0, v66, v44
	s_mov_b32 s14, exec_lo
	s_wait_loadcnt 0x0
	v_and_b32_e32 v1, 8, v1
	s_delay_alu instid0(VALU_DEP_2) | instskip(SKIP_1) | instid1(VALU_DEP_2)
	v_min_i32_e32 v68, v68, v0
	s_wait_xcnt 0x0
	v_cmpx_ne_u32_e32 0, v1
	s_cbranch_execz .LBB6_81
; %bb.60:                               ;   in Loop: Header=BB6_57 Depth=2
	scratch_load_b64 v[0:1], off, s33 offset:188 ; 8-byte Folded Reload
	s_mov_b32 s15, exec_lo
	s_wait_loadcnt 0x0
	v_add_nc_u64_e32 v[2:3], 8, v[0:1]
	scratch_load_b64 v[0:1], off, s33 offset:264 ; 8-byte Folded Reload
	s_wait_loadcnt 0x0
	v_add_nc_u64_e32 v[0:1], 2, v[0:1]
	s_wait_xcnt 0x0
	s_delay_alu instid0(VALU_DEP_1)
	v_cmpx_lt_u64_e64 v[2:3], v[0:1]
	s_cbranch_execz .LBB6_72
; %bb.61:                               ;   in Loop: Header=BB6_57 Depth=2
	scratch_load_b32 v2, off, s33 offset:204 ; 4-byte Folded Reload
	s_mov_b32 s63, 0
	s_mov_b32 s75, 0
                                        ; implicit-def: $sgpr72
                                        ; implicit-def: $sgpr73
                                        ; implicit-def: $sgpr74
	s_wait_loadcnt 0x0
	v_and_b32_e32 v2, 64, v2
	s_delay_alu instid0(VALU_DEP_1)
	v_cmp_eq_u32_e32 vcc_lo, 0, v2
	s_branch .LBB6_65
.LBB6_62:                               ;   in Loop: Header=BB6_65 Depth=3
	scratch_load_b64 v[4:5], off, s33 offset:188 ; 8-byte Folded Reload
	s_or_b32 s78, s78, exec_lo
	s_wait_loadcnt 0x0
	v_add_nc_u64_e32 v[4:5], 8, v[4:5]
	s_delay_alu instid0(VALU_DEP_1)
	v_cmp_ge_u64_e64 s13, v[4:5], v[0:1]
	s_or_not1_b32 s77, s13, exec_lo
.LBB6_63:                               ;   in Loop: Header=BB6_65 Depth=3
	s_wait_xcnt 0x0
	s_or_b32 exec_lo, exec_lo, s88
	s_delay_alu instid0(SALU_CYCLE_1)
	s_and_not1_b32 s13, s74, exec_lo
	s_and_b32 s74, s78, exec_lo
	s_and_not1_b32 s73, s73, exec_lo
	s_and_b32 s77, s77, exec_lo
	s_or_b32 s74, s13, s74
	s_or_b32 s73, s73, s77
.LBB6_64:                               ;   in Loop: Header=BB6_65 Depth=3
	s_or_b32 exec_lo, exec_lo, s76
	s_delay_alu instid0(SALU_CYCLE_1) | instskip(NEXT) | instid1(SALU_CYCLE_1)
	s_and_b32 s13, exec_lo, s73
	s_or_b32 s63, s13, s63
	s_and_not1_b32 s13, s72, exec_lo
	s_and_b32 s72, s74, exec_lo
	s_delay_alu instid0(SALU_CYCLE_1)
	s_or_b32 s72, s13, s72
	s_and_not1_b32 exec_lo, exec_lo, s63
	s_cbranch_execz .LBB6_69
.LBB6_65:                               ;   Parent Loop BB6_47 Depth=1
                                        ;     Parent Loop BB6_57 Depth=2
                                        ; =>    This Inner Loop Header: Depth=3
	s_sleep 1
	scratch_load_b64 v[2:3], off, s33 offset:196 ; 8-byte Folded Reload
	s_or_b32 s74, s74, exec_lo
	s_or_b32 s73, s73, exec_lo
	s_wait_loadcnt 0x0
	flat_load_b64 v[2:3], v[2:3] scope:SCOPE_SYS
	s_wait_loadcnt_dscnt 0x0
	scratch_store_b64 off, v[2:3], s33 offset:188 ; 8-byte Folded Spill
                                        ; implicit-def: $vgpr2
	s_wait_xcnt 0x0
	s_and_saveexec_b32 s76, vcc_lo
	s_cbranch_execz .LBB6_64
; %bb.66:                               ;   in Loop: Header=BB6_65 Depth=3
	s_cmp_lt_i32 s75, 0x270f
	s_mov_b32 s77, -1
	s_cselect_b32 s79, -1, 0
	s_cmp_gt_i32 s75, 0x270e
	s_cbranch_scc0 .LBB6_68
; %bb.67:                               ;   in Loop: Header=BB6_65 Depth=3
	s_trap 2
	ds_load_b64 v[2:3], v0
	s_and_not1_b32 s75, s79, exec_lo
	s_mov_b32 s78, 0
	s_wait_storecnt_dscnt 0x0
	flat_load_b32 v2, v[2:3] scope:SCOPE_SYS
	s_wait_loadcnt_dscnt 0x0
	global_inv scope:SCOPE_SYS
	v_cmp_eq_u32_e64 s13, 0, v2
	s_and_b32 s13, s13, exec_lo
	s_delay_alu instid0(SALU_CYCLE_1)
	s_or_b32 s79, s75, s13
	s_mov_b32 s75, 0
	s_wait_xcnt 0x0
	s_and_saveexec_b32 s88, s79
	s_cbranch_execz .LBB6_63
	s_branch .LBB6_62
.LBB6_68:                               ;   in Loop: Header=BB6_65 Depth=3
	s_add_co_i32 s75, s75, 1
	s_mov_b32 s78, -1
                                        ; implicit-def: $vgpr2
	s_and_saveexec_b32 s88, s79
	s_cbranch_execz .LBB6_63
	s_branch .LBB6_62
.LBB6_69:                               ;   in Loop: Header=BB6_57 Depth=2
	s_or_b32 exec_lo, exec_lo, s63
	s_xor_b32 s13, s72, -1
	s_delay_alu instid0(SALU_CYCLE_1) | instskip(NEXT) | instid1(SALU_CYCLE_1)
	s_and_saveexec_b32 s63, s13
	s_xor_b32 s13, exec_lo, s63
	s_cbranch_execz .LBB6_71
; %bb.70:                               ;   in Loop: Header=BB6_57 Depth=2
	scratch_load_b32 v3, off, s33 offset:204 ; 4-byte Folded Reload
	s_wait_loadcnt 0x0
	v_or_b32_e32 v3, 64, v3
	scratch_store_b32 off, v3, s33 offset:204 ; 4-byte Folded Spill
	s_wait_storecnt 0x0
	ds_store_b32 v0, v2
	s_trap 2
.LBB6_71:                               ;   in Loop: Header=BB6_57 Depth=2
	s_wait_xcnt 0x0
	s_or_b32 exec_lo, exec_lo, s13
.LBB6_72:                               ;   in Loop: Header=BB6_57 Depth=2
	s_delay_alu instid0(SALU_CYCLE_1)
	s_or_b32 exec_lo, exec_lo, s15
	s_clause 0x1
	scratch_load_b32 v2, off, s33 offset:204
	scratch_load_b64 v[4:5], off, s33 offset:264 th:TH_LOAD_LU
	s_mov_b32 s13, -1
	;;#ASMSTART
	s_wakeup
	;;#ASMEND
	s_wait_loadcnt 0x1
	v_and_b32_e32 v3, 0x100, v2
	s_wait_loadcnt 0x0
	v_and_b32_e32 v2, 7, v4
                                        ; implicit-def: $vgpr4_vgpr5
	s_delay_alu instid0(VALU_DEP_2)
	v_cmp_ne_u32_e32 vcc_lo, 0, v3
	v_mov_b32_e32 v3, v113
	s_wait_xcnt 0x0
	s_and_saveexec_b32 s15, vcc_lo
	s_cbranch_execz .LBB6_76
; %bb.73:                               ;   in Loop: Header=BB6_57 Depth=2
	scratch_load_b128 v[4:7], off, s33 offset:312 ; 16-byte Folded Reload
	v_ashrrev_i32_e32 v69, 31, v68
	s_wait_loadcnt 0x0
	v_mad_nc_u64_u32 v[6:7], v2, 24, v[4:5]
	s_clause 0x1
	flat_load_b32 v4, v[6:7]
	flat_store_b64 v[6:7], v[68:69] offset:8
	s_wait_loadcnt_dscnt 0x1
	v_cmp_eq_u32_e64 s13, 1, v4
	v_cmp_ne_u32_e32 vcc_lo, 1, v4
                                        ; implicit-def: $vgpr4_vgpr5
	s_wait_xcnt 0x0
	s_and_saveexec_b32 s63, s13
	s_cbranch_execz .LBB6_75
; %bb.74:                               ;   in Loop: Header=BB6_57 Depth=2
	flat_load_b32 v4, v[6:7] offset:4 scope:SCOPE_SYS
	s_wait_loadcnt_dscnt 0x0
	v_ashrrev_i32_e32 v5, 31, v4
.LBB6_75:                               ;   in Loop: Header=BB6_57 Depth=2
	s_wait_xcnt 0x0
	s_or_b32 exec_lo, exec_lo, s63
	s_delay_alu instid0(SALU_CYCLE_1)
	s_or_not1_b32 s13, vcc_lo, exec_lo
.LBB6_76:                               ;   in Loop: Header=BB6_57 Depth=2
	s_or_b32 exec_lo, exec_lo, s15
	s_and_saveexec_b32 s15, s13
	s_cbranch_execz .LBB6_78
; %bb.77:                               ;   in Loop: Header=BB6_57 Depth=2
	scratch_load_b64 v[4:5], off, s33 offset:360 ; 8-byte Folded Reload
	s_wait_loadcnt 0x0
	v_mul_u64_e32 v[4:5], v[2:3], v[4:5]
.LBB6_78:                               ;   in Loop: Header=BB6_57 Depth=2
	s_wait_xcnt 0x0
	s_or_b32 exec_lo, exec_lo, s15
	scratch_load_b32 v2, off, s33 offset:204 ; 4-byte Folded Reload
	s_mov_b32 s13, exec_lo
	s_wait_loadcnt 0x0
	v_and_b32_e32 v6, 0x2000, v2
	scratch_load_b64 v[2:3], off, s33 offset:304 ; 8-byte Folded Reload
	s_wait_loadcnt 0x0
	v_add_nc_u64_e32 v[2:3], v[2:3], v[4:5]
	ds_store_b64 v0, v[2:3] offset:784
	s_wait_xcnt 0x0
	v_cmpx_ne_u32_e32 0, v6
	s_cbranch_execz .LBB6_80
; %bb.79:                               ;   in Loop: Header=BB6_57 Depth=2
	ds_load_b64 v[2:3], v0 offset:872
	s_wait_dscnt 0x0
	v_add_nc_u64_e32 v[2:3], 1, v[2:3]
	ds_store_b64 v0, v[2:3] offset:872
.LBB6_80:                               ;   in Loop: Header=BB6_57 Depth=2
	s_or_b32 exec_lo, exec_lo, s13
	scratch_store_b64 off, v[0:1], s33 offset:264 ; 8-byte Folded Spill
.LBB6_81:                               ;   in Loop: Header=BB6_57 Depth=2
	s_wait_xcnt 0x0
	s_or_b32 exec_lo, exec_lo, s14
	s_and_saveexec_b32 s13, s2
	s_cbranch_execz .LBB6_100
; %bb.82:                               ;   in Loop: Header=BB6_57 Depth=2
	s_and_saveexec_b32 s14, s3
	s_delay_alu instid0(SALU_CYCLE_1)
	s_xor_b32 s14, exec_lo, s14
	s_cbranch_execz .LBB6_97
; %bb.83:                               ;   in Loop: Header=BB6_57 Depth=2
	s_and_saveexec_b32 s15, s6
	s_cbranch_execz .LBB6_96
; %bb.84:                               ;   in Loop: Header=BB6_57 Depth=2
	s_mov_b32 s72, exec_lo
	s_mov_b32 s63, exec_lo
	v_mbcnt_lo_u32_b32 v0, s72, 0
	global_wb scope:SCOPE_DEV
	s_wait_storecnt_dscnt 0x0
	global_inv scope:SCOPE_DEV
	v_cmpx_eq_u32_e32 0, v0
	s_cbranch_execz .LBB6_86
; %bb.85:                               ;   in Loop: Header=BB6_57 Depth=2
	s_bcnt1_i32_b32 s72, s72
	s_delay_alu instid0(SALU_CYCLE_1)
	v_dual_mov_b32 v1, v113 :: v_dual_mov_b32 v0, s72
	s_wait_loadcnt 0x0
	ds_add_u64 v0, v[0:1]
	s_trap 2
.LBB6_86:                               ;   in Loop: Header=BB6_57 Depth=2
	s_or_b32 exec_lo, exec_lo, s63
	s_trap 2
	ds_load_b64 v[0:1], v0
	s_wait_dscnt 0x0
	s_clause 0x1
	scratch_load_b64 v[2:3], off, s33 offset:208 th:TH_LOAD_LU
	scratch_load_b64 v[4:5], off, s33 offset:272
	s_mov_b32 s63, exec_lo
	s_wait_loadcnt 0x0
	v_add_nc_u64_e32 v[2:3], v[2:3], v[4:5]
	scratch_store_b64 off, v[2:3], s33 offset:208 ; 8-byte Folded Spill
	s_wait_xcnt 0x0
	v_cmpx_lt_u64_e64 v[0:1], v[2:3]
	s_cbranch_execz .LBB6_95
; %bb.87:                               ;   in Loop: Header=BB6_57 Depth=2
	s_mov_b32 s72, 0
	s_mov_b32 s75, 0
                                        ; implicit-def: $sgpr73
                                        ; implicit-def: $sgpr74
	s_branch .LBB6_89
.LBB6_88:                               ;   in Loop: Header=BB6_89 Depth=3
	s_wait_xcnt 0x0
	s_or_b32 exec_lo, exec_lo, s77
	s_delay_alu instid0(SALU_CYCLE_1) | instskip(NEXT) | instid1(SALU_CYCLE_1)
	s_and_b32 s76, exec_lo, s78
	s_or_b32 s72, s76, s72
	s_and_not1_b32 s73, s73, exec_lo
	s_and_b32 s76, s74, exec_lo
	s_delay_alu instid0(SALU_CYCLE_1)
	s_or_b32 s73, s73, s76
	s_and_not1_b32 exec_lo, exec_lo, s72
	s_cbranch_execz .LBB6_93
.LBB6_89:                               ;   Parent Loop BB6_47 Depth=1
                                        ;     Parent Loop BB6_57 Depth=2
                                        ; =>    This Inner Loop Header: Depth=3
	s_add_co_i32 s75, s75, 1
	s_delay_alu instid0(SALU_CYCLE_1) | instskip(SKIP_1) | instid1(SALU_CYCLE_1)
	s_cmp_lg_u32 s75, 0x2710
	s_cselect_b32 s76, -1, 0
	s_and_b32 vcc_lo, exec_lo, s76
	s_cbranch_vccz .LBB6_91
; %bb.90:                               ;   in Loop: Header=BB6_89 Depth=3
	s_mov_b32 s78, -1
	s_or_b32 s74, s74, exec_lo
	s_and_saveexec_b32 s77, s76
	s_cbranch_execz .LBB6_88
	s_branch .LBB6_92
.LBB6_91:                               ;   in Loop: Header=BB6_89 Depth=3
	s_trap 2
	ds_load_b64 v[0:1], v0
	s_and_not1_b32 s76, s76, exec_lo
	s_mov_b32 s75, 0
	s_wait_storecnt_dscnt 0x0
	flat_load_b32 v0, v[0:1] scope:SCOPE_SYS
	s_wait_loadcnt_dscnt 0x0
	global_inv scope:SCOPE_SYS
	v_cmp_eq_u32_e32 vcc_lo, 0, v0
	s_and_b32 s77, vcc_lo, exec_lo
	s_delay_alu instid0(SALU_CYCLE_1)
	s_or_b32 s76, s76, s77
	s_mov_b32 s78, -1
	s_or_b32 s74, s74, exec_lo
	s_wait_xcnt 0x0
	s_and_saveexec_b32 s77, s76
	s_cbranch_execz .LBB6_88
.LBB6_92:                               ;   in Loop: Header=BB6_89 Depth=3
	s_sleep 1
	s_trap 2
	ds_load_b64 v[0:1], v0
	s_wait_dscnt 0x0
	scratch_load_b64 v[2:3], off, s33 offset:208 ; 8-byte Folded Reload
	s_and_not1_b32 s74, s74, exec_lo
	s_wait_loadcnt 0x0
	v_cmp_ge_u64_e32 vcc_lo, v[0:1], v[2:3]
	s_or_not1_b32 s78, vcc_lo, exec_lo
	s_branch .LBB6_88
.LBB6_93:                               ;   in Loop: Header=BB6_57 Depth=2
	s_or_b32 exec_lo, exec_lo, s72
	s_and_saveexec_b32 s72, s73
	s_delay_alu instid0(SALU_CYCLE_1)
	s_xor_b32 s72, exec_lo, s72
	s_cbranch_execz .LBB6_95
; %bb.94:                               ;   in Loop: Header=BB6_57 Depth=2
	v_mov_b32_e32 v0, 1
	ds_store_b32 v0, v0
	s_trap 2
.LBB6_95:                               ;   in Loop: Header=BB6_57 Depth=2
	s_or_b32 exec_lo, exec_lo, s63
	;;#ASMSTART
	s_wakeup
	;;#ASMEND
.LBB6_96:                               ;   in Loop: Header=BB6_57 Depth=2
	s_or_b32 exec_lo, exec_lo, s15
.LBB6_97:                               ;   in Loop: Header=BB6_57 Depth=2
	s_and_not1_saveexec_b32 s14, s14
	s_cbranch_execz .LBB6_99
; %bb.98:                               ;   in Loop: Header=BB6_57 Depth=2
	global_wb scope:SCOPE_DEV
	s_wait_storecnt 0x0
	s_wait_loadcnt_dscnt 0x0
	global_inv scope:SCOPE_DEV
	s_barrier_signal -1
	s_barrier_wait -1
.LBB6_99:                               ;   in Loop: Header=BB6_57 Depth=2
	s_or_b32 exec_lo, exec_lo, s14
.LBB6_100:                              ;   in Loop: Header=BB6_57 Depth=2
	s_delay_alu instid0(SALU_CYCLE_1)
	s_or_b32 exec_lo, exec_lo, s13
	s_trap 2
	scratch_load_b32 v1, off, s33 offset:204 ; 4-byte Folded Reload
	ds_load_b32 v0, v0
	s_xor_b32 s13, s1, -1
	s_wait_loadcnt 0x0
	v_and_b32_e32 v1, 0x4000, v1
	s_delay_alu instid0(VALU_DEP_1)
	v_cmp_ne_u32_e32 vcc_lo, 0, v1
	s_and_b32 s14, s13, vcc_lo
	s_wait_xcnt 0x0
	s_and_saveexec_b32 s13, s14
	s_cbranch_execz .LBB6_119
; %bb.101:                              ;   in Loop: Header=BB6_57 Depth=2
	s_and_saveexec_b32 s14, s3
	s_delay_alu instid0(SALU_CYCLE_1)
	s_xor_b32 s14, exec_lo, s14
	s_cbranch_execz .LBB6_116
; %bb.102:                              ;   in Loop: Header=BB6_57 Depth=2
	s_and_saveexec_b32 s15, s6
	s_cbranch_execz .LBB6_115
; %bb.103:                              ;   in Loop: Header=BB6_57 Depth=2
	s_mov_b32 s72, exec_lo
	s_mov_b32 s63, exec_lo
	v_mbcnt_lo_u32_b32 v1, s72, 0
	global_wb scope:SCOPE_DEV
	s_wait_storecnt_dscnt 0x0
	global_inv scope:SCOPE_DEV
	v_cmpx_eq_u32_e32 0, v1
	s_cbranch_execz .LBB6_105
; %bb.104:                              ;   in Loop: Header=BB6_57 Depth=2
	s_bcnt1_i32_b32 s72, s72
	s_delay_alu instid0(SALU_CYCLE_1)
	v_dual_mov_b32 v3, v113 :: v_dual_mov_b32 v2, s72
	s_wait_loadcnt 0x0
	ds_add_u64 v0, v[2:3]
	s_trap 2
.LBB6_105:                              ;   in Loop: Header=BB6_57 Depth=2
	s_or_b32 exec_lo, exec_lo, s63
	s_trap 2
	ds_load_b64 v[2:3], v0
	s_wait_dscnt 0x0
	s_clause 0x1
	scratch_load_b64 v[4:5], off, s33 offset:208 th:TH_LOAD_LU
	scratch_load_b64 v[6:7], off, s33 offset:272
	s_mov_b32 s63, exec_lo
	s_wait_loadcnt 0x0
	v_add_nc_u64_e32 v[4:5], v[4:5], v[6:7]
	scratch_store_b64 off, v[4:5], s33 offset:208 ; 8-byte Folded Spill
	s_wait_xcnt 0x0
	v_cmpx_lt_u64_e64 v[2:3], v[4:5]
	s_cbranch_execz .LBB6_114
; %bb.106:                              ;   in Loop: Header=BB6_57 Depth=2
	s_mov_b32 s72, 0
	s_mov_b32 s75, 0
                                        ; implicit-def: $sgpr73
                                        ; implicit-def: $sgpr74
	s_branch .LBB6_108
.LBB6_107:                              ;   in Loop: Header=BB6_108 Depth=3
	s_wait_xcnt 0x0
	s_or_b32 exec_lo, exec_lo, s77
	s_delay_alu instid0(SALU_CYCLE_1) | instskip(NEXT) | instid1(SALU_CYCLE_1)
	s_and_b32 s76, exec_lo, s78
	s_or_b32 s72, s76, s72
	s_and_not1_b32 s73, s73, exec_lo
	s_and_b32 s76, s74, exec_lo
	s_delay_alu instid0(SALU_CYCLE_1)
	s_or_b32 s73, s73, s76
	s_and_not1_b32 exec_lo, exec_lo, s72
	s_cbranch_execz .LBB6_112
.LBB6_108:                              ;   Parent Loop BB6_47 Depth=1
                                        ;     Parent Loop BB6_57 Depth=2
                                        ; =>    This Inner Loop Header: Depth=3
	s_add_co_i32 s75, s75, 1
	s_delay_alu instid0(SALU_CYCLE_1) | instskip(SKIP_1) | instid1(SALU_CYCLE_1)
	s_cmp_lg_u32 s75, 0x2710
	s_cselect_b32 s76, -1, 0
	s_and_b32 vcc_lo, exec_lo, s76
	s_cbranch_vccz .LBB6_110
; %bb.109:                              ;   in Loop: Header=BB6_108 Depth=3
	s_mov_b32 s78, -1
	s_or_b32 s74, s74, exec_lo
	s_and_saveexec_b32 s77, s76
	s_cbranch_execz .LBB6_107
	s_branch .LBB6_111
.LBB6_110:                              ;   in Loop: Header=BB6_108 Depth=3
	s_trap 2
	ds_load_b64 v[2:3], v0
	s_and_not1_b32 s76, s76, exec_lo
	s_mov_b32 s75, 0
	s_wait_storecnt_dscnt 0x0
	flat_load_b32 v1, v[2:3] scope:SCOPE_SYS
	s_wait_loadcnt_dscnt 0x0
	global_inv scope:SCOPE_SYS
	v_cmp_eq_u32_e32 vcc_lo, 0, v1
	s_and_b32 s77, vcc_lo, exec_lo
	s_delay_alu instid0(SALU_CYCLE_1)
	s_or_b32 s76, s76, s77
	s_mov_b32 s78, -1
	s_or_b32 s74, s74, exec_lo
	s_wait_xcnt 0x0
	s_and_saveexec_b32 s77, s76
	s_cbranch_execz .LBB6_107
.LBB6_111:                              ;   in Loop: Header=BB6_108 Depth=3
	s_sleep 1
	s_trap 2
	ds_load_b64 v[2:3], v0
	s_wait_dscnt 0x0
	scratch_load_b64 v[4:5], off, s33 offset:208 ; 8-byte Folded Reload
	s_and_not1_b32 s74, s74, exec_lo
	s_wait_loadcnt 0x0
	v_cmp_ge_u64_e32 vcc_lo, v[2:3], v[4:5]
	s_or_not1_b32 s78, vcc_lo, exec_lo
	s_branch .LBB6_107
.LBB6_112:                              ;   in Loop: Header=BB6_57 Depth=2
	s_or_b32 exec_lo, exec_lo, s72
	s_and_saveexec_b32 s72, s73
	s_delay_alu instid0(SALU_CYCLE_1)
	s_xor_b32 s72, exec_lo, s72
	s_cbranch_execz .LBB6_114
; %bb.113:                              ;   in Loop: Header=BB6_57 Depth=2
	v_mov_b32_e32 v1, 1
	ds_store_b32 v0, v1
	s_trap 2
.LBB6_114:                              ;   in Loop: Header=BB6_57 Depth=2
	s_or_b32 exec_lo, exec_lo, s63
	;;#ASMSTART
	s_wakeup
	;;#ASMEND
.LBB6_115:                              ;   in Loop: Header=BB6_57 Depth=2
	s_or_b32 exec_lo, exec_lo, s15
.LBB6_116:                              ;   in Loop: Header=BB6_57 Depth=2
	s_and_not1_saveexec_b32 s14, s14
	s_cbranch_execz .LBB6_118
; %bb.117:                              ;   in Loop: Header=BB6_57 Depth=2
	global_wb scope:SCOPE_DEV
	s_wait_storecnt 0x0
	s_wait_loadcnt_dscnt 0x0
	global_inv scope:SCOPE_DEV
	s_barrier_signal -1
	s_barrier_wait -1
.LBB6_118:                              ;   in Loop: Header=BB6_57 Depth=2
	s_or_b32 exec_lo, exec_lo, s14
.LBB6_119:                              ;   in Loop: Header=BB6_57 Depth=2
	s_delay_alu instid0(SALU_CYCLE_1)
	s_or_b32 exec_lo, exec_lo, s13
	s_trap 2
	s_wait_dscnt 0x0
	ds_load_b64 v[56:57], v0
	s_wait_dscnt 0x0
	v_cmp_eq_u64_e32 vcc_lo, 0, v[56:57]
	s_cbranch_vccnz .LBB6_127
; %bb.120:                              ;   in Loop: Header=BB6_57 Depth=2
	s_trap 2
	ds_load_b64 v[58:59], v0
	s_wait_dscnt 0x0
	v_cmp_eq_u64_e32 vcc_lo, 0, v[58:59]
	s_cbranch_vccnz .LBB6_127
; %bb.121:                              ;   in Loop: Header=BB6_57 Depth=2
	s_mov_b32 s13, -1
	s_and_saveexec_b32 s14, s7
	s_cbranch_execz .LBB6_123
; %bb.122:                              ;   in Loop: Header=BB6_57 Depth=2
	ds_load_b32 v1, v0 offset:720
	s_wait_dscnt 0x0
	v_and_b32_e32 v1, 15, v1
	s_delay_alu instid0(VALU_DEP_1)
	v_cmp_eq_u32_e32 vcc_lo, 0, v1
	s_or_not1_b32 s13, vcc_lo, exec_lo
.LBB6_123:                              ;   in Loop: Header=BB6_57 Depth=2
	s_or_b32 exec_lo, exec_lo, s14
	s_and_saveexec_b32 s14, s10
	s_cbranch_execz .LBB6_125
; %bb.124:                              ;   in Loop: Header=BB6_57 Depth=2
	ds_load_b32 v1, v0 offset:784
	s_wait_dscnt 0x0
	v_and_b32_e32 v1, 15, v1
	s_delay_alu instid0(VALU_DEP_1) | instskip(SKIP_3) | instid1(SALU_CYCLE_1)
	v_cmp_eq_u32_e32 vcc_lo, 0, v1
	s_and_b32 s15, s13, vcc_lo
	s_and_not1_b32 s13, s13, exec_lo
	s_and_b32 s15, s15, exec_lo
	s_or_b32 s13, s13, s15
.LBB6_125:                              ;   in Loop: Header=BB6_57 Depth=2
	s_or_b32 exec_lo, exec_lo, s14
	scratch_load_b32 v10, off, s33 offset:384 ; 4-byte Folded Reload
	v_cmp_eq_u32_e32 vcc_lo, 0, v0
	s_xor_b32 s13, s13, -1
	v_mov_b32_e32 v8, 0
	v_cndmask_b32_e64 v1, 0, 1, s13
	s_mov_b32 s13, -1
	v_cndmask_b32_e32 v67, 0, v68, vcc_lo
	s_delay_alu instid0(VALU_DEP_2) | instskip(NEXT) | instid1(VALU_DEP_2)
	v_cmp_ne_u32_e32 vcc_lo, 0, v1
	v_mov_b32_e32 v9, v67
	s_cbranch_vccz .LBB6_132
; %bb.126:                              ;   in Loop: Header=BB6_57 Depth=2
	s_wait_xcnt 0x0
	s_and_saveexec_b32 s63, s13
	s_cbranch_execz .LBB6_31144
; %bb.31176:                            ;   in Loop: Header=BB6_57 Depth=2
	s_add_pc_i64 .LBB6_4479-.Lpost_addpc58
.Lpost_addpc58:
.LBB6_31144:                            ;   in Loop: Header=BB6_57 Depth=2
	s_add_pc_i64 .LBB6_5625-.Lpost_addpc42
.Lpost_addpc42:
.LBB6_127:                              ;   in Loop: Header=BB6_57 Depth=2
	s_mov_b32 s13, 0
	s_and_saveexec_b32 s14, s2
	s_cbranch_execz .LBB6_128
; %bb.31178:                            ;   in Loop: Header=BB6_57 Depth=2
	s_add_pc_i64 .LBB6_5626-.Lpost_addpc59
.Lpost_addpc59:
.LBB6_128:                              ;   in Loop: Header=BB6_57 Depth=2
	s_or_b32 exec_lo, exec_lo, s14
                                        ; implicit-def: $vgpr0
	s_and_saveexec_b32 s14, s12
	s_delay_alu instid0(SALU_CYCLE_1)
	s_xor_b32 s14, exec_lo, s14
	s_cbranch_execnz .LBB6_129
; %bb.31180:                            ;   in Loop: Header=BB6_57 Depth=2
	s_add_pc_i64 .LBB6_5644-.Lpost_addpc60
.Lpost_addpc60:
.LBB6_129:                              ;   in Loop: Header=BB6_57 Depth=2
	scratch_load_b32 v1, off, s33 offset:204 ; 4-byte Folded Reload
	s_wait_loadcnt 0x0
	v_and_b32_e32 v0, 16, v1
	s_delay_alu instid0(VALU_DEP_1)
	v_cmp_ne_u32_e32 vcc_lo, 0, v0
	v_and_b32_e32 v0, 16, v1
	s_and_b32 s15, vcc_lo, s13
	s_wait_xcnt 0x0
	s_and_saveexec_b32 s13, s15
	s_cbranch_execz .LBB6_131
; %bb.130:                              ;   in Loop: Header=BB6_57 Depth=2
	v_mov_b32_e32 v0, 1
	global_wb scope:SCOPE_SYS
	s_wait_storecnt_dscnt 0x0
	global_inv scope:SCOPE_SYS
.LBB6_131:                              ;   in Loop: Header=BB6_57 Depth=2
	s_or_b32 exec_lo, exec_lo, s13
	s_and_not1_saveexec_b32 s13, s14
	s_cbranch_execnz .LBB6_31146
; %bb.31182:                            ;   in Loop: Header=BB6_57 Depth=2
	s_add_pc_i64 .LBB6_5663-.Lpost_addpc61
.Lpost_addpc61:
.LBB6_31146:                            ;   in Loop: Header=BB6_57 Depth=2
	s_add_pc_i64 .LBB6_5645-.Lpost_addpc43
.Lpost_addpc43:
.LBB6_132:                              ;   in Loop: Header=BB6_57 Depth=2
	v_ashrrev_i32_e32 v0, 31, v67
	s_mov_b32 s14, exec_lo
	s_delay_alu instid0(VALU_DEP_1) | instskip(NEXT) | instid1(VALU_DEP_1)
	v_lshrrev_b32_e32 v0, 20, v0
	v_add_nc_u32_e32 v0, v67, v0
	s_delay_alu instid0(VALU_DEP_1) | instskip(SKIP_4) | instid1(VALU_DEP_1)
	v_ashrrev_i32_e32 v1, 12, v0
	scratch_load_b32 v0, off, s33 offset:420 ; 4-byte Folded Reload
	s_wait_loadcnt 0x0
	v_sub_nc_u32_e32 v6, v1, v0
	s_wait_xcnt 0x0
	v_cmpx_lt_i32_e32 0, v6
	s_cbranch_execz .LBB6_3984
; %bb.133:                              ;   in Loop: Header=BB6_57 Depth=2
	s_clause 0x2
	scratch_store_b32 off, v1, s33 offset:552
	scratch_store_b32 off, v67, s33 offset:548
	scratch_store_b64 off, v[68:69], s33 offset:540
	s_trap 2
	s_wait_xcnt 0x2
	ds_load_b64 v[0:1], v0
	v_mov_b64_e32 v[60:61], v[58:59]
	v_mov_b64_e32 v[62:63], v[56:57]
	s_wait_dscnt 0x0
	v_readfirstlane_b32 s72, v0
	v_readfirstlane_b32 s73, v1
	s_and_b32 s15, s72, 3
	s_bfe_i32 s13, s72, 0x80000
	s_clz_i32_u32 s75, s15
	s_bfe_u32 s63, s72, 0x50002
	s_min_u32 s75, s75, 32
	s_and_b32 s74, s72, 0x7c
	s_sub_co_i32 s78, s75, 29
	s_lshl_b32 s76, s72, 24
	s_sext_i32_i8 s77, s72
	s_lshl_b64 s[72:73], s[72:73], s78
	s_and_b32 s76, s76, 0x80000000
	s_sub_co_i32 s73, 30, s75
	s_and_b32 s72, s72, 3
	s_cmp_gt_i32 s77, -1
	s_cselect_b32 s75, s47, 0xff800000
	s_cmp_eq_u32 s15, 0
	s_cselect_b32 s75, s75, 0x7f800001
	s_cmp_eq_u32 s63, 0
	s_cselect_b32 s63, s73, s63
	s_cselect_b32 s15, s72, s15
	s_lshl_b32 s63, s63, 23
	s_lshl_b32 s15, s15, 21
	s_add_co_i32 s63, s63, s76
	s_delay_alu instid0(SALU_CYCLE_1) | instskip(NEXT) | instid1(SALU_CYCLE_1)
	s_or_b32 s15, s63, s15
	s_add_co_i32 s63, s15, 0x38000000
	s_cmp_eq_u32 s74, 0x7c
	s_mov_b32 s15, 0
	s_cselect_b32 s63, s75, s63
	s_and_b32 s72, s13, 0xff
	s_branch .LBB6_136
.LBB6_134:                              ;   in Loop: Header=BB6_136 Depth=3
	s_or_b32 exec_lo, exec_lo, s73
.LBB6_135:                              ;   in Loop: Header=BB6_136 Depth=3
	s_delay_alu instid0(SALU_CYCLE_1)
	s_or_b32 exec_lo, exec_lo, s13
	v_lshl_or_b32 v0, v25, 8, v47
	v_lshl_or_b32 v1, v126, 8, v125
	v_dual_lshlrev_b32 v3, 16, v24 :: v_dual_lshlrev_b32 v8, 24, v26
	v_dual_lshlrev_b32 v7, 16, v7 :: v_dual_lshlrev_b32 v10, 24, v46
	v_lshl_or_b32 v16, v16, 8, v15
	v_dual_lshlrev_b32 v25, 16, v17 :: v_dual_lshlrev_b32 v18, 24, v18
	s_delay_alu instid0(VALU_DEP_4) | instskip(NEXT) | instid1(VALU_DEP_4)
	v_or3_b32 v9, v0, v3, v8
	v_or3_b32 v8, v1, v7, v10
	v_lshl_or_b32 v0, v28, 8, v27
	v_dual_lshlrev_b32 v1, 16, v29 :: v_dual_lshlrev_b32 v3, 24, v30
	v_dual_lshlrev_b32 v29, 24, v93 :: v_dual_lshlrev_b32 v30, 16, v92
	v_lshlrev_b32_e32 v7, 24, v108
	v_or3_b32 v16, v16, v25, v18
	s_delay_alu instid0(VALU_DEP_4)
	v_or3_b32 v10, v0, v1, v3
	v_lshl_or_b32 v0, v32, 8, v31
	v_dual_lshlrev_b32 v1, 24, v34 :: v_dual_lshlrev_b32 v3, 16, v33
	v_lshlrev_b32_e32 v24, 24, v77
	v_lshl_or_b32 v31, v91, 8, v90
	v_lshl_or_b32 v32, v21, 8, v20
	v_lshlrev_b32_e32 v25, 24, v114
	v_or3_b32 v11, v0, v3, v1
	v_lshl_or_b32 v0, v106, 8, v105
	v_dual_lshlrev_b32 v3, 16, v107 :: v_dual_lshlrev_b32 v33, 16, v22
	v_lshlrev_b32_e32 v34, 24, v23
	v_lshl_or_b32 v26, v79, 8, v78
	v_dual_lshlrev_b32 v27, 16, v88 :: v_dual_lshlrev_b32 v28, 24, v89
	s_delay_alu instid0(VALU_DEP_4)
	v_or3_b32 v13, v0, v3, v7
	v_lshl_or_b32 v7, v75, 8, v19
	v_lshlrev_b32_e32 v19, 16, v76
	v_lshl_or_b32 v1, v94, 8, v14
	v_or3_b32 v18, v26, v27, v28
	v_lshl_or_b32 v26, v40, 8, v119
	v_dual_lshlrev_b32 v27, 16, v41 :: v_dual_lshlrev_b32 v28, 24, v43
	v_or3_b32 v17, v7, v19, v24
	v_or3_b32 v19, v31, v30, v29
	v_lshl_or_b32 v7, v103, 8, v102
	v_dual_lshlrev_b32 v24, 16, v112 :: v_dual_lshlrev_b32 v29, 24, v74
	v_lshlrev_b32_e32 v30, 16, v73
	v_lshl_or_b32 v31, v72, 8, v45
	v_or3_b32 v22, v26, v27, v28
	s_delay_alu instid0(VALU_DEP_4)
	v_or3_b32 v20, v7, v24, v25
	v_or3_b32 v25, v32, v33, v34
	v_lshl_or_b32 v7, v87, 8, v86
	v_or3_b32 v23, v31, v30, v29
	s_clause 0x1
	scratch_load_b32 v24, off, s33 offset:480 th:TH_LOAD_LU
	scratch_load_b32 v31, off, s33 offset:484 th:TH_LOAD_LU
	v_dual_lshlrev_b32 v26, 16, v96 :: v_dual_lshlrev_b32 v27, 24, v97
	v_dual_lshlrev_b32 v28, 24, v101 :: v_dual_lshlrev_b32 v29, 16, v100
	v_lshl_or_b32 v30, v99, 8, v98
	v_lshl_or_b32 v34, v42, 8, v64
	s_delay_alu instid0(VALU_DEP_4) | instskip(SKIP_1) | instid1(VALU_DEP_4)
	v_or3_b32 v26, v7, v26, v27
	v_dual_lshlrev_b32 v12, 16, v95 :: v_dual_lshlrev_b32 v14, 24, v104
	v_or3_b32 v27, v30, v29, v28
	v_lshl_or_b32 v0, v110, 8, v109
	v_dual_lshlrev_b32 v3, 24, v120 :: v_dual_lshlrev_b32 v7, 24, v81
	s_delay_alu instid0(VALU_DEP_4) | instskip(SKIP_4) | instid1(VALU_DEP_4)
	v_or3_b32 v12, v1, v12, v14
	v_lshlrev_b32_e32 v1, 16, v111
	v_lshl_or_b32 v4, v5, 8, v4
	v_lshl_or_b32 v36, v36, 8, v35
	v_dual_lshlrev_b32 v37, 16, v37 :: v_dual_lshlrev_b32 v38, 24, v38
	v_or3_b32 v14, v0, v1, v3
	v_dual_lshlrev_b32 v0, 24, v124 :: v_dual_lshlrev_b32 v1, 16, v123
	v_lshl_or_b32 v3, v122, 8, v121
	s_delay_alu instid0(VALU_DEP_1) | instskip(SKIP_2) | instid1(VALU_DEP_1)
	v_or3_b32 v15, v3, v1, v0
	v_lshl_or_b32 v0, v116, 8, v115
	v_dual_lshlrev_b32 v1, 16, v117 :: v_dual_lshlrev_b32 v3, 24, v118
	v_or3_b32 v21, v0, v1, v3
	v_lshl_or_b32 v0, v83, 8, v82
	v_dual_lshlrev_b32 v1, 16, v84 :: v_dual_lshlrev_b32 v3, 24, v85
	s_wait_loadcnt 0x0
	v_lshl_or_b32 v31, v31, 8, v24
	scratch_load_b32 v24, off, s33 offset:488 th:TH_LOAD_LU ; 4-byte Folded Reload
	s_wait_loadcnt 0x0
	v_lshlrev_b32_e32 v32, 16, v24
	scratch_load_b32 v24, off, s33 offset:492 th:TH_LOAD_LU ; 4-byte Folded Reload
	s_wait_loadcnt 0x0
	v_lshlrev_b32_e32 v33, 24, v24
	scratch_load_b32 v24, off, s33 offset:472 th:TH_LOAD_LU ; 4-byte Folded Reload
	v_or3_b32 v29, v31, v32, v33
	v_lshlrev_b32_e32 v31, 16, v80
	v_lshl_or_b32 v32, v71, 8, v70
	s_delay_alu instid0(VALU_DEP_1)
	v_or3_b32 v31, v32, v31, v7
	s_wait_loadcnt 0x0
	v_lshlrev_b32_e32 v64, 16, v24
	s_clause 0x2
	scratch_load_b32 v24, off, s33 offset:476 th:TH_LOAD_LU
	scratch_load_b32 v30, off, s33 offset:248 th:TH_LOAD_LU
	;; [unrolled: 1-line block ×3, first 2 shown]
	s_wait_loadcnt 0x2
	v_lshlrev_b32_e32 v65, 24, v24
	s_wait_loadcnt 0x0
	v_lshl_or_b32 v33, v33, 8, v30
	scratch_load_b32 v30, off, s33 offset:344 th:TH_LOAD_LU ; 4-byte Folded Reload
	v_or3_b32 v24, v0, v1, v3
	v_lshl_or_b32 v0, v67, 8, v66
	v_or3_b32 v28, v34, v64, v65
	v_dual_lshlrev_b32 v1, 16, v68 :: v_dual_lshlrev_b32 v3, 24, v69
	s_wait_loadcnt 0x0
	v_lshlrev_b32_e32 v34, 16, v30
	scratch_load_b32 v30, off, s33 offset:352 th:TH_LOAD_LU ; 4-byte Folded Reload
	s_wait_loadcnt 0x0
	v_lshlrev_b32_e32 v64, 24, v30
	s_clause 0x1
	scratch_load_b32 v30, off, s33 offset:216 th:TH_LOAD_LU
	scratch_load_b32 v65, off, s33 offset:224 th:TH_LOAD_LU
	v_or3_b32 v33, v33, v34, v64
	s_wait_loadcnt 0x0
	v_lshl_or_b32 v65, v65, 8, v30
	scratch_load_b32 v30, off, s33 offset:232 th:TH_LOAD_LU ; 4-byte Folded Reload
	s_wait_loadcnt 0x0
	v_lshlrev_b32_e32 v66, 16, v30
	scratch_load_b32 v30, off, s33 offset:240 th:TH_LOAD_LU ; 4-byte Folded Reload
	s_wait_loadcnt 0x0
	v_lshlrev_b32_e32 v67, 24, v30
	s_clause 0x1
	scratch_load_b32 v30, off, s33 offset:412 th:TH_LOAD_LU
	scratch_load_b32 v68, off, s33 offset:432 th:TH_LOAD_LU
	v_or3_b32 v32, v65, v66, v67
	s_wait_loadcnt 0x0
	v_lshl_or_b32 v68, v68, 8, v30
	scratch_load_b32 v30, off, s33 offset:436 th:TH_LOAD_LU ; 4-byte Folded Reload
	s_wait_loadcnt 0x0
	v_lshlrev_b32_e32 v69, 16, v30
	scratch_load_b32 v30, off, s33 offset:444 th:TH_LOAD_LU ; 4-byte Folded Reload
	s_wait_loadcnt 0x0
	v_lshlrev_b32_e32 v70, 24, v30
	v_or3_b32 v30, v0, v1, v3
	s_clause 0x4
	scratch_load_b32 v0, off, s33 offset:468 th:TH_LOAD_LU
	scratch_load_b32 v1, off, s33 offset:464 th:TH_LOAD_LU
	;; [unrolled: 1-line block ×4, first 2 shown]
	scratch_load_b64 v[64:65], off, s33 offset:424
	v_or3_b32 v34, v68, v69, v70
	s_wait_loadcnt 0x3
	v_dual_lshlrev_b32 v0, 24, v0 :: v_dual_lshlrev_b32 v1, 16, v1
	s_wait_loadcnt 0x1
	v_lshl_or_b32 v3, v7, 8, v3
	v_lshl_or_b32 v7, v48, 8, v39
	v_dual_lshlrev_b32 v39, 16, v49 :: v_dual_lshlrev_b32 v48, 24, v50
	v_lshl_or_b32 v49, v52, 8, v51
	v_dual_lshlrev_b32 v50, 16, v53 :: v_dual_lshlrev_b32 v51, 24, v54
	v_dual_lshlrev_b32 v52, 24, v2 :: v_dual_lshlrev_b32 v53, 16, v55
	v_or3_b32 v35, v3, v1, v0
	v_or3_b32 v1, v7, v39, v48
	;; [unrolled: 1-line block ×5, first 2 shown]
	scratch_load_b64 v[4:5], off, s33 offset:272 ; 8-byte Folded Reload
	s_wait_loadcnt 0x1
	v_add_nc_u64_e32 v[64:65], v[64:65], v[60:61]
	s_clause 0x1
	global_store_b128 v[64:65], v[32:35], off th:TH_STORE_NT
	global_store_b128 v[64:65], v[28:31], off offset:512 th:TH_STORE_NT
	s_wait_loadcnt 0x0
	v_sub_nc_u32_e32 v6, v6, v4
	scratch_load_b64 v[4:5], off, s33 offset:496 ; 8-byte Folded Reload
	s_clause 0x5
	global_store_b128 v[64:65], v[24:27], off offset:1024 th:TH_STORE_NT
	global_store_b128 v[64:65], v[20:23], off offset:1536 th:TH_STORE_NT
	;; [unrolled: 1-line block ×6, first 2 shown]
	v_cmp_gt_i32_e32 vcc_lo, 1, v6
	s_or_b32 s15, vcc_lo, s15
	s_wait_loadcnt 0x0
	v_add_nc_u64_e32 v[62:63], v[62:63], v[4:5]
	v_add_nc_u64_e32 v[60:61], v[60:61], v[4:5]
	s_wait_xcnt 0x0
	s_and_not1_b32 exec_lo, exec_lo, s15
	s_cbranch_execz .LBB6_3983
.LBB6_136:                              ;   Parent Loop BB6_47 Depth=1
                                        ;     Parent Loop BB6_57 Depth=2
                                        ; =>    This Inner Loop Header: Depth=3
	scratch_load_b64 v[0:1], off, s33 offset:424 ; 8-byte Folded Reload
	s_cmp_lt_i32 s72, 0x80
	s_cbranch_scc1 .LBB6_140
; %bb.137:                              ;   in Loop: Header=BB6_136 Depth=3
	s_and_b32 s13, 0xffff, s72
	s_delay_alu instid0(SALU_CYCLE_1)
	s_cmp_eq_u32 s13, 0x80
	s_mov_b32 s13, -1
	s_cbranch_scc0 .LBB6_139
; %bb.138:                              ;   in Loop: Header=BB6_136 Depth=3
	s_mov_b32 s13, 0
.LBB6_139:                              ;   in Loop: Header=BB6_136 Depth=3
	s_brev_b32 s73, 1
	s_branch .LBB6_142
.LBB6_140:                              ;   in Loop: Header=BB6_136 Depth=3
	s_mov_b32 s13, 0
	s_brev_b32 s73, 1
	s_cbranch_execz .LBB6_142
; %bb.141:                              ;   in Loop: Header=BB6_136 Depth=3
	s_and_b32 s13, 0xffff, s72
	s_mov_b32 s73, 0
	s_cmp_lg_u32 s13, 0
	s_cselect_b32 s13, -1, 0
.LBB6_142:                              ;   in Loop: Header=BB6_136 Depth=3
	s_delay_alu instid0(SALU_CYCLE_1)
	s_and_not1_b32 vcc_lo, exec_lo, s13
	s_cbranch_vccnz .LBB6_144
; %bb.143:                              ;   in Loop: Header=BB6_136 Depth=3
	s_mov_b32 s73, s63
.LBB6_144:                              ;   in Loop: Header=BB6_136 Depth=3
	s_wait_loadcnt 0x0
	v_add_nc_u64_e32 v[12:13], v[0:1], v[62:63]
	global_load_b128 v[8:11], v[12:13], off th:TH_LOAD_NT
	s_wait_loadcnt 0x0
	v_and_b32_e32 v0, 0xff, v8
	s_delay_alu instid0(VALU_DEP_1)
	v_cmp_ne_u16_e32 vcc_lo, 0, v0
	v_mov_b32_e32 v0, 0
	s_wait_xcnt 0x0
	s_and_saveexec_b32 s13, vcc_lo
	s_cbranch_execz .LBB6_154
; %bb.145:                              ;   in Loop: Header=BB6_136 Depth=3
	v_bfe_i32 v2, v8, 0, 8
	v_bfrev_b32_e32 v0, 1
	s_mov_b32 s74, exec_lo
	s_delay_alu instid0(VALU_DEP_2)
	v_cmpx_ne_u16_e32 0xff80, v2
	s_cbranch_execz .LBB6_153
; %bb.146:                              ;   in Loop: Header=BB6_136 Depth=3
	v_and_b32_e32 v0, 0x7c, v8
	v_and_b32_e32 v1, 3, v8
	s_delay_alu instid0(VALU_DEP_2) | instskip(SKIP_1) | instid1(SALU_CYCLE_1)
	v_cmp_ne_u32_e32 vcc_lo, 0x7c, v0
                                        ; implicit-def: $vgpr0
	s_and_saveexec_b32 s75, vcc_lo
	s_xor_b32 s75, exec_lo, s75
	s_cbranch_execz .LBB6_150
; %bb.147:                              ;   in Loop: Header=BB6_136 Depth=3
	v_bfe_u32 v0, v8, 2, 5
	s_mov_b32 s76, exec_lo
	s_delay_alu instid0(VALU_DEP_1)
	v_cmpx_eq_u32_e32 0, v0
; %bb.148:                              ;   in Loop: Header=BB6_136 Depth=3
	v_clz_i32_u32_e32 v0, v1
	s_delay_alu instid0(VALU_DEP_1) | instskip(NEXT) | instid1(VALU_DEP_1)
	v_min_u32_e32 v0, 32, v0
	v_subrev_nc_u32_e32 v1, 29, v0
	s_delay_alu instid0(VALU_DEP_1) | instskip(NEXT) | instid1(VALU_DEP_1)
	v_lshlrev_b64_e32 v[2:3], v1, v[8:9]
	v_dual_sub_nc_u32 v0, 30, v0 :: v_dual_bitop2_b32 v1, 3, v2 bitop3:0x40
; %bb.149:                              ;   in Loop: Header=BB6_136 Depth=3
	s_or_b32 exec_lo, exec_lo, s76
	v_lshlrev_b32_e32 v2, 24, v8
	s_delay_alu instid0(VALU_DEP_1) | instskip(NEXT) | instid1(VALU_DEP_1)
	v_and_b32_e32 v2, 0x80000000, v2
	v_lshl_add_u32 v0, v0, 23, v2
                                        ; implicit-def: $vgpr2
	s_delay_alu instid0(VALU_DEP_1) | instskip(NEXT) | instid1(VALU_DEP_1)
	v_lshl_or_b32 v0, v1, 21, v0
                                        ; implicit-def: $vgpr1
	v_add_nc_u32_e32 v0, 0x38000000, v0
.LBB6_150:                              ;   in Loop: Header=BB6_136 Depth=3
	s_and_not1_saveexec_b32 s75, s75
; %bb.151:                              ;   in Loop: Header=BB6_136 Depth=3
	v_cmp_lt_i16_e32 vcc_lo, -1, v2
	v_mov_b32_e32 v0, 0x7f800000
	s_delay_alu instid0(VALU_DEP_1) | instskip(SKIP_1) | instid1(VALU_DEP_2)
	v_cndmask_b32_e32 v0, 0xff800000, v0, vcc_lo
	v_cmp_eq_u32_e32 vcc_lo, 0, v1
	v_cndmask_b32_e32 v0, 0x7f800001, v0, vcc_lo
; %bb.152:                              ;   in Loop: Header=BB6_136 Depth=3
	s_or_b32 exec_lo, exec_lo, s75
.LBB6_153:                              ;   in Loop: Header=BB6_136 Depth=3
	s_delay_alu instid0(SALU_CYCLE_1)
	s_or_b32 exec_lo, exec_lo, s74
.LBB6_154:                              ;   in Loop: Header=BB6_136 Depth=3
	s_delay_alu instid0(SALU_CYCLE_1) | instskip(NEXT) | instid1(VALU_DEP_1)
	s_or_b32 exec_lo, exec_lo, s13
	v_dual_mul_f32 v2, s73, v0 :: v_dual_mov_b32 v5, v113
	s_delay_alu instid0(VALU_DEP_1) | instskip(SKIP_2) | instid1(VALU_DEP_2)
	v_dual_mov_b32 v1, v113 :: v_dual_lshrrev_b32 v3, 24, v2
	v_and_b32_e32 v4, 0x7f800000, v2
	v_and_b32_e32 v0, 0x7fffff, v2
	v_cmp_ne_u64_e32 vcc_lo, 0x7f800000, v[4:5]
                                        ; implicit-def: $vgpr4
                                        ; kill: killed $vgpr4
	s_and_saveexec_b32 s13, vcc_lo
	s_delay_alu instid0(SALU_CYCLE_1)
	s_xor_b32 s74, exec_lo, s13
	s_cbranch_execz .LBB6_168
; %bb.155:                              ;   in Loop: Header=BB6_136 Depth=3
	v_and_b32_e32 v4, 0x7fffffff, v2
	v_mov_b32_e32 v5, v113
	s_delay_alu instid0(VALU_DEP_1) | instskip(SKIP_2) | instid1(SALU_CYCLE_1)
	v_cmp_gt_u64_e32 vcc_lo, 0x47600001, v[4:5]
	v_and_b32_e32 v4, 0x80, v3
                                        ; implicit-def: $vgpr3
                                        ; kill: killed $vgpr3
	s_and_saveexec_b32 s13, vcc_lo
	s_xor_b32 s75, exec_lo, s13
	s_cbranch_execz .LBB6_165
; %bb.156:                              ;   in Loop: Header=BB6_136 Depth=3
	v_mov_b32_e32 v3, 0
	s_mov_b32 s76, exec_lo
	scratch_store_b32 off, v3, s33 offset:216 ; 4-byte Folded Spill
	s_wait_xcnt 0x0
	v_cmpx_ne_u32_e32 0, v2
	s_cbranch_execz .LBB6_164
; %bb.157:                              ;   in Loop: Header=BB6_136 Depth=3
	v_bfe_u32 v5, v2, 23, 8
	v_or_b32_e32 v14, 0x800000, v0
	s_delay_alu instid0(VALU_DEP_2) | instskip(SKIP_1) | instid1(VALU_DEP_2)
	v_sub_nc_u32_e32 v2, 0x71, v5
	v_cmp_gt_u32_e32 vcc_lo, 0x72, v5
	v_cndmask_b32_e32 v2, 0, v2, vcc_lo
	v_cmp_eq_u32_e32 vcc_lo, 0, v5
	s_delay_alu instid0(VALU_DEP_2) | instskip(NEXT) | instid1(VALU_DEP_1)
	v_cndmask_b32_e64 v7, v2, 0x70, vcc_lo
	v_dual_cndmask_b32 v0, v14, v0, vcc_lo :: v_dual_add_nc_u32 v2, 21, v7
	v_add_nc_u32_e32 v15, 20, v7
	s_delay_alu instid0(VALU_DEP_2) | instskip(NEXT) | instid1(VALU_DEP_2)
	v_lshlrev_b64_e64 v[2:3], v2, -1
	v_lshlrev_b64_e64 v[14:15], v15, 1
	s_delay_alu instid0(VALU_DEP_2) | instskip(SKIP_1) | instid1(VALU_DEP_4)
	v_bfi_b32 v2, v2, 0, v0
	v_lshrrev_b64 v[0:1], v7, v[0:1]
	v_bfi_b32 v3, v3, 0, 0
	s_delay_alu instid0(VALU_DEP_1) | instskip(NEXT) | instid1(VALU_DEP_3)
	v_cmp_eq_u64_e64 s13, v[2:3], v[14:15]
	v_mov_b64_e32 v[2:3], v[0:1]
	s_and_saveexec_b32 s77, s13
; %bb.158:                              ;   in Loop: Header=BB6_136 Depth=3
	v_bfe_u32 v2, v0, 21, 1
	v_mov_b32_e32 v3, v113
	s_delay_alu instid0(VALU_DEP_1) | instskip(NEXT) | instid1(VALU_DEP_1)
	v_add_nc_u64_e32 v[2:3], v[0:1], v[2:3]
	v_add_nc_u64_e32 v[2:3], -1, v[2:3]
; %bb.159:                              ;   in Loop: Header=BB6_136 Depth=3
	s_or_b32 exec_lo, exec_lo, s77
	v_add_nc_u32_e32 v1, 0xffffff81, v5
	v_lshrrev_b32_e32 v3, 23, v0
	s_mov_b32 s13, exec_lo
	s_delay_alu instid0(VALU_DEP_2) | instskip(NEXT) | instid1(VALU_DEP_1)
	v_cndmask_b32_e64 v1, v1, 0xffffff82, vcc_lo
	v_add3_u32 v3, v7, v1, v3
	v_and_b32_e32 v1, 0x1fffff, v2
                                        ; implicit-def: $vgpr2
	s_delay_alu instid0(VALU_DEP_1) | instskip(SKIP_1) | instid1(VALU_DEP_2)
	v_dual_add_nc_u32 v5, 14, v3 :: v_dual_add_nc_u32 v0, v1, v0
	v_mov_b32_e32 v1, v113
	v_cmpx_ne_u32_e32 0, v5
	s_xor_b32 s13, exec_lo, s13
; %bb.160:                              ;   in Loop: Header=BB6_136 Depth=3
	s_delay_alu instid0(VALU_DEP_2) | instskip(SKIP_2) | instid1(VALU_DEP_2)
	v_cmp_lt_u64_e32 vcc_lo, 0xffffff, v[0:1]
	v_add_nc_u32_e32 v2, 15, v3
	v_cndmask_b32_e64 v3, 0, 1, vcc_lo
	v_cndmask_b32_e32 v2, v5, v2, vcc_lo
	s_delay_alu instid0(VALU_DEP_2)
	v_lshrrev_b64 v[0:1], v3, v[0:1]
; %bb.161:                              ;   in Loop: Header=BB6_136 Depth=3
	s_and_not1_saveexec_b32 s13, s13
; %bb.162:                              ;   in Loop: Header=BB6_136 Depth=3
	s_delay_alu instid0(VALU_DEP_1)
	v_bfe_u32 v2, v0, 23, 1
; %bb.163:                              ;   in Loop: Header=BB6_136 Depth=3
	s_or_b32 exec_lo, exec_lo, s13
	s_delay_alu instid0(VALU_DEP_2) | instskip(NEXT) | instid1(VALU_DEP_2)
	v_lshrrev_b64 v[0:1], 21, v[0:1]
	v_cmp_gt_i32_e32 vcc_lo, 32, v2
	v_min_i32_e32 v3, 31, v2
	v_cmp_eq_u32_e64 s13, 0, v2
	s_delay_alu instid0(VALU_DEP_2) | instskip(SKIP_1) | instid1(VALU_DEP_2)
	v_dual_cndmask_b32 v1, 0, v1, vcc_lo :: v_dual_lshlrev_b32 v3, 2, v3
	v_cndmask_b32_e32 v0, 3, v0, vcc_lo
	v_and_b32_e32 v3, 0xfc, v3
	s_delay_alu instid0(VALU_DEP_2) | instskip(NEXT) | instid1(VALU_DEP_2)
	v_cmp_eq_u64_e32 vcc_lo, 0, v[0:1]
	v_and_or_b32 v0, v0, 3, v3
	s_and_b32 s13, s13, vcc_lo
	s_delay_alu instid0(VALU_DEP_1) | instid1(SALU_CYCLE_1)
	v_cndmask_b32_e64 v0, v0, 0, s13
	s_delay_alu instid0(VALU_DEP_1)
	v_or_b32_e32 v0, v0, v4
	scratch_store_b32 off, v0, s33 offset:216 ; 4-byte Folded Spill
.LBB6_164:                              ;   in Loop: Header=BB6_136 Depth=3
	s_wait_xcnt 0x0
	s_or_b32 exec_lo, exec_lo, s76
                                        ; implicit-def: $vgpr4
.LBB6_165:                              ;   in Loop: Header=BB6_136 Depth=3
	s_and_not1_saveexec_b32 s13, s75
	s_cbranch_execz .LBB6_167
; %bb.166:                              ;   in Loop: Header=BB6_136 Depth=3
	v_or_b32_e32 v0, 0x7b, v4
	scratch_store_b32 off, v0, s33 offset:216 ; 4-byte Folded Spill
.LBB6_167:                              ;   in Loop: Header=BB6_136 Depth=3
	s_wait_xcnt 0x0
	s_or_b32 exec_lo, exec_lo, s13
                                        ; implicit-def: $vgpr2
                                        ; implicit-def: $vgpr0_vgpr1
                                        ; implicit-def: $vgpr3
.LBB6_168:                              ;   in Loop: Header=BB6_136 Depth=3
	s_and_not1_saveexec_b32 s13, s74
	s_cbranch_execz .LBB6_174
; %bb.169:                              ;   in Loop: Header=BB6_136 Depth=3
	v_cmp_ne_u64_e32 vcc_lo, 0, v[0:1]
                                        ; implicit-def: $vgpr0
                                        ; kill: killed $vgpr0
	s_and_saveexec_b32 s74, vcc_lo
	s_delay_alu instid0(SALU_CYCLE_1)
	s_xor_b32 s74, exec_lo, s74
	s_cbranch_execz .LBB6_171
; %bb.170:                              ;   in Loop: Header=BB6_136 Depth=3
	v_or_b32_e32 v0, 0x7f, v3
                                        ; implicit-def: $vgpr2
	scratch_store_b32 off, v0, s33 offset:216 ; 4-byte Folded Spill
.LBB6_171:                              ;   in Loop: Header=BB6_136 Depth=3
	s_wait_xcnt 0x0
	s_and_not1_saveexec_b32 s74, s74
	s_cbranch_execz .LBB6_173
; %bb.172:                              ;   in Loop: Header=BB6_136 Depth=3
	v_cmp_lt_i32_e32 vcc_lo, -1, v2
	v_mov_b32_e32 v0, 0x7c
	s_delay_alu instid0(VALU_DEP_1)
	v_cndmask_b32_e32 v0, 0xfc, v0, vcc_lo
	scratch_store_b32 off, v0, s33 offset:216 ; 4-byte Folded Spill
.LBB6_173:                              ;   in Loop: Header=BB6_136 Depth=3
	s_wait_xcnt 0x0
	s_or_b32 exec_lo, exec_lo, s74
.LBB6_174:                              ;   in Loop: Header=BB6_136 Depth=3
	s_delay_alu instid0(SALU_CYCLE_1) | instskip(SKIP_3) | instid1(VALU_DEP_2)
	s_or_b32 exec_lo, exec_lo, s13
	v_lshrrev_b16 v0, 8, v8
	v_mov_b32_e32 v2, 0
	s_mov_b32 s13, exec_lo
	v_cmpx_ne_u16_e32 0, v0
	s_cbranch_execz .LBB6_184
; %bb.175:                              ;   in Loop: Header=BB6_136 Depth=3
	v_bfrev_b32_e32 v2, 1
	s_mov_b32 s74, exec_lo
	v_cmpx_ne_u16_e32 0x80, v0
	s_cbranch_execz .LBB6_183
; %bb.176:                              ;   in Loop: Header=BB6_136 Depth=3
	v_and_b32_e32 v3, 0xffff, v0
	s_delay_alu instid0(VALU_DEP_1) | instskip(SKIP_1) | instid1(VALU_DEP_2)
	v_and_b32_e32 v2, 0x7c, v3
	v_and_b32_e32 v1, 3, v3
	v_cmp_ne_u32_e32 vcc_lo, 0x7c, v2
                                        ; implicit-def: $vgpr2
	s_and_saveexec_b32 s75, vcc_lo
	s_delay_alu instid0(SALU_CYCLE_1)
	s_xor_b32 s75, exec_lo, s75
	s_cbranch_execz .LBB6_180
; %bb.177:                              ;   in Loop: Header=BB6_136 Depth=3
	v_bfe_u32 v2, v3, 2, 5
	s_mov_b32 s76, exec_lo
	s_delay_alu instid0(VALU_DEP_1)
	v_cmpx_eq_u32_e32 0, v2
	s_cbranch_execz .LBB6_179
; %bb.178:                              ;   in Loop: Header=BB6_136 Depth=3
	v_clz_i32_u32_e32 v1, v1
	s_delay_alu instid0(VALU_DEP_1) | instskip(SKIP_1) | instid1(VALU_DEP_2)
	v_min_u32_e32 v2, 32, v1
	v_mov_b32_e32 v1, v113
	v_subrev_nc_u32_e32 v3, 29, v2
	v_sub_nc_u32_e32 v2, 30, v2
	s_delay_alu instid0(VALU_DEP_2) | instskip(NEXT) | instid1(VALU_DEP_1)
	v_lshlrev_b64_e32 v[0:1], v3, v[0:1]
	v_and_b32_e32 v1, 3, v0
.LBB6_179:                              ;   in Loop: Header=BB6_136 Depth=3
	s_or_b32 exec_lo, exec_lo, s76
	v_lshlrev_b32_e32 v0, 16, v8
	s_delay_alu instid0(VALU_DEP_1) | instskip(NEXT) | instid1(VALU_DEP_1)
	v_and_b32_e32 v0, 0x80000000, v0
	v_lshl_add_u32 v0, v2, 23, v0
	s_delay_alu instid0(VALU_DEP_1) | instskip(NEXT) | instid1(VALU_DEP_1)
	v_lshl_or_b32 v0, v1, 21, v0
                                        ; implicit-def: $vgpr1
	v_add_nc_u32_e32 v2, 0x38000000, v0
.LBB6_180:                              ;   in Loop: Header=BB6_136 Depth=3
	s_and_not1_saveexec_b32 s75, s75
; %bb.181:                              ;   in Loop: Header=BB6_136 Depth=3
	v_cmp_lt_i16_e32 vcc_lo, -1, v8
	v_mov_b32_e32 v0, 0x7f800000
	s_delay_alu instid0(VALU_DEP_1) | instskip(SKIP_1) | instid1(VALU_DEP_2)
	v_cndmask_b32_e32 v0, 0xff800000, v0, vcc_lo
	v_cmp_eq_u32_e32 vcc_lo, 0, v1
	v_cndmask_b32_e32 v2, 0x7f800001, v0, vcc_lo
; %bb.182:                              ;   in Loop: Header=BB6_136 Depth=3
	s_or_b32 exec_lo, exec_lo, s75
.LBB6_183:                              ;   in Loop: Header=BB6_136 Depth=3
	s_delay_alu instid0(SALU_CYCLE_1)
	s_or_b32 exec_lo, exec_lo, s74
.LBB6_184:                              ;   in Loop: Header=BB6_136 Depth=3
	s_delay_alu instid0(SALU_CYCLE_1) | instskip(NEXT) | instid1(VALU_DEP_1)
	s_or_b32 exec_lo, exec_lo, s13
	v_dual_mul_f32 v2, s73, v2 :: v_dual_mov_b32 v5, v113
	s_delay_alu instid0(VALU_DEP_1) | instskip(SKIP_2) | instid1(VALU_DEP_2)
	v_dual_mov_b32 v1, v113 :: v_dual_lshrrev_b32 v3, 24, v2
	v_and_b32_e32 v4, 0x7f800000, v2
	v_and_b32_e32 v0, 0x7fffff, v2
	v_cmp_ne_u64_e32 vcc_lo, 0x7f800000, v[4:5]
                                        ; implicit-def: $vgpr4
                                        ; kill: killed $vgpr4
	s_and_saveexec_b32 s13, vcc_lo
	s_delay_alu instid0(SALU_CYCLE_1)
	s_xor_b32 s74, exec_lo, s13
	s_cbranch_execz .LBB6_198
; %bb.185:                              ;   in Loop: Header=BB6_136 Depth=3
	v_and_b32_e32 v4, 0x7fffffff, v2
	v_mov_b32_e32 v5, v113
	s_delay_alu instid0(VALU_DEP_1) | instskip(SKIP_2) | instid1(SALU_CYCLE_1)
	v_cmp_gt_u64_e32 vcc_lo, 0x47600001, v[4:5]
	v_and_b32_e32 v4, 0x80, v3
                                        ; implicit-def: $vgpr3
                                        ; kill: killed $vgpr3
	s_and_saveexec_b32 s13, vcc_lo
	s_xor_b32 s75, exec_lo, s13
	s_cbranch_execz .LBB6_195
; %bb.186:                              ;   in Loop: Header=BB6_136 Depth=3
	v_mov_b32_e32 v3, 0
	s_mov_b32 s76, exec_lo
	scratch_store_b32 off, v3, s33 offset:224 ; 4-byte Folded Spill
	s_wait_xcnt 0x0
	v_cmpx_ne_u32_e32 0, v2
	s_cbranch_execz .LBB6_194
; %bb.187:                              ;   in Loop: Header=BB6_136 Depth=3
	v_bfe_u32 v5, v2, 23, 8
	v_or_b32_e32 v14, 0x800000, v0
	s_delay_alu instid0(VALU_DEP_2) | instskip(SKIP_1) | instid1(VALU_DEP_2)
	v_sub_nc_u32_e32 v2, 0x71, v5
	v_cmp_gt_u32_e32 vcc_lo, 0x72, v5
	v_cndmask_b32_e32 v2, 0, v2, vcc_lo
	v_cmp_eq_u32_e32 vcc_lo, 0, v5
	s_delay_alu instid0(VALU_DEP_2) | instskip(NEXT) | instid1(VALU_DEP_1)
	v_cndmask_b32_e64 v7, v2, 0x70, vcc_lo
	v_dual_cndmask_b32 v0, v14, v0, vcc_lo :: v_dual_add_nc_u32 v2, 21, v7
	v_add_nc_u32_e32 v15, 20, v7
	s_delay_alu instid0(VALU_DEP_2) | instskip(NEXT) | instid1(VALU_DEP_2)
	v_lshlrev_b64_e64 v[2:3], v2, -1
	v_lshlrev_b64_e64 v[14:15], v15, 1
	s_delay_alu instid0(VALU_DEP_2) | instskip(SKIP_1) | instid1(VALU_DEP_4)
	v_bfi_b32 v2, v2, 0, v0
	v_lshrrev_b64 v[0:1], v7, v[0:1]
	v_bfi_b32 v3, v3, 0, 0
	s_delay_alu instid0(VALU_DEP_1) | instskip(NEXT) | instid1(VALU_DEP_3)
	v_cmp_eq_u64_e64 s13, v[2:3], v[14:15]
	v_mov_b64_e32 v[2:3], v[0:1]
	s_and_saveexec_b32 s77, s13
; %bb.188:                              ;   in Loop: Header=BB6_136 Depth=3
	v_bfe_u32 v2, v0, 21, 1
	v_mov_b32_e32 v3, v113
	s_delay_alu instid0(VALU_DEP_1) | instskip(NEXT) | instid1(VALU_DEP_1)
	v_add_nc_u64_e32 v[2:3], v[0:1], v[2:3]
	v_add_nc_u64_e32 v[2:3], -1, v[2:3]
; %bb.189:                              ;   in Loop: Header=BB6_136 Depth=3
	s_or_b32 exec_lo, exec_lo, s77
	v_add_nc_u32_e32 v1, 0xffffff81, v5
	v_lshrrev_b32_e32 v3, 23, v0
	s_mov_b32 s13, exec_lo
	s_delay_alu instid0(VALU_DEP_2) | instskip(NEXT) | instid1(VALU_DEP_1)
	v_cndmask_b32_e64 v1, v1, 0xffffff82, vcc_lo
	v_add3_u32 v3, v7, v1, v3
	v_and_b32_e32 v1, 0x1fffff, v2
                                        ; implicit-def: $vgpr2
	s_delay_alu instid0(VALU_DEP_1) | instskip(SKIP_1) | instid1(VALU_DEP_2)
	v_dual_add_nc_u32 v5, 14, v3 :: v_dual_add_nc_u32 v0, v1, v0
	v_mov_b32_e32 v1, v113
	v_cmpx_ne_u32_e32 0, v5
	s_xor_b32 s13, exec_lo, s13
; %bb.190:                              ;   in Loop: Header=BB6_136 Depth=3
	s_delay_alu instid0(VALU_DEP_2) | instskip(SKIP_2) | instid1(VALU_DEP_2)
	v_cmp_lt_u64_e32 vcc_lo, 0xffffff, v[0:1]
	v_add_nc_u32_e32 v2, 15, v3
	v_cndmask_b32_e64 v3, 0, 1, vcc_lo
	v_cndmask_b32_e32 v2, v5, v2, vcc_lo
	s_delay_alu instid0(VALU_DEP_2)
	v_lshrrev_b64 v[0:1], v3, v[0:1]
; %bb.191:                              ;   in Loop: Header=BB6_136 Depth=3
	s_and_not1_saveexec_b32 s13, s13
; %bb.192:                              ;   in Loop: Header=BB6_136 Depth=3
	s_delay_alu instid0(VALU_DEP_1)
	v_bfe_u32 v2, v0, 23, 1
; %bb.193:                              ;   in Loop: Header=BB6_136 Depth=3
	s_or_b32 exec_lo, exec_lo, s13
	s_delay_alu instid0(VALU_DEP_2) | instskip(NEXT) | instid1(VALU_DEP_2)
	v_lshrrev_b64 v[0:1], 21, v[0:1]
	v_cmp_gt_i32_e32 vcc_lo, 32, v2
	v_min_i32_e32 v3, 31, v2
	v_cmp_eq_u32_e64 s13, 0, v2
	s_delay_alu instid0(VALU_DEP_2) | instskip(SKIP_1) | instid1(VALU_DEP_2)
	v_dual_cndmask_b32 v1, 0, v1, vcc_lo :: v_dual_lshlrev_b32 v3, 2, v3
	v_cndmask_b32_e32 v0, 3, v0, vcc_lo
	v_and_b32_e32 v3, 0xfc, v3
	s_delay_alu instid0(VALU_DEP_2) | instskip(NEXT) | instid1(VALU_DEP_2)
	v_cmp_eq_u64_e32 vcc_lo, 0, v[0:1]
	v_and_or_b32 v0, v0, 3, v3
	s_and_b32 s13, s13, vcc_lo
	s_delay_alu instid0(VALU_DEP_1) | instid1(SALU_CYCLE_1)
	v_cndmask_b32_e64 v0, v0, 0, s13
	s_delay_alu instid0(VALU_DEP_1)
	v_or_b32_e32 v0, v0, v4
	scratch_store_b32 off, v0, s33 offset:224 ; 4-byte Folded Spill
.LBB6_194:                              ;   in Loop: Header=BB6_136 Depth=3
	s_wait_xcnt 0x0
	s_or_b32 exec_lo, exec_lo, s76
                                        ; implicit-def: $vgpr4
.LBB6_195:                              ;   in Loop: Header=BB6_136 Depth=3
	s_and_not1_saveexec_b32 s13, s75
	s_cbranch_execz .LBB6_197
; %bb.196:                              ;   in Loop: Header=BB6_136 Depth=3
	v_or_b32_e32 v0, 0x7b, v4
	scratch_store_b32 off, v0, s33 offset:224 ; 4-byte Folded Spill
.LBB6_197:                              ;   in Loop: Header=BB6_136 Depth=3
	s_wait_xcnt 0x0
	s_or_b32 exec_lo, exec_lo, s13
                                        ; implicit-def: $vgpr2
                                        ; implicit-def: $vgpr0_vgpr1
                                        ; implicit-def: $vgpr3
.LBB6_198:                              ;   in Loop: Header=BB6_136 Depth=3
	s_and_not1_saveexec_b32 s13, s74
	s_cbranch_execz .LBB6_204
; %bb.199:                              ;   in Loop: Header=BB6_136 Depth=3
	v_cmp_ne_u64_e32 vcc_lo, 0, v[0:1]
                                        ; implicit-def: $vgpr0
                                        ; kill: killed $vgpr0
	s_and_saveexec_b32 s74, vcc_lo
	s_delay_alu instid0(SALU_CYCLE_1)
	s_xor_b32 s74, exec_lo, s74
	s_cbranch_execz .LBB6_201
; %bb.200:                              ;   in Loop: Header=BB6_136 Depth=3
	v_or_b32_e32 v0, 0x7f, v3
                                        ; implicit-def: $vgpr2
	scratch_store_b32 off, v0, s33 offset:224 ; 4-byte Folded Spill
.LBB6_201:                              ;   in Loop: Header=BB6_136 Depth=3
	s_wait_xcnt 0x0
	s_and_not1_saveexec_b32 s74, s74
	s_cbranch_execz .LBB6_203
; %bb.202:                              ;   in Loop: Header=BB6_136 Depth=3
	v_cmp_lt_i32_e32 vcc_lo, -1, v2
	v_mov_b32_e32 v0, 0x7c
	s_delay_alu instid0(VALU_DEP_1)
	v_cndmask_b32_e32 v0, 0xfc, v0, vcc_lo
	scratch_store_b32 off, v0, s33 offset:224 ; 4-byte Folded Spill
.LBB6_203:                              ;   in Loop: Header=BB6_136 Depth=3
	s_wait_xcnt 0x0
	s_or_b32 exec_lo, exec_lo, s74
.LBB6_204:                              ;   in Loop: Header=BB6_136 Depth=3
	s_delay_alu instid0(SALU_CYCLE_1) | instskip(SKIP_2) | instid1(VALU_DEP_1)
	s_or_b32 exec_lo, exec_lo, s13
	v_dual_mov_b32 v1, 0 :: v_dual_lshrrev_b32 v0, 16, v8
	s_mov_b32 s13, exec_lo
	v_and_b32_e32 v2, 0xff, v0
	s_delay_alu instid0(VALU_DEP_1)
	v_cmpx_ne_u16_e32 0, v2
	s_cbranch_execz .LBB6_214
; %bb.205:                              ;   in Loop: Header=BB6_136 Depth=3
	v_bfrev_b32_e32 v1, 1
	s_mov_b32 s74, exec_lo
	v_cmpx_ne_u16_e32 0x80, v2
	s_cbranch_execz .LBB6_213
; %bb.206:                              ;   in Loop: Header=BB6_136 Depth=3
	v_and_b32_e32 v1, 0x7c0000, v8
	v_bfe_u32 v2, v8, 16, 2
	s_delay_alu instid0(VALU_DEP_2) | instskip(SKIP_1) | instid1(SALU_CYCLE_1)
	v_cmp_ne_u32_e32 vcc_lo, 0x7c0000, v1
                                        ; implicit-def: $vgpr1
	s_and_saveexec_b32 s75, vcc_lo
	s_xor_b32 s75, exec_lo, s75
	s_cbranch_execz .LBB6_210
; %bb.207:                              ;   in Loop: Header=BB6_136 Depth=3
	v_bfe_u32 v1, v8, 18, 5
	s_mov_b32 s76, exec_lo
	s_delay_alu instid0(VALU_DEP_1)
	v_cmpx_eq_u32_e32 0, v1
; %bb.208:                              ;   in Loop: Header=BB6_136 Depth=3
	v_clz_i32_u32_e32 v1, v2
	s_delay_alu instid0(VALU_DEP_1) | instskip(NEXT) | instid1(VALU_DEP_1)
	v_min_u32_e32 v1, 32, v1
	v_subrev_nc_u32_e32 v2, 29, v1
	s_delay_alu instid0(VALU_DEP_1) | instskip(NEXT) | instid1(VALU_DEP_1)
	v_lshlrev_b64_e32 v[2:3], v2, v[0:1]
	v_dual_sub_nc_u32 v1, 30, v1 :: v_dual_bitop2_b32 v2, 3, v2 bitop3:0x40
; %bb.209:                              ;   in Loop: Header=BB6_136 Depth=3
	s_or_b32 exec_lo, exec_lo, s76
	v_lshlrev_b32_e32 v0, 24, v0
	s_delay_alu instid0(VALU_DEP_1) | instskip(NEXT) | instid1(VALU_DEP_1)
	v_and_b32_e32 v0, 0x80000000, v0
	v_lshl_add_u32 v0, v1, 23, v0
	s_delay_alu instid0(VALU_DEP_1) | instskip(NEXT) | instid1(VALU_DEP_1)
	v_lshl_or_b32 v0, v2, 21, v0
                                        ; implicit-def: $vgpr2
	v_add_nc_u32_e32 v1, 0x38000000, v0
                                        ; implicit-def: $vgpr0
.LBB6_210:                              ;   in Loop: Header=BB6_136 Depth=3
	s_and_not1_saveexec_b32 s75, s75
; %bb.211:                              ;   in Loop: Header=BB6_136 Depth=3
	v_bfe_i32 v0, v0, 0, 8
	s_delay_alu instid0(VALU_DEP_1) | instskip(SKIP_1) | instid1(VALU_DEP_1)
	v_cmp_lt_i16_e32 vcc_lo, -1, v0
	v_mov_b32_e32 v0, 0x7f800000
	v_cndmask_b32_e32 v0, 0xff800000, v0, vcc_lo
	v_cmp_eq_u32_e32 vcc_lo, 0, v2
	s_delay_alu instid0(VALU_DEP_2)
	v_cndmask_b32_e32 v1, 0x7f800001, v0, vcc_lo
; %bb.212:                              ;   in Loop: Header=BB6_136 Depth=3
	s_or_b32 exec_lo, exec_lo, s75
.LBB6_213:                              ;   in Loop: Header=BB6_136 Depth=3
	s_delay_alu instid0(SALU_CYCLE_1)
	s_or_b32 exec_lo, exec_lo, s74
.LBB6_214:                              ;   in Loop: Header=BB6_136 Depth=3
	s_delay_alu instid0(SALU_CYCLE_1) | instskip(NEXT) | instid1(VALU_DEP_1)
	s_or_b32 exec_lo, exec_lo, s13
	v_dual_mul_f32 v2, s73, v1 :: v_dual_mov_b32 v5, v113
	s_delay_alu instid0(VALU_DEP_1) | instskip(SKIP_2) | instid1(VALU_DEP_2)
	v_dual_mov_b32 v1, v113 :: v_dual_lshrrev_b32 v3, 24, v2
	v_and_b32_e32 v4, 0x7f800000, v2
	v_and_b32_e32 v0, 0x7fffff, v2
	v_cmp_ne_u64_e32 vcc_lo, 0x7f800000, v[4:5]
                                        ; implicit-def: $vgpr4
                                        ; kill: killed $vgpr4
	s_and_saveexec_b32 s13, vcc_lo
	s_delay_alu instid0(SALU_CYCLE_1)
	s_xor_b32 s74, exec_lo, s13
	s_cbranch_execz .LBB6_228
; %bb.215:                              ;   in Loop: Header=BB6_136 Depth=3
	v_and_b32_e32 v4, 0x7fffffff, v2
	v_mov_b32_e32 v5, v113
	s_delay_alu instid0(VALU_DEP_1) | instskip(SKIP_2) | instid1(SALU_CYCLE_1)
	v_cmp_gt_u64_e32 vcc_lo, 0x47600001, v[4:5]
	v_and_b32_e32 v4, 0x80, v3
                                        ; implicit-def: $vgpr3
                                        ; kill: killed $vgpr3
	s_and_saveexec_b32 s13, vcc_lo
	s_xor_b32 s75, exec_lo, s13
	s_cbranch_execz .LBB6_225
; %bb.216:                              ;   in Loop: Header=BB6_136 Depth=3
	v_mov_b32_e32 v3, 0
	s_mov_b32 s76, exec_lo
	scratch_store_b32 off, v3, s33 offset:232 ; 4-byte Folded Spill
	s_wait_xcnt 0x0
	v_cmpx_ne_u32_e32 0, v2
	s_cbranch_execz .LBB6_224
; %bb.217:                              ;   in Loop: Header=BB6_136 Depth=3
	v_bfe_u32 v5, v2, 23, 8
	v_or_b32_e32 v14, 0x800000, v0
	s_delay_alu instid0(VALU_DEP_2) | instskip(SKIP_1) | instid1(VALU_DEP_2)
	v_sub_nc_u32_e32 v2, 0x71, v5
	v_cmp_gt_u32_e32 vcc_lo, 0x72, v5
	v_cndmask_b32_e32 v2, 0, v2, vcc_lo
	v_cmp_eq_u32_e32 vcc_lo, 0, v5
	s_delay_alu instid0(VALU_DEP_2) | instskip(NEXT) | instid1(VALU_DEP_1)
	v_cndmask_b32_e64 v7, v2, 0x70, vcc_lo
	v_dual_cndmask_b32 v0, v14, v0, vcc_lo :: v_dual_add_nc_u32 v2, 21, v7
	v_add_nc_u32_e32 v15, 20, v7
	s_delay_alu instid0(VALU_DEP_2) | instskip(NEXT) | instid1(VALU_DEP_2)
	v_lshlrev_b64_e64 v[2:3], v2, -1
	v_lshlrev_b64_e64 v[14:15], v15, 1
	s_delay_alu instid0(VALU_DEP_2) | instskip(SKIP_1) | instid1(VALU_DEP_4)
	v_bfi_b32 v2, v2, 0, v0
	v_lshrrev_b64 v[0:1], v7, v[0:1]
	v_bfi_b32 v3, v3, 0, 0
	s_delay_alu instid0(VALU_DEP_1) | instskip(NEXT) | instid1(VALU_DEP_3)
	v_cmp_eq_u64_e64 s13, v[2:3], v[14:15]
	v_mov_b64_e32 v[2:3], v[0:1]
	s_and_saveexec_b32 s77, s13
; %bb.218:                              ;   in Loop: Header=BB6_136 Depth=3
	v_bfe_u32 v2, v0, 21, 1
	v_mov_b32_e32 v3, v113
	s_delay_alu instid0(VALU_DEP_1) | instskip(NEXT) | instid1(VALU_DEP_1)
	v_add_nc_u64_e32 v[2:3], v[0:1], v[2:3]
	v_add_nc_u64_e32 v[2:3], -1, v[2:3]
; %bb.219:                              ;   in Loop: Header=BB6_136 Depth=3
	s_or_b32 exec_lo, exec_lo, s77
	v_add_nc_u32_e32 v1, 0xffffff81, v5
	v_lshrrev_b32_e32 v3, 23, v0
	s_mov_b32 s13, exec_lo
	s_delay_alu instid0(VALU_DEP_2) | instskip(NEXT) | instid1(VALU_DEP_1)
	v_cndmask_b32_e64 v1, v1, 0xffffff82, vcc_lo
	v_add3_u32 v3, v7, v1, v3
	v_and_b32_e32 v1, 0x1fffff, v2
                                        ; implicit-def: $vgpr2
	s_delay_alu instid0(VALU_DEP_1) | instskip(SKIP_1) | instid1(VALU_DEP_2)
	v_dual_add_nc_u32 v5, 14, v3 :: v_dual_add_nc_u32 v0, v1, v0
	v_mov_b32_e32 v1, v113
	v_cmpx_ne_u32_e32 0, v5
	s_xor_b32 s13, exec_lo, s13
; %bb.220:                              ;   in Loop: Header=BB6_136 Depth=3
	s_delay_alu instid0(VALU_DEP_2) | instskip(SKIP_2) | instid1(VALU_DEP_2)
	v_cmp_lt_u64_e32 vcc_lo, 0xffffff, v[0:1]
	v_add_nc_u32_e32 v2, 15, v3
	v_cndmask_b32_e64 v3, 0, 1, vcc_lo
	v_cndmask_b32_e32 v2, v5, v2, vcc_lo
	s_delay_alu instid0(VALU_DEP_2)
	v_lshrrev_b64 v[0:1], v3, v[0:1]
; %bb.221:                              ;   in Loop: Header=BB6_136 Depth=3
	s_and_not1_saveexec_b32 s13, s13
; %bb.222:                              ;   in Loop: Header=BB6_136 Depth=3
	s_delay_alu instid0(VALU_DEP_1)
	v_bfe_u32 v2, v0, 23, 1
; %bb.223:                              ;   in Loop: Header=BB6_136 Depth=3
	s_or_b32 exec_lo, exec_lo, s13
	s_delay_alu instid0(VALU_DEP_2) | instskip(NEXT) | instid1(VALU_DEP_2)
	v_lshrrev_b64 v[0:1], 21, v[0:1]
	v_cmp_gt_i32_e32 vcc_lo, 32, v2
	v_min_i32_e32 v3, 31, v2
	v_cmp_eq_u32_e64 s13, 0, v2
	s_delay_alu instid0(VALU_DEP_2) | instskip(SKIP_1) | instid1(VALU_DEP_2)
	v_dual_cndmask_b32 v1, 0, v1, vcc_lo :: v_dual_lshlrev_b32 v3, 2, v3
	v_cndmask_b32_e32 v0, 3, v0, vcc_lo
	v_and_b32_e32 v3, 0xfc, v3
	s_delay_alu instid0(VALU_DEP_2) | instskip(NEXT) | instid1(VALU_DEP_2)
	v_cmp_eq_u64_e32 vcc_lo, 0, v[0:1]
	v_and_or_b32 v0, v0, 3, v3
	s_and_b32 s13, s13, vcc_lo
	s_delay_alu instid0(VALU_DEP_1) | instid1(SALU_CYCLE_1)
	v_cndmask_b32_e64 v0, v0, 0, s13
	s_delay_alu instid0(VALU_DEP_1)
	v_or_b32_e32 v0, v0, v4
	scratch_store_b32 off, v0, s33 offset:232 ; 4-byte Folded Spill
.LBB6_224:                              ;   in Loop: Header=BB6_136 Depth=3
	s_wait_xcnt 0x0
	s_or_b32 exec_lo, exec_lo, s76
                                        ; implicit-def: $vgpr4
.LBB6_225:                              ;   in Loop: Header=BB6_136 Depth=3
	s_and_not1_saveexec_b32 s13, s75
	s_cbranch_execz .LBB6_227
; %bb.226:                              ;   in Loop: Header=BB6_136 Depth=3
	v_or_b32_e32 v0, 0x7b, v4
	scratch_store_b32 off, v0, s33 offset:232 ; 4-byte Folded Spill
.LBB6_227:                              ;   in Loop: Header=BB6_136 Depth=3
	s_wait_xcnt 0x0
	s_or_b32 exec_lo, exec_lo, s13
                                        ; implicit-def: $vgpr2
                                        ; implicit-def: $vgpr0_vgpr1
                                        ; implicit-def: $vgpr3
.LBB6_228:                              ;   in Loop: Header=BB6_136 Depth=3
	s_and_not1_saveexec_b32 s13, s74
	s_cbranch_execz .LBB6_234
; %bb.229:                              ;   in Loop: Header=BB6_136 Depth=3
	v_cmp_ne_u64_e32 vcc_lo, 0, v[0:1]
                                        ; implicit-def: $vgpr0
                                        ; kill: killed $vgpr0
	s_and_saveexec_b32 s74, vcc_lo
	s_delay_alu instid0(SALU_CYCLE_1)
	s_xor_b32 s74, exec_lo, s74
	s_cbranch_execz .LBB6_231
; %bb.230:                              ;   in Loop: Header=BB6_136 Depth=3
	v_or_b32_e32 v0, 0x7f, v3
                                        ; implicit-def: $vgpr2
	scratch_store_b32 off, v0, s33 offset:232 ; 4-byte Folded Spill
.LBB6_231:                              ;   in Loop: Header=BB6_136 Depth=3
	s_wait_xcnt 0x0
	s_and_not1_saveexec_b32 s74, s74
	s_cbranch_execz .LBB6_233
; %bb.232:                              ;   in Loop: Header=BB6_136 Depth=3
	v_cmp_lt_i32_e32 vcc_lo, -1, v2
	v_mov_b32_e32 v0, 0x7c
	s_delay_alu instid0(VALU_DEP_1)
	v_cndmask_b32_e32 v0, 0xfc, v0, vcc_lo
	scratch_store_b32 off, v0, s33 offset:232 ; 4-byte Folded Spill
.LBB6_233:                              ;   in Loop: Header=BB6_136 Depth=3
	s_wait_xcnt 0x0
	s_or_b32 exec_lo, exec_lo, s74
.LBB6_234:                              ;   in Loop: Header=BB6_136 Depth=3
	s_delay_alu instid0(SALU_CYCLE_1)
	s_or_b32 exec_lo, exec_lo, s13
	v_mov_b32_e32 v1, 0
	s_mov_b32 s13, exec_lo
	v_cmpx_lt_u32_e32 0xffffff, v8
	s_cbranch_execz .LBB6_244
; %bb.235:                              ;   in Loop: Header=BB6_136 Depth=3
	v_lshrrev_b32_e32 v0, 24, v8
	v_bfrev_b32_e32 v1, 1
	s_mov_b32 s74, exec_lo
	s_delay_alu instid0(VALU_DEP_2)
	v_cmpx_ne_u32_e32 0x80, v0
	s_cbranch_execz .LBB6_243
; %bb.236:                              ;   in Loop: Header=BB6_136 Depth=3
	v_and_b32_e32 v1, 0x7c000000, v8
	v_bfe_u32 v2, v8, 24, 2
	s_delay_alu instid0(VALU_DEP_2) | instskip(SKIP_1) | instid1(SALU_CYCLE_1)
	v_cmp_ne_u32_e32 vcc_lo, 0x7c000000, v1
                                        ; implicit-def: $vgpr1
	s_and_saveexec_b32 s75, vcc_lo
	s_xor_b32 s75, exec_lo, s75
	s_cbranch_execz .LBB6_240
; %bb.237:                              ;   in Loop: Header=BB6_136 Depth=3
	v_bfe_u32 v1, v8, 26, 5
	s_mov_b32 s76, exec_lo
	s_delay_alu instid0(VALU_DEP_1)
	v_cmpx_eq_u32_e32 0, v1
; %bb.238:                              ;   in Loop: Header=BB6_136 Depth=3
	v_clz_i32_u32_e32 v1, v2
	s_delay_alu instid0(VALU_DEP_1) | instskip(NEXT) | instid1(VALU_DEP_1)
	v_min_u32_e32 v2, 32, v1
	v_subrev_nc_u32_e32 v1, 29, v2
	s_delay_alu instid0(VALU_DEP_1) | instskip(NEXT) | instid1(VALU_DEP_1)
	v_lshlrev_b64_e32 v[0:1], v1, v[0:1]
	v_dual_sub_nc_u32 v1, 30, v2 :: v_dual_bitop2_b32 v2, 3, v0 bitop3:0x40
; %bb.239:                              ;   in Loop: Header=BB6_136 Depth=3
	s_or_b32 exec_lo, exec_lo, s76
	v_and_b32_e32 v0, 0x80000000, v8
	s_delay_alu instid0(VALU_DEP_1) | instskip(NEXT) | instid1(VALU_DEP_1)
	v_lshl_add_u32 v0, v1, 23, v0
	v_lshl_or_b32 v0, v2, 21, v0
                                        ; implicit-def: $vgpr2
	s_delay_alu instid0(VALU_DEP_1)
	v_add_nc_u32_e32 v1, 0x38000000, v0
.LBB6_240:                              ;   in Loop: Header=BB6_136 Depth=3
	s_and_not1_saveexec_b32 s75, s75
; %bb.241:                              ;   in Loop: Header=BB6_136 Depth=3
	v_cmp_lt_i32_e32 vcc_lo, -1, v8
	v_mov_b32_e32 v0, 0x7f800000
	s_delay_alu instid0(VALU_DEP_1) | instskip(SKIP_1) | instid1(VALU_DEP_2)
	v_cndmask_b32_e32 v0, 0xff800000, v0, vcc_lo
	v_cmp_eq_u32_e32 vcc_lo, 0, v2
	v_cndmask_b32_e32 v1, 0x7f800001, v0, vcc_lo
; %bb.242:                              ;   in Loop: Header=BB6_136 Depth=3
	s_or_b32 exec_lo, exec_lo, s75
.LBB6_243:                              ;   in Loop: Header=BB6_136 Depth=3
	s_delay_alu instid0(SALU_CYCLE_1)
	s_or_b32 exec_lo, exec_lo, s74
.LBB6_244:                              ;   in Loop: Header=BB6_136 Depth=3
	s_delay_alu instid0(SALU_CYCLE_1) | instskip(NEXT) | instid1(VALU_DEP_1)
	s_or_b32 exec_lo, exec_lo, s13
	v_dual_mul_f32 v2, s73, v1 :: v_dual_mov_b32 v5, v113
	s_delay_alu instid0(VALU_DEP_1) | instskip(SKIP_2) | instid1(VALU_DEP_2)
	v_dual_mov_b32 v1, v113 :: v_dual_lshrrev_b32 v3, 24, v2
	v_and_b32_e32 v4, 0x7f800000, v2
	v_and_b32_e32 v0, 0x7fffff, v2
	v_cmp_ne_u64_e32 vcc_lo, 0x7f800000, v[4:5]
                                        ; implicit-def: $vgpr4
                                        ; kill: killed $vgpr4
	s_and_saveexec_b32 s13, vcc_lo
	s_delay_alu instid0(SALU_CYCLE_1)
	s_xor_b32 s74, exec_lo, s13
	s_cbranch_execz .LBB6_258
; %bb.245:                              ;   in Loop: Header=BB6_136 Depth=3
	v_and_b32_e32 v4, 0x7fffffff, v2
	v_mov_b32_e32 v5, v113
	s_delay_alu instid0(VALU_DEP_1) | instskip(SKIP_2) | instid1(SALU_CYCLE_1)
	v_cmp_gt_u64_e32 vcc_lo, 0x47600001, v[4:5]
	v_and_b32_e32 v4, 0x80, v3
                                        ; implicit-def: $vgpr3
                                        ; kill: killed $vgpr3
	s_and_saveexec_b32 s13, vcc_lo
	s_xor_b32 s75, exec_lo, s13
	s_cbranch_execz .LBB6_255
; %bb.246:                              ;   in Loop: Header=BB6_136 Depth=3
	v_mov_b32_e32 v3, 0
	s_mov_b32 s76, exec_lo
	scratch_store_b32 off, v3, s33 offset:240 ; 4-byte Folded Spill
	s_wait_xcnt 0x0
	v_cmpx_ne_u32_e32 0, v2
	s_cbranch_execz .LBB6_254
; %bb.247:                              ;   in Loop: Header=BB6_136 Depth=3
	v_bfe_u32 v5, v2, 23, 8
	v_or_b32_e32 v14, 0x800000, v0
	s_delay_alu instid0(VALU_DEP_2) | instskip(SKIP_1) | instid1(VALU_DEP_2)
	v_sub_nc_u32_e32 v2, 0x71, v5
	v_cmp_gt_u32_e32 vcc_lo, 0x72, v5
	v_cndmask_b32_e32 v2, 0, v2, vcc_lo
	v_cmp_eq_u32_e32 vcc_lo, 0, v5
	s_delay_alu instid0(VALU_DEP_2) | instskip(NEXT) | instid1(VALU_DEP_1)
	v_cndmask_b32_e64 v7, v2, 0x70, vcc_lo
	v_dual_cndmask_b32 v0, v14, v0, vcc_lo :: v_dual_add_nc_u32 v2, 21, v7
	v_add_nc_u32_e32 v15, 20, v7
	s_delay_alu instid0(VALU_DEP_2) | instskip(NEXT) | instid1(VALU_DEP_2)
	v_lshlrev_b64_e64 v[2:3], v2, -1
	v_lshlrev_b64_e64 v[14:15], v15, 1
	s_delay_alu instid0(VALU_DEP_2) | instskip(SKIP_1) | instid1(VALU_DEP_4)
	v_bfi_b32 v2, v2, 0, v0
	v_lshrrev_b64 v[0:1], v7, v[0:1]
	v_bfi_b32 v3, v3, 0, 0
	s_delay_alu instid0(VALU_DEP_1) | instskip(NEXT) | instid1(VALU_DEP_3)
	v_cmp_eq_u64_e64 s13, v[2:3], v[14:15]
	v_mov_b64_e32 v[2:3], v[0:1]
	s_and_saveexec_b32 s77, s13
; %bb.248:                              ;   in Loop: Header=BB6_136 Depth=3
	v_bfe_u32 v2, v0, 21, 1
	v_mov_b32_e32 v3, v113
	s_delay_alu instid0(VALU_DEP_1) | instskip(NEXT) | instid1(VALU_DEP_1)
	v_add_nc_u64_e32 v[2:3], v[0:1], v[2:3]
	v_add_nc_u64_e32 v[2:3], -1, v[2:3]
; %bb.249:                              ;   in Loop: Header=BB6_136 Depth=3
	s_or_b32 exec_lo, exec_lo, s77
	v_add_nc_u32_e32 v1, 0xffffff81, v5
	v_lshrrev_b32_e32 v3, 23, v0
	s_mov_b32 s13, exec_lo
	s_delay_alu instid0(VALU_DEP_2) | instskip(NEXT) | instid1(VALU_DEP_1)
	v_cndmask_b32_e64 v1, v1, 0xffffff82, vcc_lo
	v_add3_u32 v3, v7, v1, v3
	v_and_b32_e32 v1, 0x1fffff, v2
                                        ; implicit-def: $vgpr2
	s_delay_alu instid0(VALU_DEP_1) | instskip(SKIP_1) | instid1(VALU_DEP_2)
	v_dual_add_nc_u32 v5, 14, v3 :: v_dual_add_nc_u32 v0, v1, v0
	v_mov_b32_e32 v1, v113
	v_cmpx_ne_u32_e32 0, v5
	s_xor_b32 s13, exec_lo, s13
; %bb.250:                              ;   in Loop: Header=BB6_136 Depth=3
	s_delay_alu instid0(VALU_DEP_2) | instskip(SKIP_2) | instid1(VALU_DEP_2)
	v_cmp_lt_u64_e32 vcc_lo, 0xffffff, v[0:1]
	v_add_nc_u32_e32 v2, 15, v3
	v_cndmask_b32_e64 v3, 0, 1, vcc_lo
	v_cndmask_b32_e32 v2, v5, v2, vcc_lo
	s_delay_alu instid0(VALU_DEP_2)
	v_lshrrev_b64 v[0:1], v3, v[0:1]
; %bb.251:                              ;   in Loop: Header=BB6_136 Depth=3
	s_and_not1_saveexec_b32 s13, s13
; %bb.252:                              ;   in Loop: Header=BB6_136 Depth=3
	s_delay_alu instid0(VALU_DEP_1)
	v_bfe_u32 v2, v0, 23, 1
; %bb.253:                              ;   in Loop: Header=BB6_136 Depth=3
	s_or_b32 exec_lo, exec_lo, s13
	s_delay_alu instid0(VALU_DEP_2) | instskip(NEXT) | instid1(VALU_DEP_2)
	v_lshrrev_b64 v[0:1], 21, v[0:1]
	v_cmp_gt_i32_e32 vcc_lo, 32, v2
	v_min_i32_e32 v3, 31, v2
	v_cmp_eq_u32_e64 s13, 0, v2
	s_delay_alu instid0(VALU_DEP_2) | instskip(SKIP_1) | instid1(VALU_DEP_2)
	v_dual_cndmask_b32 v1, 0, v1, vcc_lo :: v_dual_lshlrev_b32 v3, 2, v3
	v_cndmask_b32_e32 v0, 3, v0, vcc_lo
	v_and_b32_e32 v3, 0xfc, v3
	s_delay_alu instid0(VALU_DEP_2) | instskip(NEXT) | instid1(VALU_DEP_2)
	v_cmp_eq_u64_e32 vcc_lo, 0, v[0:1]
	v_and_or_b32 v0, v0, 3, v3
	s_and_b32 s13, s13, vcc_lo
	s_delay_alu instid0(VALU_DEP_1) | instid1(SALU_CYCLE_1)
	v_cndmask_b32_e64 v0, v0, 0, s13
	s_delay_alu instid0(VALU_DEP_1)
	v_or_b32_e32 v0, v0, v4
	scratch_store_b32 off, v0, s33 offset:240 ; 4-byte Folded Spill
.LBB6_254:                              ;   in Loop: Header=BB6_136 Depth=3
	s_wait_xcnt 0x0
	s_or_b32 exec_lo, exec_lo, s76
                                        ; implicit-def: $vgpr4
.LBB6_255:                              ;   in Loop: Header=BB6_136 Depth=3
	s_and_not1_saveexec_b32 s13, s75
	s_cbranch_execz .LBB6_257
; %bb.256:                              ;   in Loop: Header=BB6_136 Depth=3
	v_or_b32_e32 v0, 0x7b, v4
	scratch_store_b32 off, v0, s33 offset:240 ; 4-byte Folded Spill
.LBB6_257:                              ;   in Loop: Header=BB6_136 Depth=3
	s_wait_xcnt 0x0
	s_or_b32 exec_lo, exec_lo, s13
                                        ; implicit-def: $vgpr2
                                        ; implicit-def: $vgpr0_vgpr1
                                        ; implicit-def: $vgpr3
.LBB6_258:                              ;   in Loop: Header=BB6_136 Depth=3
	s_and_not1_saveexec_b32 s13, s74
	s_cbranch_execz .LBB6_264
; %bb.259:                              ;   in Loop: Header=BB6_136 Depth=3
	v_cmp_ne_u64_e32 vcc_lo, 0, v[0:1]
                                        ; implicit-def: $vgpr0
                                        ; kill: killed $vgpr0
	s_and_saveexec_b32 s74, vcc_lo
	s_delay_alu instid0(SALU_CYCLE_1)
	s_xor_b32 s74, exec_lo, s74
	s_cbranch_execz .LBB6_261
; %bb.260:                              ;   in Loop: Header=BB6_136 Depth=3
	v_or_b32_e32 v0, 0x7f, v3
                                        ; implicit-def: $vgpr2
	scratch_store_b32 off, v0, s33 offset:240 ; 4-byte Folded Spill
.LBB6_261:                              ;   in Loop: Header=BB6_136 Depth=3
	s_wait_xcnt 0x0
	s_and_not1_saveexec_b32 s74, s74
	s_cbranch_execz .LBB6_263
; %bb.262:                              ;   in Loop: Header=BB6_136 Depth=3
	v_cmp_lt_i32_e32 vcc_lo, -1, v2
	v_mov_b32_e32 v0, 0x7c
	s_delay_alu instid0(VALU_DEP_1)
	v_cndmask_b32_e32 v0, 0xfc, v0, vcc_lo
	scratch_store_b32 off, v0, s33 offset:240 ; 4-byte Folded Spill
.LBB6_263:                              ;   in Loop: Header=BB6_136 Depth=3
	s_wait_xcnt 0x0
	s_or_b32 exec_lo, exec_lo, s74
.LBB6_264:                              ;   in Loop: Header=BB6_136 Depth=3
	s_delay_alu instid0(SALU_CYCLE_1) | instskip(SKIP_4) | instid1(VALU_DEP_3)
	s_or_b32 exec_lo, exec_lo, s13
	v_and_b32_e32 v3, 0xff, v9
	v_dual_mov_b32 v0, v9 :: v_dual_mov_b32 v1, v113
	v_mov_b32_e32 v2, 0
	s_mov_b32 s13, exec_lo
	v_cmpx_ne_u16_e32 0, v3
	s_cbranch_execz .LBB6_274
; %bb.265:                              ;   in Loop: Header=BB6_136 Depth=3
	v_bfrev_b32_e32 v2, 1
	s_mov_b32 s74, exec_lo
	v_cmpx_ne_u16_e32 0x80, v3
	s_cbranch_execz .LBB6_273
; %bb.266:                              ;   in Loop: Header=BB6_136 Depth=3
	v_and_b32_e32 v2, 0x7c, v9
	v_and_b32_e32 v3, 3, v9
	s_delay_alu instid0(VALU_DEP_2) | instskip(SKIP_1) | instid1(SALU_CYCLE_1)
	v_cmp_ne_u32_e32 vcc_lo, 0x7c, v2
                                        ; implicit-def: $vgpr2
	s_and_saveexec_b32 s75, vcc_lo
	s_xor_b32 s75, exec_lo, s75
	s_cbranch_execz .LBB6_270
; %bb.267:                              ;   in Loop: Header=BB6_136 Depth=3
	v_bfe_u32 v2, v9, 2, 5
	s_mov_b32 s76, exec_lo
	s_delay_alu instid0(VALU_DEP_1)
	v_cmpx_eq_u32_e32 0, v2
; %bb.268:                              ;   in Loop: Header=BB6_136 Depth=3
	v_clz_i32_u32_e32 v2, v3
	s_delay_alu instid0(VALU_DEP_1) | instskip(NEXT) | instid1(VALU_DEP_1)
	v_min_u32_e32 v2, 32, v2
	v_subrev_nc_u32_e32 v3, 29, v2
	s_delay_alu instid0(VALU_DEP_1) | instskip(NEXT) | instid1(VALU_DEP_1)
	v_lshlrev_b64_e32 v[4:5], v3, v[0:1]
	v_dual_sub_nc_u32 v2, 30, v2 :: v_dual_bitop2_b32 v3, 3, v4 bitop3:0x40
; %bb.269:                              ;   in Loop: Header=BB6_136 Depth=3
	s_or_b32 exec_lo, exec_lo, s76
	v_lshlrev_b32_e32 v1, 24, v9
	s_delay_alu instid0(VALU_DEP_1) | instskip(NEXT) | instid1(VALU_DEP_1)
	v_and_b32_e32 v1, 0x80000000, v1
	v_lshl_add_u32 v1, v2, 23, v1
	s_delay_alu instid0(VALU_DEP_1) | instskip(NEXT) | instid1(VALU_DEP_1)
	v_lshl_or_b32 v1, v3, 21, v1
                                        ; implicit-def: $vgpr3
	v_add_nc_u32_e32 v2, 0x38000000, v1
.LBB6_270:                              ;   in Loop: Header=BB6_136 Depth=3
	s_and_not1_saveexec_b32 s75, s75
; %bb.271:                              ;   in Loop: Header=BB6_136 Depth=3
	v_bfe_i32 v1, v9, 0, 8
	s_delay_alu instid0(VALU_DEP_1) | instskip(SKIP_1) | instid1(VALU_DEP_1)
	v_cmp_lt_i16_e32 vcc_lo, -1, v1
	v_mov_b32_e32 v1, 0x7f800000
	v_cndmask_b32_e32 v1, 0xff800000, v1, vcc_lo
	v_cmp_eq_u32_e32 vcc_lo, 0, v3
	s_delay_alu instid0(VALU_DEP_2)
	v_cndmask_b32_e32 v2, 0x7f800001, v1, vcc_lo
; %bb.272:                              ;   in Loop: Header=BB6_136 Depth=3
	s_or_b32 exec_lo, exec_lo, s75
.LBB6_273:                              ;   in Loop: Header=BB6_136 Depth=3
	s_delay_alu instid0(SALU_CYCLE_1)
	s_or_b32 exec_lo, exec_lo, s74
.LBB6_274:                              ;   in Loop: Header=BB6_136 Depth=3
	s_delay_alu instid0(SALU_CYCLE_1) | instskip(NEXT) | instid1(VALU_DEP_1)
	s_or_b32 exec_lo, exec_lo, s13
	v_dual_mul_f32 v4, s73, v2 :: v_dual_mov_b32 v15, v113
	v_mov_b32_e32 v3, v113
                                        ; implicit-def: $vgpr5
                                        ; kill: killed $vgpr5
	s_mov_b32 s13, exec_lo
	s_delay_alu instid0(VALU_DEP_2) | instskip(SKIP_2) | instid1(VALU_DEP_3)
	v_and_b32_e32 v14, 0x7f800000, v4
	v_and_b32_e32 v2, 0x7fffff, v4
	v_lshrrev_b32_e32 v1, 24, v4
	v_cmpx_ne_u64_e32 0x7f800000, v[14:15]
	s_xor_b32 s74, exec_lo, s13
	s_cbranch_execz .LBB6_288
; %bb.275:                              ;   in Loop: Header=BB6_136 Depth=3
	v_and_b32_e32 v14, 0x7fffffff, v4
	v_mov_b32_e32 v15, v113
	v_and_b32_e32 v1, 0x80, v1
                                        ; implicit-def: $vgpr5
                                        ; kill: killed $vgpr5
	s_mov_b32 s13, exec_lo
	s_delay_alu instid0(VALU_DEP_2)
	v_cmpx_gt_u64_e32 0x47600001, v[14:15]
	s_xor_b32 s75, exec_lo, s13
	s_cbranch_execz .LBB6_285
; %bb.276:                              ;   in Loop: Header=BB6_136 Depth=3
	v_mov_b32_e32 v5, 0
	s_mov_b32 s76, exec_lo
	scratch_store_b32 off, v5, s33 offset:248 ; 4-byte Folded Spill
	s_wait_xcnt 0x0
	v_cmpx_ne_u32_e32 0, v4
	s_cbranch_execz .LBB6_284
; %bb.277:                              ;   in Loop: Header=BB6_136 Depth=3
	v_bfe_u32 v7, v4, 23, 8
	v_or_b32_e32 v15, 0x800000, v2
	s_delay_alu instid0(VALU_DEP_2) | instskip(SKIP_1) | instid1(VALU_DEP_2)
	v_sub_nc_u32_e32 v4, 0x71, v7
	v_cmp_gt_u32_e32 vcc_lo, 0x72, v7
	v_cndmask_b32_e32 v4, 0, v4, vcc_lo
	v_cmp_eq_u32_e32 vcc_lo, 0, v7
	s_delay_alu instid0(VALU_DEP_2) | instskip(SKIP_1) | instid1(VALU_DEP_2)
	v_cndmask_b32_e64 v14, v4, 0x70, vcc_lo
	v_cndmask_b32_e32 v2, v15, v2, vcc_lo
	v_dual_add_nc_u32 v4, 21, v14 :: v_dual_add_nc_u32 v16, 20, v14
	s_delay_alu instid0(VALU_DEP_1) | instskip(NEXT) | instid1(VALU_DEP_2)
	v_lshlrev_b64_e64 v[4:5], v4, -1
	v_lshlrev_b64_e64 v[16:17], v16, 1
	s_delay_alu instid0(VALU_DEP_2) | instskip(SKIP_1) | instid1(VALU_DEP_4)
	v_bfi_b32 v4, v4, 0, v2
	v_lshrrev_b64 v[2:3], v14, v[2:3]
	v_bfi_b32 v5, v5, 0, 0
	s_delay_alu instid0(VALU_DEP_1) | instskip(NEXT) | instid1(VALU_DEP_3)
	v_cmp_eq_u64_e64 s13, v[4:5], v[16:17]
	v_mov_b64_e32 v[4:5], v[2:3]
	s_and_saveexec_b32 s77, s13
; %bb.278:                              ;   in Loop: Header=BB6_136 Depth=3
	v_bfe_u32 v4, v2, 21, 1
	v_mov_b32_e32 v5, v113
	s_delay_alu instid0(VALU_DEP_1) | instskip(NEXT) | instid1(VALU_DEP_1)
	v_add_nc_u64_e32 v[4:5], v[2:3], v[4:5]
	v_add_nc_u64_e32 v[4:5], -1, v[4:5]
; %bb.279:                              ;   in Loop: Header=BB6_136 Depth=3
	s_or_b32 exec_lo, exec_lo, s77
	v_add_nc_u32_e32 v3, 0xffffff81, v7
	v_lshrrev_b32_e32 v5, 23, v2
	s_mov_b32 s13, exec_lo
	s_delay_alu instid0(VALU_DEP_2) | instskip(NEXT) | instid1(VALU_DEP_1)
	v_cndmask_b32_e64 v3, v3, 0xffffff82, vcc_lo
	v_add3_u32 v5, v14, v3, v5
	v_and_b32_e32 v3, 0x1fffff, v4
                                        ; implicit-def: $vgpr4
	s_delay_alu instid0(VALU_DEP_1) | instskip(SKIP_1) | instid1(VALU_DEP_2)
	v_dual_add_nc_u32 v7, 14, v5 :: v_dual_add_nc_u32 v2, v3, v2
	v_mov_b32_e32 v3, v113
	v_cmpx_ne_u32_e32 0, v7
	s_xor_b32 s13, exec_lo, s13
; %bb.280:                              ;   in Loop: Header=BB6_136 Depth=3
	s_delay_alu instid0(VALU_DEP_2) | instskip(SKIP_2) | instid1(VALU_DEP_2)
	v_cmp_lt_u64_e32 vcc_lo, 0xffffff, v[2:3]
	v_add_nc_u32_e32 v4, 15, v5
	v_cndmask_b32_e64 v5, 0, 1, vcc_lo
	v_cndmask_b32_e32 v4, v7, v4, vcc_lo
	s_delay_alu instid0(VALU_DEP_2)
	v_lshrrev_b64 v[2:3], v5, v[2:3]
; %bb.281:                              ;   in Loop: Header=BB6_136 Depth=3
	s_and_not1_saveexec_b32 s13, s13
; %bb.282:                              ;   in Loop: Header=BB6_136 Depth=3
	s_delay_alu instid0(VALU_DEP_1)
	v_bfe_u32 v4, v2, 23, 1
; %bb.283:                              ;   in Loop: Header=BB6_136 Depth=3
	s_or_b32 exec_lo, exec_lo, s13
	s_delay_alu instid0(VALU_DEP_2) | instskip(NEXT) | instid1(VALU_DEP_2)
	v_lshrrev_b64 v[2:3], 21, v[2:3]
	v_cmp_gt_i32_e32 vcc_lo, 32, v4
	v_min_i32_e32 v5, 31, v4
	v_cmp_eq_u32_e64 s13, 0, v4
	s_delay_alu instid0(VALU_DEP_2) | instskip(SKIP_1) | instid1(VALU_DEP_2)
	v_dual_cndmask_b32 v3, 0, v3, vcc_lo :: v_dual_lshlrev_b32 v5, 2, v5
	v_cndmask_b32_e32 v2, 3, v2, vcc_lo
	v_and_b32_e32 v5, 0xfc, v5
	s_delay_alu instid0(VALU_DEP_2) | instskip(NEXT) | instid1(VALU_DEP_2)
	v_cmp_eq_u64_e32 vcc_lo, 0, v[2:3]
	v_and_or_b32 v2, v2, 3, v5
	s_and_b32 s13, s13, vcc_lo
	s_delay_alu instid0(VALU_DEP_1) | instid1(SALU_CYCLE_1)
	v_cndmask_b32_e64 v2, v2, 0, s13
	s_delay_alu instid0(VALU_DEP_1)
	v_or_b32_e32 v1, v2, v1
	scratch_store_b32 off, v1, s33 offset:248 ; 4-byte Folded Spill
.LBB6_284:                              ;   in Loop: Header=BB6_136 Depth=3
	s_wait_xcnt 0x0
	s_or_b32 exec_lo, exec_lo, s76
                                        ; implicit-def: $vgpr1
.LBB6_285:                              ;   in Loop: Header=BB6_136 Depth=3
	s_and_not1_saveexec_b32 s13, s75
	s_cbranch_execz .LBB6_287
; %bb.286:                              ;   in Loop: Header=BB6_136 Depth=3
	v_or_b32_e32 v1, 0x7b, v1
	scratch_store_b32 off, v1, s33 offset:248 ; 4-byte Folded Spill
.LBB6_287:                              ;   in Loop: Header=BB6_136 Depth=3
	s_wait_xcnt 0x0
	s_or_b32 exec_lo, exec_lo, s13
                                        ; implicit-def: $vgpr4
                                        ; implicit-def: $vgpr2_vgpr3
                                        ; implicit-def: $vgpr1
.LBB6_288:                              ;   in Loop: Header=BB6_136 Depth=3
	s_and_not1_saveexec_b32 s13, s74
	s_cbranch_execz .LBB6_294
; %bb.289:                              ;   in Loop: Header=BB6_136 Depth=3
	v_cmp_ne_u64_e32 vcc_lo, 0, v[2:3]
                                        ; implicit-def: $vgpr2
                                        ; kill: killed $vgpr2
	s_and_saveexec_b32 s74, vcc_lo
	s_delay_alu instid0(SALU_CYCLE_1)
	s_xor_b32 s74, exec_lo, s74
	s_cbranch_execz .LBB6_291
; %bb.290:                              ;   in Loop: Header=BB6_136 Depth=3
	v_or_b32_e32 v1, 0x7f, v1
                                        ; implicit-def: $vgpr4
	scratch_store_b32 off, v1, s33 offset:248 ; 4-byte Folded Spill
.LBB6_291:                              ;   in Loop: Header=BB6_136 Depth=3
	s_wait_xcnt 0x0
	s_and_not1_saveexec_b32 s74, s74
	s_cbranch_execz .LBB6_293
; %bb.292:                              ;   in Loop: Header=BB6_136 Depth=3
	v_cmp_lt_i32_e32 vcc_lo, -1, v4
	v_mov_b32_e32 v1, 0x7c
	s_delay_alu instid0(VALU_DEP_1)
	v_cndmask_b32_e32 v1, 0xfc, v1, vcc_lo
	scratch_store_b32 off, v1, s33 offset:248 ; 4-byte Folded Spill
.LBB6_293:                              ;   in Loop: Header=BB6_136 Depth=3
	s_wait_xcnt 0x0
	s_or_b32 exec_lo, exec_lo, s74
.LBB6_294:                              ;   in Loop: Header=BB6_136 Depth=3
	s_delay_alu instid0(SALU_CYCLE_1) | instskip(SKIP_3) | instid1(VALU_DEP_2)
	s_or_b32 exec_lo, exec_lo, s13
	v_lshrrev_b16 v2, 8, v0
	v_mov_b32_e32 v4, 0
	s_mov_b32 s13, exec_lo
	v_cmpx_ne_u16_e32 0, v2
	s_cbranch_execz .LBB6_304
; %bb.295:                              ;   in Loop: Header=BB6_136 Depth=3
	v_bfrev_b32_e32 v4, 1
	s_mov_b32 s74, exec_lo
	v_cmpx_ne_u16_e32 0x80, v2
	s_cbranch_execz .LBB6_303
; %bb.296:                              ;   in Loop: Header=BB6_136 Depth=3
	v_and_b32_e32 v1, 0xffff, v2
	s_delay_alu instid0(VALU_DEP_1) | instskip(SKIP_1) | instid1(VALU_DEP_2)
	v_and_b32_e32 v4, 0x7c, v1
	v_and_b32_e32 v3, 3, v1
	v_cmp_ne_u32_e32 vcc_lo, 0x7c, v4
                                        ; implicit-def: $vgpr4
	s_and_saveexec_b32 s75, vcc_lo
	s_delay_alu instid0(SALU_CYCLE_1)
	s_xor_b32 s75, exec_lo, s75
	s_cbranch_execz .LBB6_300
; %bb.297:                              ;   in Loop: Header=BB6_136 Depth=3
	v_bfe_u32 v1, v1, 2, 5
	s_mov_b32 s76, exec_lo
	s_delay_alu instid0(VALU_DEP_1)
	v_cmpx_eq_u32_e32 0, v1
	s_cbranch_execz .LBB6_299
; %bb.298:                              ;   in Loop: Header=BB6_136 Depth=3
	v_clz_i32_u32_e32 v1, v3
	s_delay_alu instid0(VALU_DEP_1) | instskip(SKIP_1) | instid1(VALU_DEP_2)
	v_min_u32_e32 v1, 32, v1
	v_mov_b32_e32 v3, v113
	v_subrev_nc_u32_e32 v4, 29, v1
	v_sub_nc_u32_e32 v1, 30, v1
	s_delay_alu instid0(VALU_DEP_2) | instskip(NEXT) | instid1(VALU_DEP_1)
	v_lshlrev_b64_e32 v[2:3], v4, v[2:3]
	v_and_b32_e32 v3, 3, v2
.LBB6_299:                              ;   in Loop: Header=BB6_136 Depth=3
	s_or_b32 exec_lo, exec_lo, s76
	v_lshlrev_b32_e32 v0, 16, v0
	s_delay_alu instid0(VALU_DEP_1) | instskip(NEXT) | instid1(VALU_DEP_1)
	v_and_b32_e32 v0, 0x80000000, v0
	v_lshl_add_u32 v0, v1, 23, v0
	s_delay_alu instid0(VALU_DEP_1) | instskip(NEXT) | instid1(VALU_DEP_1)
	v_lshl_or_b32 v0, v3, 21, v0
                                        ; implicit-def: $vgpr3
	v_add_nc_u32_e32 v4, 0x38000000, v0
                                        ; implicit-def: $vgpr0_vgpr1
.LBB6_300:                              ;   in Loop: Header=BB6_136 Depth=3
	s_and_not1_saveexec_b32 s75, s75
; %bb.301:                              ;   in Loop: Header=BB6_136 Depth=3
	v_cmp_lt_i16_e32 vcc_lo, -1, v0
	v_mov_b32_e32 v0, 0x7f800000
	s_delay_alu instid0(VALU_DEP_1) | instskip(SKIP_1) | instid1(VALU_DEP_2)
	v_cndmask_b32_e32 v0, 0xff800000, v0, vcc_lo
	v_cmp_eq_u32_e32 vcc_lo, 0, v3
	v_cndmask_b32_e32 v4, 0x7f800001, v0, vcc_lo
; %bb.302:                              ;   in Loop: Header=BB6_136 Depth=3
	s_or_b32 exec_lo, exec_lo, s75
.LBB6_303:                              ;   in Loop: Header=BB6_136 Depth=3
	s_delay_alu instid0(SALU_CYCLE_1)
	s_or_b32 exec_lo, exec_lo, s74
.LBB6_304:                              ;   in Loop: Header=BB6_136 Depth=3
	s_delay_alu instid0(SALU_CYCLE_1) | instskip(NEXT) | instid1(VALU_DEP_1)
	s_or_b32 exec_lo, exec_lo, s13
	v_dual_mul_f32 v2, s73, v4 :: v_dual_mov_b32 v5, v113
	s_delay_alu instid0(VALU_DEP_1) | instskip(SKIP_2) | instid1(VALU_DEP_2)
	v_dual_mov_b32 v1, v113 :: v_dual_lshrrev_b32 v3, 24, v2
	v_and_b32_e32 v4, 0x7f800000, v2
	v_and_b32_e32 v0, 0x7fffff, v2
	v_cmp_ne_u64_e32 vcc_lo, 0x7f800000, v[4:5]
                                        ; implicit-def: $vgpr4
                                        ; kill: killed $vgpr4
	s_and_saveexec_b32 s13, vcc_lo
	s_delay_alu instid0(SALU_CYCLE_1)
	s_xor_b32 s74, exec_lo, s13
	s_cbranch_execz .LBB6_318
; %bb.305:                              ;   in Loop: Header=BB6_136 Depth=3
	v_and_b32_e32 v4, 0x7fffffff, v2
	v_mov_b32_e32 v5, v113
	s_delay_alu instid0(VALU_DEP_1) | instskip(SKIP_2) | instid1(SALU_CYCLE_1)
	v_cmp_gt_u64_e32 vcc_lo, 0x47600001, v[4:5]
	v_and_b32_e32 v4, 0x80, v3
                                        ; implicit-def: $vgpr3
                                        ; kill: killed $vgpr3
	s_and_saveexec_b32 s13, vcc_lo
	s_xor_b32 s75, exec_lo, s13
	s_cbranch_execz .LBB6_315
; %bb.306:                              ;   in Loop: Header=BB6_136 Depth=3
	v_mov_b32_e32 v3, 0
	s_mov_b32 s76, exec_lo
	scratch_store_b32 off, v3, s33 offset:256 ; 4-byte Folded Spill
	s_wait_xcnt 0x0
	v_cmpx_ne_u32_e32 0, v2
	s_cbranch_execz .LBB6_314
; %bb.307:                              ;   in Loop: Header=BB6_136 Depth=3
	v_bfe_u32 v5, v2, 23, 8
	v_or_b32_e32 v14, 0x800000, v0
	s_delay_alu instid0(VALU_DEP_2) | instskip(SKIP_1) | instid1(VALU_DEP_2)
	v_sub_nc_u32_e32 v2, 0x71, v5
	v_cmp_gt_u32_e32 vcc_lo, 0x72, v5
	v_cndmask_b32_e32 v2, 0, v2, vcc_lo
	v_cmp_eq_u32_e32 vcc_lo, 0, v5
	s_delay_alu instid0(VALU_DEP_2) | instskip(NEXT) | instid1(VALU_DEP_1)
	v_cndmask_b32_e64 v7, v2, 0x70, vcc_lo
	v_dual_cndmask_b32 v0, v14, v0, vcc_lo :: v_dual_add_nc_u32 v2, 21, v7
	v_add_nc_u32_e32 v15, 20, v7
	s_delay_alu instid0(VALU_DEP_2) | instskip(NEXT) | instid1(VALU_DEP_2)
	v_lshlrev_b64_e64 v[2:3], v2, -1
	v_lshlrev_b64_e64 v[14:15], v15, 1
	s_delay_alu instid0(VALU_DEP_2) | instskip(SKIP_1) | instid1(VALU_DEP_4)
	v_bfi_b32 v2, v2, 0, v0
	v_lshrrev_b64 v[0:1], v7, v[0:1]
	v_bfi_b32 v3, v3, 0, 0
	s_delay_alu instid0(VALU_DEP_1) | instskip(NEXT) | instid1(VALU_DEP_3)
	v_cmp_eq_u64_e64 s13, v[2:3], v[14:15]
	v_mov_b64_e32 v[2:3], v[0:1]
	s_and_saveexec_b32 s77, s13
; %bb.308:                              ;   in Loop: Header=BB6_136 Depth=3
	v_bfe_u32 v2, v0, 21, 1
	v_mov_b32_e32 v3, v113
	s_delay_alu instid0(VALU_DEP_1) | instskip(NEXT) | instid1(VALU_DEP_1)
	v_add_nc_u64_e32 v[2:3], v[0:1], v[2:3]
	v_add_nc_u64_e32 v[2:3], -1, v[2:3]
; %bb.309:                              ;   in Loop: Header=BB6_136 Depth=3
	s_or_b32 exec_lo, exec_lo, s77
	v_add_nc_u32_e32 v1, 0xffffff81, v5
	v_lshrrev_b32_e32 v3, 23, v0
	s_mov_b32 s13, exec_lo
	s_delay_alu instid0(VALU_DEP_2) | instskip(NEXT) | instid1(VALU_DEP_1)
	v_cndmask_b32_e64 v1, v1, 0xffffff82, vcc_lo
	v_add3_u32 v3, v7, v1, v3
	v_and_b32_e32 v1, 0x1fffff, v2
                                        ; implicit-def: $vgpr2
	s_delay_alu instid0(VALU_DEP_1) | instskip(SKIP_1) | instid1(VALU_DEP_2)
	v_dual_add_nc_u32 v5, 14, v3 :: v_dual_add_nc_u32 v0, v1, v0
	v_mov_b32_e32 v1, v113
	v_cmpx_ne_u32_e32 0, v5
	s_xor_b32 s13, exec_lo, s13
; %bb.310:                              ;   in Loop: Header=BB6_136 Depth=3
	s_delay_alu instid0(VALU_DEP_2) | instskip(SKIP_2) | instid1(VALU_DEP_2)
	v_cmp_lt_u64_e32 vcc_lo, 0xffffff, v[0:1]
	v_add_nc_u32_e32 v2, 15, v3
	v_cndmask_b32_e64 v3, 0, 1, vcc_lo
	v_cndmask_b32_e32 v2, v5, v2, vcc_lo
	s_delay_alu instid0(VALU_DEP_2)
	v_lshrrev_b64 v[0:1], v3, v[0:1]
; %bb.311:                              ;   in Loop: Header=BB6_136 Depth=3
	s_and_not1_saveexec_b32 s13, s13
; %bb.312:                              ;   in Loop: Header=BB6_136 Depth=3
	s_delay_alu instid0(VALU_DEP_1)
	v_bfe_u32 v2, v0, 23, 1
; %bb.313:                              ;   in Loop: Header=BB6_136 Depth=3
	s_or_b32 exec_lo, exec_lo, s13
	s_delay_alu instid0(VALU_DEP_2) | instskip(NEXT) | instid1(VALU_DEP_2)
	v_lshrrev_b64 v[0:1], 21, v[0:1]
	v_cmp_gt_i32_e32 vcc_lo, 32, v2
	v_min_i32_e32 v3, 31, v2
	v_cmp_eq_u32_e64 s13, 0, v2
	s_delay_alu instid0(VALU_DEP_2) | instskip(SKIP_1) | instid1(VALU_DEP_2)
	v_dual_cndmask_b32 v1, 0, v1, vcc_lo :: v_dual_lshlrev_b32 v3, 2, v3
	v_cndmask_b32_e32 v0, 3, v0, vcc_lo
	v_and_b32_e32 v3, 0xfc, v3
	s_delay_alu instid0(VALU_DEP_2) | instskip(NEXT) | instid1(VALU_DEP_2)
	v_cmp_eq_u64_e32 vcc_lo, 0, v[0:1]
	v_and_or_b32 v0, v0, 3, v3
	s_and_b32 s13, s13, vcc_lo
	s_delay_alu instid0(VALU_DEP_1) | instid1(SALU_CYCLE_1)
	v_cndmask_b32_e64 v0, v0, 0, s13
	s_delay_alu instid0(VALU_DEP_1)
	v_or_b32_e32 v0, v0, v4
	scratch_store_b32 off, v0, s33 offset:256 ; 4-byte Folded Spill
.LBB6_314:                              ;   in Loop: Header=BB6_136 Depth=3
	s_wait_xcnt 0x0
	s_or_b32 exec_lo, exec_lo, s76
                                        ; implicit-def: $vgpr4
.LBB6_315:                              ;   in Loop: Header=BB6_136 Depth=3
	s_and_not1_saveexec_b32 s13, s75
	s_cbranch_execz .LBB6_317
; %bb.316:                              ;   in Loop: Header=BB6_136 Depth=3
	v_or_b32_e32 v0, 0x7b, v4
	scratch_store_b32 off, v0, s33 offset:256 ; 4-byte Folded Spill
.LBB6_317:                              ;   in Loop: Header=BB6_136 Depth=3
	s_wait_xcnt 0x0
	s_or_b32 exec_lo, exec_lo, s13
                                        ; implicit-def: $vgpr2
                                        ; implicit-def: $vgpr0_vgpr1
                                        ; implicit-def: $vgpr3
.LBB6_318:                              ;   in Loop: Header=BB6_136 Depth=3
	s_and_not1_saveexec_b32 s13, s74
	s_cbranch_execz .LBB6_324
; %bb.319:                              ;   in Loop: Header=BB6_136 Depth=3
	v_cmp_ne_u64_e32 vcc_lo, 0, v[0:1]
                                        ; implicit-def: $vgpr0
                                        ; kill: killed $vgpr0
	s_and_saveexec_b32 s74, vcc_lo
	s_delay_alu instid0(SALU_CYCLE_1)
	s_xor_b32 s74, exec_lo, s74
	s_cbranch_execz .LBB6_321
; %bb.320:                              ;   in Loop: Header=BB6_136 Depth=3
	v_or_b32_e32 v0, 0x7f, v3
                                        ; implicit-def: $vgpr2
	scratch_store_b32 off, v0, s33 offset:256 ; 4-byte Folded Spill
.LBB6_321:                              ;   in Loop: Header=BB6_136 Depth=3
	s_wait_xcnt 0x0
	s_and_not1_saveexec_b32 s74, s74
	s_cbranch_execz .LBB6_323
; %bb.322:                              ;   in Loop: Header=BB6_136 Depth=3
	v_cmp_lt_i32_e32 vcc_lo, -1, v2
	v_mov_b32_e32 v0, 0x7c
	s_delay_alu instid0(VALU_DEP_1)
	v_cndmask_b32_e32 v0, 0xfc, v0, vcc_lo
	scratch_store_b32 off, v0, s33 offset:256 ; 4-byte Folded Spill
.LBB6_323:                              ;   in Loop: Header=BB6_136 Depth=3
	s_wait_xcnt 0x0
	s_or_b32 exec_lo, exec_lo, s74
.LBB6_324:                              ;   in Loop: Header=BB6_136 Depth=3
	s_delay_alu instid0(SALU_CYCLE_1) | instskip(SKIP_2) | instid1(VALU_DEP_1)
	s_or_b32 exec_lo, exec_lo, s13
	v_dual_mov_b32 v1, 0 :: v_dual_lshrrev_b32 v0, 16, v9
	s_mov_b32 s13, exec_lo
	v_and_b32_e32 v2, 0xff, v0
	s_delay_alu instid0(VALU_DEP_1)
	v_cmpx_ne_u16_e32 0, v2
	s_cbranch_execz .LBB6_334
; %bb.325:                              ;   in Loop: Header=BB6_136 Depth=3
	v_bfrev_b32_e32 v1, 1
	s_mov_b32 s74, exec_lo
	v_cmpx_ne_u16_e32 0x80, v2
	s_cbranch_execz .LBB6_333
; %bb.326:                              ;   in Loop: Header=BB6_136 Depth=3
	v_and_b32_e32 v1, 0x7c0000, v9
	v_bfe_u32 v2, v9, 16, 2
	s_delay_alu instid0(VALU_DEP_2) | instskip(SKIP_1) | instid1(SALU_CYCLE_1)
	v_cmp_ne_u32_e32 vcc_lo, 0x7c0000, v1
                                        ; implicit-def: $vgpr1
	s_and_saveexec_b32 s75, vcc_lo
	s_xor_b32 s75, exec_lo, s75
	s_cbranch_execz .LBB6_330
; %bb.327:                              ;   in Loop: Header=BB6_136 Depth=3
	v_bfe_u32 v1, v9, 18, 5
	s_mov_b32 s76, exec_lo
	s_delay_alu instid0(VALU_DEP_1)
	v_cmpx_eq_u32_e32 0, v1
; %bb.328:                              ;   in Loop: Header=BB6_136 Depth=3
	v_clz_i32_u32_e32 v1, v2
	s_delay_alu instid0(VALU_DEP_1) | instskip(NEXT) | instid1(VALU_DEP_1)
	v_min_u32_e32 v1, 32, v1
	v_subrev_nc_u32_e32 v2, 29, v1
	s_delay_alu instid0(VALU_DEP_1) | instskip(NEXT) | instid1(VALU_DEP_1)
	v_lshlrev_b64_e32 v[2:3], v2, v[0:1]
	v_dual_sub_nc_u32 v1, 30, v1 :: v_dual_bitop2_b32 v2, 3, v2 bitop3:0x40
; %bb.329:                              ;   in Loop: Header=BB6_136 Depth=3
	s_or_b32 exec_lo, exec_lo, s76
	v_lshlrev_b32_e32 v0, 24, v0
	s_delay_alu instid0(VALU_DEP_1) | instskip(NEXT) | instid1(VALU_DEP_1)
	v_and_b32_e32 v0, 0x80000000, v0
	v_lshl_add_u32 v0, v1, 23, v0
	s_delay_alu instid0(VALU_DEP_1) | instskip(NEXT) | instid1(VALU_DEP_1)
	v_lshl_or_b32 v0, v2, 21, v0
                                        ; implicit-def: $vgpr2
	v_add_nc_u32_e32 v1, 0x38000000, v0
                                        ; implicit-def: $vgpr0
.LBB6_330:                              ;   in Loop: Header=BB6_136 Depth=3
	s_and_not1_saveexec_b32 s75, s75
; %bb.331:                              ;   in Loop: Header=BB6_136 Depth=3
	v_bfe_i32 v0, v0, 0, 8
	s_delay_alu instid0(VALU_DEP_1) | instskip(SKIP_1) | instid1(VALU_DEP_1)
	v_cmp_lt_i16_e32 vcc_lo, -1, v0
	v_mov_b32_e32 v0, 0x7f800000
	v_cndmask_b32_e32 v0, 0xff800000, v0, vcc_lo
	v_cmp_eq_u32_e32 vcc_lo, 0, v2
	s_delay_alu instid0(VALU_DEP_2)
	v_cndmask_b32_e32 v1, 0x7f800001, v0, vcc_lo
; %bb.332:                              ;   in Loop: Header=BB6_136 Depth=3
	s_or_b32 exec_lo, exec_lo, s75
.LBB6_333:                              ;   in Loop: Header=BB6_136 Depth=3
	s_delay_alu instid0(SALU_CYCLE_1)
	s_or_b32 exec_lo, exec_lo, s74
.LBB6_334:                              ;   in Loop: Header=BB6_136 Depth=3
	s_delay_alu instid0(SALU_CYCLE_1) | instskip(NEXT) | instid1(VALU_DEP_1)
	s_or_b32 exec_lo, exec_lo, s13
	v_dual_mul_f32 v2, s73, v1 :: v_dual_mov_b32 v5, v113
	s_delay_alu instid0(VALU_DEP_1) | instskip(SKIP_2) | instid1(VALU_DEP_2)
	v_dual_mov_b32 v1, v113 :: v_dual_lshrrev_b32 v3, 24, v2
	v_and_b32_e32 v4, 0x7f800000, v2
	v_and_b32_e32 v0, 0x7fffff, v2
	v_cmp_ne_u64_e32 vcc_lo, 0x7f800000, v[4:5]
                                        ; implicit-def: $vgpr4
                                        ; kill: killed $vgpr4
	s_and_saveexec_b32 s13, vcc_lo
	s_delay_alu instid0(SALU_CYCLE_1)
	s_xor_b32 s74, exec_lo, s13
	s_cbranch_execz .LBB6_348
; %bb.335:                              ;   in Loop: Header=BB6_136 Depth=3
	v_and_b32_e32 v4, 0x7fffffff, v2
	v_mov_b32_e32 v5, v113
	s_delay_alu instid0(VALU_DEP_1) | instskip(SKIP_2) | instid1(SALU_CYCLE_1)
	v_cmp_gt_u64_e32 vcc_lo, 0x47600001, v[4:5]
	v_and_b32_e32 v4, 0x80, v3
                                        ; implicit-def: $vgpr3
                                        ; kill: killed $vgpr3
	s_and_saveexec_b32 s13, vcc_lo
	s_xor_b32 s75, exec_lo, s13
	s_cbranch_execz .LBB6_345
; %bb.336:                              ;   in Loop: Header=BB6_136 Depth=3
	v_mov_b32_e32 v3, 0
	s_mov_b32 s76, exec_lo
	scratch_store_b32 off, v3, s33 offset:344 ; 4-byte Folded Spill
	s_wait_xcnt 0x0
	v_cmpx_ne_u32_e32 0, v2
	s_cbranch_execz .LBB6_344
; %bb.337:                              ;   in Loop: Header=BB6_136 Depth=3
	v_bfe_u32 v5, v2, 23, 8
	v_or_b32_e32 v14, 0x800000, v0
	s_delay_alu instid0(VALU_DEP_2) | instskip(SKIP_1) | instid1(VALU_DEP_2)
	v_sub_nc_u32_e32 v2, 0x71, v5
	v_cmp_gt_u32_e32 vcc_lo, 0x72, v5
	v_cndmask_b32_e32 v2, 0, v2, vcc_lo
	v_cmp_eq_u32_e32 vcc_lo, 0, v5
	s_delay_alu instid0(VALU_DEP_2) | instskip(NEXT) | instid1(VALU_DEP_1)
	v_cndmask_b32_e64 v7, v2, 0x70, vcc_lo
	v_dual_cndmask_b32 v0, v14, v0, vcc_lo :: v_dual_add_nc_u32 v2, 21, v7
	v_add_nc_u32_e32 v15, 20, v7
	s_delay_alu instid0(VALU_DEP_2) | instskip(NEXT) | instid1(VALU_DEP_2)
	v_lshlrev_b64_e64 v[2:3], v2, -1
	v_lshlrev_b64_e64 v[14:15], v15, 1
	s_delay_alu instid0(VALU_DEP_2) | instskip(SKIP_1) | instid1(VALU_DEP_4)
	v_bfi_b32 v2, v2, 0, v0
	v_lshrrev_b64 v[0:1], v7, v[0:1]
	v_bfi_b32 v3, v3, 0, 0
	s_delay_alu instid0(VALU_DEP_1) | instskip(NEXT) | instid1(VALU_DEP_3)
	v_cmp_eq_u64_e64 s13, v[2:3], v[14:15]
	v_mov_b64_e32 v[2:3], v[0:1]
	s_and_saveexec_b32 s77, s13
; %bb.338:                              ;   in Loop: Header=BB6_136 Depth=3
	v_bfe_u32 v2, v0, 21, 1
	v_mov_b32_e32 v3, v113
	s_delay_alu instid0(VALU_DEP_1) | instskip(NEXT) | instid1(VALU_DEP_1)
	v_add_nc_u64_e32 v[2:3], v[0:1], v[2:3]
	v_add_nc_u64_e32 v[2:3], -1, v[2:3]
; %bb.339:                              ;   in Loop: Header=BB6_136 Depth=3
	s_or_b32 exec_lo, exec_lo, s77
	v_add_nc_u32_e32 v1, 0xffffff81, v5
	v_lshrrev_b32_e32 v3, 23, v0
	s_mov_b32 s13, exec_lo
	s_delay_alu instid0(VALU_DEP_2) | instskip(NEXT) | instid1(VALU_DEP_1)
	v_cndmask_b32_e64 v1, v1, 0xffffff82, vcc_lo
	v_add3_u32 v3, v7, v1, v3
	v_and_b32_e32 v1, 0x1fffff, v2
                                        ; implicit-def: $vgpr2
	s_delay_alu instid0(VALU_DEP_1) | instskip(SKIP_1) | instid1(VALU_DEP_2)
	v_dual_add_nc_u32 v5, 14, v3 :: v_dual_add_nc_u32 v0, v1, v0
	v_mov_b32_e32 v1, v113
	v_cmpx_ne_u32_e32 0, v5
	s_xor_b32 s13, exec_lo, s13
; %bb.340:                              ;   in Loop: Header=BB6_136 Depth=3
	s_delay_alu instid0(VALU_DEP_2) | instskip(SKIP_2) | instid1(VALU_DEP_2)
	v_cmp_lt_u64_e32 vcc_lo, 0xffffff, v[0:1]
	v_add_nc_u32_e32 v2, 15, v3
	v_cndmask_b32_e64 v3, 0, 1, vcc_lo
	v_cndmask_b32_e32 v2, v5, v2, vcc_lo
	s_delay_alu instid0(VALU_DEP_2)
	v_lshrrev_b64 v[0:1], v3, v[0:1]
; %bb.341:                              ;   in Loop: Header=BB6_136 Depth=3
	s_and_not1_saveexec_b32 s13, s13
; %bb.342:                              ;   in Loop: Header=BB6_136 Depth=3
	s_delay_alu instid0(VALU_DEP_1)
	v_bfe_u32 v2, v0, 23, 1
; %bb.343:                              ;   in Loop: Header=BB6_136 Depth=3
	s_or_b32 exec_lo, exec_lo, s13
	s_delay_alu instid0(VALU_DEP_2) | instskip(NEXT) | instid1(VALU_DEP_2)
	v_lshrrev_b64 v[0:1], 21, v[0:1]
	v_cmp_gt_i32_e32 vcc_lo, 32, v2
	v_min_i32_e32 v3, 31, v2
	v_cmp_eq_u32_e64 s13, 0, v2
	s_delay_alu instid0(VALU_DEP_2) | instskip(SKIP_1) | instid1(VALU_DEP_2)
	v_dual_cndmask_b32 v1, 0, v1, vcc_lo :: v_dual_lshlrev_b32 v3, 2, v3
	v_cndmask_b32_e32 v0, 3, v0, vcc_lo
	v_and_b32_e32 v3, 0xfc, v3
	s_delay_alu instid0(VALU_DEP_2) | instskip(NEXT) | instid1(VALU_DEP_2)
	v_cmp_eq_u64_e32 vcc_lo, 0, v[0:1]
	v_and_or_b32 v0, v0, 3, v3
	s_and_b32 s13, s13, vcc_lo
	s_delay_alu instid0(VALU_DEP_1) | instid1(SALU_CYCLE_1)
	v_cndmask_b32_e64 v0, v0, 0, s13
	s_delay_alu instid0(VALU_DEP_1)
	v_or_b32_e32 v0, v0, v4
	scratch_store_b32 off, v0, s33 offset:344 ; 4-byte Folded Spill
.LBB6_344:                              ;   in Loop: Header=BB6_136 Depth=3
	s_wait_xcnt 0x0
	s_or_b32 exec_lo, exec_lo, s76
                                        ; implicit-def: $vgpr4
.LBB6_345:                              ;   in Loop: Header=BB6_136 Depth=3
	s_and_not1_saveexec_b32 s13, s75
	s_cbranch_execz .LBB6_347
; %bb.346:                              ;   in Loop: Header=BB6_136 Depth=3
	v_or_b32_e32 v0, 0x7b, v4
	scratch_store_b32 off, v0, s33 offset:344 ; 4-byte Folded Spill
.LBB6_347:                              ;   in Loop: Header=BB6_136 Depth=3
	s_wait_xcnt 0x0
	s_or_b32 exec_lo, exec_lo, s13
                                        ; implicit-def: $vgpr2
                                        ; implicit-def: $vgpr0_vgpr1
                                        ; implicit-def: $vgpr3
.LBB6_348:                              ;   in Loop: Header=BB6_136 Depth=3
	s_and_not1_saveexec_b32 s13, s74
	s_cbranch_execz .LBB6_354
; %bb.349:                              ;   in Loop: Header=BB6_136 Depth=3
	v_cmp_ne_u64_e32 vcc_lo, 0, v[0:1]
                                        ; implicit-def: $vgpr0
                                        ; kill: killed $vgpr0
	s_and_saveexec_b32 s74, vcc_lo
	s_delay_alu instid0(SALU_CYCLE_1)
	s_xor_b32 s74, exec_lo, s74
	s_cbranch_execz .LBB6_351
; %bb.350:                              ;   in Loop: Header=BB6_136 Depth=3
	v_or_b32_e32 v0, 0x7f, v3
                                        ; implicit-def: $vgpr2
	scratch_store_b32 off, v0, s33 offset:344 ; 4-byte Folded Spill
.LBB6_351:                              ;   in Loop: Header=BB6_136 Depth=3
	s_wait_xcnt 0x0
	s_and_not1_saveexec_b32 s74, s74
	s_cbranch_execz .LBB6_353
; %bb.352:                              ;   in Loop: Header=BB6_136 Depth=3
	v_cmp_lt_i32_e32 vcc_lo, -1, v2
	v_mov_b32_e32 v0, 0x7c
	s_delay_alu instid0(VALU_DEP_1)
	v_cndmask_b32_e32 v0, 0xfc, v0, vcc_lo
	scratch_store_b32 off, v0, s33 offset:344 ; 4-byte Folded Spill
.LBB6_353:                              ;   in Loop: Header=BB6_136 Depth=3
	s_wait_xcnt 0x0
	s_or_b32 exec_lo, exec_lo, s74
.LBB6_354:                              ;   in Loop: Header=BB6_136 Depth=3
	s_delay_alu instid0(SALU_CYCLE_1)
	s_or_b32 exec_lo, exec_lo, s13
	v_mov_b32_e32 v1, 0
	s_mov_b32 s13, exec_lo
	v_cmpx_lt_u64_e64 s[22:23], v[8:9]
	s_cbranch_execz .LBB6_364
; %bb.355:                              ;   in Loop: Header=BB6_136 Depth=3
	v_lshrrev_b32_e32 v0, 24, v9
	v_bfrev_b32_e32 v1, 1
	s_mov_b32 s74, exec_lo
	s_delay_alu instid0(VALU_DEP_2)
	v_cmpx_ne_u32_e32 0x80, v0
	s_cbranch_execz .LBB6_363
; %bb.356:                              ;   in Loop: Header=BB6_136 Depth=3
	v_and_b32_e32 v1, 0x7c000000, v9
	v_bfe_u32 v2, v9, 24, 2
	s_delay_alu instid0(VALU_DEP_2) | instskip(SKIP_1) | instid1(SALU_CYCLE_1)
	v_cmp_ne_u32_e32 vcc_lo, 0x7c000000, v1
                                        ; implicit-def: $vgpr1
	s_and_saveexec_b32 s75, vcc_lo
	s_xor_b32 s75, exec_lo, s75
	s_cbranch_execz .LBB6_360
; %bb.357:                              ;   in Loop: Header=BB6_136 Depth=3
	v_bfe_u32 v1, v9, 26, 5
	s_mov_b32 s76, exec_lo
	s_delay_alu instid0(VALU_DEP_1)
	v_cmpx_eq_u32_e32 0, v1
; %bb.358:                              ;   in Loop: Header=BB6_136 Depth=3
	v_clz_i32_u32_e32 v1, v2
	s_delay_alu instid0(VALU_DEP_1) | instskip(NEXT) | instid1(VALU_DEP_1)
	v_min_u32_e32 v2, 32, v1
	v_subrev_nc_u32_e32 v1, 29, v2
	s_delay_alu instid0(VALU_DEP_1) | instskip(NEXT) | instid1(VALU_DEP_1)
	v_lshlrev_b64_e32 v[0:1], v1, v[0:1]
	v_dual_sub_nc_u32 v1, 30, v2 :: v_dual_bitop2_b32 v2, 3, v0 bitop3:0x40
; %bb.359:                              ;   in Loop: Header=BB6_136 Depth=3
	s_or_b32 exec_lo, exec_lo, s76
	v_and_b32_e32 v0, 0x80000000, v9
	s_delay_alu instid0(VALU_DEP_1) | instskip(NEXT) | instid1(VALU_DEP_1)
	v_lshl_add_u32 v0, v1, 23, v0
	v_lshl_or_b32 v0, v2, 21, v0
                                        ; implicit-def: $vgpr2
	s_delay_alu instid0(VALU_DEP_1)
	v_add_nc_u32_e32 v1, 0x38000000, v0
.LBB6_360:                              ;   in Loop: Header=BB6_136 Depth=3
	s_and_not1_saveexec_b32 s75, s75
; %bb.361:                              ;   in Loop: Header=BB6_136 Depth=3
	v_cmp_lt_i64_e32 vcc_lo, -1, v[8:9]
	v_mov_b32_e32 v0, 0x7f800000
	s_delay_alu instid0(VALU_DEP_1) | instskip(SKIP_1) | instid1(VALU_DEP_2)
	v_cndmask_b32_e32 v0, 0xff800000, v0, vcc_lo
	v_cmp_eq_u32_e32 vcc_lo, 0, v2
	v_cndmask_b32_e32 v1, 0x7f800001, v0, vcc_lo
; %bb.362:                              ;   in Loop: Header=BB6_136 Depth=3
	s_or_b32 exec_lo, exec_lo, s75
.LBB6_363:                              ;   in Loop: Header=BB6_136 Depth=3
	s_delay_alu instid0(SALU_CYCLE_1)
	s_or_b32 exec_lo, exec_lo, s74
.LBB6_364:                              ;   in Loop: Header=BB6_136 Depth=3
	s_delay_alu instid0(SALU_CYCLE_1) | instskip(NEXT) | instid1(VALU_DEP_1)
	s_or_b32 exec_lo, exec_lo, s13
	v_dual_mul_f32 v2, s73, v1 :: v_dual_mov_b32 v5, v113
	s_delay_alu instid0(VALU_DEP_1) | instskip(SKIP_2) | instid1(VALU_DEP_2)
	v_dual_mov_b32 v1, v113 :: v_dual_lshrrev_b32 v3, 24, v2
	v_and_b32_e32 v4, 0x7f800000, v2
	v_and_b32_e32 v0, 0x7fffff, v2
	v_cmp_ne_u64_e32 vcc_lo, 0x7f800000, v[4:5]
                                        ; implicit-def: $vgpr4
                                        ; kill: killed $vgpr4
	s_and_saveexec_b32 s13, vcc_lo
	s_delay_alu instid0(SALU_CYCLE_1)
	s_xor_b32 s74, exec_lo, s13
	s_cbranch_execz .LBB6_378
; %bb.365:                              ;   in Loop: Header=BB6_136 Depth=3
	v_and_b32_e32 v4, 0x7fffffff, v2
	v_mov_b32_e32 v5, v113
	s_delay_alu instid0(VALU_DEP_1) | instskip(SKIP_2) | instid1(SALU_CYCLE_1)
	v_cmp_gt_u64_e32 vcc_lo, 0x47600001, v[4:5]
	v_and_b32_e32 v4, 0x80, v3
                                        ; implicit-def: $vgpr3
                                        ; kill: killed $vgpr3
	s_and_saveexec_b32 s13, vcc_lo
	s_xor_b32 s75, exec_lo, s13
	s_cbranch_execz .LBB6_375
; %bb.366:                              ;   in Loop: Header=BB6_136 Depth=3
	v_mov_b32_e32 v3, 0
	s_mov_b32 s76, exec_lo
	scratch_store_b32 off, v3, s33 offset:352 ; 4-byte Folded Spill
	s_wait_xcnt 0x0
	v_cmpx_ne_u32_e32 0, v2
	s_cbranch_execz .LBB6_374
; %bb.367:                              ;   in Loop: Header=BB6_136 Depth=3
	v_bfe_u32 v5, v2, 23, 8
	v_or_b32_e32 v8, 0x800000, v0
	s_delay_alu instid0(VALU_DEP_2) | instskip(SKIP_1) | instid1(VALU_DEP_2)
	v_sub_nc_u32_e32 v2, 0x71, v5
	v_cmp_gt_u32_e32 vcc_lo, 0x72, v5
	v_cndmask_b32_e32 v2, 0, v2, vcc_lo
	v_cmp_eq_u32_e32 vcc_lo, 0, v5
	s_delay_alu instid0(VALU_DEP_2) | instskip(NEXT) | instid1(VALU_DEP_1)
	v_cndmask_b32_e64 v7, v2, 0x70, vcc_lo
	v_dual_cndmask_b32 v0, v8, v0, vcc_lo :: v_dual_add_nc_u32 v2, 21, v7
	v_add_nc_u32_e32 v9, 20, v7
	s_delay_alu instid0(VALU_DEP_2) | instskip(NEXT) | instid1(VALU_DEP_2)
	v_lshlrev_b64_e64 v[2:3], v2, -1
	v_lshlrev_b64_e64 v[8:9], v9, 1
	s_delay_alu instid0(VALU_DEP_2) | instskip(SKIP_1) | instid1(VALU_DEP_4)
	v_bfi_b32 v2, v2, 0, v0
	v_lshrrev_b64 v[0:1], v7, v[0:1]
	v_bfi_b32 v3, v3, 0, 0
	s_delay_alu instid0(VALU_DEP_1) | instskip(NEXT) | instid1(VALU_DEP_3)
	v_cmp_eq_u64_e64 s13, v[2:3], v[8:9]
	v_mov_b64_e32 v[2:3], v[0:1]
	s_and_saveexec_b32 s77, s13
; %bb.368:                              ;   in Loop: Header=BB6_136 Depth=3
	v_bfe_u32 v2, v0, 21, 1
	v_mov_b32_e32 v3, v113
	s_delay_alu instid0(VALU_DEP_1) | instskip(NEXT) | instid1(VALU_DEP_1)
	v_add_nc_u64_e32 v[2:3], v[0:1], v[2:3]
	v_add_nc_u64_e32 v[2:3], -1, v[2:3]
; %bb.369:                              ;   in Loop: Header=BB6_136 Depth=3
	s_or_b32 exec_lo, exec_lo, s77
	v_add_nc_u32_e32 v1, 0xffffff81, v5
	v_lshrrev_b32_e32 v3, 23, v0
	s_mov_b32 s13, exec_lo
	s_delay_alu instid0(VALU_DEP_2) | instskip(NEXT) | instid1(VALU_DEP_1)
	v_cndmask_b32_e64 v1, v1, 0xffffff82, vcc_lo
	v_add3_u32 v3, v7, v1, v3
	v_and_b32_e32 v1, 0x1fffff, v2
                                        ; implicit-def: $vgpr2
	s_delay_alu instid0(VALU_DEP_1) | instskip(SKIP_1) | instid1(VALU_DEP_2)
	v_dual_add_nc_u32 v5, 14, v3 :: v_dual_add_nc_u32 v0, v1, v0
	v_mov_b32_e32 v1, v113
	v_cmpx_ne_u32_e32 0, v5
	s_xor_b32 s13, exec_lo, s13
; %bb.370:                              ;   in Loop: Header=BB6_136 Depth=3
	s_delay_alu instid0(VALU_DEP_2) | instskip(SKIP_2) | instid1(VALU_DEP_2)
	v_cmp_lt_u64_e32 vcc_lo, 0xffffff, v[0:1]
	v_add_nc_u32_e32 v2, 15, v3
	v_cndmask_b32_e64 v3, 0, 1, vcc_lo
	v_cndmask_b32_e32 v2, v5, v2, vcc_lo
	s_delay_alu instid0(VALU_DEP_2)
	v_lshrrev_b64 v[0:1], v3, v[0:1]
; %bb.371:                              ;   in Loop: Header=BB6_136 Depth=3
	s_and_not1_saveexec_b32 s13, s13
; %bb.372:                              ;   in Loop: Header=BB6_136 Depth=3
	s_delay_alu instid0(VALU_DEP_1)
	v_bfe_u32 v2, v0, 23, 1
; %bb.373:                              ;   in Loop: Header=BB6_136 Depth=3
	s_or_b32 exec_lo, exec_lo, s13
	s_delay_alu instid0(VALU_DEP_2) | instskip(NEXT) | instid1(VALU_DEP_2)
	v_lshrrev_b64 v[0:1], 21, v[0:1]
	v_cmp_gt_i32_e32 vcc_lo, 32, v2
	v_min_i32_e32 v3, 31, v2
	v_cmp_eq_u32_e64 s13, 0, v2
	s_delay_alu instid0(VALU_DEP_2) | instskip(SKIP_1) | instid1(VALU_DEP_2)
	v_dual_cndmask_b32 v1, 0, v1, vcc_lo :: v_dual_lshlrev_b32 v3, 2, v3
	v_cndmask_b32_e32 v0, 3, v0, vcc_lo
	v_and_b32_e32 v3, 0xfc, v3
	s_delay_alu instid0(VALU_DEP_2) | instskip(NEXT) | instid1(VALU_DEP_2)
	v_cmp_eq_u64_e32 vcc_lo, 0, v[0:1]
	v_and_or_b32 v0, v0, 3, v3
	s_and_b32 s13, s13, vcc_lo
	s_delay_alu instid0(VALU_DEP_1) | instid1(SALU_CYCLE_1)
	v_cndmask_b32_e64 v0, v0, 0, s13
	s_delay_alu instid0(VALU_DEP_1)
	v_or_b32_e32 v0, v0, v4
	scratch_store_b32 off, v0, s33 offset:352 ; 4-byte Folded Spill
.LBB6_374:                              ;   in Loop: Header=BB6_136 Depth=3
	s_wait_xcnt 0x0
	s_or_b32 exec_lo, exec_lo, s76
                                        ; implicit-def: $vgpr4
.LBB6_375:                              ;   in Loop: Header=BB6_136 Depth=3
	s_and_not1_saveexec_b32 s13, s75
	s_cbranch_execz .LBB6_377
; %bb.376:                              ;   in Loop: Header=BB6_136 Depth=3
	v_or_b32_e32 v0, 0x7b, v4
	scratch_store_b32 off, v0, s33 offset:352 ; 4-byte Folded Spill
.LBB6_377:                              ;   in Loop: Header=BB6_136 Depth=3
	s_wait_xcnt 0x0
	s_or_b32 exec_lo, exec_lo, s13
                                        ; implicit-def: $vgpr2
                                        ; implicit-def: $vgpr0_vgpr1
                                        ; implicit-def: $vgpr3
.LBB6_378:                              ;   in Loop: Header=BB6_136 Depth=3
	s_and_not1_saveexec_b32 s13, s74
	s_cbranch_execz .LBB6_384
; %bb.379:                              ;   in Loop: Header=BB6_136 Depth=3
	v_cmp_ne_u64_e32 vcc_lo, 0, v[0:1]
                                        ; implicit-def: $vgpr0
                                        ; kill: killed $vgpr0
	s_and_saveexec_b32 s74, vcc_lo
	s_delay_alu instid0(SALU_CYCLE_1)
	s_xor_b32 s74, exec_lo, s74
	s_cbranch_execz .LBB6_381
; %bb.380:                              ;   in Loop: Header=BB6_136 Depth=3
	v_or_b32_e32 v0, 0x7f, v3
                                        ; implicit-def: $vgpr2
	scratch_store_b32 off, v0, s33 offset:352 ; 4-byte Folded Spill
.LBB6_381:                              ;   in Loop: Header=BB6_136 Depth=3
	s_wait_xcnt 0x0
	s_and_not1_saveexec_b32 s74, s74
	s_cbranch_execz .LBB6_383
; %bb.382:                              ;   in Loop: Header=BB6_136 Depth=3
	v_cmp_lt_i32_e32 vcc_lo, -1, v2
	v_mov_b32_e32 v0, 0x7c
	s_delay_alu instid0(VALU_DEP_1)
	v_cndmask_b32_e32 v0, 0xfc, v0, vcc_lo
	scratch_store_b32 off, v0, s33 offset:352 ; 4-byte Folded Spill
.LBB6_383:                              ;   in Loop: Header=BB6_136 Depth=3
	s_wait_xcnt 0x0
	s_or_b32 exec_lo, exec_lo, s74
.LBB6_384:                              ;   in Loop: Header=BB6_136 Depth=3
	s_delay_alu instid0(SALU_CYCLE_1) | instskip(SKIP_1) | instid1(VALU_DEP_1)
	s_or_b32 exec_lo, exec_lo, s13
	v_and_b32_e32 v0, 0xff, v10
	v_cmp_ne_u16_e32 vcc_lo, 0, v0
	v_mov_b32_e32 v0, 0
	s_and_saveexec_b32 s13, vcc_lo
	s_cbranch_execz .LBB6_394
; %bb.385:                              ;   in Loop: Header=BB6_136 Depth=3
	v_bfe_i32 v2, v10, 0, 8
	v_bfrev_b32_e32 v0, 1
	s_mov_b32 s74, exec_lo
	s_delay_alu instid0(VALU_DEP_2)
	v_cmpx_ne_u16_e32 0xff80, v2
	s_cbranch_execz .LBB6_393
; %bb.386:                              ;   in Loop: Header=BB6_136 Depth=3
	v_and_b32_e32 v0, 0x7c, v10
	v_and_b32_e32 v1, 3, v10
	s_delay_alu instid0(VALU_DEP_2) | instskip(SKIP_1) | instid1(SALU_CYCLE_1)
	v_cmp_ne_u32_e32 vcc_lo, 0x7c, v0
                                        ; implicit-def: $vgpr0
	s_and_saveexec_b32 s75, vcc_lo
	s_xor_b32 s75, exec_lo, s75
	s_cbranch_execz .LBB6_390
; %bb.387:                              ;   in Loop: Header=BB6_136 Depth=3
	v_bfe_u32 v0, v10, 2, 5
	s_mov_b32 s76, exec_lo
	s_delay_alu instid0(VALU_DEP_1)
	v_cmpx_eq_u32_e32 0, v0
; %bb.388:                              ;   in Loop: Header=BB6_136 Depth=3
	v_clz_i32_u32_e32 v0, v1
	s_delay_alu instid0(VALU_DEP_1) | instskip(NEXT) | instid1(VALU_DEP_1)
	v_min_u32_e32 v0, 32, v0
	v_subrev_nc_u32_e32 v1, 29, v0
	s_delay_alu instid0(VALU_DEP_1) | instskip(NEXT) | instid1(VALU_DEP_1)
	v_lshlrev_b64_e32 v[2:3], v1, v[10:11]
	v_dual_sub_nc_u32 v0, 30, v0 :: v_dual_bitop2_b32 v1, 3, v2 bitop3:0x40
; %bb.389:                              ;   in Loop: Header=BB6_136 Depth=3
	s_or_b32 exec_lo, exec_lo, s76
	v_lshlrev_b32_e32 v2, 24, v10
	s_delay_alu instid0(VALU_DEP_1) | instskip(NEXT) | instid1(VALU_DEP_1)
	v_and_b32_e32 v2, 0x80000000, v2
	v_lshl_add_u32 v0, v0, 23, v2
                                        ; implicit-def: $vgpr2
	s_delay_alu instid0(VALU_DEP_1) | instskip(NEXT) | instid1(VALU_DEP_1)
	v_lshl_or_b32 v0, v1, 21, v0
                                        ; implicit-def: $vgpr1
	v_add_nc_u32_e32 v0, 0x38000000, v0
.LBB6_390:                              ;   in Loop: Header=BB6_136 Depth=3
	s_and_not1_saveexec_b32 s75, s75
; %bb.391:                              ;   in Loop: Header=BB6_136 Depth=3
	v_cmp_lt_i16_e32 vcc_lo, -1, v2
	v_mov_b32_e32 v0, 0x7f800000
	s_delay_alu instid0(VALU_DEP_1) | instskip(SKIP_1) | instid1(VALU_DEP_2)
	v_cndmask_b32_e32 v0, 0xff800000, v0, vcc_lo
	v_cmp_eq_u32_e32 vcc_lo, 0, v1
	v_cndmask_b32_e32 v0, 0x7f800001, v0, vcc_lo
; %bb.392:                              ;   in Loop: Header=BB6_136 Depth=3
	s_or_b32 exec_lo, exec_lo, s75
.LBB6_393:                              ;   in Loop: Header=BB6_136 Depth=3
	s_delay_alu instid0(SALU_CYCLE_1)
	s_or_b32 exec_lo, exec_lo, s74
.LBB6_394:                              ;   in Loop: Header=BB6_136 Depth=3
	s_delay_alu instid0(SALU_CYCLE_1) | instskip(NEXT) | instid1(VALU_DEP_1)
	s_or_b32 exec_lo, exec_lo, s13
	v_dual_mul_f32 v2, s73, v0 :: v_dual_mov_b32 v5, v113
	s_delay_alu instid0(VALU_DEP_1) | instskip(SKIP_2) | instid1(VALU_DEP_2)
	v_dual_mov_b32 v1, v113 :: v_dual_lshrrev_b32 v3, 24, v2
	v_and_b32_e32 v4, 0x7f800000, v2
	v_and_b32_e32 v0, 0x7fffff, v2
	v_cmp_ne_u64_e32 vcc_lo, 0x7f800000, v[4:5]
                                        ; implicit-def: $vgpr4
                                        ; kill: killed $vgpr4
	s_and_saveexec_b32 s13, vcc_lo
	s_delay_alu instid0(SALU_CYCLE_1)
	s_xor_b32 s74, exec_lo, s13
	s_cbranch_execz .LBB6_408
; %bb.395:                              ;   in Loop: Header=BB6_136 Depth=3
	v_and_b32_e32 v4, 0x7fffffff, v2
	v_mov_b32_e32 v5, v113
	s_delay_alu instid0(VALU_DEP_1) | instskip(SKIP_2) | instid1(SALU_CYCLE_1)
	v_cmp_gt_u64_e32 vcc_lo, 0x47600001, v[4:5]
	v_and_b32_e32 v4, 0x80, v3
                                        ; implicit-def: $vgpr3
                                        ; kill: killed $vgpr3
	s_and_saveexec_b32 s13, vcc_lo
	s_xor_b32 s75, exec_lo, s13
	s_cbranch_execz .LBB6_405
; %bb.396:                              ;   in Loop: Header=BB6_136 Depth=3
	v_mov_b32_e32 v3, 0
	s_mov_b32 s76, exec_lo
	scratch_store_b32 off, v3, s33 offset:412 ; 4-byte Folded Spill
	s_wait_xcnt 0x0
	v_cmpx_ne_u32_e32 0, v2
	s_cbranch_execz .LBB6_404
; %bb.397:                              ;   in Loop: Header=BB6_136 Depth=3
	v_bfe_u32 v5, v2, 23, 8
	v_or_b32_e32 v8, 0x800000, v0
	s_delay_alu instid0(VALU_DEP_2) | instskip(SKIP_1) | instid1(VALU_DEP_2)
	v_sub_nc_u32_e32 v2, 0x71, v5
	v_cmp_gt_u32_e32 vcc_lo, 0x72, v5
	v_cndmask_b32_e32 v2, 0, v2, vcc_lo
	v_cmp_eq_u32_e32 vcc_lo, 0, v5
	s_delay_alu instid0(VALU_DEP_2) | instskip(NEXT) | instid1(VALU_DEP_1)
	v_cndmask_b32_e64 v7, v2, 0x70, vcc_lo
	v_dual_cndmask_b32 v0, v8, v0, vcc_lo :: v_dual_add_nc_u32 v2, 21, v7
	v_add_nc_u32_e32 v9, 20, v7
	s_delay_alu instid0(VALU_DEP_2) | instskip(NEXT) | instid1(VALU_DEP_2)
	v_lshlrev_b64_e64 v[2:3], v2, -1
	v_lshlrev_b64_e64 v[8:9], v9, 1
	s_delay_alu instid0(VALU_DEP_2) | instskip(SKIP_1) | instid1(VALU_DEP_4)
	v_bfi_b32 v2, v2, 0, v0
	v_lshrrev_b64 v[0:1], v7, v[0:1]
	v_bfi_b32 v3, v3, 0, 0
	s_delay_alu instid0(VALU_DEP_1) | instskip(NEXT) | instid1(VALU_DEP_3)
	v_cmp_eq_u64_e64 s13, v[2:3], v[8:9]
	v_mov_b64_e32 v[2:3], v[0:1]
	s_and_saveexec_b32 s77, s13
; %bb.398:                              ;   in Loop: Header=BB6_136 Depth=3
	v_bfe_u32 v2, v0, 21, 1
	v_mov_b32_e32 v3, v113
	s_delay_alu instid0(VALU_DEP_1) | instskip(NEXT) | instid1(VALU_DEP_1)
	v_add_nc_u64_e32 v[2:3], v[0:1], v[2:3]
	v_add_nc_u64_e32 v[2:3], -1, v[2:3]
; %bb.399:                              ;   in Loop: Header=BB6_136 Depth=3
	s_or_b32 exec_lo, exec_lo, s77
	v_add_nc_u32_e32 v1, 0xffffff81, v5
	v_lshrrev_b32_e32 v3, 23, v0
	s_mov_b32 s13, exec_lo
	s_delay_alu instid0(VALU_DEP_2) | instskip(NEXT) | instid1(VALU_DEP_1)
	v_cndmask_b32_e64 v1, v1, 0xffffff82, vcc_lo
	v_add3_u32 v3, v7, v1, v3
	v_and_b32_e32 v1, 0x1fffff, v2
                                        ; implicit-def: $vgpr2
	s_delay_alu instid0(VALU_DEP_1) | instskip(SKIP_1) | instid1(VALU_DEP_2)
	v_dual_add_nc_u32 v5, 14, v3 :: v_dual_add_nc_u32 v0, v1, v0
	v_mov_b32_e32 v1, v113
	v_cmpx_ne_u32_e32 0, v5
	s_xor_b32 s13, exec_lo, s13
; %bb.400:                              ;   in Loop: Header=BB6_136 Depth=3
	s_delay_alu instid0(VALU_DEP_2) | instskip(SKIP_2) | instid1(VALU_DEP_2)
	v_cmp_lt_u64_e32 vcc_lo, 0xffffff, v[0:1]
	v_add_nc_u32_e32 v2, 15, v3
	v_cndmask_b32_e64 v3, 0, 1, vcc_lo
	v_cndmask_b32_e32 v2, v5, v2, vcc_lo
	s_delay_alu instid0(VALU_DEP_2)
	v_lshrrev_b64 v[0:1], v3, v[0:1]
; %bb.401:                              ;   in Loop: Header=BB6_136 Depth=3
	s_and_not1_saveexec_b32 s13, s13
; %bb.402:                              ;   in Loop: Header=BB6_136 Depth=3
	s_delay_alu instid0(VALU_DEP_1)
	v_bfe_u32 v2, v0, 23, 1
; %bb.403:                              ;   in Loop: Header=BB6_136 Depth=3
	s_or_b32 exec_lo, exec_lo, s13
	s_delay_alu instid0(VALU_DEP_2) | instskip(NEXT) | instid1(VALU_DEP_2)
	v_lshrrev_b64 v[0:1], 21, v[0:1]
	v_cmp_gt_i32_e32 vcc_lo, 32, v2
	v_min_i32_e32 v3, 31, v2
	v_cmp_eq_u32_e64 s13, 0, v2
	s_delay_alu instid0(VALU_DEP_2) | instskip(SKIP_1) | instid1(VALU_DEP_2)
	v_dual_cndmask_b32 v1, 0, v1, vcc_lo :: v_dual_lshlrev_b32 v3, 2, v3
	v_cndmask_b32_e32 v0, 3, v0, vcc_lo
	v_and_b32_e32 v3, 0xfc, v3
	s_delay_alu instid0(VALU_DEP_2) | instskip(NEXT) | instid1(VALU_DEP_2)
	v_cmp_eq_u64_e32 vcc_lo, 0, v[0:1]
	v_and_or_b32 v0, v0, 3, v3
	s_and_b32 s13, s13, vcc_lo
	s_delay_alu instid0(VALU_DEP_1) | instid1(SALU_CYCLE_1)
	v_cndmask_b32_e64 v0, v0, 0, s13
	s_delay_alu instid0(VALU_DEP_1)
	v_or_b32_e32 v0, v0, v4
	scratch_store_b32 off, v0, s33 offset:412 ; 4-byte Folded Spill
.LBB6_404:                              ;   in Loop: Header=BB6_136 Depth=3
	s_wait_xcnt 0x0
	s_or_b32 exec_lo, exec_lo, s76
                                        ; implicit-def: $vgpr4
.LBB6_405:                              ;   in Loop: Header=BB6_136 Depth=3
	s_and_not1_saveexec_b32 s13, s75
	s_cbranch_execz .LBB6_407
; %bb.406:                              ;   in Loop: Header=BB6_136 Depth=3
	v_or_b32_e32 v0, 0x7b, v4
	scratch_store_b32 off, v0, s33 offset:412 ; 4-byte Folded Spill
.LBB6_407:                              ;   in Loop: Header=BB6_136 Depth=3
	s_wait_xcnt 0x0
	s_or_b32 exec_lo, exec_lo, s13
                                        ; implicit-def: $vgpr2
                                        ; implicit-def: $vgpr0_vgpr1
                                        ; implicit-def: $vgpr3
.LBB6_408:                              ;   in Loop: Header=BB6_136 Depth=3
	s_and_not1_saveexec_b32 s13, s74
	s_cbranch_execz .LBB6_414
; %bb.409:                              ;   in Loop: Header=BB6_136 Depth=3
	v_cmp_ne_u64_e32 vcc_lo, 0, v[0:1]
                                        ; implicit-def: $vgpr0
                                        ; kill: killed $vgpr0
	s_and_saveexec_b32 s74, vcc_lo
	s_delay_alu instid0(SALU_CYCLE_1)
	s_xor_b32 s74, exec_lo, s74
	s_cbranch_execz .LBB6_411
; %bb.410:                              ;   in Loop: Header=BB6_136 Depth=3
	v_or_b32_e32 v0, 0x7f, v3
                                        ; implicit-def: $vgpr2
	scratch_store_b32 off, v0, s33 offset:412 ; 4-byte Folded Spill
.LBB6_411:                              ;   in Loop: Header=BB6_136 Depth=3
	s_wait_xcnt 0x0
	s_and_not1_saveexec_b32 s74, s74
	s_cbranch_execz .LBB6_413
; %bb.412:                              ;   in Loop: Header=BB6_136 Depth=3
	v_cmp_lt_i32_e32 vcc_lo, -1, v2
	v_mov_b32_e32 v0, 0x7c
	s_delay_alu instid0(VALU_DEP_1)
	v_cndmask_b32_e32 v0, 0xfc, v0, vcc_lo
	scratch_store_b32 off, v0, s33 offset:412 ; 4-byte Folded Spill
.LBB6_413:                              ;   in Loop: Header=BB6_136 Depth=3
	s_wait_xcnt 0x0
	s_or_b32 exec_lo, exec_lo, s74
.LBB6_414:                              ;   in Loop: Header=BB6_136 Depth=3
	s_delay_alu instid0(SALU_CYCLE_1) | instskip(SKIP_3) | instid1(VALU_DEP_2)
	s_or_b32 exec_lo, exec_lo, s13
	v_lshrrev_b16 v0, 8, v10
	v_mov_b32_e32 v2, 0
	s_mov_b32 s13, exec_lo
	v_cmpx_ne_u16_e32 0, v0
	s_cbranch_execz .LBB6_424
; %bb.415:                              ;   in Loop: Header=BB6_136 Depth=3
	v_bfrev_b32_e32 v2, 1
	s_mov_b32 s74, exec_lo
	v_cmpx_ne_u16_e32 0x80, v0
	s_cbranch_execz .LBB6_423
; %bb.416:                              ;   in Loop: Header=BB6_136 Depth=3
	v_and_b32_e32 v3, 0xffff, v0
	s_delay_alu instid0(VALU_DEP_1) | instskip(SKIP_1) | instid1(VALU_DEP_2)
	v_and_b32_e32 v2, 0x7c, v3
	v_and_b32_e32 v1, 3, v3
	v_cmp_ne_u32_e32 vcc_lo, 0x7c, v2
                                        ; implicit-def: $vgpr2
	s_and_saveexec_b32 s75, vcc_lo
	s_delay_alu instid0(SALU_CYCLE_1)
	s_xor_b32 s75, exec_lo, s75
	s_cbranch_execz .LBB6_420
; %bb.417:                              ;   in Loop: Header=BB6_136 Depth=3
	v_bfe_u32 v2, v3, 2, 5
	s_mov_b32 s76, exec_lo
	s_delay_alu instid0(VALU_DEP_1)
	v_cmpx_eq_u32_e32 0, v2
	s_cbranch_execz .LBB6_419
; %bb.418:                              ;   in Loop: Header=BB6_136 Depth=3
	v_clz_i32_u32_e32 v1, v1
	s_delay_alu instid0(VALU_DEP_1) | instskip(SKIP_1) | instid1(VALU_DEP_2)
	v_min_u32_e32 v2, 32, v1
	v_mov_b32_e32 v1, v113
	v_subrev_nc_u32_e32 v3, 29, v2
	v_sub_nc_u32_e32 v2, 30, v2
	s_delay_alu instid0(VALU_DEP_2) | instskip(NEXT) | instid1(VALU_DEP_1)
	v_lshlrev_b64_e32 v[0:1], v3, v[0:1]
	v_and_b32_e32 v1, 3, v0
.LBB6_419:                              ;   in Loop: Header=BB6_136 Depth=3
	s_or_b32 exec_lo, exec_lo, s76
	v_lshlrev_b32_e32 v0, 16, v10
	s_delay_alu instid0(VALU_DEP_1) | instskip(NEXT) | instid1(VALU_DEP_1)
	v_and_b32_e32 v0, 0x80000000, v0
	v_lshl_add_u32 v0, v2, 23, v0
	s_delay_alu instid0(VALU_DEP_1) | instskip(NEXT) | instid1(VALU_DEP_1)
	v_lshl_or_b32 v0, v1, 21, v0
                                        ; implicit-def: $vgpr1
	v_add_nc_u32_e32 v2, 0x38000000, v0
.LBB6_420:                              ;   in Loop: Header=BB6_136 Depth=3
	s_and_not1_saveexec_b32 s75, s75
; %bb.421:                              ;   in Loop: Header=BB6_136 Depth=3
	v_cmp_lt_i16_e32 vcc_lo, -1, v10
	v_mov_b32_e32 v0, 0x7f800000
	s_delay_alu instid0(VALU_DEP_1) | instskip(SKIP_1) | instid1(VALU_DEP_2)
	v_cndmask_b32_e32 v0, 0xff800000, v0, vcc_lo
	v_cmp_eq_u32_e32 vcc_lo, 0, v1
	v_cndmask_b32_e32 v2, 0x7f800001, v0, vcc_lo
; %bb.422:                              ;   in Loop: Header=BB6_136 Depth=3
	s_or_b32 exec_lo, exec_lo, s75
.LBB6_423:                              ;   in Loop: Header=BB6_136 Depth=3
	s_delay_alu instid0(SALU_CYCLE_1)
	s_or_b32 exec_lo, exec_lo, s74
.LBB6_424:                              ;   in Loop: Header=BB6_136 Depth=3
	s_delay_alu instid0(SALU_CYCLE_1) | instskip(NEXT) | instid1(VALU_DEP_1)
	s_or_b32 exec_lo, exec_lo, s13
	v_dual_mul_f32 v2, s73, v2 :: v_dual_mov_b32 v5, v113
	s_delay_alu instid0(VALU_DEP_1) | instskip(SKIP_2) | instid1(VALU_DEP_2)
	v_dual_mov_b32 v1, v113 :: v_dual_lshrrev_b32 v3, 24, v2
	v_and_b32_e32 v4, 0x7f800000, v2
	v_and_b32_e32 v0, 0x7fffff, v2
	v_cmp_ne_u64_e32 vcc_lo, 0x7f800000, v[4:5]
                                        ; implicit-def: $vgpr4
                                        ; kill: killed $vgpr4
	s_and_saveexec_b32 s13, vcc_lo
	s_delay_alu instid0(SALU_CYCLE_1)
	s_xor_b32 s74, exec_lo, s13
	s_cbranch_execz .LBB6_438
; %bb.425:                              ;   in Loop: Header=BB6_136 Depth=3
	v_and_b32_e32 v4, 0x7fffffff, v2
	v_mov_b32_e32 v5, v113
	s_delay_alu instid0(VALU_DEP_1) | instskip(SKIP_2) | instid1(SALU_CYCLE_1)
	v_cmp_gt_u64_e32 vcc_lo, 0x47600001, v[4:5]
	v_and_b32_e32 v4, 0x80, v3
                                        ; implicit-def: $vgpr3
                                        ; kill: killed $vgpr3
	s_and_saveexec_b32 s13, vcc_lo
	s_xor_b32 s75, exec_lo, s13
	s_cbranch_execz .LBB6_435
; %bb.426:                              ;   in Loop: Header=BB6_136 Depth=3
	v_mov_b32_e32 v3, 0
	s_mov_b32 s76, exec_lo
	scratch_store_b32 off, v3, s33 offset:432 ; 4-byte Folded Spill
	s_wait_xcnt 0x0
	v_cmpx_ne_u32_e32 0, v2
	s_cbranch_execz .LBB6_434
; %bb.427:                              ;   in Loop: Header=BB6_136 Depth=3
	v_bfe_u32 v5, v2, 23, 8
	v_or_b32_e32 v8, 0x800000, v0
	s_delay_alu instid0(VALU_DEP_2) | instskip(SKIP_1) | instid1(VALU_DEP_2)
	v_sub_nc_u32_e32 v2, 0x71, v5
	v_cmp_gt_u32_e32 vcc_lo, 0x72, v5
	v_cndmask_b32_e32 v2, 0, v2, vcc_lo
	v_cmp_eq_u32_e32 vcc_lo, 0, v5
	s_delay_alu instid0(VALU_DEP_2) | instskip(NEXT) | instid1(VALU_DEP_1)
	v_cndmask_b32_e64 v7, v2, 0x70, vcc_lo
	v_dual_cndmask_b32 v0, v8, v0, vcc_lo :: v_dual_add_nc_u32 v2, 21, v7
	v_add_nc_u32_e32 v9, 20, v7
	s_delay_alu instid0(VALU_DEP_2) | instskip(NEXT) | instid1(VALU_DEP_2)
	v_lshlrev_b64_e64 v[2:3], v2, -1
	v_lshlrev_b64_e64 v[8:9], v9, 1
	s_delay_alu instid0(VALU_DEP_2) | instskip(SKIP_1) | instid1(VALU_DEP_4)
	v_bfi_b32 v2, v2, 0, v0
	v_lshrrev_b64 v[0:1], v7, v[0:1]
	v_bfi_b32 v3, v3, 0, 0
	s_delay_alu instid0(VALU_DEP_1) | instskip(NEXT) | instid1(VALU_DEP_3)
	v_cmp_eq_u64_e64 s13, v[2:3], v[8:9]
	v_mov_b64_e32 v[2:3], v[0:1]
	s_and_saveexec_b32 s77, s13
; %bb.428:                              ;   in Loop: Header=BB6_136 Depth=3
	v_bfe_u32 v2, v0, 21, 1
	v_mov_b32_e32 v3, v113
	s_delay_alu instid0(VALU_DEP_1) | instskip(NEXT) | instid1(VALU_DEP_1)
	v_add_nc_u64_e32 v[2:3], v[0:1], v[2:3]
	v_add_nc_u64_e32 v[2:3], -1, v[2:3]
; %bb.429:                              ;   in Loop: Header=BB6_136 Depth=3
	s_or_b32 exec_lo, exec_lo, s77
	v_add_nc_u32_e32 v1, 0xffffff81, v5
	v_lshrrev_b32_e32 v3, 23, v0
	s_mov_b32 s13, exec_lo
	s_delay_alu instid0(VALU_DEP_2) | instskip(NEXT) | instid1(VALU_DEP_1)
	v_cndmask_b32_e64 v1, v1, 0xffffff82, vcc_lo
	v_add3_u32 v3, v7, v1, v3
	v_and_b32_e32 v1, 0x1fffff, v2
                                        ; implicit-def: $vgpr2
	s_delay_alu instid0(VALU_DEP_1) | instskip(SKIP_1) | instid1(VALU_DEP_2)
	v_dual_add_nc_u32 v5, 14, v3 :: v_dual_add_nc_u32 v0, v1, v0
	v_mov_b32_e32 v1, v113
	v_cmpx_ne_u32_e32 0, v5
	s_xor_b32 s13, exec_lo, s13
; %bb.430:                              ;   in Loop: Header=BB6_136 Depth=3
	s_delay_alu instid0(VALU_DEP_2) | instskip(SKIP_2) | instid1(VALU_DEP_2)
	v_cmp_lt_u64_e32 vcc_lo, 0xffffff, v[0:1]
	v_add_nc_u32_e32 v2, 15, v3
	v_cndmask_b32_e64 v3, 0, 1, vcc_lo
	v_cndmask_b32_e32 v2, v5, v2, vcc_lo
	s_delay_alu instid0(VALU_DEP_2)
	v_lshrrev_b64 v[0:1], v3, v[0:1]
; %bb.431:                              ;   in Loop: Header=BB6_136 Depth=3
	s_and_not1_saveexec_b32 s13, s13
; %bb.432:                              ;   in Loop: Header=BB6_136 Depth=3
	s_delay_alu instid0(VALU_DEP_1)
	v_bfe_u32 v2, v0, 23, 1
; %bb.433:                              ;   in Loop: Header=BB6_136 Depth=3
	s_or_b32 exec_lo, exec_lo, s13
	s_delay_alu instid0(VALU_DEP_2) | instskip(NEXT) | instid1(VALU_DEP_2)
	v_lshrrev_b64 v[0:1], 21, v[0:1]
	v_cmp_gt_i32_e32 vcc_lo, 32, v2
	v_min_i32_e32 v3, 31, v2
	v_cmp_eq_u32_e64 s13, 0, v2
	s_delay_alu instid0(VALU_DEP_2) | instskip(SKIP_1) | instid1(VALU_DEP_2)
	v_dual_cndmask_b32 v1, 0, v1, vcc_lo :: v_dual_lshlrev_b32 v3, 2, v3
	v_cndmask_b32_e32 v0, 3, v0, vcc_lo
	v_and_b32_e32 v3, 0xfc, v3
	s_delay_alu instid0(VALU_DEP_2) | instskip(NEXT) | instid1(VALU_DEP_2)
	v_cmp_eq_u64_e32 vcc_lo, 0, v[0:1]
	v_and_or_b32 v0, v0, 3, v3
	s_and_b32 s13, s13, vcc_lo
	s_delay_alu instid0(VALU_DEP_1) | instid1(SALU_CYCLE_1)
	v_cndmask_b32_e64 v0, v0, 0, s13
	s_delay_alu instid0(VALU_DEP_1)
	v_or_b32_e32 v0, v0, v4
	scratch_store_b32 off, v0, s33 offset:432 ; 4-byte Folded Spill
.LBB6_434:                              ;   in Loop: Header=BB6_136 Depth=3
	s_wait_xcnt 0x0
	s_or_b32 exec_lo, exec_lo, s76
                                        ; implicit-def: $vgpr4
.LBB6_435:                              ;   in Loop: Header=BB6_136 Depth=3
	s_and_not1_saveexec_b32 s13, s75
	s_cbranch_execz .LBB6_437
; %bb.436:                              ;   in Loop: Header=BB6_136 Depth=3
	v_or_b32_e32 v0, 0x7b, v4
	scratch_store_b32 off, v0, s33 offset:432 ; 4-byte Folded Spill
.LBB6_437:                              ;   in Loop: Header=BB6_136 Depth=3
	s_wait_xcnt 0x0
	s_or_b32 exec_lo, exec_lo, s13
                                        ; implicit-def: $vgpr2
                                        ; implicit-def: $vgpr0_vgpr1
                                        ; implicit-def: $vgpr3
.LBB6_438:                              ;   in Loop: Header=BB6_136 Depth=3
	s_and_not1_saveexec_b32 s13, s74
	s_cbranch_execz .LBB6_444
; %bb.439:                              ;   in Loop: Header=BB6_136 Depth=3
	v_cmp_ne_u64_e32 vcc_lo, 0, v[0:1]
                                        ; implicit-def: $vgpr0
                                        ; kill: killed $vgpr0
	s_and_saveexec_b32 s74, vcc_lo
	s_delay_alu instid0(SALU_CYCLE_1)
	s_xor_b32 s74, exec_lo, s74
	s_cbranch_execz .LBB6_441
; %bb.440:                              ;   in Loop: Header=BB6_136 Depth=3
	v_or_b32_e32 v0, 0x7f, v3
                                        ; implicit-def: $vgpr2
	scratch_store_b32 off, v0, s33 offset:432 ; 4-byte Folded Spill
.LBB6_441:                              ;   in Loop: Header=BB6_136 Depth=3
	s_wait_xcnt 0x0
	s_and_not1_saveexec_b32 s74, s74
	s_cbranch_execz .LBB6_443
; %bb.442:                              ;   in Loop: Header=BB6_136 Depth=3
	v_cmp_lt_i32_e32 vcc_lo, -1, v2
	v_mov_b32_e32 v0, 0x7c
	s_delay_alu instid0(VALU_DEP_1)
	v_cndmask_b32_e32 v0, 0xfc, v0, vcc_lo
	scratch_store_b32 off, v0, s33 offset:432 ; 4-byte Folded Spill
.LBB6_443:                              ;   in Loop: Header=BB6_136 Depth=3
	s_wait_xcnt 0x0
	s_or_b32 exec_lo, exec_lo, s74
.LBB6_444:                              ;   in Loop: Header=BB6_136 Depth=3
	s_delay_alu instid0(SALU_CYCLE_1) | instskip(SKIP_2) | instid1(VALU_DEP_1)
	s_or_b32 exec_lo, exec_lo, s13
	v_dual_mov_b32 v1, 0 :: v_dual_lshrrev_b32 v0, 16, v10
	s_mov_b32 s13, exec_lo
	v_and_b32_e32 v2, 0xff, v0
	s_delay_alu instid0(VALU_DEP_1)
	v_cmpx_ne_u16_e32 0, v2
	s_cbranch_execz .LBB6_454
; %bb.445:                              ;   in Loop: Header=BB6_136 Depth=3
	v_bfrev_b32_e32 v1, 1
	s_mov_b32 s74, exec_lo
	v_cmpx_ne_u16_e32 0x80, v2
	s_cbranch_execz .LBB6_453
; %bb.446:                              ;   in Loop: Header=BB6_136 Depth=3
	v_and_b32_e32 v1, 0x7c0000, v10
	v_bfe_u32 v2, v10, 16, 2
	s_delay_alu instid0(VALU_DEP_2) | instskip(SKIP_1) | instid1(SALU_CYCLE_1)
	v_cmp_ne_u32_e32 vcc_lo, 0x7c0000, v1
                                        ; implicit-def: $vgpr1
	s_and_saveexec_b32 s75, vcc_lo
	s_xor_b32 s75, exec_lo, s75
	s_cbranch_execz .LBB6_450
; %bb.447:                              ;   in Loop: Header=BB6_136 Depth=3
	v_bfe_u32 v1, v10, 18, 5
	s_mov_b32 s76, exec_lo
	s_delay_alu instid0(VALU_DEP_1)
	v_cmpx_eq_u32_e32 0, v1
; %bb.448:                              ;   in Loop: Header=BB6_136 Depth=3
	v_clz_i32_u32_e32 v1, v2
	s_delay_alu instid0(VALU_DEP_1) | instskip(NEXT) | instid1(VALU_DEP_1)
	v_min_u32_e32 v1, 32, v1
	v_subrev_nc_u32_e32 v2, 29, v1
	s_delay_alu instid0(VALU_DEP_1) | instskip(NEXT) | instid1(VALU_DEP_1)
	v_lshlrev_b64_e32 v[2:3], v2, v[0:1]
	v_dual_sub_nc_u32 v1, 30, v1 :: v_dual_bitop2_b32 v2, 3, v2 bitop3:0x40
; %bb.449:                              ;   in Loop: Header=BB6_136 Depth=3
	s_or_b32 exec_lo, exec_lo, s76
	v_lshlrev_b32_e32 v0, 24, v0
	s_delay_alu instid0(VALU_DEP_1) | instskip(NEXT) | instid1(VALU_DEP_1)
	v_and_b32_e32 v0, 0x80000000, v0
	v_lshl_add_u32 v0, v1, 23, v0
	s_delay_alu instid0(VALU_DEP_1) | instskip(NEXT) | instid1(VALU_DEP_1)
	v_lshl_or_b32 v0, v2, 21, v0
                                        ; implicit-def: $vgpr2
	v_add_nc_u32_e32 v1, 0x38000000, v0
                                        ; implicit-def: $vgpr0
.LBB6_450:                              ;   in Loop: Header=BB6_136 Depth=3
	s_and_not1_saveexec_b32 s75, s75
; %bb.451:                              ;   in Loop: Header=BB6_136 Depth=3
	v_bfe_i32 v0, v0, 0, 8
	s_delay_alu instid0(VALU_DEP_1) | instskip(SKIP_1) | instid1(VALU_DEP_1)
	v_cmp_lt_i16_e32 vcc_lo, -1, v0
	v_mov_b32_e32 v0, 0x7f800000
	v_cndmask_b32_e32 v0, 0xff800000, v0, vcc_lo
	v_cmp_eq_u32_e32 vcc_lo, 0, v2
	s_delay_alu instid0(VALU_DEP_2)
	v_cndmask_b32_e32 v1, 0x7f800001, v0, vcc_lo
; %bb.452:                              ;   in Loop: Header=BB6_136 Depth=3
	s_or_b32 exec_lo, exec_lo, s75
.LBB6_453:                              ;   in Loop: Header=BB6_136 Depth=3
	s_delay_alu instid0(SALU_CYCLE_1)
	s_or_b32 exec_lo, exec_lo, s74
.LBB6_454:                              ;   in Loop: Header=BB6_136 Depth=3
	s_delay_alu instid0(SALU_CYCLE_1) | instskip(NEXT) | instid1(VALU_DEP_1)
	s_or_b32 exec_lo, exec_lo, s13
	v_dual_mul_f32 v2, s73, v1 :: v_dual_mov_b32 v5, v113
	s_delay_alu instid0(VALU_DEP_1) | instskip(SKIP_2) | instid1(VALU_DEP_2)
	v_dual_mov_b32 v1, v113 :: v_dual_lshrrev_b32 v3, 24, v2
	v_and_b32_e32 v4, 0x7f800000, v2
	v_and_b32_e32 v0, 0x7fffff, v2
	v_cmp_ne_u64_e32 vcc_lo, 0x7f800000, v[4:5]
                                        ; implicit-def: $vgpr4
                                        ; kill: killed $vgpr4
	s_and_saveexec_b32 s13, vcc_lo
	s_delay_alu instid0(SALU_CYCLE_1)
	s_xor_b32 s74, exec_lo, s13
	s_cbranch_execz .LBB6_468
; %bb.455:                              ;   in Loop: Header=BB6_136 Depth=3
	v_and_b32_e32 v4, 0x7fffffff, v2
	v_mov_b32_e32 v5, v113
	s_delay_alu instid0(VALU_DEP_1) | instskip(SKIP_2) | instid1(SALU_CYCLE_1)
	v_cmp_gt_u64_e32 vcc_lo, 0x47600001, v[4:5]
	v_and_b32_e32 v4, 0x80, v3
                                        ; implicit-def: $vgpr3
                                        ; kill: killed $vgpr3
	s_and_saveexec_b32 s13, vcc_lo
	s_xor_b32 s75, exec_lo, s13
	s_cbranch_execz .LBB6_465
; %bb.456:                              ;   in Loop: Header=BB6_136 Depth=3
	v_mov_b32_e32 v3, 0
	s_mov_b32 s76, exec_lo
	scratch_store_b32 off, v3, s33 offset:436 ; 4-byte Folded Spill
	s_wait_xcnt 0x0
	v_cmpx_ne_u32_e32 0, v2
	s_cbranch_execz .LBB6_464
; %bb.457:                              ;   in Loop: Header=BB6_136 Depth=3
	v_bfe_u32 v5, v2, 23, 8
	v_or_b32_e32 v8, 0x800000, v0
	s_delay_alu instid0(VALU_DEP_2) | instskip(SKIP_1) | instid1(VALU_DEP_2)
	v_sub_nc_u32_e32 v2, 0x71, v5
	v_cmp_gt_u32_e32 vcc_lo, 0x72, v5
	v_cndmask_b32_e32 v2, 0, v2, vcc_lo
	v_cmp_eq_u32_e32 vcc_lo, 0, v5
	s_delay_alu instid0(VALU_DEP_2) | instskip(NEXT) | instid1(VALU_DEP_1)
	v_cndmask_b32_e64 v7, v2, 0x70, vcc_lo
	v_dual_cndmask_b32 v0, v8, v0, vcc_lo :: v_dual_add_nc_u32 v2, 21, v7
	v_add_nc_u32_e32 v9, 20, v7
	s_delay_alu instid0(VALU_DEP_2) | instskip(NEXT) | instid1(VALU_DEP_2)
	v_lshlrev_b64_e64 v[2:3], v2, -1
	v_lshlrev_b64_e64 v[8:9], v9, 1
	s_delay_alu instid0(VALU_DEP_2) | instskip(SKIP_1) | instid1(VALU_DEP_4)
	v_bfi_b32 v2, v2, 0, v0
	v_lshrrev_b64 v[0:1], v7, v[0:1]
	v_bfi_b32 v3, v3, 0, 0
	s_delay_alu instid0(VALU_DEP_1) | instskip(NEXT) | instid1(VALU_DEP_3)
	v_cmp_eq_u64_e64 s13, v[2:3], v[8:9]
	v_mov_b64_e32 v[2:3], v[0:1]
	s_and_saveexec_b32 s77, s13
; %bb.458:                              ;   in Loop: Header=BB6_136 Depth=3
	v_bfe_u32 v2, v0, 21, 1
	v_mov_b32_e32 v3, v113
	s_delay_alu instid0(VALU_DEP_1) | instskip(NEXT) | instid1(VALU_DEP_1)
	v_add_nc_u64_e32 v[2:3], v[0:1], v[2:3]
	v_add_nc_u64_e32 v[2:3], -1, v[2:3]
; %bb.459:                              ;   in Loop: Header=BB6_136 Depth=3
	s_or_b32 exec_lo, exec_lo, s77
	v_add_nc_u32_e32 v1, 0xffffff81, v5
	v_lshrrev_b32_e32 v3, 23, v0
	s_mov_b32 s13, exec_lo
	s_delay_alu instid0(VALU_DEP_2) | instskip(NEXT) | instid1(VALU_DEP_1)
	v_cndmask_b32_e64 v1, v1, 0xffffff82, vcc_lo
	v_add3_u32 v3, v7, v1, v3
	v_and_b32_e32 v1, 0x1fffff, v2
                                        ; implicit-def: $vgpr2
	s_delay_alu instid0(VALU_DEP_1) | instskip(SKIP_1) | instid1(VALU_DEP_2)
	v_dual_add_nc_u32 v5, 14, v3 :: v_dual_add_nc_u32 v0, v1, v0
	v_mov_b32_e32 v1, v113
	v_cmpx_ne_u32_e32 0, v5
	s_xor_b32 s13, exec_lo, s13
; %bb.460:                              ;   in Loop: Header=BB6_136 Depth=3
	s_delay_alu instid0(VALU_DEP_2) | instskip(SKIP_2) | instid1(VALU_DEP_2)
	v_cmp_lt_u64_e32 vcc_lo, 0xffffff, v[0:1]
	v_add_nc_u32_e32 v2, 15, v3
	v_cndmask_b32_e64 v3, 0, 1, vcc_lo
	v_cndmask_b32_e32 v2, v5, v2, vcc_lo
	s_delay_alu instid0(VALU_DEP_2)
	v_lshrrev_b64 v[0:1], v3, v[0:1]
; %bb.461:                              ;   in Loop: Header=BB6_136 Depth=3
	s_and_not1_saveexec_b32 s13, s13
; %bb.462:                              ;   in Loop: Header=BB6_136 Depth=3
	s_delay_alu instid0(VALU_DEP_1)
	v_bfe_u32 v2, v0, 23, 1
; %bb.463:                              ;   in Loop: Header=BB6_136 Depth=3
	s_or_b32 exec_lo, exec_lo, s13
	s_delay_alu instid0(VALU_DEP_2) | instskip(NEXT) | instid1(VALU_DEP_2)
	v_lshrrev_b64 v[0:1], 21, v[0:1]
	v_cmp_gt_i32_e32 vcc_lo, 32, v2
	v_min_i32_e32 v3, 31, v2
	v_cmp_eq_u32_e64 s13, 0, v2
	s_delay_alu instid0(VALU_DEP_2) | instskip(SKIP_1) | instid1(VALU_DEP_2)
	v_dual_cndmask_b32 v1, 0, v1, vcc_lo :: v_dual_lshlrev_b32 v3, 2, v3
	v_cndmask_b32_e32 v0, 3, v0, vcc_lo
	v_and_b32_e32 v3, 0xfc, v3
	s_delay_alu instid0(VALU_DEP_2) | instskip(NEXT) | instid1(VALU_DEP_2)
	v_cmp_eq_u64_e32 vcc_lo, 0, v[0:1]
	v_and_or_b32 v0, v0, 3, v3
	s_and_b32 s13, s13, vcc_lo
	s_delay_alu instid0(VALU_DEP_1) | instid1(SALU_CYCLE_1)
	v_cndmask_b32_e64 v0, v0, 0, s13
	s_delay_alu instid0(VALU_DEP_1)
	v_or_b32_e32 v0, v0, v4
	scratch_store_b32 off, v0, s33 offset:436 ; 4-byte Folded Spill
.LBB6_464:                              ;   in Loop: Header=BB6_136 Depth=3
	s_wait_xcnt 0x0
	s_or_b32 exec_lo, exec_lo, s76
                                        ; implicit-def: $vgpr4
.LBB6_465:                              ;   in Loop: Header=BB6_136 Depth=3
	s_and_not1_saveexec_b32 s13, s75
	s_cbranch_execz .LBB6_467
; %bb.466:                              ;   in Loop: Header=BB6_136 Depth=3
	v_or_b32_e32 v0, 0x7b, v4
	scratch_store_b32 off, v0, s33 offset:436 ; 4-byte Folded Spill
.LBB6_467:                              ;   in Loop: Header=BB6_136 Depth=3
	s_wait_xcnt 0x0
	s_or_b32 exec_lo, exec_lo, s13
                                        ; implicit-def: $vgpr2
                                        ; implicit-def: $vgpr0_vgpr1
                                        ; implicit-def: $vgpr3
.LBB6_468:                              ;   in Loop: Header=BB6_136 Depth=3
	s_and_not1_saveexec_b32 s13, s74
	s_cbranch_execz .LBB6_474
; %bb.469:                              ;   in Loop: Header=BB6_136 Depth=3
	v_cmp_ne_u64_e32 vcc_lo, 0, v[0:1]
                                        ; implicit-def: $vgpr0
                                        ; kill: killed $vgpr0
	s_and_saveexec_b32 s74, vcc_lo
	s_delay_alu instid0(SALU_CYCLE_1)
	s_xor_b32 s74, exec_lo, s74
	s_cbranch_execz .LBB6_471
; %bb.470:                              ;   in Loop: Header=BB6_136 Depth=3
	v_or_b32_e32 v0, 0x7f, v3
                                        ; implicit-def: $vgpr2
	scratch_store_b32 off, v0, s33 offset:436 ; 4-byte Folded Spill
.LBB6_471:                              ;   in Loop: Header=BB6_136 Depth=3
	s_wait_xcnt 0x0
	s_and_not1_saveexec_b32 s74, s74
	s_cbranch_execz .LBB6_473
; %bb.472:                              ;   in Loop: Header=BB6_136 Depth=3
	v_cmp_lt_i32_e32 vcc_lo, -1, v2
	v_mov_b32_e32 v0, 0x7c
	s_delay_alu instid0(VALU_DEP_1)
	v_cndmask_b32_e32 v0, 0xfc, v0, vcc_lo
	scratch_store_b32 off, v0, s33 offset:436 ; 4-byte Folded Spill
.LBB6_473:                              ;   in Loop: Header=BB6_136 Depth=3
	s_wait_xcnt 0x0
	s_or_b32 exec_lo, exec_lo, s74
.LBB6_474:                              ;   in Loop: Header=BB6_136 Depth=3
	s_delay_alu instid0(SALU_CYCLE_1)
	s_or_b32 exec_lo, exec_lo, s13
	v_mov_b32_e32 v1, 0
	s_mov_b32 s13, exec_lo
	v_cmpx_lt_u32_e32 0xffffff, v10
	s_cbranch_execz .LBB6_484
; %bb.475:                              ;   in Loop: Header=BB6_136 Depth=3
	v_lshrrev_b32_e32 v0, 24, v10
	v_bfrev_b32_e32 v1, 1
	s_mov_b32 s74, exec_lo
	s_delay_alu instid0(VALU_DEP_2)
	v_cmpx_ne_u32_e32 0x80, v0
	s_cbranch_execz .LBB6_483
; %bb.476:                              ;   in Loop: Header=BB6_136 Depth=3
	v_and_b32_e32 v1, 0x7c000000, v10
	v_bfe_u32 v2, v10, 24, 2
	s_delay_alu instid0(VALU_DEP_2) | instskip(SKIP_1) | instid1(SALU_CYCLE_1)
	v_cmp_ne_u32_e32 vcc_lo, 0x7c000000, v1
                                        ; implicit-def: $vgpr1
	s_and_saveexec_b32 s75, vcc_lo
	s_xor_b32 s75, exec_lo, s75
	s_cbranch_execz .LBB6_480
; %bb.477:                              ;   in Loop: Header=BB6_136 Depth=3
	v_bfe_u32 v1, v10, 26, 5
	s_mov_b32 s76, exec_lo
	s_delay_alu instid0(VALU_DEP_1)
	v_cmpx_eq_u32_e32 0, v1
; %bb.478:                              ;   in Loop: Header=BB6_136 Depth=3
	v_clz_i32_u32_e32 v1, v2
	s_delay_alu instid0(VALU_DEP_1) | instskip(NEXT) | instid1(VALU_DEP_1)
	v_min_u32_e32 v2, 32, v1
	v_subrev_nc_u32_e32 v1, 29, v2
	s_delay_alu instid0(VALU_DEP_1) | instskip(NEXT) | instid1(VALU_DEP_1)
	v_lshlrev_b64_e32 v[0:1], v1, v[0:1]
	v_dual_sub_nc_u32 v1, 30, v2 :: v_dual_bitop2_b32 v2, 3, v0 bitop3:0x40
; %bb.479:                              ;   in Loop: Header=BB6_136 Depth=3
	s_or_b32 exec_lo, exec_lo, s76
	v_and_b32_e32 v0, 0x80000000, v10
	s_delay_alu instid0(VALU_DEP_1) | instskip(NEXT) | instid1(VALU_DEP_1)
	v_lshl_add_u32 v0, v1, 23, v0
	v_lshl_or_b32 v0, v2, 21, v0
                                        ; implicit-def: $vgpr2
	s_delay_alu instid0(VALU_DEP_1)
	v_add_nc_u32_e32 v1, 0x38000000, v0
.LBB6_480:                              ;   in Loop: Header=BB6_136 Depth=3
	s_and_not1_saveexec_b32 s75, s75
; %bb.481:                              ;   in Loop: Header=BB6_136 Depth=3
	v_cmp_lt_i32_e32 vcc_lo, -1, v10
	v_mov_b32_e32 v0, 0x7f800000
	s_delay_alu instid0(VALU_DEP_1) | instskip(SKIP_1) | instid1(VALU_DEP_2)
	v_cndmask_b32_e32 v0, 0xff800000, v0, vcc_lo
	v_cmp_eq_u32_e32 vcc_lo, 0, v2
	v_cndmask_b32_e32 v1, 0x7f800001, v0, vcc_lo
; %bb.482:                              ;   in Loop: Header=BB6_136 Depth=3
	s_or_b32 exec_lo, exec_lo, s75
.LBB6_483:                              ;   in Loop: Header=BB6_136 Depth=3
	s_delay_alu instid0(SALU_CYCLE_1)
	s_or_b32 exec_lo, exec_lo, s74
.LBB6_484:                              ;   in Loop: Header=BB6_136 Depth=3
	s_delay_alu instid0(SALU_CYCLE_1) | instskip(NEXT) | instid1(VALU_DEP_1)
	s_or_b32 exec_lo, exec_lo, s13
	v_dual_mul_f32 v2, s73, v1 :: v_dual_mov_b32 v5, v113
	s_delay_alu instid0(VALU_DEP_1) | instskip(SKIP_2) | instid1(VALU_DEP_2)
	v_dual_mov_b32 v1, v113 :: v_dual_lshrrev_b32 v3, 24, v2
	v_and_b32_e32 v4, 0x7f800000, v2
	v_and_b32_e32 v0, 0x7fffff, v2
	v_cmp_ne_u64_e32 vcc_lo, 0x7f800000, v[4:5]
                                        ; implicit-def: $vgpr4
                                        ; kill: killed $vgpr4
	s_and_saveexec_b32 s13, vcc_lo
	s_delay_alu instid0(SALU_CYCLE_1)
	s_xor_b32 s74, exec_lo, s13
	s_cbranch_execz .LBB6_498
; %bb.485:                              ;   in Loop: Header=BB6_136 Depth=3
	v_and_b32_e32 v4, 0x7fffffff, v2
	v_mov_b32_e32 v5, v113
	s_delay_alu instid0(VALU_DEP_1) | instskip(SKIP_2) | instid1(SALU_CYCLE_1)
	v_cmp_gt_u64_e32 vcc_lo, 0x47600001, v[4:5]
	v_and_b32_e32 v4, 0x80, v3
                                        ; implicit-def: $vgpr3
                                        ; kill: killed $vgpr3
	s_and_saveexec_b32 s13, vcc_lo
	s_xor_b32 s75, exec_lo, s13
	s_cbranch_execz .LBB6_495
; %bb.486:                              ;   in Loop: Header=BB6_136 Depth=3
	v_mov_b32_e32 v3, 0
	s_mov_b32 s76, exec_lo
	scratch_store_b32 off, v3, s33 offset:444 ; 4-byte Folded Spill
	s_wait_xcnt 0x0
	v_cmpx_ne_u32_e32 0, v2
	s_cbranch_execz .LBB6_494
; %bb.487:                              ;   in Loop: Header=BB6_136 Depth=3
	v_bfe_u32 v5, v2, 23, 8
	v_or_b32_e32 v8, 0x800000, v0
	s_delay_alu instid0(VALU_DEP_2) | instskip(SKIP_1) | instid1(VALU_DEP_2)
	v_sub_nc_u32_e32 v2, 0x71, v5
	v_cmp_gt_u32_e32 vcc_lo, 0x72, v5
	v_cndmask_b32_e32 v2, 0, v2, vcc_lo
	v_cmp_eq_u32_e32 vcc_lo, 0, v5
	s_delay_alu instid0(VALU_DEP_2) | instskip(NEXT) | instid1(VALU_DEP_1)
	v_cndmask_b32_e64 v7, v2, 0x70, vcc_lo
	v_dual_cndmask_b32 v0, v8, v0, vcc_lo :: v_dual_add_nc_u32 v2, 21, v7
	v_add_nc_u32_e32 v9, 20, v7
	s_delay_alu instid0(VALU_DEP_2) | instskip(NEXT) | instid1(VALU_DEP_2)
	v_lshlrev_b64_e64 v[2:3], v2, -1
	v_lshlrev_b64_e64 v[8:9], v9, 1
	s_delay_alu instid0(VALU_DEP_2) | instskip(SKIP_1) | instid1(VALU_DEP_4)
	v_bfi_b32 v2, v2, 0, v0
	v_lshrrev_b64 v[0:1], v7, v[0:1]
	v_bfi_b32 v3, v3, 0, 0
	s_delay_alu instid0(VALU_DEP_1) | instskip(NEXT) | instid1(VALU_DEP_3)
	v_cmp_eq_u64_e64 s13, v[2:3], v[8:9]
	v_mov_b64_e32 v[2:3], v[0:1]
	s_and_saveexec_b32 s77, s13
; %bb.488:                              ;   in Loop: Header=BB6_136 Depth=3
	v_bfe_u32 v2, v0, 21, 1
	v_mov_b32_e32 v3, v113
	s_delay_alu instid0(VALU_DEP_1) | instskip(NEXT) | instid1(VALU_DEP_1)
	v_add_nc_u64_e32 v[2:3], v[0:1], v[2:3]
	v_add_nc_u64_e32 v[2:3], -1, v[2:3]
; %bb.489:                              ;   in Loop: Header=BB6_136 Depth=3
	s_or_b32 exec_lo, exec_lo, s77
	v_add_nc_u32_e32 v1, 0xffffff81, v5
	v_lshrrev_b32_e32 v3, 23, v0
	s_mov_b32 s13, exec_lo
	s_delay_alu instid0(VALU_DEP_2) | instskip(NEXT) | instid1(VALU_DEP_1)
	v_cndmask_b32_e64 v1, v1, 0xffffff82, vcc_lo
	v_add3_u32 v3, v7, v1, v3
	v_and_b32_e32 v1, 0x1fffff, v2
                                        ; implicit-def: $vgpr2
	s_delay_alu instid0(VALU_DEP_1) | instskip(SKIP_1) | instid1(VALU_DEP_2)
	v_dual_add_nc_u32 v5, 14, v3 :: v_dual_add_nc_u32 v0, v1, v0
	v_mov_b32_e32 v1, v113
	v_cmpx_ne_u32_e32 0, v5
	s_xor_b32 s13, exec_lo, s13
; %bb.490:                              ;   in Loop: Header=BB6_136 Depth=3
	s_delay_alu instid0(VALU_DEP_2) | instskip(SKIP_2) | instid1(VALU_DEP_2)
	v_cmp_lt_u64_e32 vcc_lo, 0xffffff, v[0:1]
	v_add_nc_u32_e32 v2, 15, v3
	v_cndmask_b32_e64 v3, 0, 1, vcc_lo
	v_cndmask_b32_e32 v2, v5, v2, vcc_lo
	s_delay_alu instid0(VALU_DEP_2)
	v_lshrrev_b64 v[0:1], v3, v[0:1]
; %bb.491:                              ;   in Loop: Header=BB6_136 Depth=3
	s_and_not1_saveexec_b32 s13, s13
; %bb.492:                              ;   in Loop: Header=BB6_136 Depth=3
	s_delay_alu instid0(VALU_DEP_1)
	v_bfe_u32 v2, v0, 23, 1
; %bb.493:                              ;   in Loop: Header=BB6_136 Depth=3
	s_or_b32 exec_lo, exec_lo, s13
	s_delay_alu instid0(VALU_DEP_2) | instskip(NEXT) | instid1(VALU_DEP_2)
	v_lshrrev_b64 v[0:1], 21, v[0:1]
	v_cmp_gt_i32_e32 vcc_lo, 32, v2
	v_min_i32_e32 v3, 31, v2
	v_cmp_eq_u32_e64 s13, 0, v2
	s_delay_alu instid0(VALU_DEP_2) | instskip(SKIP_1) | instid1(VALU_DEP_2)
	v_dual_cndmask_b32 v1, 0, v1, vcc_lo :: v_dual_lshlrev_b32 v3, 2, v3
	v_cndmask_b32_e32 v0, 3, v0, vcc_lo
	v_and_b32_e32 v3, 0xfc, v3
	s_delay_alu instid0(VALU_DEP_2) | instskip(NEXT) | instid1(VALU_DEP_2)
	v_cmp_eq_u64_e32 vcc_lo, 0, v[0:1]
	v_and_or_b32 v0, v0, 3, v3
	s_and_b32 s13, s13, vcc_lo
	s_delay_alu instid0(VALU_DEP_1) | instid1(SALU_CYCLE_1)
	v_cndmask_b32_e64 v0, v0, 0, s13
	s_delay_alu instid0(VALU_DEP_1)
	v_or_b32_e32 v0, v0, v4
	scratch_store_b32 off, v0, s33 offset:444 ; 4-byte Folded Spill
.LBB6_494:                              ;   in Loop: Header=BB6_136 Depth=3
	s_wait_xcnt 0x0
	s_or_b32 exec_lo, exec_lo, s76
                                        ; implicit-def: $vgpr4
.LBB6_495:                              ;   in Loop: Header=BB6_136 Depth=3
	s_and_not1_saveexec_b32 s13, s75
	s_cbranch_execz .LBB6_497
; %bb.496:                              ;   in Loop: Header=BB6_136 Depth=3
	v_or_b32_e32 v0, 0x7b, v4
	scratch_store_b32 off, v0, s33 offset:444 ; 4-byte Folded Spill
.LBB6_497:                              ;   in Loop: Header=BB6_136 Depth=3
	s_wait_xcnt 0x0
	s_or_b32 exec_lo, exec_lo, s13
                                        ; implicit-def: $vgpr2
                                        ; implicit-def: $vgpr0_vgpr1
                                        ; implicit-def: $vgpr3
.LBB6_498:                              ;   in Loop: Header=BB6_136 Depth=3
	s_and_not1_saveexec_b32 s13, s74
	s_cbranch_execz .LBB6_504
; %bb.499:                              ;   in Loop: Header=BB6_136 Depth=3
	v_cmp_ne_u64_e32 vcc_lo, 0, v[0:1]
                                        ; implicit-def: $vgpr0
                                        ; kill: killed $vgpr0
	s_and_saveexec_b32 s74, vcc_lo
	s_delay_alu instid0(SALU_CYCLE_1)
	s_xor_b32 s74, exec_lo, s74
	s_cbranch_execz .LBB6_501
; %bb.500:                              ;   in Loop: Header=BB6_136 Depth=3
	v_or_b32_e32 v0, 0x7f, v3
                                        ; implicit-def: $vgpr2
	scratch_store_b32 off, v0, s33 offset:444 ; 4-byte Folded Spill
.LBB6_501:                              ;   in Loop: Header=BB6_136 Depth=3
	s_wait_xcnt 0x0
	s_and_not1_saveexec_b32 s74, s74
	s_cbranch_execz .LBB6_503
; %bb.502:                              ;   in Loop: Header=BB6_136 Depth=3
	v_cmp_lt_i32_e32 vcc_lo, -1, v2
	v_mov_b32_e32 v0, 0x7c
	s_delay_alu instid0(VALU_DEP_1)
	v_cndmask_b32_e32 v0, 0xfc, v0, vcc_lo
	scratch_store_b32 off, v0, s33 offset:444 ; 4-byte Folded Spill
.LBB6_503:                              ;   in Loop: Header=BB6_136 Depth=3
	s_wait_xcnt 0x0
	s_or_b32 exec_lo, exec_lo, s74
.LBB6_504:                              ;   in Loop: Header=BB6_136 Depth=3
	s_delay_alu instid0(SALU_CYCLE_1) | instskip(SKIP_4) | instid1(VALU_DEP_3)
	s_or_b32 exec_lo, exec_lo, s13
	v_and_b32_e32 v3, 0xff, v11
	v_dual_mov_b32 v0, v11 :: v_dual_mov_b32 v1, v113
	v_mov_b32_e32 v2, 0
	s_mov_b32 s13, exec_lo
	v_cmpx_ne_u16_e32 0, v3
	s_cbranch_execz .LBB6_514
; %bb.505:                              ;   in Loop: Header=BB6_136 Depth=3
	v_bfrev_b32_e32 v2, 1
	s_mov_b32 s74, exec_lo
	v_cmpx_ne_u16_e32 0x80, v3
	s_cbranch_execz .LBB6_513
; %bb.506:                              ;   in Loop: Header=BB6_136 Depth=3
	v_and_b32_e32 v2, 0x7c, v11
	v_and_b32_e32 v3, 3, v11
	s_delay_alu instid0(VALU_DEP_2) | instskip(SKIP_1) | instid1(SALU_CYCLE_1)
	v_cmp_ne_u32_e32 vcc_lo, 0x7c, v2
                                        ; implicit-def: $vgpr2
	s_and_saveexec_b32 s75, vcc_lo
	s_xor_b32 s75, exec_lo, s75
	s_cbranch_execz .LBB6_510
; %bb.507:                              ;   in Loop: Header=BB6_136 Depth=3
	v_bfe_u32 v2, v11, 2, 5
	s_mov_b32 s76, exec_lo
	s_delay_alu instid0(VALU_DEP_1)
	v_cmpx_eq_u32_e32 0, v2
; %bb.508:                              ;   in Loop: Header=BB6_136 Depth=3
	v_clz_i32_u32_e32 v2, v3
	s_delay_alu instid0(VALU_DEP_1) | instskip(NEXT) | instid1(VALU_DEP_1)
	v_min_u32_e32 v2, 32, v2
	v_subrev_nc_u32_e32 v3, 29, v2
	s_delay_alu instid0(VALU_DEP_1) | instskip(NEXT) | instid1(VALU_DEP_1)
	v_lshlrev_b64_e32 v[4:5], v3, v[0:1]
	v_dual_sub_nc_u32 v2, 30, v2 :: v_dual_bitop2_b32 v3, 3, v4 bitop3:0x40
; %bb.509:                              ;   in Loop: Header=BB6_136 Depth=3
	s_or_b32 exec_lo, exec_lo, s76
	v_lshlrev_b32_e32 v1, 24, v11
	s_delay_alu instid0(VALU_DEP_1) | instskip(NEXT) | instid1(VALU_DEP_1)
	v_and_b32_e32 v1, 0x80000000, v1
	v_lshl_add_u32 v1, v2, 23, v1
	s_delay_alu instid0(VALU_DEP_1) | instskip(NEXT) | instid1(VALU_DEP_1)
	v_lshl_or_b32 v1, v3, 21, v1
                                        ; implicit-def: $vgpr3
	v_add_nc_u32_e32 v2, 0x38000000, v1
.LBB6_510:                              ;   in Loop: Header=BB6_136 Depth=3
	s_and_not1_saveexec_b32 s75, s75
; %bb.511:                              ;   in Loop: Header=BB6_136 Depth=3
	v_bfe_i32 v1, v11, 0, 8
	s_delay_alu instid0(VALU_DEP_1) | instskip(SKIP_1) | instid1(VALU_DEP_1)
	v_cmp_lt_i16_e32 vcc_lo, -1, v1
	v_mov_b32_e32 v1, 0x7f800000
	v_cndmask_b32_e32 v1, 0xff800000, v1, vcc_lo
	v_cmp_eq_u32_e32 vcc_lo, 0, v3
	s_delay_alu instid0(VALU_DEP_2)
	v_cndmask_b32_e32 v2, 0x7f800001, v1, vcc_lo
; %bb.512:                              ;   in Loop: Header=BB6_136 Depth=3
	s_or_b32 exec_lo, exec_lo, s75
.LBB6_513:                              ;   in Loop: Header=BB6_136 Depth=3
	s_delay_alu instid0(SALU_CYCLE_1)
	s_or_b32 exec_lo, exec_lo, s74
.LBB6_514:                              ;   in Loop: Header=BB6_136 Depth=3
	s_delay_alu instid0(SALU_CYCLE_1) | instskip(NEXT) | instid1(VALU_DEP_1)
	s_or_b32 exec_lo, exec_lo, s13
	v_dual_mul_f32 v4, s73, v2 :: v_dual_mov_b32 v9, v113
	v_mov_b32_e32 v3, v113
                                        ; implicit-def: $vgpr5
                                        ; kill: killed $vgpr5
	s_mov_b32 s13, exec_lo
	s_delay_alu instid0(VALU_DEP_2) | instskip(SKIP_2) | instid1(VALU_DEP_3)
	v_and_b32_e32 v8, 0x7f800000, v4
	v_and_b32_e32 v2, 0x7fffff, v4
	v_lshrrev_b32_e32 v1, 24, v4
	v_cmpx_ne_u64_e32 0x7f800000, v[8:9]
	s_xor_b32 s74, exec_lo, s13
	s_cbranch_execz .LBB6_528
; %bb.515:                              ;   in Loop: Header=BB6_136 Depth=3
	v_and_b32_e32 v8, 0x7fffffff, v4
	v_mov_b32_e32 v9, v113
	v_and_b32_e32 v1, 0x80, v1
                                        ; implicit-def: $vgpr5
                                        ; kill: killed $vgpr5
	s_mov_b32 s13, exec_lo
	s_delay_alu instid0(VALU_DEP_2)
	v_cmpx_gt_u64_e32 0x47600001, v[8:9]
	s_xor_b32 s75, exec_lo, s13
	s_cbranch_execz .LBB6_525
; %bb.516:                              ;   in Loop: Header=BB6_136 Depth=3
	v_mov_b32_e32 v5, 0
	s_mov_b32 s76, exec_lo
	scratch_store_b32 off, v5, s33 offset:452 ; 4-byte Folded Spill
	s_wait_xcnt 0x0
	v_cmpx_ne_u32_e32 0, v4
	s_cbranch_execz .LBB6_524
; %bb.517:                              ;   in Loop: Header=BB6_136 Depth=3
	v_bfe_u32 v7, v4, 23, 8
	v_or_b32_e32 v9, 0x800000, v2
	s_delay_alu instid0(VALU_DEP_2) | instskip(SKIP_1) | instid1(VALU_DEP_2)
	v_sub_nc_u32_e32 v4, 0x71, v7
	v_cmp_gt_u32_e32 vcc_lo, 0x72, v7
	v_cndmask_b32_e32 v4, 0, v4, vcc_lo
	v_cmp_eq_u32_e32 vcc_lo, 0, v7
	v_cndmask_b32_e32 v2, v9, v2, vcc_lo
	s_delay_alu instid0(VALU_DEP_3) | instskip(NEXT) | instid1(VALU_DEP_1)
	v_cndmask_b32_e64 v8, v4, 0x70, vcc_lo
	v_dual_add_nc_u32 v4, 21, v8 :: v_dual_add_nc_u32 v14, 20, v8
	s_delay_alu instid0(VALU_DEP_1) | instskip(NEXT) | instid1(VALU_DEP_2)
	v_lshlrev_b64_e64 v[4:5], v4, -1
	v_lshlrev_b64_e64 v[14:15], v14, 1
	s_delay_alu instid0(VALU_DEP_2) | instskip(SKIP_1) | instid1(VALU_DEP_4)
	v_bfi_b32 v4, v4, 0, v2
	v_lshrrev_b64 v[2:3], v8, v[2:3]
	v_bfi_b32 v5, v5, 0, 0
	s_delay_alu instid0(VALU_DEP_1) | instskip(NEXT) | instid1(VALU_DEP_3)
	v_cmp_eq_u64_e64 s13, v[4:5], v[14:15]
	v_mov_b64_e32 v[4:5], v[2:3]
	s_and_saveexec_b32 s77, s13
; %bb.518:                              ;   in Loop: Header=BB6_136 Depth=3
	v_bfe_u32 v4, v2, 21, 1
	v_mov_b32_e32 v5, v113
	s_delay_alu instid0(VALU_DEP_1) | instskip(NEXT) | instid1(VALU_DEP_1)
	v_add_nc_u64_e32 v[4:5], v[2:3], v[4:5]
	v_add_nc_u64_e32 v[4:5], -1, v[4:5]
; %bb.519:                              ;   in Loop: Header=BB6_136 Depth=3
	s_or_b32 exec_lo, exec_lo, s77
	v_add_nc_u32_e32 v3, 0xffffff81, v7
	v_lshrrev_b32_e32 v5, 23, v2
	s_mov_b32 s13, exec_lo
	s_delay_alu instid0(VALU_DEP_2) | instskip(NEXT) | instid1(VALU_DEP_1)
	v_cndmask_b32_e64 v3, v3, 0xffffff82, vcc_lo
	v_add3_u32 v5, v8, v3, v5
	v_and_b32_e32 v3, 0x1fffff, v4
                                        ; implicit-def: $vgpr4
	s_delay_alu instid0(VALU_DEP_1) | instskip(SKIP_1) | instid1(VALU_DEP_2)
	v_dual_add_nc_u32 v7, 14, v5 :: v_dual_add_nc_u32 v2, v3, v2
	v_mov_b32_e32 v3, v113
	v_cmpx_ne_u32_e32 0, v7
	s_xor_b32 s13, exec_lo, s13
; %bb.520:                              ;   in Loop: Header=BB6_136 Depth=3
	s_delay_alu instid0(VALU_DEP_2) | instskip(SKIP_2) | instid1(VALU_DEP_2)
	v_cmp_lt_u64_e32 vcc_lo, 0xffffff, v[2:3]
	v_add_nc_u32_e32 v4, 15, v5
	v_cndmask_b32_e64 v5, 0, 1, vcc_lo
	v_cndmask_b32_e32 v4, v7, v4, vcc_lo
	s_delay_alu instid0(VALU_DEP_2)
	v_lshrrev_b64 v[2:3], v5, v[2:3]
; %bb.521:                              ;   in Loop: Header=BB6_136 Depth=3
	s_and_not1_saveexec_b32 s13, s13
; %bb.522:                              ;   in Loop: Header=BB6_136 Depth=3
	s_delay_alu instid0(VALU_DEP_1)
	v_bfe_u32 v4, v2, 23, 1
; %bb.523:                              ;   in Loop: Header=BB6_136 Depth=3
	s_or_b32 exec_lo, exec_lo, s13
	s_delay_alu instid0(VALU_DEP_2) | instskip(NEXT) | instid1(VALU_DEP_2)
	v_lshrrev_b64 v[2:3], 21, v[2:3]
	v_cmp_gt_i32_e32 vcc_lo, 32, v4
	v_min_i32_e32 v5, 31, v4
	v_cmp_eq_u32_e64 s13, 0, v4
	s_delay_alu instid0(VALU_DEP_2) | instskip(SKIP_1) | instid1(VALU_DEP_2)
	v_dual_cndmask_b32 v3, 0, v3, vcc_lo :: v_dual_lshlrev_b32 v5, 2, v5
	v_cndmask_b32_e32 v2, 3, v2, vcc_lo
	v_and_b32_e32 v5, 0xfc, v5
	s_delay_alu instid0(VALU_DEP_2) | instskip(NEXT) | instid1(VALU_DEP_2)
	v_cmp_eq_u64_e32 vcc_lo, 0, v[2:3]
	v_and_or_b32 v2, v2, 3, v5
	s_and_b32 s13, s13, vcc_lo
	s_delay_alu instid0(VALU_DEP_1) | instid1(SALU_CYCLE_1)
	v_cndmask_b32_e64 v2, v2, 0, s13
	s_delay_alu instid0(VALU_DEP_1)
	v_or_b32_e32 v1, v2, v1
	scratch_store_b32 off, v1, s33 offset:452 ; 4-byte Folded Spill
.LBB6_524:                              ;   in Loop: Header=BB6_136 Depth=3
	s_wait_xcnt 0x0
	s_or_b32 exec_lo, exec_lo, s76
                                        ; implicit-def: $vgpr1
.LBB6_525:                              ;   in Loop: Header=BB6_136 Depth=3
	s_and_not1_saveexec_b32 s13, s75
	s_cbranch_execz .LBB6_527
; %bb.526:                              ;   in Loop: Header=BB6_136 Depth=3
	v_or_b32_e32 v1, 0x7b, v1
	scratch_store_b32 off, v1, s33 offset:452 ; 4-byte Folded Spill
.LBB6_527:                              ;   in Loop: Header=BB6_136 Depth=3
	s_wait_xcnt 0x0
	s_or_b32 exec_lo, exec_lo, s13
                                        ; implicit-def: $vgpr4
                                        ; implicit-def: $vgpr2_vgpr3
                                        ; implicit-def: $vgpr1
.LBB6_528:                              ;   in Loop: Header=BB6_136 Depth=3
	s_and_not1_saveexec_b32 s13, s74
	s_cbranch_execz .LBB6_534
; %bb.529:                              ;   in Loop: Header=BB6_136 Depth=3
	v_cmp_ne_u64_e32 vcc_lo, 0, v[2:3]
                                        ; implicit-def: $vgpr2
                                        ; kill: killed $vgpr2
	s_and_saveexec_b32 s74, vcc_lo
	s_delay_alu instid0(SALU_CYCLE_1)
	s_xor_b32 s74, exec_lo, s74
	s_cbranch_execz .LBB6_531
; %bb.530:                              ;   in Loop: Header=BB6_136 Depth=3
	v_or_b32_e32 v1, 0x7f, v1
                                        ; implicit-def: $vgpr4
	scratch_store_b32 off, v1, s33 offset:452 ; 4-byte Folded Spill
.LBB6_531:                              ;   in Loop: Header=BB6_136 Depth=3
	s_wait_xcnt 0x0
	s_and_not1_saveexec_b32 s74, s74
	s_cbranch_execz .LBB6_533
; %bb.532:                              ;   in Loop: Header=BB6_136 Depth=3
	v_cmp_lt_i32_e32 vcc_lo, -1, v4
	v_mov_b32_e32 v1, 0x7c
	s_delay_alu instid0(VALU_DEP_1)
	v_cndmask_b32_e32 v1, 0xfc, v1, vcc_lo
	scratch_store_b32 off, v1, s33 offset:452 ; 4-byte Folded Spill
.LBB6_533:                              ;   in Loop: Header=BB6_136 Depth=3
	s_wait_xcnt 0x0
	s_or_b32 exec_lo, exec_lo, s74
.LBB6_534:                              ;   in Loop: Header=BB6_136 Depth=3
	s_delay_alu instid0(SALU_CYCLE_1) | instskip(SKIP_3) | instid1(VALU_DEP_2)
	s_or_b32 exec_lo, exec_lo, s13
	v_lshrrev_b16 v2, 8, v0
	v_mov_b32_e32 v4, 0
	s_mov_b32 s13, exec_lo
	v_cmpx_ne_u16_e32 0, v2
	s_cbranch_execz .LBB6_544
; %bb.535:                              ;   in Loop: Header=BB6_136 Depth=3
	v_bfrev_b32_e32 v4, 1
	s_mov_b32 s74, exec_lo
	v_cmpx_ne_u16_e32 0x80, v2
	s_cbranch_execz .LBB6_543
; %bb.536:                              ;   in Loop: Header=BB6_136 Depth=3
	v_and_b32_e32 v1, 0xffff, v2
	s_delay_alu instid0(VALU_DEP_1) | instskip(SKIP_1) | instid1(VALU_DEP_2)
	v_and_b32_e32 v4, 0x7c, v1
	v_and_b32_e32 v3, 3, v1
	v_cmp_ne_u32_e32 vcc_lo, 0x7c, v4
                                        ; implicit-def: $vgpr4
	s_and_saveexec_b32 s75, vcc_lo
	s_delay_alu instid0(SALU_CYCLE_1)
	s_xor_b32 s75, exec_lo, s75
	s_cbranch_execz .LBB6_540
; %bb.537:                              ;   in Loop: Header=BB6_136 Depth=3
	v_bfe_u32 v1, v1, 2, 5
	s_mov_b32 s76, exec_lo
	s_delay_alu instid0(VALU_DEP_1)
	v_cmpx_eq_u32_e32 0, v1
	s_cbranch_execz .LBB6_539
; %bb.538:                              ;   in Loop: Header=BB6_136 Depth=3
	v_clz_i32_u32_e32 v1, v3
	s_delay_alu instid0(VALU_DEP_1) | instskip(SKIP_1) | instid1(VALU_DEP_2)
	v_min_u32_e32 v1, 32, v1
	v_mov_b32_e32 v3, v113
	v_subrev_nc_u32_e32 v4, 29, v1
	v_sub_nc_u32_e32 v1, 30, v1
	s_delay_alu instid0(VALU_DEP_2) | instskip(NEXT) | instid1(VALU_DEP_1)
	v_lshlrev_b64_e32 v[2:3], v4, v[2:3]
	v_and_b32_e32 v3, 3, v2
.LBB6_539:                              ;   in Loop: Header=BB6_136 Depth=3
	s_or_b32 exec_lo, exec_lo, s76
	v_lshlrev_b32_e32 v0, 16, v0
	s_delay_alu instid0(VALU_DEP_1) | instskip(NEXT) | instid1(VALU_DEP_1)
	v_and_b32_e32 v0, 0x80000000, v0
	v_lshl_add_u32 v0, v1, 23, v0
	s_delay_alu instid0(VALU_DEP_1) | instskip(NEXT) | instid1(VALU_DEP_1)
	v_lshl_or_b32 v0, v3, 21, v0
                                        ; implicit-def: $vgpr3
	v_add_nc_u32_e32 v4, 0x38000000, v0
                                        ; implicit-def: $vgpr0_vgpr1
.LBB6_540:                              ;   in Loop: Header=BB6_136 Depth=3
	s_and_not1_saveexec_b32 s75, s75
; %bb.541:                              ;   in Loop: Header=BB6_136 Depth=3
	v_cmp_lt_i16_e32 vcc_lo, -1, v0
	v_mov_b32_e32 v0, 0x7f800000
	s_delay_alu instid0(VALU_DEP_1) | instskip(SKIP_1) | instid1(VALU_DEP_2)
	v_cndmask_b32_e32 v0, 0xff800000, v0, vcc_lo
	v_cmp_eq_u32_e32 vcc_lo, 0, v3
	v_cndmask_b32_e32 v4, 0x7f800001, v0, vcc_lo
; %bb.542:                              ;   in Loop: Header=BB6_136 Depth=3
	s_or_b32 exec_lo, exec_lo, s75
.LBB6_543:                              ;   in Loop: Header=BB6_136 Depth=3
	s_delay_alu instid0(SALU_CYCLE_1)
	s_or_b32 exec_lo, exec_lo, s74
.LBB6_544:                              ;   in Loop: Header=BB6_136 Depth=3
	s_delay_alu instid0(SALU_CYCLE_1) | instskip(NEXT) | instid1(VALU_DEP_1)
	s_or_b32 exec_lo, exec_lo, s13
	v_dual_mul_f32 v2, s73, v4 :: v_dual_mov_b32 v5, v113
	s_delay_alu instid0(VALU_DEP_1) | instskip(SKIP_2) | instid1(VALU_DEP_2)
	v_dual_mov_b32 v1, v113 :: v_dual_lshrrev_b32 v3, 24, v2
	v_and_b32_e32 v4, 0x7f800000, v2
	v_and_b32_e32 v0, 0x7fffff, v2
	v_cmp_ne_u64_e32 vcc_lo, 0x7f800000, v[4:5]
                                        ; implicit-def: $vgpr4
                                        ; kill: killed $vgpr4
	s_and_saveexec_b32 s13, vcc_lo
	s_delay_alu instid0(SALU_CYCLE_1)
	s_xor_b32 s74, exec_lo, s13
	s_cbranch_execz .LBB6_558
; %bb.545:                              ;   in Loop: Header=BB6_136 Depth=3
	v_and_b32_e32 v4, 0x7fffffff, v2
	v_mov_b32_e32 v5, v113
	s_delay_alu instid0(VALU_DEP_1) | instskip(SKIP_2) | instid1(SALU_CYCLE_1)
	v_cmp_gt_u64_e32 vcc_lo, 0x47600001, v[4:5]
	v_and_b32_e32 v4, 0x80, v3
                                        ; implicit-def: $vgpr3
                                        ; kill: killed $vgpr3
	s_and_saveexec_b32 s13, vcc_lo
	s_xor_b32 s75, exec_lo, s13
	s_cbranch_execz .LBB6_555
; %bb.546:                              ;   in Loop: Header=BB6_136 Depth=3
	v_mov_b32_e32 v3, 0
	s_mov_b32 s76, exec_lo
	scratch_store_b32 off, v3, s33 offset:456 ; 4-byte Folded Spill
	s_wait_xcnt 0x0
	v_cmpx_ne_u32_e32 0, v2
	s_cbranch_execz .LBB6_554
; %bb.547:                              ;   in Loop: Header=BB6_136 Depth=3
	v_bfe_u32 v5, v2, 23, 8
	v_or_b32_e32 v8, 0x800000, v0
	s_delay_alu instid0(VALU_DEP_2) | instskip(SKIP_1) | instid1(VALU_DEP_2)
	v_sub_nc_u32_e32 v2, 0x71, v5
	v_cmp_gt_u32_e32 vcc_lo, 0x72, v5
	v_cndmask_b32_e32 v2, 0, v2, vcc_lo
	v_cmp_eq_u32_e32 vcc_lo, 0, v5
	s_delay_alu instid0(VALU_DEP_2) | instskip(NEXT) | instid1(VALU_DEP_1)
	v_cndmask_b32_e64 v7, v2, 0x70, vcc_lo
	v_dual_cndmask_b32 v0, v8, v0, vcc_lo :: v_dual_add_nc_u32 v2, 21, v7
	v_add_nc_u32_e32 v9, 20, v7
	s_delay_alu instid0(VALU_DEP_2) | instskip(NEXT) | instid1(VALU_DEP_2)
	v_lshlrev_b64_e64 v[2:3], v2, -1
	v_lshlrev_b64_e64 v[8:9], v9, 1
	s_delay_alu instid0(VALU_DEP_2) | instskip(SKIP_1) | instid1(VALU_DEP_4)
	v_bfi_b32 v2, v2, 0, v0
	v_lshrrev_b64 v[0:1], v7, v[0:1]
	v_bfi_b32 v3, v3, 0, 0
	s_delay_alu instid0(VALU_DEP_1) | instskip(NEXT) | instid1(VALU_DEP_3)
	v_cmp_eq_u64_e64 s13, v[2:3], v[8:9]
	v_mov_b64_e32 v[2:3], v[0:1]
	s_and_saveexec_b32 s77, s13
; %bb.548:                              ;   in Loop: Header=BB6_136 Depth=3
	v_bfe_u32 v2, v0, 21, 1
	v_mov_b32_e32 v3, v113
	s_delay_alu instid0(VALU_DEP_1) | instskip(NEXT) | instid1(VALU_DEP_1)
	v_add_nc_u64_e32 v[2:3], v[0:1], v[2:3]
	v_add_nc_u64_e32 v[2:3], -1, v[2:3]
; %bb.549:                              ;   in Loop: Header=BB6_136 Depth=3
	s_or_b32 exec_lo, exec_lo, s77
	v_add_nc_u32_e32 v1, 0xffffff81, v5
	v_lshrrev_b32_e32 v3, 23, v0
	s_mov_b32 s13, exec_lo
	s_delay_alu instid0(VALU_DEP_2) | instskip(NEXT) | instid1(VALU_DEP_1)
	v_cndmask_b32_e64 v1, v1, 0xffffff82, vcc_lo
	v_add3_u32 v3, v7, v1, v3
	v_and_b32_e32 v1, 0x1fffff, v2
                                        ; implicit-def: $vgpr2
	s_delay_alu instid0(VALU_DEP_1) | instskip(SKIP_1) | instid1(VALU_DEP_2)
	v_dual_add_nc_u32 v5, 14, v3 :: v_dual_add_nc_u32 v0, v1, v0
	v_mov_b32_e32 v1, v113
	v_cmpx_ne_u32_e32 0, v5
	s_xor_b32 s13, exec_lo, s13
; %bb.550:                              ;   in Loop: Header=BB6_136 Depth=3
	s_delay_alu instid0(VALU_DEP_2) | instskip(SKIP_2) | instid1(VALU_DEP_2)
	v_cmp_lt_u64_e32 vcc_lo, 0xffffff, v[0:1]
	v_add_nc_u32_e32 v2, 15, v3
	v_cndmask_b32_e64 v3, 0, 1, vcc_lo
	v_cndmask_b32_e32 v2, v5, v2, vcc_lo
	s_delay_alu instid0(VALU_DEP_2)
	v_lshrrev_b64 v[0:1], v3, v[0:1]
; %bb.551:                              ;   in Loop: Header=BB6_136 Depth=3
	s_and_not1_saveexec_b32 s13, s13
; %bb.552:                              ;   in Loop: Header=BB6_136 Depth=3
	s_delay_alu instid0(VALU_DEP_1)
	v_bfe_u32 v2, v0, 23, 1
; %bb.553:                              ;   in Loop: Header=BB6_136 Depth=3
	s_or_b32 exec_lo, exec_lo, s13
	s_delay_alu instid0(VALU_DEP_2) | instskip(NEXT) | instid1(VALU_DEP_2)
	v_lshrrev_b64 v[0:1], 21, v[0:1]
	v_cmp_gt_i32_e32 vcc_lo, 32, v2
	v_min_i32_e32 v3, 31, v2
	v_cmp_eq_u32_e64 s13, 0, v2
	s_delay_alu instid0(VALU_DEP_2) | instskip(SKIP_1) | instid1(VALU_DEP_2)
	v_dual_cndmask_b32 v1, 0, v1, vcc_lo :: v_dual_lshlrev_b32 v3, 2, v3
	v_cndmask_b32_e32 v0, 3, v0, vcc_lo
	v_and_b32_e32 v3, 0xfc, v3
	s_delay_alu instid0(VALU_DEP_2) | instskip(NEXT) | instid1(VALU_DEP_2)
	v_cmp_eq_u64_e32 vcc_lo, 0, v[0:1]
	v_and_or_b32 v0, v0, 3, v3
	s_and_b32 s13, s13, vcc_lo
	s_delay_alu instid0(VALU_DEP_1) | instid1(SALU_CYCLE_1)
	v_cndmask_b32_e64 v0, v0, 0, s13
	s_delay_alu instid0(VALU_DEP_1)
	v_or_b32_e32 v0, v0, v4
	scratch_store_b32 off, v0, s33 offset:456 ; 4-byte Folded Spill
.LBB6_554:                              ;   in Loop: Header=BB6_136 Depth=3
	s_wait_xcnt 0x0
	s_or_b32 exec_lo, exec_lo, s76
                                        ; implicit-def: $vgpr4
.LBB6_555:                              ;   in Loop: Header=BB6_136 Depth=3
	s_and_not1_saveexec_b32 s13, s75
	s_cbranch_execz .LBB6_557
; %bb.556:                              ;   in Loop: Header=BB6_136 Depth=3
	v_or_b32_e32 v0, 0x7b, v4
	scratch_store_b32 off, v0, s33 offset:456 ; 4-byte Folded Spill
.LBB6_557:                              ;   in Loop: Header=BB6_136 Depth=3
	s_wait_xcnt 0x0
	s_or_b32 exec_lo, exec_lo, s13
                                        ; implicit-def: $vgpr2
                                        ; implicit-def: $vgpr0_vgpr1
                                        ; implicit-def: $vgpr3
.LBB6_558:                              ;   in Loop: Header=BB6_136 Depth=3
	s_and_not1_saveexec_b32 s13, s74
	s_cbranch_execz .LBB6_564
; %bb.559:                              ;   in Loop: Header=BB6_136 Depth=3
	v_cmp_ne_u64_e32 vcc_lo, 0, v[0:1]
                                        ; implicit-def: $vgpr0
                                        ; kill: killed $vgpr0
	s_and_saveexec_b32 s74, vcc_lo
	s_delay_alu instid0(SALU_CYCLE_1)
	s_xor_b32 s74, exec_lo, s74
	s_cbranch_execz .LBB6_561
; %bb.560:                              ;   in Loop: Header=BB6_136 Depth=3
	v_or_b32_e32 v0, 0x7f, v3
                                        ; implicit-def: $vgpr2
	scratch_store_b32 off, v0, s33 offset:456 ; 4-byte Folded Spill
.LBB6_561:                              ;   in Loop: Header=BB6_136 Depth=3
	s_wait_xcnt 0x0
	s_and_not1_saveexec_b32 s74, s74
	s_cbranch_execz .LBB6_563
; %bb.562:                              ;   in Loop: Header=BB6_136 Depth=3
	v_cmp_lt_i32_e32 vcc_lo, -1, v2
	v_mov_b32_e32 v0, 0x7c
	s_delay_alu instid0(VALU_DEP_1)
	v_cndmask_b32_e32 v0, 0xfc, v0, vcc_lo
	scratch_store_b32 off, v0, s33 offset:456 ; 4-byte Folded Spill
.LBB6_563:                              ;   in Loop: Header=BB6_136 Depth=3
	s_wait_xcnt 0x0
	s_or_b32 exec_lo, exec_lo, s74
.LBB6_564:                              ;   in Loop: Header=BB6_136 Depth=3
	s_delay_alu instid0(SALU_CYCLE_1) | instskip(SKIP_2) | instid1(VALU_DEP_1)
	s_or_b32 exec_lo, exec_lo, s13
	v_dual_mov_b32 v1, 0 :: v_dual_lshrrev_b32 v0, 16, v11
	s_mov_b32 s13, exec_lo
	v_and_b32_e32 v2, 0xff, v0
	s_delay_alu instid0(VALU_DEP_1)
	v_cmpx_ne_u16_e32 0, v2
	s_cbranch_execz .LBB6_574
; %bb.565:                              ;   in Loop: Header=BB6_136 Depth=3
	v_bfrev_b32_e32 v1, 1
	s_mov_b32 s74, exec_lo
	v_cmpx_ne_u16_e32 0x80, v2
	s_cbranch_execz .LBB6_573
; %bb.566:                              ;   in Loop: Header=BB6_136 Depth=3
	v_and_b32_e32 v1, 0x7c0000, v11
	v_bfe_u32 v2, v11, 16, 2
	s_delay_alu instid0(VALU_DEP_2) | instskip(SKIP_1) | instid1(SALU_CYCLE_1)
	v_cmp_ne_u32_e32 vcc_lo, 0x7c0000, v1
                                        ; implicit-def: $vgpr1
	s_and_saveexec_b32 s75, vcc_lo
	s_xor_b32 s75, exec_lo, s75
	s_cbranch_execz .LBB6_570
; %bb.567:                              ;   in Loop: Header=BB6_136 Depth=3
	v_bfe_u32 v1, v11, 18, 5
	s_mov_b32 s76, exec_lo
	s_delay_alu instid0(VALU_DEP_1)
	v_cmpx_eq_u32_e32 0, v1
; %bb.568:                              ;   in Loop: Header=BB6_136 Depth=3
	v_clz_i32_u32_e32 v1, v2
	s_delay_alu instid0(VALU_DEP_1) | instskip(NEXT) | instid1(VALU_DEP_1)
	v_min_u32_e32 v1, 32, v1
	v_subrev_nc_u32_e32 v2, 29, v1
	s_delay_alu instid0(VALU_DEP_1) | instskip(NEXT) | instid1(VALU_DEP_1)
	v_lshlrev_b64_e32 v[2:3], v2, v[0:1]
	v_dual_sub_nc_u32 v1, 30, v1 :: v_dual_bitop2_b32 v2, 3, v2 bitop3:0x40
; %bb.569:                              ;   in Loop: Header=BB6_136 Depth=3
	s_or_b32 exec_lo, exec_lo, s76
	v_lshlrev_b32_e32 v0, 24, v0
	s_delay_alu instid0(VALU_DEP_1) | instskip(NEXT) | instid1(VALU_DEP_1)
	v_and_b32_e32 v0, 0x80000000, v0
	v_lshl_add_u32 v0, v1, 23, v0
	s_delay_alu instid0(VALU_DEP_1) | instskip(NEXT) | instid1(VALU_DEP_1)
	v_lshl_or_b32 v0, v2, 21, v0
                                        ; implicit-def: $vgpr2
	v_add_nc_u32_e32 v1, 0x38000000, v0
                                        ; implicit-def: $vgpr0
.LBB6_570:                              ;   in Loop: Header=BB6_136 Depth=3
	s_and_not1_saveexec_b32 s75, s75
; %bb.571:                              ;   in Loop: Header=BB6_136 Depth=3
	v_bfe_i32 v0, v0, 0, 8
	s_delay_alu instid0(VALU_DEP_1) | instskip(SKIP_1) | instid1(VALU_DEP_1)
	v_cmp_lt_i16_e32 vcc_lo, -1, v0
	v_mov_b32_e32 v0, 0x7f800000
	v_cndmask_b32_e32 v0, 0xff800000, v0, vcc_lo
	v_cmp_eq_u32_e32 vcc_lo, 0, v2
	s_delay_alu instid0(VALU_DEP_2)
	v_cndmask_b32_e32 v1, 0x7f800001, v0, vcc_lo
; %bb.572:                              ;   in Loop: Header=BB6_136 Depth=3
	s_or_b32 exec_lo, exec_lo, s75
.LBB6_573:                              ;   in Loop: Header=BB6_136 Depth=3
	s_delay_alu instid0(SALU_CYCLE_1)
	s_or_b32 exec_lo, exec_lo, s74
.LBB6_574:                              ;   in Loop: Header=BB6_136 Depth=3
	s_delay_alu instid0(SALU_CYCLE_1) | instskip(NEXT) | instid1(VALU_DEP_1)
	s_or_b32 exec_lo, exec_lo, s13
	v_dual_mul_f32 v2, s73, v1 :: v_dual_mov_b32 v5, v113
	s_delay_alu instid0(VALU_DEP_1) | instskip(SKIP_2) | instid1(VALU_DEP_2)
	v_dual_mov_b32 v1, v113 :: v_dual_lshrrev_b32 v3, 24, v2
	v_and_b32_e32 v4, 0x7f800000, v2
	v_and_b32_e32 v0, 0x7fffff, v2
	v_cmp_ne_u64_e32 vcc_lo, 0x7f800000, v[4:5]
                                        ; implicit-def: $vgpr4
                                        ; kill: killed $vgpr4
	s_and_saveexec_b32 s13, vcc_lo
	s_delay_alu instid0(SALU_CYCLE_1)
	s_xor_b32 s74, exec_lo, s13
	s_cbranch_execz .LBB6_588
; %bb.575:                              ;   in Loop: Header=BB6_136 Depth=3
	v_and_b32_e32 v4, 0x7fffffff, v2
	v_mov_b32_e32 v5, v113
	s_delay_alu instid0(VALU_DEP_1) | instskip(SKIP_2) | instid1(SALU_CYCLE_1)
	v_cmp_gt_u64_e32 vcc_lo, 0x47600001, v[4:5]
	v_and_b32_e32 v4, 0x80, v3
                                        ; implicit-def: $vgpr3
                                        ; kill: killed $vgpr3
	s_and_saveexec_b32 s13, vcc_lo
	s_xor_b32 s75, exec_lo, s13
	s_cbranch_execz .LBB6_585
; %bb.576:                              ;   in Loop: Header=BB6_136 Depth=3
	v_mov_b32_e32 v3, 0
	s_mov_b32 s76, exec_lo
	scratch_store_b32 off, v3, s33 offset:464 ; 4-byte Folded Spill
	s_wait_xcnt 0x0
	v_cmpx_ne_u32_e32 0, v2
	s_cbranch_execz .LBB6_584
; %bb.577:                              ;   in Loop: Header=BB6_136 Depth=3
	v_bfe_u32 v5, v2, 23, 8
	v_or_b32_e32 v8, 0x800000, v0
	s_delay_alu instid0(VALU_DEP_2) | instskip(SKIP_1) | instid1(VALU_DEP_2)
	v_sub_nc_u32_e32 v2, 0x71, v5
	v_cmp_gt_u32_e32 vcc_lo, 0x72, v5
	v_cndmask_b32_e32 v2, 0, v2, vcc_lo
	v_cmp_eq_u32_e32 vcc_lo, 0, v5
	s_delay_alu instid0(VALU_DEP_2) | instskip(NEXT) | instid1(VALU_DEP_1)
	v_cndmask_b32_e64 v7, v2, 0x70, vcc_lo
	v_dual_cndmask_b32 v0, v8, v0, vcc_lo :: v_dual_add_nc_u32 v2, 21, v7
	v_add_nc_u32_e32 v9, 20, v7
	s_delay_alu instid0(VALU_DEP_2) | instskip(NEXT) | instid1(VALU_DEP_2)
	v_lshlrev_b64_e64 v[2:3], v2, -1
	v_lshlrev_b64_e64 v[8:9], v9, 1
	s_delay_alu instid0(VALU_DEP_2) | instskip(SKIP_1) | instid1(VALU_DEP_4)
	v_bfi_b32 v2, v2, 0, v0
	v_lshrrev_b64 v[0:1], v7, v[0:1]
	v_bfi_b32 v3, v3, 0, 0
	s_delay_alu instid0(VALU_DEP_1) | instskip(NEXT) | instid1(VALU_DEP_3)
	v_cmp_eq_u64_e64 s13, v[2:3], v[8:9]
	v_mov_b64_e32 v[2:3], v[0:1]
	s_and_saveexec_b32 s77, s13
; %bb.578:                              ;   in Loop: Header=BB6_136 Depth=3
	v_bfe_u32 v2, v0, 21, 1
	v_mov_b32_e32 v3, v113
	s_delay_alu instid0(VALU_DEP_1) | instskip(NEXT) | instid1(VALU_DEP_1)
	v_add_nc_u64_e32 v[2:3], v[0:1], v[2:3]
	v_add_nc_u64_e32 v[2:3], -1, v[2:3]
; %bb.579:                              ;   in Loop: Header=BB6_136 Depth=3
	s_or_b32 exec_lo, exec_lo, s77
	v_add_nc_u32_e32 v1, 0xffffff81, v5
	v_lshrrev_b32_e32 v3, 23, v0
	s_mov_b32 s13, exec_lo
	s_delay_alu instid0(VALU_DEP_2) | instskip(NEXT) | instid1(VALU_DEP_1)
	v_cndmask_b32_e64 v1, v1, 0xffffff82, vcc_lo
	v_add3_u32 v3, v7, v1, v3
	v_and_b32_e32 v1, 0x1fffff, v2
                                        ; implicit-def: $vgpr2
	s_delay_alu instid0(VALU_DEP_1) | instskip(SKIP_1) | instid1(VALU_DEP_2)
	v_dual_add_nc_u32 v5, 14, v3 :: v_dual_add_nc_u32 v0, v1, v0
	v_mov_b32_e32 v1, v113
	v_cmpx_ne_u32_e32 0, v5
	s_xor_b32 s13, exec_lo, s13
; %bb.580:                              ;   in Loop: Header=BB6_136 Depth=3
	s_delay_alu instid0(VALU_DEP_2) | instskip(SKIP_2) | instid1(VALU_DEP_2)
	v_cmp_lt_u64_e32 vcc_lo, 0xffffff, v[0:1]
	v_add_nc_u32_e32 v2, 15, v3
	v_cndmask_b32_e64 v3, 0, 1, vcc_lo
	v_cndmask_b32_e32 v2, v5, v2, vcc_lo
	s_delay_alu instid0(VALU_DEP_2)
	v_lshrrev_b64 v[0:1], v3, v[0:1]
; %bb.581:                              ;   in Loop: Header=BB6_136 Depth=3
	s_and_not1_saveexec_b32 s13, s13
; %bb.582:                              ;   in Loop: Header=BB6_136 Depth=3
	s_delay_alu instid0(VALU_DEP_1)
	v_bfe_u32 v2, v0, 23, 1
; %bb.583:                              ;   in Loop: Header=BB6_136 Depth=3
	s_or_b32 exec_lo, exec_lo, s13
	s_delay_alu instid0(VALU_DEP_2) | instskip(NEXT) | instid1(VALU_DEP_2)
	v_lshrrev_b64 v[0:1], 21, v[0:1]
	v_cmp_gt_i32_e32 vcc_lo, 32, v2
	v_min_i32_e32 v3, 31, v2
	v_cmp_eq_u32_e64 s13, 0, v2
	s_delay_alu instid0(VALU_DEP_2) | instskip(SKIP_1) | instid1(VALU_DEP_2)
	v_dual_cndmask_b32 v1, 0, v1, vcc_lo :: v_dual_lshlrev_b32 v3, 2, v3
	v_cndmask_b32_e32 v0, 3, v0, vcc_lo
	v_and_b32_e32 v3, 0xfc, v3
	s_delay_alu instid0(VALU_DEP_2) | instskip(NEXT) | instid1(VALU_DEP_2)
	v_cmp_eq_u64_e32 vcc_lo, 0, v[0:1]
	v_and_or_b32 v0, v0, 3, v3
	s_and_b32 s13, s13, vcc_lo
	s_delay_alu instid0(VALU_DEP_1) | instid1(SALU_CYCLE_1)
	v_cndmask_b32_e64 v0, v0, 0, s13
	s_delay_alu instid0(VALU_DEP_1)
	v_or_b32_e32 v0, v0, v4
	scratch_store_b32 off, v0, s33 offset:464 ; 4-byte Folded Spill
.LBB6_584:                              ;   in Loop: Header=BB6_136 Depth=3
	s_wait_xcnt 0x0
	s_or_b32 exec_lo, exec_lo, s76
                                        ; implicit-def: $vgpr4
.LBB6_585:                              ;   in Loop: Header=BB6_136 Depth=3
	s_and_not1_saveexec_b32 s13, s75
	s_cbranch_execz .LBB6_587
; %bb.586:                              ;   in Loop: Header=BB6_136 Depth=3
	v_or_b32_e32 v0, 0x7b, v4
	scratch_store_b32 off, v0, s33 offset:464 ; 4-byte Folded Spill
.LBB6_587:                              ;   in Loop: Header=BB6_136 Depth=3
	s_wait_xcnt 0x0
	s_or_b32 exec_lo, exec_lo, s13
                                        ; implicit-def: $vgpr2
                                        ; implicit-def: $vgpr0_vgpr1
                                        ; implicit-def: $vgpr3
.LBB6_588:                              ;   in Loop: Header=BB6_136 Depth=3
	s_and_not1_saveexec_b32 s13, s74
	s_cbranch_execz .LBB6_594
; %bb.589:                              ;   in Loop: Header=BB6_136 Depth=3
	v_cmp_ne_u64_e32 vcc_lo, 0, v[0:1]
                                        ; implicit-def: $vgpr0
                                        ; kill: killed $vgpr0
	s_and_saveexec_b32 s74, vcc_lo
	s_delay_alu instid0(SALU_CYCLE_1)
	s_xor_b32 s74, exec_lo, s74
	s_cbranch_execz .LBB6_591
; %bb.590:                              ;   in Loop: Header=BB6_136 Depth=3
	v_or_b32_e32 v0, 0x7f, v3
                                        ; implicit-def: $vgpr2
	scratch_store_b32 off, v0, s33 offset:464 ; 4-byte Folded Spill
.LBB6_591:                              ;   in Loop: Header=BB6_136 Depth=3
	s_wait_xcnt 0x0
	s_and_not1_saveexec_b32 s74, s74
	s_cbranch_execz .LBB6_593
; %bb.592:                              ;   in Loop: Header=BB6_136 Depth=3
	v_cmp_lt_i32_e32 vcc_lo, -1, v2
	v_mov_b32_e32 v0, 0x7c
	s_delay_alu instid0(VALU_DEP_1)
	v_cndmask_b32_e32 v0, 0xfc, v0, vcc_lo
	scratch_store_b32 off, v0, s33 offset:464 ; 4-byte Folded Spill
.LBB6_593:                              ;   in Loop: Header=BB6_136 Depth=3
	s_wait_xcnt 0x0
	s_or_b32 exec_lo, exec_lo, s74
.LBB6_594:                              ;   in Loop: Header=BB6_136 Depth=3
	s_delay_alu instid0(SALU_CYCLE_1)
	s_or_b32 exec_lo, exec_lo, s13
	v_mov_b32_e32 v1, 0
	s_mov_b32 s13, exec_lo
	v_cmpx_lt_u64_e64 s[22:23], v[10:11]
	s_cbranch_execz .LBB6_604
; %bb.595:                              ;   in Loop: Header=BB6_136 Depth=3
	v_lshrrev_b32_e32 v0, 24, v11
	v_bfrev_b32_e32 v1, 1
	s_mov_b32 s74, exec_lo
	s_delay_alu instid0(VALU_DEP_2)
	v_cmpx_ne_u32_e32 0x80, v0
	s_cbranch_execz .LBB6_603
; %bb.596:                              ;   in Loop: Header=BB6_136 Depth=3
	v_and_b32_e32 v1, 0x7c000000, v11
	v_bfe_u32 v2, v11, 24, 2
	s_delay_alu instid0(VALU_DEP_2) | instskip(SKIP_1) | instid1(SALU_CYCLE_1)
	v_cmp_ne_u32_e32 vcc_lo, 0x7c000000, v1
                                        ; implicit-def: $vgpr1
	s_and_saveexec_b32 s75, vcc_lo
	s_xor_b32 s75, exec_lo, s75
	s_cbranch_execz .LBB6_600
; %bb.597:                              ;   in Loop: Header=BB6_136 Depth=3
	v_bfe_u32 v1, v11, 26, 5
	s_mov_b32 s76, exec_lo
	s_delay_alu instid0(VALU_DEP_1)
	v_cmpx_eq_u32_e32 0, v1
; %bb.598:                              ;   in Loop: Header=BB6_136 Depth=3
	v_clz_i32_u32_e32 v1, v2
	s_delay_alu instid0(VALU_DEP_1) | instskip(NEXT) | instid1(VALU_DEP_1)
	v_min_u32_e32 v2, 32, v1
	v_subrev_nc_u32_e32 v1, 29, v2
	s_delay_alu instid0(VALU_DEP_1) | instskip(NEXT) | instid1(VALU_DEP_1)
	v_lshlrev_b64_e32 v[0:1], v1, v[0:1]
	v_dual_sub_nc_u32 v1, 30, v2 :: v_dual_bitop2_b32 v2, 3, v0 bitop3:0x40
; %bb.599:                              ;   in Loop: Header=BB6_136 Depth=3
	s_or_b32 exec_lo, exec_lo, s76
	v_and_b32_e32 v0, 0x80000000, v11
                                        ; implicit-def: $vgpr10_vgpr11
	s_delay_alu instid0(VALU_DEP_1) | instskip(NEXT) | instid1(VALU_DEP_1)
	v_lshl_add_u32 v0, v1, 23, v0
	v_lshl_or_b32 v0, v2, 21, v0
                                        ; implicit-def: $vgpr2
	s_delay_alu instid0(VALU_DEP_1)
	v_add_nc_u32_e32 v1, 0x38000000, v0
.LBB6_600:                              ;   in Loop: Header=BB6_136 Depth=3
	s_and_not1_saveexec_b32 s75, s75
; %bb.601:                              ;   in Loop: Header=BB6_136 Depth=3
	v_cmp_lt_i64_e32 vcc_lo, -1, v[10:11]
	v_mov_b32_e32 v0, 0x7f800000
	s_delay_alu instid0(VALU_DEP_1) | instskip(SKIP_1) | instid1(VALU_DEP_2)
	v_cndmask_b32_e32 v0, 0xff800000, v0, vcc_lo
	v_cmp_eq_u32_e32 vcc_lo, 0, v2
	v_cndmask_b32_e32 v1, 0x7f800001, v0, vcc_lo
; %bb.602:                              ;   in Loop: Header=BB6_136 Depth=3
	s_or_b32 exec_lo, exec_lo, s75
.LBB6_603:                              ;   in Loop: Header=BB6_136 Depth=3
	s_delay_alu instid0(SALU_CYCLE_1)
	s_or_b32 exec_lo, exec_lo, s74
.LBB6_604:                              ;   in Loop: Header=BB6_136 Depth=3
	s_delay_alu instid0(SALU_CYCLE_1) | instskip(NEXT) | instid1(VALU_DEP_1)
	s_or_b32 exec_lo, exec_lo, s13
	v_dual_mul_f32 v2, s73, v1 :: v_dual_mov_b32 v5, v113
	s_delay_alu instid0(VALU_DEP_1) | instskip(SKIP_2) | instid1(VALU_DEP_2)
	v_dual_mov_b32 v1, v113 :: v_dual_lshrrev_b32 v3, 24, v2
	v_and_b32_e32 v4, 0x7f800000, v2
	v_and_b32_e32 v0, 0x7fffff, v2
	v_cmp_ne_u64_e32 vcc_lo, 0x7f800000, v[4:5]
                                        ; implicit-def: $vgpr4
                                        ; kill: killed $vgpr4
	s_and_saveexec_b32 s13, vcc_lo
	s_delay_alu instid0(SALU_CYCLE_1)
	s_xor_b32 s74, exec_lo, s13
	s_cbranch_execz .LBB6_618
; %bb.605:                              ;   in Loop: Header=BB6_136 Depth=3
	v_and_b32_e32 v4, 0x7fffffff, v2
	v_mov_b32_e32 v5, v113
	s_delay_alu instid0(VALU_DEP_1) | instskip(SKIP_2) | instid1(SALU_CYCLE_1)
	v_cmp_gt_u64_e32 vcc_lo, 0x47600001, v[4:5]
	v_and_b32_e32 v4, 0x80, v3
                                        ; implicit-def: $vgpr3
                                        ; kill: killed $vgpr3
	s_and_saveexec_b32 s13, vcc_lo
	s_xor_b32 s75, exec_lo, s13
	s_cbranch_execz .LBB6_615
; %bb.606:                              ;   in Loop: Header=BB6_136 Depth=3
	v_mov_b32_e32 v3, 0
	s_mov_b32 s76, exec_lo
	scratch_store_b32 off, v3, s33 offset:468 ; 4-byte Folded Spill
	s_wait_xcnt 0x0
	v_cmpx_ne_u32_e32 0, v2
	s_cbranch_execz .LBB6_614
; %bb.607:                              ;   in Loop: Header=BB6_136 Depth=3
	v_bfe_u32 v5, v2, 23, 8
	v_or_b32_e32 v8, 0x800000, v0
	s_delay_alu instid0(VALU_DEP_2) | instskip(SKIP_1) | instid1(VALU_DEP_2)
	v_sub_nc_u32_e32 v2, 0x71, v5
	v_cmp_gt_u32_e32 vcc_lo, 0x72, v5
	v_cndmask_b32_e32 v2, 0, v2, vcc_lo
	v_cmp_eq_u32_e32 vcc_lo, 0, v5
	s_delay_alu instid0(VALU_DEP_2) | instskip(NEXT) | instid1(VALU_DEP_1)
	v_cndmask_b32_e64 v7, v2, 0x70, vcc_lo
	v_dual_cndmask_b32 v0, v8, v0, vcc_lo :: v_dual_add_nc_u32 v2, 21, v7
	v_add_nc_u32_e32 v9, 20, v7
	s_delay_alu instid0(VALU_DEP_2) | instskip(NEXT) | instid1(VALU_DEP_2)
	v_lshlrev_b64_e64 v[2:3], v2, -1
	v_lshlrev_b64_e64 v[8:9], v9, 1
	s_delay_alu instid0(VALU_DEP_2) | instskip(SKIP_1) | instid1(VALU_DEP_4)
	v_bfi_b32 v2, v2, 0, v0
	v_lshrrev_b64 v[0:1], v7, v[0:1]
	v_bfi_b32 v3, v3, 0, 0
	s_delay_alu instid0(VALU_DEP_1) | instskip(NEXT) | instid1(VALU_DEP_3)
	v_cmp_eq_u64_e64 s13, v[2:3], v[8:9]
	v_mov_b64_e32 v[2:3], v[0:1]
	s_and_saveexec_b32 s77, s13
; %bb.608:                              ;   in Loop: Header=BB6_136 Depth=3
	v_bfe_u32 v2, v0, 21, 1
	v_mov_b32_e32 v3, v113
	s_delay_alu instid0(VALU_DEP_1) | instskip(NEXT) | instid1(VALU_DEP_1)
	v_add_nc_u64_e32 v[2:3], v[0:1], v[2:3]
	v_add_nc_u64_e32 v[2:3], -1, v[2:3]
; %bb.609:                              ;   in Loop: Header=BB6_136 Depth=3
	s_or_b32 exec_lo, exec_lo, s77
	v_add_nc_u32_e32 v1, 0xffffff81, v5
	v_lshrrev_b32_e32 v3, 23, v0
	s_mov_b32 s13, exec_lo
	s_delay_alu instid0(VALU_DEP_2) | instskip(NEXT) | instid1(VALU_DEP_1)
	v_cndmask_b32_e64 v1, v1, 0xffffff82, vcc_lo
	v_add3_u32 v3, v7, v1, v3
	v_and_b32_e32 v1, 0x1fffff, v2
                                        ; implicit-def: $vgpr2
	s_delay_alu instid0(VALU_DEP_1) | instskip(SKIP_1) | instid1(VALU_DEP_2)
	v_dual_add_nc_u32 v5, 14, v3 :: v_dual_add_nc_u32 v0, v1, v0
	v_mov_b32_e32 v1, v113
	v_cmpx_ne_u32_e32 0, v5
	s_xor_b32 s13, exec_lo, s13
; %bb.610:                              ;   in Loop: Header=BB6_136 Depth=3
	s_delay_alu instid0(VALU_DEP_2) | instskip(SKIP_2) | instid1(VALU_DEP_2)
	v_cmp_lt_u64_e32 vcc_lo, 0xffffff, v[0:1]
	v_add_nc_u32_e32 v2, 15, v3
	v_cndmask_b32_e64 v3, 0, 1, vcc_lo
	v_cndmask_b32_e32 v2, v5, v2, vcc_lo
	s_delay_alu instid0(VALU_DEP_2)
	v_lshrrev_b64 v[0:1], v3, v[0:1]
; %bb.611:                              ;   in Loop: Header=BB6_136 Depth=3
	s_and_not1_saveexec_b32 s13, s13
; %bb.612:                              ;   in Loop: Header=BB6_136 Depth=3
	s_delay_alu instid0(VALU_DEP_1)
	v_bfe_u32 v2, v0, 23, 1
; %bb.613:                              ;   in Loop: Header=BB6_136 Depth=3
	s_or_b32 exec_lo, exec_lo, s13
	s_delay_alu instid0(VALU_DEP_2) | instskip(NEXT) | instid1(VALU_DEP_2)
	v_lshrrev_b64 v[0:1], 21, v[0:1]
	v_cmp_gt_i32_e32 vcc_lo, 32, v2
	v_min_i32_e32 v3, 31, v2
	v_cmp_eq_u32_e64 s13, 0, v2
	s_delay_alu instid0(VALU_DEP_2) | instskip(SKIP_1) | instid1(VALU_DEP_2)
	v_dual_cndmask_b32 v1, 0, v1, vcc_lo :: v_dual_lshlrev_b32 v3, 2, v3
	v_cndmask_b32_e32 v0, 3, v0, vcc_lo
	v_and_b32_e32 v3, 0xfc, v3
	s_delay_alu instid0(VALU_DEP_2) | instskip(NEXT) | instid1(VALU_DEP_2)
	v_cmp_eq_u64_e32 vcc_lo, 0, v[0:1]
	v_and_or_b32 v0, v0, 3, v3
	s_and_b32 s13, s13, vcc_lo
	s_delay_alu instid0(VALU_DEP_1) | instid1(SALU_CYCLE_1)
	v_cndmask_b32_e64 v0, v0, 0, s13
	s_delay_alu instid0(VALU_DEP_1)
	v_or_b32_e32 v0, v0, v4
	scratch_store_b32 off, v0, s33 offset:468 ; 4-byte Folded Spill
.LBB6_614:                              ;   in Loop: Header=BB6_136 Depth=3
	s_wait_xcnt 0x0
	s_or_b32 exec_lo, exec_lo, s76
                                        ; implicit-def: $vgpr4
.LBB6_615:                              ;   in Loop: Header=BB6_136 Depth=3
	s_and_not1_saveexec_b32 s13, s75
	s_cbranch_execz .LBB6_617
; %bb.616:                              ;   in Loop: Header=BB6_136 Depth=3
	v_or_b32_e32 v0, 0x7b, v4
	scratch_store_b32 off, v0, s33 offset:468 ; 4-byte Folded Spill
.LBB6_617:                              ;   in Loop: Header=BB6_136 Depth=3
	s_wait_xcnt 0x0
	s_or_b32 exec_lo, exec_lo, s13
                                        ; implicit-def: $vgpr2
                                        ; implicit-def: $vgpr0_vgpr1
                                        ; implicit-def: $vgpr3
.LBB6_618:                              ;   in Loop: Header=BB6_136 Depth=3
	s_and_not1_saveexec_b32 s13, s74
	s_cbranch_execz .LBB6_624
; %bb.619:                              ;   in Loop: Header=BB6_136 Depth=3
	v_cmp_ne_u64_e32 vcc_lo, 0, v[0:1]
                                        ; implicit-def: $vgpr0
                                        ; kill: killed $vgpr0
	s_and_saveexec_b32 s74, vcc_lo
	s_delay_alu instid0(SALU_CYCLE_1)
	s_xor_b32 s74, exec_lo, s74
	s_cbranch_execz .LBB6_621
; %bb.620:                              ;   in Loop: Header=BB6_136 Depth=3
	v_or_b32_e32 v0, 0x7f, v3
                                        ; implicit-def: $vgpr2
	scratch_store_b32 off, v0, s33 offset:468 ; 4-byte Folded Spill
.LBB6_621:                              ;   in Loop: Header=BB6_136 Depth=3
	s_wait_xcnt 0x0
	s_and_not1_saveexec_b32 s74, s74
	s_cbranch_execz .LBB6_623
; %bb.622:                              ;   in Loop: Header=BB6_136 Depth=3
	v_cmp_lt_i32_e32 vcc_lo, -1, v2
	v_mov_b32_e32 v0, 0x7c
	s_delay_alu instid0(VALU_DEP_1)
	v_cndmask_b32_e32 v0, 0xfc, v0, vcc_lo
	scratch_store_b32 off, v0, s33 offset:468 ; 4-byte Folded Spill
.LBB6_623:                              ;   in Loop: Header=BB6_136 Depth=3
	s_wait_xcnt 0x0
	s_or_b32 exec_lo, exec_lo, s74
.LBB6_624:                              ;   in Loop: Header=BB6_136 Depth=3
	s_delay_alu instid0(SALU_CYCLE_1) | instskip(SKIP_3) | instid1(VALU_DEP_1)
	s_or_b32 exec_lo, exec_lo, s13
	global_load_b128 v[8:11], v[12:13], off offset:512 th:TH_LOAD_NT
	s_wait_loadcnt 0x0
	v_and_b32_e32 v0, 0xff, v8
	v_cmp_ne_u16_e32 vcc_lo, 0, v0
	v_mov_b32_e32 v0, 0
	s_wait_xcnt 0x0
	s_and_saveexec_b32 s13, vcc_lo
	s_cbranch_execz .LBB6_634
; %bb.625:                              ;   in Loop: Header=BB6_136 Depth=3
	v_bfe_i32 v2, v8, 0, 8
	v_bfrev_b32_e32 v0, 1
	s_mov_b32 s74, exec_lo
	s_delay_alu instid0(VALU_DEP_2)
	v_cmpx_ne_u16_e32 0xff80, v2
	s_cbranch_execz .LBB6_633
; %bb.626:                              ;   in Loop: Header=BB6_136 Depth=3
	v_and_b32_e32 v0, 0x7c, v8
	v_and_b32_e32 v1, 3, v8
	s_delay_alu instid0(VALU_DEP_2) | instskip(SKIP_1) | instid1(SALU_CYCLE_1)
	v_cmp_ne_u32_e32 vcc_lo, 0x7c, v0
                                        ; implicit-def: $vgpr0
	s_and_saveexec_b32 s75, vcc_lo
	s_xor_b32 s75, exec_lo, s75
	s_cbranch_execz .LBB6_630
; %bb.627:                              ;   in Loop: Header=BB6_136 Depth=3
	v_bfe_u32 v0, v8, 2, 5
	s_mov_b32 s76, exec_lo
	s_delay_alu instid0(VALU_DEP_1)
	v_cmpx_eq_u32_e32 0, v0
; %bb.628:                              ;   in Loop: Header=BB6_136 Depth=3
	v_clz_i32_u32_e32 v0, v1
	s_delay_alu instid0(VALU_DEP_1) | instskip(NEXT) | instid1(VALU_DEP_1)
	v_min_u32_e32 v0, 32, v0
	v_subrev_nc_u32_e32 v1, 29, v0
	s_delay_alu instid0(VALU_DEP_1) | instskip(NEXT) | instid1(VALU_DEP_1)
	v_lshlrev_b64_e32 v[2:3], v1, v[8:9]
	v_dual_sub_nc_u32 v0, 30, v0 :: v_dual_bitop2_b32 v1, 3, v2 bitop3:0x40
; %bb.629:                              ;   in Loop: Header=BB6_136 Depth=3
	s_or_b32 exec_lo, exec_lo, s76
	v_lshlrev_b32_e32 v2, 24, v8
	s_delay_alu instid0(VALU_DEP_1) | instskip(NEXT) | instid1(VALU_DEP_1)
	v_and_b32_e32 v2, 0x80000000, v2
	v_lshl_add_u32 v0, v0, 23, v2
                                        ; implicit-def: $vgpr2
	s_delay_alu instid0(VALU_DEP_1) | instskip(NEXT) | instid1(VALU_DEP_1)
	v_lshl_or_b32 v0, v1, 21, v0
                                        ; implicit-def: $vgpr1
	v_add_nc_u32_e32 v0, 0x38000000, v0
.LBB6_630:                              ;   in Loop: Header=BB6_136 Depth=3
	s_and_not1_saveexec_b32 s75, s75
; %bb.631:                              ;   in Loop: Header=BB6_136 Depth=3
	v_cmp_lt_i16_e32 vcc_lo, -1, v2
	v_mov_b32_e32 v0, 0x7f800000
	s_delay_alu instid0(VALU_DEP_1) | instskip(SKIP_1) | instid1(VALU_DEP_2)
	v_cndmask_b32_e32 v0, 0xff800000, v0, vcc_lo
	v_cmp_eq_u32_e32 vcc_lo, 0, v1
	v_cndmask_b32_e32 v0, 0x7f800001, v0, vcc_lo
; %bb.632:                              ;   in Loop: Header=BB6_136 Depth=3
	s_or_b32 exec_lo, exec_lo, s75
.LBB6_633:                              ;   in Loop: Header=BB6_136 Depth=3
	s_delay_alu instid0(SALU_CYCLE_1)
	s_or_b32 exec_lo, exec_lo, s74
.LBB6_634:                              ;   in Loop: Header=BB6_136 Depth=3
	s_delay_alu instid0(SALU_CYCLE_1) | instskip(NEXT) | instid1(VALU_DEP_1)
	s_or_b32 exec_lo, exec_lo, s13
	v_dual_mul_f32 v2, s73, v0 :: v_dual_mov_b32 v5, v113
	v_mov_b32_e32 v1, v113
                                        ; implicit-def: $vgpr64
	s_mov_b32 s13, exec_lo
	s_delay_alu instid0(VALU_DEP_2) | instskip(SKIP_2) | instid1(VALU_DEP_3)
	v_and_b32_e32 v4, 0x7f800000, v2
	v_and_b32_e32 v0, 0x7fffff, v2
	v_lshrrev_b32_e32 v3, 24, v2
	v_cmpx_ne_u64_e32 0x7f800000, v[4:5]
	s_xor_b32 s74, exec_lo, s13
	s_cbranch_execz .LBB6_648
; %bb.635:                              ;   in Loop: Header=BB6_136 Depth=3
	v_and_b32_e32 v4, 0x7fffffff, v2
	v_mov_b32_e32 v5, v113
                                        ; implicit-def: $vgpr64
	s_delay_alu instid0(VALU_DEP_1) | instskip(SKIP_2) | instid1(SALU_CYCLE_1)
	v_cmp_gt_u64_e32 vcc_lo, 0x47600001, v[4:5]
	v_and_b32_e32 v4, 0x80, v3
	s_and_saveexec_b32 s13, vcc_lo
	s_xor_b32 s75, exec_lo, s13
	s_cbranch_execz .LBB6_645
; %bb.636:                              ;   in Loop: Header=BB6_136 Depth=3
	v_mov_b32_e32 v64, 0
	s_mov_b32 s76, exec_lo
	v_cmpx_ne_u32_e32 0, v2
	s_cbranch_execz .LBB6_644
; %bb.637:                              ;   in Loop: Header=BB6_136 Depth=3
	v_bfe_u32 v5, v2, 23, 8
	v_or_b32_e32 v14, 0x800000, v0
	s_delay_alu instid0(VALU_DEP_2) | instskip(SKIP_1) | instid1(VALU_DEP_2)
	v_sub_nc_u32_e32 v2, 0x71, v5
	v_cmp_gt_u32_e32 vcc_lo, 0x72, v5
	v_cndmask_b32_e32 v2, 0, v2, vcc_lo
	v_cmp_eq_u32_e32 vcc_lo, 0, v5
	s_delay_alu instid0(VALU_DEP_2) | instskip(NEXT) | instid1(VALU_DEP_1)
	v_cndmask_b32_e64 v7, v2, 0x70, vcc_lo
	v_dual_cndmask_b32 v0, v14, v0, vcc_lo :: v_dual_add_nc_u32 v2, 21, v7
	v_add_nc_u32_e32 v15, 20, v7
	s_delay_alu instid0(VALU_DEP_2) | instskip(NEXT) | instid1(VALU_DEP_2)
	v_lshlrev_b64_e64 v[2:3], v2, -1
	v_lshlrev_b64_e64 v[14:15], v15, 1
	s_delay_alu instid0(VALU_DEP_2) | instskip(SKIP_1) | instid1(VALU_DEP_4)
	v_bfi_b32 v2, v2, 0, v0
	v_lshrrev_b64 v[0:1], v7, v[0:1]
	v_bfi_b32 v3, v3, 0, 0
	s_delay_alu instid0(VALU_DEP_1) | instskip(NEXT) | instid1(VALU_DEP_3)
	v_cmp_eq_u64_e64 s13, v[2:3], v[14:15]
	v_mov_b64_e32 v[2:3], v[0:1]
	s_and_saveexec_b32 s77, s13
; %bb.638:                              ;   in Loop: Header=BB6_136 Depth=3
	v_bfe_u32 v2, v0, 21, 1
	v_mov_b32_e32 v3, v113
	s_delay_alu instid0(VALU_DEP_1) | instskip(NEXT) | instid1(VALU_DEP_1)
	v_add_nc_u64_e32 v[2:3], v[0:1], v[2:3]
	v_add_nc_u64_e32 v[2:3], -1, v[2:3]
; %bb.639:                              ;   in Loop: Header=BB6_136 Depth=3
	s_or_b32 exec_lo, exec_lo, s77
	v_add_nc_u32_e32 v1, 0xffffff81, v5
	v_lshrrev_b32_e32 v3, 23, v0
	s_mov_b32 s13, exec_lo
	s_delay_alu instid0(VALU_DEP_2) | instskip(NEXT) | instid1(VALU_DEP_1)
	v_cndmask_b32_e64 v1, v1, 0xffffff82, vcc_lo
	v_add3_u32 v3, v7, v1, v3
	v_and_b32_e32 v1, 0x1fffff, v2
                                        ; implicit-def: $vgpr2
	s_delay_alu instid0(VALU_DEP_1) | instskip(SKIP_1) | instid1(VALU_DEP_2)
	v_dual_add_nc_u32 v5, 14, v3 :: v_dual_add_nc_u32 v0, v1, v0
	v_mov_b32_e32 v1, v113
	v_cmpx_ne_u32_e32 0, v5
	s_xor_b32 s13, exec_lo, s13
; %bb.640:                              ;   in Loop: Header=BB6_136 Depth=3
	s_delay_alu instid0(VALU_DEP_2) | instskip(SKIP_2) | instid1(VALU_DEP_2)
	v_cmp_lt_u64_e32 vcc_lo, 0xffffff, v[0:1]
	v_add_nc_u32_e32 v2, 15, v3
	v_cndmask_b32_e64 v3, 0, 1, vcc_lo
	v_cndmask_b32_e32 v2, v5, v2, vcc_lo
	s_delay_alu instid0(VALU_DEP_2)
	v_lshrrev_b64 v[0:1], v3, v[0:1]
; %bb.641:                              ;   in Loop: Header=BB6_136 Depth=3
	s_and_not1_saveexec_b32 s13, s13
; %bb.642:                              ;   in Loop: Header=BB6_136 Depth=3
	s_delay_alu instid0(VALU_DEP_1)
	v_bfe_u32 v2, v0, 23, 1
; %bb.643:                              ;   in Loop: Header=BB6_136 Depth=3
	s_or_b32 exec_lo, exec_lo, s13
	s_delay_alu instid0(VALU_DEP_2) | instskip(NEXT) | instid1(VALU_DEP_2)
	v_lshrrev_b64 v[0:1], 21, v[0:1]
	v_cmp_gt_i32_e32 vcc_lo, 32, v2
	v_min_i32_e32 v3, 31, v2
	v_cmp_eq_u32_e64 s13, 0, v2
	s_delay_alu instid0(VALU_DEP_2) | instskip(SKIP_1) | instid1(VALU_DEP_2)
	v_dual_cndmask_b32 v1, 0, v1, vcc_lo :: v_dual_lshlrev_b32 v3, 2, v3
	v_cndmask_b32_e32 v0, 3, v0, vcc_lo
	v_and_b32_e32 v3, 0xfc, v3
	s_delay_alu instid0(VALU_DEP_2) | instskip(NEXT) | instid1(VALU_DEP_2)
	v_cmp_eq_u64_e32 vcc_lo, 0, v[0:1]
	v_and_or_b32 v0, v0, 3, v3
	s_and_b32 s13, s13, vcc_lo
	s_delay_alu instid0(VALU_DEP_1) | instid1(SALU_CYCLE_1)
	v_cndmask_b32_e64 v0, v0, 0, s13
	s_delay_alu instid0(VALU_DEP_1)
	v_or_b32_e32 v64, v0, v4
.LBB6_644:                              ;   in Loop: Header=BB6_136 Depth=3
	s_or_b32 exec_lo, exec_lo, s76
                                        ; implicit-def: $vgpr4
.LBB6_645:                              ;   in Loop: Header=BB6_136 Depth=3
	s_and_not1_saveexec_b32 s13, s75
; %bb.646:                              ;   in Loop: Header=BB6_136 Depth=3
	v_or_b32_e32 v64, 0x7b, v4
; %bb.647:                              ;   in Loop: Header=BB6_136 Depth=3
	s_or_b32 exec_lo, exec_lo, s13
                                        ; implicit-def: $vgpr2
                                        ; implicit-def: $vgpr0_vgpr1
                                        ; implicit-def: $vgpr3
.LBB6_648:                              ;   in Loop: Header=BB6_136 Depth=3
	s_and_not1_saveexec_b32 s13, s74
	s_cbranch_execz .LBB6_654
; %bb.649:                              ;   in Loop: Header=BB6_136 Depth=3
	s_mov_b32 s74, exec_lo
                                        ; implicit-def: $vgpr64
	v_cmpx_ne_u64_e32 0, v[0:1]
	s_xor_b32 s74, exec_lo, s74
; %bb.650:                              ;   in Loop: Header=BB6_136 Depth=3
	v_or_b32_e32 v64, 0x7f, v3
                                        ; implicit-def: $vgpr2
; %bb.651:                              ;   in Loop: Header=BB6_136 Depth=3
	s_and_not1_saveexec_b32 s74, s74
; %bb.652:                              ;   in Loop: Header=BB6_136 Depth=3
	v_cmp_lt_i32_e32 vcc_lo, -1, v2
	v_mov_b32_e32 v0, 0x7c
	s_delay_alu instid0(VALU_DEP_1)
	v_cndmask_b32_e32 v64, 0xfc, v0, vcc_lo
; %bb.653:                              ;   in Loop: Header=BB6_136 Depth=3
	s_or_b32 exec_lo, exec_lo, s74
.LBB6_654:                              ;   in Loop: Header=BB6_136 Depth=3
	s_delay_alu instid0(SALU_CYCLE_1) | instskip(SKIP_3) | instid1(VALU_DEP_2)
	s_or_b32 exec_lo, exec_lo, s13
	v_lshrrev_b16 v0, 8, v8
	v_mov_b32_e32 v2, 0
	s_mov_b32 s13, exec_lo
	v_cmpx_ne_u16_e32 0, v0
	s_cbranch_execz .LBB6_664
; %bb.655:                              ;   in Loop: Header=BB6_136 Depth=3
	v_bfrev_b32_e32 v2, 1
	s_mov_b32 s74, exec_lo
	v_cmpx_ne_u16_e32 0x80, v0
	s_cbranch_execz .LBB6_663
; %bb.656:                              ;   in Loop: Header=BB6_136 Depth=3
	v_and_b32_e32 v3, 0xffff, v0
	s_delay_alu instid0(VALU_DEP_1) | instskip(SKIP_1) | instid1(VALU_DEP_2)
	v_and_b32_e32 v2, 0x7c, v3
	v_and_b32_e32 v1, 3, v3
	v_cmp_ne_u32_e32 vcc_lo, 0x7c, v2
                                        ; implicit-def: $vgpr2
	s_and_saveexec_b32 s75, vcc_lo
	s_delay_alu instid0(SALU_CYCLE_1)
	s_xor_b32 s75, exec_lo, s75
	s_cbranch_execz .LBB6_660
; %bb.657:                              ;   in Loop: Header=BB6_136 Depth=3
	v_bfe_u32 v2, v3, 2, 5
	s_mov_b32 s76, exec_lo
	s_delay_alu instid0(VALU_DEP_1)
	v_cmpx_eq_u32_e32 0, v2
	s_cbranch_execz .LBB6_659
; %bb.658:                              ;   in Loop: Header=BB6_136 Depth=3
	v_clz_i32_u32_e32 v1, v1
	s_delay_alu instid0(VALU_DEP_1) | instskip(SKIP_1) | instid1(VALU_DEP_2)
	v_min_u32_e32 v2, 32, v1
	v_mov_b32_e32 v1, v113
	v_subrev_nc_u32_e32 v3, 29, v2
	v_sub_nc_u32_e32 v2, 30, v2
	s_delay_alu instid0(VALU_DEP_2) | instskip(NEXT) | instid1(VALU_DEP_1)
	v_lshlrev_b64_e32 v[0:1], v3, v[0:1]
	v_and_b32_e32 v1, 3, v0
.LBB6_659:                              ;   in Loop: Header=BB6_136 Depth=3
	s_or_b32 exec_lo, exec_lo, s76
	v_lshlrev_b32_e32 v0, 16, v8
	s_delay_alu instid0(VALU_DEP_1) | instskip(NEXT) | instid1(VALU_DEP_1)
	v_and_b32_e32 v0, 0x80000000, v0
	v_lshl_add_u32 v0, v2, 23, v0
	s_delay_alu instid0(VALU_DEP_1) | instskip(NEXT) | instid1(VALU_DEP_1)
	v_lshl_or_b32 v0, v1, 21, v0
                                        ; implicit-def: $vgpr1
	v_add_nc_u32_e32 v2, 0x38000000, v0
.LBB6_660:                              ;   in Loop: Header=BB6_136 Depth=3
	s_and_not1_saveexec_b32 s75, s75
; %bb.661:                              ;   in Loop: Header=BB6_136 Depth=3
	v_cmp_lt_i16_e32 vcc_lo, -1, v8
	v_mov_b32_e32 v0, 0x7f800000
	s_delay_alu instid0(VALU_DEP_1) | instskip(SKIP_1) | instid1(VALU_DEP_2)
	v_cndmask_b32_e32 v0, 0xff800000, v0, vcc_lo
	v_cmp_eq_u32_e32 vcc_lo, 0, v1
	v_cndmask_b32_e32 v2, 0x7f800001, v0, vcc_lo
; %bb.662:                              ;   in Loop: Header=BB6_136 Depth=3
	s_or_b32 exec_lo, exec_lo, s75
.LBB6_663:                              ;   in Loop: Header=BB6_136 Depth=3
	s_delay_alu instid0(SALU_CYCLE_1)
	s_or_b32 exec_lo, exec_lo, s74
.LBB6_664:                              ;   in Loop: Header=BB6_136 Depth=3
	s_delay_alu instid0(SALU_CYCLE_1) | instskip(NEXT) | instid1(VALU_DEP_1)
	s_or_b32 exec_lo, exec_lo, s13
	v_dual_mul_f32 v2, s73, v2 :: v_dual_mov_b32 v5, v113
	v_mov_b32_e32 v1, v113
                                        ; implicit-def: $vgpr42
	s_mov_b32 s13, exec_lo
	s_delay_alu instid0(VALU_DEP_2) | instskip(SKIP_2) | instid1(VALU_DEP_3)
	v_and_b32_e32 v4, 0x7f800000, v2
	v_and_b32_e32 v0, 0x7fffff, v2
	v_lshrrev_b32_e32 v3, 24, v2
	v_cmpx_ne_u64_e32 0x7f800000, v[4:5]
	s_xor_b32 s74, exec_lo, s13
	s_cbranch_execz .LBB6_678
; %bb.665:                              ;   in Loop: Header=BB6_136 Depth=3
	v_and_b32_e32 v4, 0x7fffffff, v2
	v_mov_b32_e32 v5, v113
                                        ; implicit-def: $vgpr42
	s_delay_alu instid0(VALU_DEP_1) | instskip(SKIP_2) | instid1(SALU_CYCLE_1)
	v_cmp_gt_u64_e32 vcc_lo, 0x47600001, v[4:5]
	v_and_b32_e32 v4, 0x80, v3
	s_and_saveexec_b32 s13, vcc_lo
	s_xor_b32 s75, exec_lo, s13
	s_cbranch_execz .LBB6_675
; %bb.666:                              ;   in Loop: Header=BB6_136 Depth=3
	v_mov_b32_e32 v42, 0
	s_mov_b32 s76, exec_lo
	v_cmpx_ne_u32_e32 0, v2
	s_cbranch_execz .LBB6_674
; %bb.667:                              ;   in Loop: Header=BB6_136 Depth=3
	v_bfe_u32 v5, v2, 23, 8
	v_or_b32_e32 v14, 0x800000, v0
	s_delay_alu instid0(VALU_DEP_2) | instskip(SKIP_1) | instid1(VALU_DEP_2)
	v_sub_nc_u32_e32 v2, 0x71, v5
	v_cmp_gt_u32_e32 vcc_lo, 0x72, v5
	v_cndmask_b32_e32 v2, 0, v2, vcc_lo
	v_cmp_eq_u32_e32 vcc_lo, 0, v5
	s_delay_alu instid0(VALU_DEP_2) | instskip(NEXT) | instid1(VALU_DEP_1)
	v_cndmask_b32_e64 v7, v2, 0x70, vcc_lo
	v_dual_cndmask_b32 v0, v14, v0, vcc_lo :: v_dual_add_nc_u32 v2, 21, v7
	v_add_nc_u32_e32 v15, 20, v7
	s_delay_alu instid0(VALU_DEP_2) | instskip(NEXT) | instid1(VALU_DEP_2)
	v_lshlrev_b64_e64 v[2:3], v2, -1
	v_lshlrev_b64_e64 v[14:15], v15, 1
	s_delay_alu instid0(VALU_DEP_2) | instskip(SKIP_1) | instid1(VALU_DEP_4)
	v_bfi_b32 v2, v2, 0, v0
	v_lshrrev_b64 v[0:1], v7, v[0:1]
	v_bfi_b32 v3, v3, 0, 0
	s_delay_alu instid0(VALU_DEP_1) | instskip(NEXT) | instid1(VALU_DEP_3)
	v_cmp_eq_u64_e64 s13, v[2:3], v[14:15]
	v_mov_b64_e32 v[2:3], v[0:1]
	s_and_saveexec_b32 s77, s13
; %bb.668:                              ;   in Loop: Header=BB6_136 Depth=3
	v_bfe_u32 v2, v0, 21, 1
	v_mov_b32_e32 v3, v113
	s_delay_alu instid0(VALU_DEP_1) | instskip(NEXT) | instid1(VALU_DEP_1)
	v_add_nc_u64_e32 v[2:3], v[0:1], v[2:3]
	v_add_nc_u64_e32 v[2:3], -1, v[2:3]
; %bb.669:                              ;   in Loop: Header=BB6_136 Depth=3
	s_or_b32 exec_lo, exec_lo, s77
	v_add_nc_u32_e32 v1, 0xffffff81, v5
	v_lshrrev_b32_e32 v3, 23, v0
	s_mov_b32 s13, exec_lo
	s_delay_alu instid0(VALU_DEP_2) | instskip(NEXT) | instid1(VALU_DEP_1)
	v_cndmask_b32_e64 v1, v1, 0xffffff82, vcc_lo
	v_add3_u32 v3, v7, v1, v3
	v_and_b32_e32 v1, 0x1fffff, v2
                                        ; implicit-def: $vgpr2
	s_delay_alu instid0(VALU_DEP_1) | instskip(SKIP_1) | instid1(VALU_DEP_2)
	v_dual_add_nc_u32 v5, 14, v3 :: v_dual_add_nc_u32 v0, v1, v0
	v_mov_b32_e32 v1, v113
	v_cmpx_ne_u32_e32 0, v5
	s_xor_b32 s13, exec_lo, s13
; %bb.670:                              ;   in Loop: Header=BB6_136 Depth=3
	s_delay_alu instid0(VALU_DEP_2) | instskip(SKIP_2) | instid1(VALU_DEP_2)
	v_cmp_lt_u64_e32 vcc_lo, 0xffffff, v[0:1]
	v_add_nc_u32_e32 v2, 15, v3
	v_cndmask_b32_e64 v3, 0, 1, vcc_lo
	v_cndmask_b32_e32 v2, v5, v2, vcc_lo
	s_delay_alu instid0(VALU_DEP_2)
	v_lshrrev_b64 v[0:1], v3, v[0:1]
; %bb.671:                              ;   in Loop: Header=BB6_136 Depth=3
	s_and_not1_saveexec_b32 s13, s13
; %bb.672:                              ;   in Loop: Header=BB6_136 Depth=3
	s_delay_alu instid0(VALU_DEP_1)
	v_bfe_u32 v2, v0, 23, 1
; %bb.673:                              ;   in Loop: Header=BB6_136 Depth=3
	s_or_b32 exec_lo, exec_lo, s13
	s_delay_alu instid0(VALU_DEP_2) | instskip(NEXT) | instid1(VALU_DEP_2)
	v_lshrrev_b64 v[0:1], 21, v[0:1]
	v_cmp_gt_i32_e32 vcc_lo, 32, v2
	v_min_i32_e32 v3, 31, v2
	v_cmp_eq_u32_e64 s13, 0, v2
	s_delay_alu instid0(VALU_DEP_2) | instskip(SKIP_1) | instid1(VALU_DEP_2)
	v_dual_cndmask_b32 v1, 0, v1, vcc_lo :: v_dual_lshlrev_b32 v3, 2, v3
	v_cndmask_b32_e32 v0, 3, v0, vcc_lo
	v_and_b32_e32 v3, 0xfc, v3
	s_delay_alu instid0(VALU_DEP_2) | instskip(NEXT) | instid1(VALU_DEP_2)
	v_cmp_eq_u64_e32 vcc_lo, 0, v[0:1]
	v_and_or_b32 v0, v0, 3, v3
	s_and_b32 s13, s13, vcc_lo
	s_delay_alu instid0(VALU_DEP_1) | instid1(SALU_CYCLE_1)
	v_cndmask_b32_e64 v0, v0, 0, s13
	s_delay_alu instid0(VALU_DEP_1)
	v_or_b32_e32 v42, v0, v4
.LBB6_674:                              ;   in Loop: Header=BB6_136 Depth=3
	s_or_b32 exec_lo, exec_lo, s76
                                        ; implicit-def: $vgpr4
.LBB6_675:                              ;   in Loop: Header=BB6_136 Depth=3
	s_and_not1_saveexec_b32 s13, s75
; %bb.676:                              ;   in Loop: Header=BB6_136 Depth=3
	v_or_b32_e32 v42, 0x7b, v4
; %bb.677:                              ;   in Loop: Header=BB6_136 Depth=3
	s_or_b32 exec_lo, exec_lo, s13
                                        ; implicit-def: $vgpr2
                                        ; implicit-def: $vgpr0_vgpr1
                                        ; implicit-def: $vgpr3
.LBB6_678:                              ;   in Loop: Header=BB6_136 Depth=3
	s_and_not1_saveexec_b32 s13, s74
	s_cbranch_execz .LBB6_684
; %bb.679:                              ;   in Loop: Header=BB6_136 Depth=3
	s_mov_b32 s74, exec_lo
                                        ; implicit-def: $vgpr42
	v_cmpx_ne_u64_e32 0, v[0:1]
	s_xor_b32 s74, exec_lo, s74
; %bb.680:                              ;   in Loop: Header=BB6_136 Depth=3
	v_or_b32_e32 v42, 0x7f, v3
                                        ; implicit-def: $vgpr2
; %bb.681:                              ;   in Loop: Header=BB6_136 Depth=3
	s_and_not1_saveexec_b32 s74, s74
; %bb.682:                              ;   in Loop: Header=BB6_136 Depth=3
	v_cmp_lt_i32_e32 vcc_lo, -1, v2
	v_mov_b32_e32 v0, 0x7c
	s_delay_alu instid0(VALU_DEP_1)
	v_cndmask_b32_e32 v42, 0xfc, v0, vcc_lo
; %bb.683:                              ;   in Loop: Header=BB6_136 Depth=3
	s_or_b32 exec_lo, exec_lo, s74
.LBB6_684:                              ;   in Loop: Header=BB6_136 Depth=3
	s_delay_alu instid0(SALU_CYCLE_1) | instskip(SKIP_2) | instid1(VALU_DEP_1)
	s_or_b32 exec_lo, exec_lo, s13
	v_dual_lshrrev_b32 v0, 16, v8 :: v_dual_mov_b32 v2, 0
	s_mov_b32 s13, exec_lo
	v_and_b32_e32 v1, 0xff, v0
	s_delay_alu instid0(VALU_DEP_1)
	v_cmpx_ne_u16_e32 0, v1
	s_cbranch_execz .LBB6_694
; %bb.685:                              ;   in Loop: Header=BB6_136 Depth=3
	v_bfrev_b32_e32 v2, 1
	s_mov_b32 s74, exec_lo
	v_cmpx_ne_u16_e32 0x80, v1
	s_cbranch_execz .LBB6_693
; %bb.686:                              ;   in Loop: Header=BB6_136 Depth=3
	v_and_b32_e32 v2, 0x7c0000, v8
	v_bfe_u32 v1, v8, 16, 2
	s_delay_alu instid0(VALU_DEP_2) | instskip(SKIP_1) | instid1(SALU_CYCLE_1)
	v_cmp_ne_u32_e32 vcc_lo, 0x7c0000, v2
                                        ; implicit-def: $vgpr2
	s_and_saveexec_b32 s75, vcc_lo
	s_xor_b32 s75, exec_lo, s75
	s_cbranch_execz .LBB6_690
; %bb.687:                              ;   in Loop: Header=BB6_136 Depth=3
	v_bfe_u32 v2, v8, 18, 5
	s_mov_b32 s76, exec_lo
	s_delay_alu instid0(VALU_DEP_1)
	v_cmpx_eq_u32_e32 0, v2
; %bb.688:                              ;   in Loop: Header=BB6_136 Depth=3
	v_clz_i32_u32_e32 v1, v1
	s_delay_alu instid0(VALU_DEP_1) | instskip(NEXT) | instid1(VALU_DEP_1)
	v_min_u32_e32 v1, 32, v1
	v_subrev_nc_u32_e32 v2, 29, v1
	s_delay_alu instid0(VALU_DEP_1) | instskip(NEXT) | instid1(VALU_DEP_1)
	v_lshlrev_b64_e32 v[4:5], v2, v[0:1]
	v_dual_sub_nc_u32 v2, 30, v1 :: v_dual_bitop2_b32 v1, 3, v4 bitop3:0x40
; %bb.689:                              ;   in Loop: Header=BB6_136 Depth=3
	s_or_b32 exec_lo, exec_lo, s76
	v_lshlrev_b32_e32 v0, 24, v0
	s_delay_alu instid0(VALU_DEP_1) | instskip(NEXT) | instid1(VALU_DEP_1)
	v_and_b32_e32 v0, 0x80000000, v0
	v_lshl_add_u32 v0, v2, 23, v0
	s_delay_alu instid0(VALU_DEP_1) | instskip(NEXT) | instid1(VALU_DEP_1)
	v_lshl_or_b32 v0, v1, 21, v0
                                        ; implicit-def: $vgpr1
	v_add_nc_u32_e32 v2, 0x38000000, v0
                                        ; implicit-def: $vgpr0
.LBB6_690:                              ;   in Loop: Header=BB6_136 Depth=3
	s_and_not1_saveexec_b32 s75, s75
; %bb.691:                              ;   in Loop: Header=BB6_136 Depth=3
	v_bfe_i32 v0, v0, 0, 8
	s_delay_alu instid0(VALU_DEP_1) | instskip(SKIP_1) | instid1(VALU_DEP_1)
	v_cmp_lt_i16_e32 vcc_lo, -1, v0
	v_mov_b32_e32 v0, 0x7f800000
	v_cndmask_b32_e32 v0, 0xff800000, v0, vcc_lo
	v_cmp_eq_u32_e32 vcc_lo, 0, v1
	s_delay_alu instid0(VALU_DEP_2)
	v_cndmask_b32_e32 v2, 0x7f800001, v0, vcc_lo
; %bb.692:                              ;   in Loop: Header=BB6_136 Depth=3
	s_or_b32 exec_lo, exec_lo, s75
.LBB6_693:                              ;   in Loop: Header=BB6_136 Depth=3
	s_delay_alu instid0(SALU_CYCLE_1)
	s_or_b32 exec_lo, exec_lo, s74
.LBB6_694:                              ;   in Loop: Header=BB6_136 Depth=3
	s_delay_alu instid0(SALU_CYCLE_1) | instskip(NEXT) | instid1(VALU_DEP_1)
	s_or_b32 exec_lo, exec_lo, s13
	v_dual_mul_f32 v2, s73, v2 :: v_dual_mov_b32 v5, v113
	s_delay_alu instid0(VALU_DEP_1) | instskip(SKIP_2) | instid1(VALU_DEP_2)
	v_dual_mov_b32 v1, v113 :: v_dual_lshrrev_b32 v3, 24, v2
	v_and_b32_e32 v4, 0x7f800000, v2
	v_and_b32_e32 v0, 0x7fffff, v2
	v_cmp_ne_u64_e32 vcc_lo, 0x7f800000, v[4:5]
                                        ; implicit-def: $vgpr4
                                        ; kill: killed $vgpr4
	s_and_saveexec_b32 s13, vcc_lo
	s_delay_alu instid0(SALU_CYCLE_1)
	s_xor_b32 s74, exec_lo, s13
	s_cbranch_execz .LBB6_708
; %bb.695:                              ;   in Loop: Header=BB6_136 Depth=3
	v_and_b32_e32 v4, 0x7fffffff, v2
	v_mov_b32_e32 v5, v113
	s_delay_alu instid0(VALU_DEP_1) | instskip(SKIP_2) | instid1(SALU_CYCLE_1)
	v_cmp_gt_u64_e32 vcc_lo, 0x47600001, v[4:5]
	v_and_b32_e32 v4, 0x80, v3
                                        ; implicit-def: $vgpr3
                                        ; kill: killed $vgpr3
	s_and_saveexec_b32 s13, vcc_lo
	s_xor_b32 s75, exec_lo, s13
	s_cbranch_execz .LBB6_705
; %bb.696:                              ;   in Loop: Header=BB6_136 Depth=3
	v_mov_b32_e32 v3, 0
	s_mov_b32 s76, exec_lo
	scratch_store_b32 off, v3, s33 offset:472 ; 4-byte Folded Spill
	s_wait_xcnt 0x0
	v_cmpx_ne_u32_e32 0, v2
	s_cbranch_execz .LBB6_704
; %bb.697:                              ;   in Loop: Header=BB6_136 Depth=3
	v_bfe_u32 v5, v2, 23, 8
	v_or_b32_e32 v14, 0x800000, v0
	s_delay_alu instid0(VALU_DEP_2) | instskip(SKIP_1) | instid1(VALU_DEP_2)
	v_sub_nc_u32_e32 v2, 0x71, v5
	v_cmp_gt_u32_e32 vcc_lo, 0x72, v5
	v_cndmask_b32_e32 v2, 0, v2, vcc_lo
	v_cmp_eq_u32_e32 vcc_lo, 0, v5
	s_delay_alu instid0(VALU_DEP_2) | instskip(NEXT) | instid1(VALU_DEP_1)
	v_cndmask_b32_e64 v7, v2, 0x70, vcc_lo
	v_dual_cndmask_b32 v0, v14, v0, vcc_lo :: v_dual_add_nc_u32 v2, 21, v7
	v_add_nc_u32_e32 v15, 20, v7
	s_delay_alu instid0(VALU_DEP_2) | instskip(NEXT) | instid1(VALU_DEP_2)
	v_lshlrev_b64_e64 v[2:3], v2, -1
	v_lshlrev_b64_e64 v[14:15], v15, 1
	s_delay_alu instid0(VALU_DEP_2) | instskip(SKIP_1) | instid1(VALU_DEP_4)
	v_bfi_b32 v2, v2, 0, v0
	v_lshrrev_b64 v[0:1], v7, v[0:1]
	v_bfi_b32 v3, v3, 0, 0
	s_delay_alu instid0(VALU_DEP_1) | instskip(NEXT) | instid1(VALU_DEP_3)
	v_cmp_eq_u64_e64 s13, v[2:3], v[14:15]
	v_mov_b64_e32 v[2:3], v[0:1]
	s_and_saveexec_b32 s77, s13
; %bb.698:                              ;   in Loop: Header=BB6_136 Depth=3
	v_bfe_u32 v2, v0, 21, 1
	v_mov_b32_e32 v3, v113
	s_delay_alu instid0(VALU_DEP_1) | instskip(NEXT) | instid1(VALU_DEP_1)
	v_add_nc_u64_e32 v[2:3], v[0:1], v[2:3]
	v_add_nc_u64_e32 v[2:3], -1, v[2:3]
; %bb.699:                              ;   in Loop: Header=BB6_136 Depth=3
	s_or_b32 exec_lo, exec_lo, s77
	v_add_nc_u32_e32 v1, 0xffffff81, v5
	v_lshrrev_b32_e32 v3, 23, v0
	s_mov_b32 s13, exec_lo
	s_delay_alu instid0(VALU_DEP_2) | instskip(NEXT) | instid1(VALU_DEP_1)
	v_cndmask_b32_e64 v1, v1, 0xffffff82, vcc_lo
	v_add3_u32 v3, v7, v1, v3
	v_and_b32_e32 v1, 0x1fffff, v2
                                        ; implicit-def: $vgpr2
	s_delay_alu instid0(VALU_DEP_1) | instskip(SKIP_1) | instid1(VALU_DEP_2)
	v_dual_add_nc_u32 v5, 14, v3 :: v_dual_add_nc_u32 v0, v1, v0
	v_mov_b32_e32 v1, v113
	v_cmpx_ne_u32_e32 0, v5
	s_xor_b32 s13, exec_lo, s13
; %bb.700:                              ;   in Loop: Header=BB6_136 Depth=3
	s_delay_alu instid0(VALU_DEP_2) | instskip(SKIP_2) | instid1(VALU_DEP_2)
	v_cmp_lt_u64_e32 vcc_lo, 0xffffff, v[0:1]
	v_add_nc_u32_e32 v2, 15, v3
	v_cndmask_b32_e64 v3, 0, 1, vcc_lo
	v_cndmask_b32_e32 v2, v5, v2, vcc_lo
	s_delay_alu instid0(VALU_DEP_2)
	v_lshrrev_b64 v[0:1], v3, v[0:1]
; %bb.701:                              ;   in Loop: Header=BB6_136 Depth=3
	s_and_not1_saveexec_b32 s13, s13
; %bb.702:                              ;   in Loop: Header=BB6_136 Depth=3
	s_delay_alu instid0(VALU_DEP_1)
	v_bfe_u32 v2, v0, 23, 1
; %bb.703:                              ;   in Loop: Header=BB6_136 Depth=3
	s_or_b32 exec_lo, exec_lo, s13
	s_delay_alu instid0(VALU_DEP_2) | instskip(NEXT) | instid1(VALU_DEP_2)
	v_lshrrev_b64 v[0:1], 21, v[0:1]
	v_cmp_gt_i32_e32 vcc_lo, 32, v2
	v_min_i32_e32 v3, 31, v2
	v_cmp_eq_u32_e64 s13, 0, v2
	s_delay_alu instid0(VALU_DEP_2) | instskip(SKIP_1) | instid1(VALU_DEP_2)
	v_dual_cndmask_b32 v1, 0, v1, vcc_lo :: v_dual_lshlrev_b32 v3, 2, v3
	v_cndmask_b32_e32 v0, 3, v0, vcc_lo
	v_and_b32_e32 v3, 0xfc, v3
	s_delay_alu instid0(VALU_DEP_2) | instskip(NEXT) | instid1(VALU_DEP_2)
	v_cmp_eq_u64_e32 vcc_lo, 0, v[0:1]
	v_and_or_b32 v0, v0, 3, v3
	s_and_b32 s13, s13, vcc_lo
	s_delay_alu instid0(VALU_DEP_1) | instid1(SALU_CYCLE_1)
	v_cndmask_b32_e64 v0, v0, 0, s13
	s_delay_alu instid0(VALU_DEP_1)
	v_or_b32_e32 v0, v0, v4
	scratch_store_b32 off, v0, s33 offset:472 ; 4-byte Folded Spill
.LBB6_704:                              ;   in Loop: Header=BB6_136 Depth=3
	s_wait_xcnt 0x0
	s_or_b32 exec_lo, exec_lo, s76
                                        ; implicit-def: $vgpr4
.LBB6_705:                              ;   in Loop: Header=BB6_136 Depth=3
	s_and_not1_saveexec_b32 s13, s75
	s_cbranch_execz .LBB6_707
; %bb.706:                              ;   in Loop: Header=BB6_136 Depth=3
	v_or_b32_e32 v0, 0x7b, v4
	scratch_store_b32 off, v0, s33 offset:472 ; 4-byte Folded Spill
.LBB6_707:                              ;   in Loop: Header=BB6_136 Depth=3
	s_wait_xcnt 0x0
	s_or_b32 exec_lo, exec_lo, s13
                                        ; implicit-def: $vgpr2
                                        ; implicit-def: $vgpr0_vgpr1
                                        ; implicit-def: $vgpr3
.LBB6_708:                              ;   in Loop: Header=BB6_136 Depth=3
	s_and_not1_saveexec_b32 s13, s74
	s_cbranch_execz .LBB6_714
; %bb.709:                              ;   in Loop: Header=BB6_136 Depth=3
	v_cmp_ne_u64_e32 vcc_lo, 0, v[0:1]
                                        ; implicit-def: $vgpr0
                                        ; kill: killed $vgpr0
	s_and_saveexec_b32 s74, vcc_lo
	s_delay_alu instid0(SALU_CYCLE_1)
	s_xor_b32 s74, exec_lo, s74
	s_cbranch_execz .LBB6_711
; %bb.710:                              ;   in Loop: Header=BB6_136 Depth=3
	v_or_b32_e32 v0, 0x7f, v3
                                        ; implicit-def: $vgpr2
	scratch_store_b32 off, v0, s33 offset:472 ; 4-byte Folded Spill
.LBB6_711:                              ;   in Loop: Header=BB6_136 Depth=3
	s_wait_xcnt 0x0
	s_and_not1_saveexec_b32 s74, s74
	s_cbranch_execz .LBB6_713
; %bb.712:                              ;   in Loop: Header=BB6_136 Depth=3
	v_cmp_lt_i32_e32 vcc_lo, -1, v2
	v_mov_b32_e32 v0, 0x7c
	s_delay_alu instid0(VALU_DEP_1)
	v_cndmask_b32_e32 v0, 0xfc, v0, vcc_lo
	scratch_store_b32 off, v0, s33 offset:472 ; 4-byte Folded Spill
.LBB6_713:                              ;   in Loop: Header=BB6_136 Depth=3
	s_wait_xcnt 0x0
	s_or_b32 exec_lo, exec_lo, s74
.LBB6_714:                              ;   in Loop: Header=BB6_136 Depth=3
	s_delay_alu instid0(SALU_CYCLE_1)
	s_or_b32 exec_lo, exec_lo, s13
	v_mov_b32_e32 v1, 0
	s_mov_b32 s13, exec_lo
	v_cmpx_lt_u32_e32 0xffffff, v8
	s_cbranch_execz .LBB6_724
; %bb.715:                              ;   in Loop: Header=BB6_136 Depth=3
	v_lshrrev_b32_e32 v0, 24, v8
	v_bfrev_b32_e32 v1, 1
	s_mov_b32 s74, exec_lo
	s_delay_alu instid0(VALU_DEP_2)
	v_cmpx_ne_u32_e32 0x80, v0
	s_cbranch_execz .LBB6_723
; %bb.716:                              ;   in Loop: Header=BB6_136 Depth=3
	v_and_b32_e32 v1, 0x7c000000, v8
	v_bfe_u32 v2, v8, 24, 2
	s_delay_alu instid0(VALU_DEP_2) | instskip(SKIP_1) | instid1(SALU_CYCLE_1)
	v_cmp_ne_u32_e32 vcc_lo, 0x7c000000, v1
                                        ; implicit-def: $vgpr1
	s_and_saveexec_b32 s75, vcc_lo
	s_xor_b32 s75, exec_lo, s75
	s_cbranch_execz .LBB6_720
; %bb.717:                              ;   in Loop: Header=BB6_136 Depth=3
	v_bfe_u32 v1, v8, 26, 5
	s_mov_b32 s76, exec_lo
	s_delay_alu instid0(VALU_DEP_1)
	v_cmpx_eq_u32_e32 0, v1
; %bb.718:                              ;   in Loop: Header=BB6_136 Depth=3
	v_clz_i32_u32_e32 v1, v2
	s_delay_alu instid0(VALU_DEP_1) | instskip(NEXT) | instid1(VALU_DEP_1)
	v_min_u32_e32 v2, 32, v1
	v_subrev_nc_u32_e32 v1, 29, v2
	s_delay_alu instid0(VALU_DEP_1) | instskip(NEXT) | instid1(VALU_DEP_1)
	v_lshlrev_b64_e32 v[0:1], v1, v[0:1]
	v_dual_sub_nc_u32 v1, 30, v2 :: v_dual_bitop2_b32 v2, 3, v0 bitop3:0x40
; %bb.719:                              ;   in Loop: Header=BB6_136 Depth=3
	s_or_b32 exec_lo, exec_lo, s76
	v_and_b32_e32 v0, 0x80000000, v8
	s_delay_alu instid0(VALU_DEP_1) | instskip(NEXT) | instid1(VALU_DEP_1)
	v_lshl_add_u32 v0, v1, 23, v0
	v_lshl_or_b32 v0, v2, 21, v0
                                        ; implicit-def: $vgpr2
	s_delay_alu instid0(VALU_DEP_1)
	v_add_nc_u32_e32 v1, 0x38000000, v0
.LBB6_720:                              ;   in Loop: Header=BB6_136 Depth=3
	s_and_not1_saveexec_b32 s75, s75
; %bb.721:                              ;   in Loop: Header=BB6_136 Depth=3
	v_cmp_lt_i32_e32 vcc_lo, -1, v8
	v_mov_b32_e32 v0, 0x7f800000
	s_delay_alu instid0(VALU_DEP_1) | instskip(SKIP_1) | instid1(VALU_DEP_2)
	v_cndmask_b32_e32 v0, 0xff800000, v0, vcc_lo
	v_cmp_eq_u32_e32 vcc_lo, 0, v2
	v_cndmask_b32_e32 v1, 0x7f800001, v0, vcc_lo
; %bb.722:                              ;   in Loop: Header=BB6_136 Depth=3
	s_or_b32 exec_lo, exec_lo, s75
.LBB6_723:                              ;   in Loop: Header=BB6_136 Depth=3
	s_delay_alu instid0(SALU_CYCLE_1)
	s_or_b32 exec_lo, exec_lo, s74
.LBB6_724:                              ;   in Loop: Header=BB6_136 Depth=3
	s_delay_alu instid0(SALU_CYCLE_1) | instskip(NEXT) | instid1(VALU_DEP_1)
	s_or_b32 exec_lo, exec_lo, s13
	v_dual_mul_f32 v2, s73, v1 :: v_dual_mov_b32 v5, v113
	s_delay_alu instid0(VALU_DEP_1) | instskip(SKIP_2) | instid1(VALU_DEP_2)
	v_dual_mov_b32 v1, v113 :: v_dual_lshrrev_b32 v3, 24, v2
	v_and_b32_e32 v4, 0x7f800000, v2
	v_and_b32_e32 v0, 0x7fffff, v2
	v_cmp_ne_u64_e32 vcc_lo, 0x7f800000, v[4:5]
                                        ; implicit-def: $vgpr4
                                        ; kill: killed $vgpr4
	s_and_saveexec_b32 s13, vcc_lo
	s_delay_alu instid0(SALU_CYCLE_1)
	s_xor_b32 s74, exec_lo, s13
	s_cbranch_execz .LBB6_738
; %bb.725:                              ;   in Loop: Header=BB6_136 Depth=3
	v_and_b32_e32 v4, 0x7fffffff, v2
	v_mov_b32_e32 v5, v113
	s_delay_alu instid0(VALU_DEP_1) | instskip(SKIP_2) | instid1(SALU_CYCLE_1)
	v_cmp_gt_u64_e32 vcc_lo, 0x47600001, v[4:5]
	v_and_b32_e32 v4, 0x80, v3
                                        ; implicit-def: $vgpr3
                                        ; kill: killed $vgpr3
	s_and_saveexec_b32 s13, vcc_lo
	s_xor_b32 s75, exec_lo, s13
	s_cbranch_execz .LBB6_735
; %bb.726:                              ;   in Loop: Header=BB6_136 Depth=3
	v_mov_b32_e32 v3, 0
	s_mov_b32 s76, exec_lo
	scratch_store_b32 off, v3, s33 offset:476 ; 4-byte Folded Spill
	s_wait_xcnt 0x0
	v_cmpx_ne_u32_e32 0, v2
	s_cbranch_execz .LBB6_734
; %bb.727:                              ;   in Loop: Header=BB6_136 Depth=3
	v_bfe_u32 v5, v2, 23, 8
	v_or_b32_e32 v14, 0x800000, v0
	s_delay_alu instid0(VALU_DEP_2) | instskip(SKIP_1) | instid1(VALU_DEP_2)
	v_sub_nc_u32_e32 v2, 0x71, v5
	v_cmp_gt_u32_e32 vcc_lo, 0x72, v5
	v_cndmask_b32_e32 v2, 0, v2, vcc_lo
	v_cmp_eq_u32_e32 vcc_lo, 0, v5
	s_delay_alu instid0(VALU_DEP_2) | instskip(NEXT) | instid1(VALU_DEP_1)
	v_cndmask_b32_e64 v7, v2, 0x70, vcc_lo
	v_dual_cndmask_b32 v0, v14, v0, vcc_lo :: v_dual_add_nc_u32 v2, 21, v7
	v_add_nc_u32_e32 v15, 20, v7
	s_delay_alu instid0(VALU_DEP_2) | instskip(NEXT) | instid1(VALU_DEP_2)
	v_lshlrev_b64_e64 v[2:3], v2, -1
	v_lshlrev_b64_e64 v[14:15], v15, 1
	s_delay_alu instid0(VALU_DEP_2) | instskip(SKIP_1) | instid1(VALU_DEP_4)
	v_bfi_b32 v2, v2, 0, v0
	v_lshrrev_b64 v[0:1], v7, v[0:1]
	v_bfi_b32 v3, v3, 0, 0
	s_delay_alu instid0(VALU_DEP_1) | instskip(NEXT) | instid1(VALU_DEP_3)
	v_cmp_eq_u64_e64 s13, v[2:3], v[14:15]
	v_mov_b64_e32 v[2:3], v[0:1]
	s_and_saveexec_b32 s77, s13
; %bb.728:                              ;   in Loop: Header=BB6_136 Depth=3
	v_bfe_u32 v2, v0, 21, 1
	v_mov_b32_e32 v3, v113
	s_delay_alu instid0(VALU_DEP_1) | instskip(NEXT) | instid1(VALU_DEP_1)
	v_add_nc_u64_e32 v[2:3], v[0:1], v[2:3]
	v_add_nc_u64_e32 v[2:3], -1, v[2:3]
; %bb.729:                              ;   in Loop: Header=BB6_136 Depth=3
	s_or_b32 exec_lo, exec_lo, s77
	v_add_nc_u32_e32 v1, 0xffffff81, v5
	v_lshrrev_b32_e32 v3, 23, v0
	s_mov_b32 s13, exec_lo
	s_delay_alu instid0(VALU_DEP_2) | instskip(NEXT) | instid1(VALU_DEP_1)
	v_cndmask_b32_e64 v1, v1, 0xffffff82, vcc_lo
	v_add3_u32 v3, v7, v1, v3
	v_and_b32_e32 v1, 0x1fffff, v2
                                        ; implicit-def: $vgpr2
	s_delay_alu instid0(VALU_DEP_1) | instskip(SKIP_1) | instid1(VALU_DEP_2)
	v_dual_add_nc_u32 v5, 14, v3 :: v_dual_add_nc_u32 v0, v1, v0
	v_mov_b32_e32 v1, v113
	v_cmpx_ne_u32_e32 0, v5
	s_xor_b32 s13, exec_lo, s13
; %bb.730:                              ;   in Loop: Header=BB6_136 Depth=3
	s_delay_alu instid0(VALU_DEP_2) | instskip(SKIP_2) | instid1(VALU_DEP_2)
	v_cmp_lt_u64_e32 vcc_lo, 0xffffff, v[0:1]
	v_add_nc_u32_e32 v2, 15, v3
	v_cndmask_b32_e64 v3, 0, 1, vcc_lo
	v_cndmask_b32_e32 v2, v5, v2, vcc_lo
	s_delay_alu instid0(VALU_DEP_2)
	v_lshrrev_b64 v[0:1], v3, v[0:1]
; %bb.731:                              ;   in Loop: Header=BB6_136 Depth=3
	s_and_not1_saveexec_b32 s13, s13
; %bb.732:                              ;   in Loop: Header=BB6_136 Depth=3
	s_delay_alu instid0(VALU_DEP_1)
	v_bfe_u32 v2, v0, 23, 1
; %bb.733:                              ;   in Loop: Header=BB6_136 Depth=3
	s_or_b32 exec_lo, exec_lo, s13
	s_delay_alu instid0(VALU_DEP_2) | instskip(NEXT) | instid1(VALU_DEP_2)
	v_lshrrev_b64 v[0:1], 21, v[0:1]
	v_cmp_gt_i32_e32 vcc_lo, 32, v2
	v_min_i32_e32 v3, 31, v2
	v_cmp_eq_u32_e64 s13, 0, v2
	s_delay_alu instid0(VALU_DEP_2) | instskip(SKIP_1) | instid1(VALU_DEP_2)
	v_dual_cndmask_b32 v1, 0, v1, vcc_lo :: v_dual_lshlrev_b32 v3, 2, v3
	v_cndmask_b32_e32 v0, 3, v0, vcc_lo
	v_and_b32_e32 v3, 0xfc, v3
	s_delay_alu instid0(VALU_DEP_2) | instskip(NEXT) | instid1(VALU_DEP_2)
	v_cmp_eq_u64_e32 vcc_lo, 0, v[0:1]
	v_and_or_b32 v0, v0, 3, v3
	s_and_b32 s13, s13, vcc_lo
	s_delay_alu instid0(VALU_DEP_1) | instid1(SALU_CYCLE_1)
	v_cndmask_b32_e64 v0, v0, 0, s13
	s_delay_alu instid0(VALU_DEP_1)
	v_or_b32_e32 v0, v0, v4
	scratch_store_b32 off, v0, s33 offset:476 ; 4-byte Folded Spill
.LBB6_734:                              ;   in Loop: Header=BB6_136 Depth=3
	s_wait_xcnt 0x0
	s_or_b32 exec_lo, exec_lo, s76
                                        ; implicit-def: $vgpr4
.LBB6_735:                              ;   in Loop: Header=BB6_136 Depth=3
	s_and_not1_saveexec_b32 s13, s75
	s_cbranch_execz .LBB6_737
; %bb.736:                              ;   in Loop: Header=BB6_136 Depth=3
	v_or_b32_e32 v0, 0x7b, v4
	scratch_store_b32 off, v0, s33 offset:476 ; 4-byte Folded Spill
.LBB6_737:                              ;   in Loop: Header=BB6_136 Depth=3
	s_wait_xcnt 0x0
	s_or_b32 exec_lo, exec_lo, s13
                                        ; implicit-def: $vgpr2
                                        ; implicit-def: $vgpr0_vgpr1
                                        ; implicit-def: $vgpr3
.LBB6_738:                              ;   in Loop: Header=BB6_136 Depth=3
	s_and_not1_saveexec_b32 s13, s74
	s_cbranch_execz .LBB6_744
; %bb.739:                              ;   in Loop: Header=BB6_136 Depth=3
	v_cmp_ne_u64_e32 vcc_lo, 0, v[0:1]
                                        ; implicit-def: $vgpr0
                                        ; kill: killed $vgpr0
	s_and_saveexec_b32 s74, vcc_lo
	s_delay_alu instid0(SALU_CYCLE_1)
	s_xor_b32 s74, exec_lo, s74
	s_cbranch_execz .LBB6_741
; %bb.740:                              ;   in Loop: Header=BB6_136 Depth=3
	v_or_b32_e32 v0, 0x7f, v3
                                        ; implicit-def: $vgpr2
	scratch_store_b32 off, v0, s33 offset:476 ; 4-byte Folded Spill
.LBB6_741:                              ;   in Loop: Header=BB6_136 Depth=3
	s_wait_xcnt 0x0
	s_and_not1_saveexec_b32 s74, s74
	s_cbranch_execz .LBB6_743
; %bb.742:                              ;   in Loop: Header=BB6_136 Depth=3
	v_cmp_lt_i32_e32 vcc_lo, -1, v2
	v_mov_b32_e32 v0, 0x7c
	s_delay_alu instid0(VALU_DEP_1)
	v_cndmask_b32_e32 v0, 0xfc, v0, vcc_lo
	scratch_store_b32 off, v0, s33 offset:476 ; 4-byte Folded Spill
.LBB6_743:                              ;   in Loop: Header=BB6_136 Depth=3
	s_wait_xcnt 0x0
	s_or_b32 exec_lo, exec_lo, s74
.LBB6_744:                              ;   in Loop: Header=BB6_136 Depth=3
	s_delay_alu instid0(SALU_CYCLE_1) | instskip(SKIP_4) | instid1(VALU_DEP_3)
	s_or_b32 exec_lo, exec_lo, s13
	v_and_b32_e32 v2, 0xff, v9
	v_dual_mov_b32 v0, v9 :: v_dual_mov_b32 v1, v113
	v_mov_b32_e32 v3, 0
	s_mov_b32 s13, exec_lo
	v_cmpx_ne_u16_e32 0, v2
	s_cbranch_execz .LBB6_754
; %bb.745:                              ;   in Loop: Header=BB6_136 Depth=3
	v_bfrev_b32_e32 v3, 1
	s_mov_b32 s74, exec_lo
	v_cmpx_ne_u16_e32 0x80, v2
	s_cbranch_execz .LBB6_753
; %bb.746:                              ;   in Loop: Header=BB6_136 Depth=3
	v_and_b32_e32 v3, 0x7c, v9
	v_and_b32_e32 v2, 3, v9
	s_delay_alu instid0(VALU_DEP_2) | instskip(SKIP_1) | instid1(SALU_CYCLE_1)
	v_cmp_ne_u32_e32 vcc_lo, 0x7c, v3
                                        ; implicit-def: $vgpr3
	s_and_saveexec_b32 s75, vcc_lo
	s_xor_b32 s75, exec_lo, s75
	s_cbranch_execz .LBB6_750
; %bb.747:                              ;   in Loop: Header=BB6_136 Depth=3
	v_bfe_u32 v3, v9, 2, 5
	s_mov_b32 s76, exec_lo
	s_delay_alu instid0(VALU_DEP_1)
	v_cmpx_eq_u32_e32 0, v3
; %bb.748:                              ;   in Loop: Header=BB6_136 Depth=3
	v_clz_i32_u32_e32 v2, v2
	s_delay_alu instid0(VALU_DEP_1) | instskip(NEXT) | instid1(VALU_DEP_1)
	v_min_u32_e32 v4, 32, v2
	v_subrev_nc_u32_e32 v2, 29, v4
	s_delay_alu instid0(VALU_DEP_1) | instskip(NEXT) | instid1(VALU_DEP_1)
	v_lshlrev_b64_e32 v[2:3], v2, v[0:1]
	v_dual_sub_nc_u32 v3, 30, v4 :: v_dual_bitop2_b32 v2, 3, v2 bitop3:0x40
; %bb.749:                              ;   in Loop: Header=BB6_136 Depth=3
	s_or_b32 exec_lo, exec_lo, s76
	v_lshlrev_b32_e32 v1, 24, v9
	s_delay_alu instid0(VALU_DEP_1) | instskip(NEXT) | instid1(VALU_DEP_1)
	v_and_b32_e32 v1, 0x80000000, v1
	v_lshl_add_u32 v1, v3, 23, v1
	s_delay_alu instid0(VALU_DEP_1) | instskip(NEXT) | instid1(VALU_DEP_1)
	v_lshl_or_b32 v1, v2, 21, v1
                                        ; implicit-def: $vgpr2
	v_add_nc_u32_e32 v3, 0x38000000, v1
.LBB6_750:                              ;   in Loop: Header=BB6_136 Depth=3
	s_and_not1_saveexec_b32 s75, s75
; %bb.751:                              ;   in Loop: Header=BB6_136 Depth=3
	v_bfe_i32 v1, v9, 0, 8
	s_delay_alu instid0(VALU_DEP_1) | instskip(SKIP_1) | instid1(VALU_DEP_1)
	v_cmp_lt_i16_e32 vcc_lo, -1, v1
	v_mov_b32_e32 v1, 0x7f800000
	v_cndmask_b32_e32 v1, 0xff800000, v1, vcc_lo
	v_cmp_eq_u32_e32 vcc_lo, 0, v2
	s_delay_alu instid0(VALU_DEP_2)
	v_cndmask_b32_e32 v3, 0x7f800001, v1, vcc_lo
; %bb.752:                              ;   in Loop: Header=BB6_136 Depth=3
	s_or_b32 exec_lo, exec_lo, s75
.LBB6_753:                              ;   in Loop: Header=BB6_136 Depth=3
	s_delay_alu instid0(SALU_CYCLE_1)
	s_or_b32 exec_lo, exec_lo, s74
.LBB6_754:                              ;   in Loop: Header=BB6_136 Depth=3
	s_delay_alu instid0(SALU_CYCLE_1) | instskip(NEXT) | instid1(VALU_DEP_1)
	s_or_b32 exec_lo, exec_lo, s13
	v_dual_mul_f32 v4, s73, v3 :: v_dual_mov_b32 v15, v113
	v_mov_b32_e32 v3, v113
                                        ; implicit-def: $vgpr5
                                        ; kill: killed $vgpr5
	s_mov_b32 s13, exec_lo
	s_delay_alu instid0(VALU_DEP_2) | instskip(SKIP_2) | instid1(VALU_DEP_3)
	v_and_b32_e32 v14, 0x7f800000, v4
	v_and_b32_e32 v2, 0x7fffff, v4
	v_lshrrev_b32_e32 v1, 24, v4
	v_cmpx_ne_u64_e32 0x7f800000, v[14:15]
	s_xor_b32 s74, exec_lo, s13
	s_cbranch_execz .LBB6_768
; %bb.755:                              ;   in Loop: Header=BB6_136 Depth=3
	v_and_b32_e32 v14, 0x7fffffff, v4
	v_mov_b32_e32 v15, v113
	v_and_b32_e32 v1, 0x80, v1
                                        ; implicit-def: $vgpr5
                                        ; kill: killed $vgpr5
	s_mov_b32 s13, exec_lo
	s_delay_alu instid0(VALU_DEP_2)
	v_cmpx_gt_u64_e32 0x47600001, v[14:15]
	s_xor_b32 s75, exec_lo, s13
	s_cbranch_execz .LBB6_765
; %bb.756:                              ;   in Loop: Header=BB6_136 Depth=3
	v_mov_b32_e32 v5, 0
	s_mov_b32 s76, exec_lo
	scratch_store_b32 off, v5, s33 offset:480 ; 4-byte Folded Spill
	s_wait_xcnt 0x0
	v_cmpx_ne_u32_e32 0, v4
	s_cbranch_execz .LBB6_764
; %bb.757:                              ;   in Loop: Header=BB6_136 Depth=3
	v_bfe_u32 v7, v4, 23, 8
	v_or_b32_e32 v15, 0x800000, v2
	s_delay_alu instid0(VALU_DEP_2) | instskip(SKIP_1) | instid1(VALU_DEP_2)
	v_sub_nc_u32_e32 v4, 0x71, v7
	v_cmp_gt_u32_e32 vcc_lo, 0x72, v7
	v_cndmask_b32_e32 v4, 0, v4, vcc_lo
	v_cmp_eq_u32_e32 vcc_lo, 0, v7
	s_delay_alu instid0(VALU_DEP_2) | instskip(SKIP_1) | instid1(VALU_DEP_2)
	v_cndmask_b32_e64 v14, v4, 0x70, vcc_lo
	v_cndmask_b32_e32 v2, v15, v2, vcc_lo
	v_dual_add_nc_u32 v4, 21, v14 :: v_dual_add_nc_u32 v16, 20, v14
	s_delay_alu instid0(VALU_DEP_1) | instskip(NEXT) | instid1(VALU_DEP_2)
	v_lshlrev_b64_e64 v[4:5], v4, -1
	v_lshlrev_b64_e64 v[16:17], v16, 1
	s_delay_alu instid0(VALU_DEP_2) | instskip(SKIP_1) | instid1(VALU_DEP_4)
	v_bfi_b32 v4, v4, 0, v2
	v_lshrrev_b64 v[2:3], v14, v[2:3]
	v_bfi_b32 v5, v5, 0, 0
	s_delay_alu instid0(VALU_DEP_1) | instskip(NEXT) | instid1(VALU_DEP_3)
	v_cmp_eq_u64_e64 s13, v[4:5], v[16:17]
	v_mov_b64_e32 v[4:5], v[2:3]
	s_and_saveexec_b32 s77, s13
; %bb.758:                              ;   in Loop: Header=BB6_136 Depth=3
	v_bfe_u32 v4, v2, 21, 1
	v_mov_b32_e32 v5, v113
	s_delay_alu instid0(VALU_DEP_1) | instskip(NEXT) | instid1(VALU_DEP_1)
	v_add_nc_u64_e32 v[4:5], v[2:3], v[4:5]
	v_add_nc_u64_e32 v[4:5], -1, v[4:5]
; %bb.759:                              ;   in Loop: Header=BB6_136 Depth=3
	s_or_b32 exec_lo, exec_lo, s77
	v_add_nc_u32_e32 v3, 0xffffff81, v7
	v_lshrrev_b32_e32 v5, 23, v2
	s_mov_b32 s13, exec_lo
	s_delay_alu instid0(VALU_DEP_2) | instskip(NEXT) | instid1(VALU_DEP_1)
	v_cndmask_b32_e64 v3, v3, 0xffffff82, vcc_lo
	v_add3_u32 v5, v14, v3, v5
	v_and_b32_e32 v3, 0x1fffff, v4
                                        ; implicit-def: $vgpr4
	s_delay_alu instid0(VALU_DEP_1) | instskip(SKIP_1) | instid1(VALU_DEP_2)
	v_dual_add_nc_u32 v7, 14, v5 :: v_dual_add_nc_u32 v2, v3, v2
	v_mov_b32_e32 v3, v113
	v_cmpx_ne_u32_e32 0, v7
	s_xor_b32 s13, exec_lo, s13
; %bb.760:                              ;   in Loop: Header=BB6_136 Depth=3
	s_delay_alu instid0(VALU_DEP_2) | instskip(SKIP_2) | instid1(VALU_DEP_2)
	v_cmp_lt_u64_e32 vcc_lo, 0xffffff, v[2:3]
	v_add_nc_u32_e32 v4, 15, v5
	v_cndmask_b32_e64 v5, 0, 1, vcc_lo
	v_cndmask_b32_e32 v4, v7, v4, vcc_lo
	s_delay_alu instid0(VALU_DEP_2)
	v_lshrrev_b64 v[2:3], v5, v[2:3]
; %bb.761:                              ;   in Loop: Header=BB6_136 Depth=3
	s_and_not1_saveexec_b32 s13, s13
; %bb.762:                              ;   in Loop: Header=BB6_136 Depth=3
	s_delay_alu instid0(VALU_DEP_1)
	v_bfe_u32 v4, v2, 23, 1
; %bb.763:                              ;   in Loop: Header=BB6_136 Depth=3
	s_or_b32 exec_lo, exec_lo, s13
	s_delay_alu instid0(VALU_DEP_2) | instskip(NEXT) | instid1(VALU_DEP_2)
	v_lshrrev_b64 v[2:3], 21, v[2:3]
	v_cmp_gt_i32_e32 vcc_lo, 32, v4
	v_min_i32_e32 v5, 31, v4
	v_cmp_eq_u32_e64 s13, 0, v4
	s_delay_alu instid0(VALU_DEP_2) | instskip(SKIP_1) | instid1(VALU_DEP_2)
	v_dual_cndmask_b32 v3, 0, v3, vcc_lo :: v_dual_lshlrev_b32 v5, 2, v5
	v_cndmask_b32_e32 v2, 3, v2, vcc_lo
	v_and_b32_e32 v5, 0xfc, v5
	s_delay_alu instid0(VALU_DEP_2) | instskip(NEXT) | instid1(VALU_DEP_2)
	v_cmp_eq_u64_e32 vcc_lo, 0, v[2:3]
	v_and_or_b32 v2, v2, 3, v5
	s_and_b32 s13, s13, vcc_lo
	s_delay_alu instid0(VALU_DEP_1) | instid1(SALU_CYCLE_1)
	v_cndmask_b32_e64 v2, v2, 0, s13
	s_delay_alu instid0(VALU_DEP_1)
	v_or_b32_e32 v1, v2, v1
	scratch_store_b32 off, v1, s33 offset:480 ; 4-byte Folded Spill
.LBB6_764:                              ;   in Loop: Header=BB6_136 Depth=3
	s_wait_xcnt 0x0
	s_or_b32 exec_lo, exec_lo, s76
                                        ; implicit-def: $vgpr1
.LBB6_765:                              ;   in Loop: Header=BB6_136 Depth=3
	s_and_not1_saveexec_b32 s13, s75
	s_cbranch_execz .LBB6_767
; %bb.766:                              ;   in Loop: Header=BB6_136 Depth=3
	v_or_b32_e32 v1, 0x7b, v1
	scratch_store_b32 off, v1, s33 offset:480 ; 4-byte Folded Spill
.LBB6_767:                              ;   in Loop: Header=BB6_136 Depth=3
	s_wait_xcnt 0x0
	s_or_b32 exec_lo, exec_lo, s13
                                        ; implicit-def: $vgpr4
                                        ; implicit-def: $vgpr2_vgpr3
                                        ; implicit-def: $vgpr1
.LBB6_768:                              ;   in Loop: Header=BB6_136 Depth=3
	s_and_not1_saveexec_b32 s13, s74
	s_cbranch_execz .LBB6_774
; %bb.769:                              ;   in Loop: Header=BB6_136 Depth=3
	v_cmp_ne_u64_e32 vcc_lo, 0, v[2:3]
                                        ; implicit-def: $vgpr2
                                        ; kill: killed $vgpr2
	s_and_saveexec_b32 s74, vcc_lo
	s_delay_alu instid0(SALU_CYCLE_1)
	s_xor_b32 s74, exec_lo, s74
	s_cbranch_execz .LBB6_771
; %bb.770:                              ;   in Loop: Header=BB6_136 Depth=3
	v_or_b32_e32 v1, 0x7f, v1
                                        ; implicit-def: $vgpr4
	scratch_store_b32 off, v1, s33 offset:480 ; 4-byte Folded Spill
.LBB6_771:                              ;   in Loop: Header=BB6_136 Depth=3
	s_wait_xcnt 0x0
	s_and_not1_saveexec_b32 s74, s74
	s_cbranch_execz .LBB6_773
; %bb.772:                              ;   in Loop: Header=BB6_136 Depth=3
	v_cmp_lt_i32_e32 vcc_lo, -1, v4
	v_mov_b32_e32 v1, 0x7c
	s_delay_alu instid0(VALU_DEP_1)
	v_cndmask_b32_e32 v1, 0xfc, v1, vcc_lo
	scratch_store_b32 off, v1, s33 offset:480 ; 4-byte Folded Spill
.LBB6_773:                              ;   in Loop: Header=BB6_136 Depth=3
	s_wait_xcnt 0x0
	s_or_b32 exec_lo, exec_lo, s74
.LBB6_774:                              ;   in Loop: Header=BB6_136 Depth=3
	s_delay_alu instid0(SALU_CYCLE_1) | instskip(SKIP_3) | instid1(VALU_DEP_2)
	s_or_b32 exec_lo, exec_lo, s13
	v_lshrrev_b16 v2, 8, v0
	v_mov_b32_e32 v4, 0
	s_mov_b32 s13, exec_lo
	v_cmpx_ne_u16_e32 0, v2
	s_cbranch_execz .LBB6_784
; %bb.775:                              ;   in Loop: Header=BB6_136 Depth=3
	v_bfrev_b32_e32 v4, 1
	s_mov_b32 s74, exec_lo
	v_cmpx_ne_u16_e32 0x80, v2
	s_cbranch_execz .LBB6_783
; %bb.776:                              ;   in Loop: Header=BB6_136 Depth=3
	v_and_b32_e32 v1, 0xffff, v2
	s_delay_alu instid0(VALU_DEP_1) | instskip(SKIP_1) | instid1(VALU_DEP_2)
	v_and_b32_e32 v4, 0x7c, v1
	v_and_b32_e32 v3, 3, v1
	v_cmp_ne_u32_e32 vcc_lo, 0x7c, v4
                                        ; implicit-def: $vgpr4
	s_and_saveexec_b32 s75, vcc_lo
	s_delay_alu instid0(SALU_CYCLE_1)
	s_xor_b32 s75, exec_lo, s75
	s_cbranch_execz .LBB6_780
; %bb.777:                              ;   in Loop: Header=BB6_136 Depth=3
	v_bfe_u32 v1, v1, 2, 5
	s_mov_b32 s76, exec_lo
	s_delay_alu instid0(VALU_DEP_1)
	v_cmpx_eq_u32_e32 0, v1
	s_cbranch_execz .LBB6_779
; %bb.778:                              ;   in Loop: Header=BB6_136 Depth=3
	v_clz_i32_u32_e32 v1, v3
	s_delay_alu instid0(VALU_DEP_1) | instskip(SKIP_1) | instid1(VALU_DEP_2)
	v_min_u32_e32 v1, 32, v1
	v_mov_b32_e32 v3, v113
	v_subrev_nc_u32_e32 v4, 29, v1
	v_sub_nc_u32_e32 v1, 30, v1
	s_delay_alu instid0(VALU_DEP_2) | instskip(NEXT) | instid1(VALU_DEP_1)
	v_lshlrev_b64_e32 v[2:3], v4, v[2:3]
	v_and_b32_e32 v3, 3, v2
.LBB6_779:                              ;   in Loop: Header=BB6_136 Depth=3
	s_or_b32 exec_lo, exec_lo, s76
	v_lshlrev_b32_e32 v0, 16, v0
	s_delay_alu instid0(VALU_DEP_1) | instskip(NEXT) | instid1(VALU_DEP_1)
	v_and_b32_e32 v0, 0x80000000, v0
	v_lshl_add_u32 v0, v1, 23, v0
	s_delay_alu instid0(VALU_DEP_1) | instskip(NEXT) | instid1(VALU_DEP_1)
	v_lshl_or_b32 v0, v3, 21, v0
                                        ; implicit-def: $vgpr3
	v_add_nc_u32_e32 v4, 0x38000000, v0
                                        ; implicit-def: $vgpr0_vgpr1
.LBB6_780:                              ;   in Loop: Header=BB6_136 Depth=3
	s_and_not1_saveexec_b32 s75, s75
; %bb.781:                              ;   in Loop: Header=BB6_136 Depth=3
	v_cmp_lt_i16_e32 vcc_lo, -1, v0
	v_mov_b32_e32 v0, 0x7f800000
	s_delay_alu instid0(VALU_DEP_1) | instskip(SKIP_1) | instid1(VALU_DEP_2)
	v_cndmask_b32_e32 v0, 0xff800000, v0, vcc_lo
	v_cmp_eq_u32_e32 vcc_lo, 0, v3
	v_cndmask_b32_e32 v4, 0x7f800001, v0, vcc_lo
; %bb.782:                              ;   in Loop: Header=BB6_136 Depth=3
	s_or_b32 exec_lo, exec_lo, s75
.LBB6_783:                              ;   in Loop: Header=BB6_136 Depth=3
	s_delay_alu instid0(SALU_CYCLE_1)
	s_or_b32 exec_lo, exec_lo, s74
.LBB6_784:                              ;   in Loop: Header=BB6_136 Depth=3
	s_delay_alu instid0(SALU_CYCLE_1) | instskip(NEXT) | instid1(VALU_DEP_1)
	s_or_b32 exec_lo, exec_lo, s13
	v_dual_mul_f32 v2, s73, v4 :: v_dual_mov_b32 v5, v113
	s_delay_alu instid0(VALU_DEP_1) | instskip(SKIP_2) | instid1(VALU_DEP_2)
	v_dual_mov_b32 v1, v113 :: v_dual_lshrrev_b32 v3, 24, v2
	v_and_b32_e32 v4, 0x7f800000, v2
	v_and_b32_e32 v0, 0x7fffff, v2
	v_cmp_ne_u64_e32 vcc_lo, 0x7f800000, v[4:5]
                                        ; implicit-def: $vgpr4
                                        ; kill: killed $vgpr4
	s_and_saveexec_b32 s13, vcc_lo
	s_delay_alu instid0(SALU_CYCLE_1)
	s_xor_b32 s74, exec_lo, s13
	s_cbranch_execz .LBB6_798
; %bb.785:                              ;   in Loop: Header=BB6_136 Depth=3
	v_and_b32_e32 v4, 0x7fffffff, v2
	v_mov_b32_e32 v5, v113
	s_delay_alu instid0(VALU_DEP_1) | instskip(SKIP_2) | instid1(SALU_CYCLE_1)
	v_cmp_gt_u64_e32 vcc_lo, 0x47600001, v[4:5]
	v_and_b32_e32 v4, 0x80, v3
                                        ; implicit-def: $vgpr3
                                        ; kill: killed $vgpr3
	s_and_saveexec_b32 s13, vcc_lo
	s_xor_b32 s75, exec_lo, s13
	s_cbranch_execz .LBB6_795
; %bb.786:                              ;   in Loop: Header=BB6_136 Depth=3
	v_mov_b32_e32 v3, 0
	s_mov_b32 s76, exec_lo
	scratch_store_b32 off, v3, s33 offset:484 ; 4-byte Folded Spill
	s_wait_xcnt 0x0
	v_cmpx_ne_u32_e32 0, v2
	s_cbranch_execz .LBB6_794
; %bb.787:                              ;   in Loop: Header=BB6_136 Depth=3
	v_bfe_u32 v5, v2, 23, 8
	v_or_b32_e32 v14, 0x800000, v0
	s_delay_alu instid0(VALU_DEP_2) | instskip(SKIP_1) | instid1(VALU_DEP_2)
	v_sub_nc_u32_e32 v2, 0x71, v5
	v_cmp_gt_u32_e32 vcc_lo, 0x72, v5
	v_cndmask_b32_e32 v2, 0, v2, vcc_lo
	v_cmp_eq_u32_e32 vcc_lo, 0, v5
	s_delay_alu instid0(VALU_DEP_2) | instskip(NEXT) | instid1(VALU_DEP_1)
	v_cndmask_b32_e64 v7, v2, 0x70, vcc_lo
	v_dual_cndmask_b32 v0, v14, v0, vcc_lo :: v_dual_add_nc_u32 v2, 21, v7
	v_add_nc_u32_e32 v15, 20, v7
	s_delay_alu instid0(VALU_DEP_2) | instskip(NEXT) | instid1(VALU_DEP_2)
	v_lshlrev_b64_e64 v[2:3], v2, -1
	v_lshlrev_b64_e64 v[14:15], v15, 1
	s_delay_alu instid0(VALU_DEP_2) | instskip(SKIP_1) | instid1(VALU_DEP_4)
	v_bfi_b32 v2, v2, 0, v0
	v_lshrrev_b64 v[0:1], v7, v[0:1]
	v_bfi_b32 v3, v3, 0, 0
	s_delay_alu instid0(VALU_DEP_1) | instskip(NEXT) | instid1(VALU_DEP_3)
	v_cmp_eq_u64_e64 s13, v[2:3], v[14:15]
	v_mov_b64_e32 v[2:3], v[0:1]
	s_and_saveexec_b32 s77, s13
; %bb.788:                              ;   in Loop: Header=BB6_136 Depth=3
	v_bfe_u32 v2, v0, 21, 1
	v_mov_b32_e32 v3, v113
	s_delay_alu instid0(VALU_DEP_1) | instskip(NEXT) | instid1(VALU_DEP_1)
	v_add_nc_u64_e32 v[2:3], v[0:1], v[2:3]
	v_add_nc_u64_e32 v[2:3], -1, v[2:3]
; %bb.789:                              ;   in Loop: Header=BB6_136 Depth=3
	s_or_b32 exec_lo, exec_lo, s77
	v_add_nc_u32_e32 v1, 0xffffff81, v5
	v_lshrrev_b32_e32 v3, 23, v0
	s_mov_b32 s13, exec_lo
	s_delay_alu instid0(VALU_DEP_2) | instskip(NEXT) | instid1(VALU_DEP_1)
	v_cndmask_b32_e64 v1, v1, 0xffffff82, vcc_lo
	v_add3_u32 v3, v7, v1, v3
	v_and_b32_e32 v1, 0x1fffff, v2
                                        ; implicit-def: $vgpr2
	s_delay_alu instid0(VALU_DEP_1) | instskip(SKIP_1) | instid1(VALU_DEP_2)
	v_dual_add_nc_u32 v5, 14, v3 :: v_dual_add_nc_u32 v0, v1, v0
	v_mov_b32_e32 v1, v113
	v_cmpx_ne_u32_e32 0, v5
	s_xor_b32 s13, exec_lo, s13
; %bb.790:                              ;   in Loop: Header=BB6_136 Depth=3
	s_delay_alu instid0(VALU_DEP_2) | instskip(SKIP_2) | instid1(VALU_DEP_2)
	v_cmp_lt_u64_e32 vcc_lo, 0xffffff, v[0:1]
	v_add_nc_u32_e32 v2, 15, v3
	v_cndmask_b32_e64 v3, 0, 1, vcc_lo
	v_cndmask_b32_e32 v2, v5, v2, vcc_lo
	s_delay_alu instid0(VALU_DEP_2)
	v_lshrrev_b64 v[0:1], v3, v[0:1]
; %bb.791:                              ;   in Loop: Header=BB6_136 Depth=3
	s_and_not1_saveexec_b32 s13, s13
; %bb.792:                              ;   in Loop: Header=BB6_136 Depth=3
	s_delay_alu instid0(VALU_DEP_1)
	v_bfe_u32 v2, v0, 23, 1
; %bb.793:                              ;   in Loop: Header=BB6_136 Depth=3
	s_or_b32 exec_lo, exec_lo, s13
	s_delay_alu instid0(VALU_DEP_2) | instskip(NEXT) | instid1(VALU_DEP_2)
	v_lshrrev_b64 v[0:1], 21, v[0:1]
	v_cmp_gt_i32_e32 vcc_lo, 32, v2
	v_min_i32_e32 v3, 31, v2
	v_cmp_eq_u32_e64 s13, 0, v2
	s_delay_alu instid0(VALU_DEP_2) | instskip(SKIP_1) | instid1(VALU_DEP_2)
	v_dual_cndmask_b32 v1, 0, v1, vcc_lo :: v_dual_lshlrev_b32 v3, 2, v3
	v_cndmask_b32_e32 v0, 3, v0, vcc_lo
	v_and_b32_e32 v3, 0xfc, v3
	s_delay_alu instid0(VALU_DEP_2) | instskip(NEXT) | instid1(VALU_DEP_2)
	v_cmp_eq_u64_e32 vcc_lo, 0, v[0:1]
	v_and_or_b32 v0, v0, 3, v3
	s_and_b32 s13, s13, vcc_lo
	s_delay_alu instid0(VALU_DEP_1) | instid1(SALU_CYCLE_1)
	v_cndmask_b32_e64 v0, v0, 0, s13
	s_delay_alu instid0(VALU_DEP_1)
	v_or_b32_e32 v0, v0, v4
	scratch_store_b32 off, v0, s33 offset:484 ; 4-byte Folded Spill
.LBB6_794:                              ;   in Loop: Header=BB6_136 Depth=3
	s_wait_xcnt 0x0
	s_or_b32 exec_lo, exec_lo, s76
                                        ; implicit-def: $vgpr4
.LBB6_795:                              ;   in Loop: Header=BB6_136 Depth=3
	s_and_not1_saveexec_b32 s13, s75
	s_cbranch_execz .LBB6_797
; %bb.796:                              ;   in Loop: Header=BB6_136 Depth=3
	v_or_b32_e32 v0, 0x7b, v4
	scratch_store_b32 off, v0, s33 offset:484 ; 4-byte Folded Spill
.LBB6_797:                              ;   in Loop: Header=BB6_136 Depth=3
	s_wait_xcnt 0x0
	s_or_b32 exec_lo, exec_lo, s13
                                        ; implicit-def: $vgpr2
                                        ; implicit-def: $vgpr0_vgpr1
                                        ; implicit-def: $vgpr3
.LBB6_798:                              ;   in Loop: Header=BB6_136 Depth=3
	s_and_not1_saveexec_b32 s13, s74
	s_cbranch_execz .LBB6_804
; %bb.799:                              ;   in Loop: Header=BB6_136 Depth=3
	v_cmp_ne_u64_e32 vcc_lo, 0, v[0:1]
                                        ; implicit-def: $vgpr0
                                        ; kill: killed $vgpr0
	s_and_saveexec_b32 s74, vcc_lo
	s_delay_alu instid0(SALU_CYCLE_1)
	s_xor_b32 s74, exec_lo, s74
	s_cbranch_execz .LBB6_801
; %bb.800:                              ;   in Loop: Header=BB6_136 Depth=3
	v_or_b32_e32 v0, 0x7f, v3
                                        ; implicit-def: $vgpr2
	scratch_store_b32 off, v0, s33 offset:484 ; 4-byte Folded Spill
.LBB6_801:                              ;   in Loop: Header=BB6_136 Depth=3
	s_wait_xcnt 0x0
	s_and_not1_saveexec_b32 s74, s74
	s_cbranch_execz .LBB6_803
; %bb.802:                              ;   in Loop: Header=BB6_136 Depth=3
	v_cmp_lt_i32_e32 vcc_lo, -1, v2
	v_mov_b32_e32 v0, 0x7c
	s_delay_alu instid0(VALU_DEP_1)
	v_cndmask_b32_e32 v0, 0xfc, v0, vcc_lo
	scratch_store_b32 off, v0, s33 offset:484 ; 4-byte Folded Spill
.LBB6_803:                              ;   in Loop: Header=BB6_136 Depth=3
	s_wait_xcnt 0x0
	s_or_b32 exec_lo, exec_lo, s74
.LBB6_804:                              ;   in Loop: Header=BB6_136 Depth=3
	s_delay_alu instid0(SALU_CYCLE_1) | instskip(SKIP_2) | instid1(VALU_DEP_1)
	s_or_b32 exec_lo, exec_lo, s13
	v_dual_lshrrev_b32 v0, 16, v9 :: v_dual_mov_b32 v2, 0
	s_mov_b32 s13, exec_lo
	v_and_b32_e32 v1, 0xff, v0
	s_delay_alu instid0(VALU_DEP_1)
	v_cmpx_ne_u16_e32 0, v1
	s_cbranch_execz .LBB6_814
; %bb.805:                              ;   in Loop: Header=BB6_136 Depth=3
	v_bfrev_b32_e32 v2, 1
	s_mov_b32 s74, exec_lo
	v_cmpx_ne_u16_e32 0x80, v1
	s_cbranch_execz .LBB6_813
; %bb.806:                              ;   in Loop: Header=BB6_136 Depth=3
	v_and_b32_e32 v2, 0x7c0000, v9
	v_bfe_u32 v1, v9, 16, 2
	s_delay_alu instid0(VALU_DEP_2) | instskip(SKIP_1) | instid1(SALU_CYCLE_1)
	v_cmp_ne_u32_e32 vcc_lo, 0x7c0000, v2
                                        ; implicit-def: $vgpr2
	s_and_saveexec_b32 s75, vcc_lo
	s_xor_b32 s75, exec_lo, s75
	s_cbranch_execz .LBB6_810
; %bb.807:                              ;   in Loop: Header=BB6_136 Depth=3
	v_bfe_u32 v2, v9, 18, 5
	s_mov_b32 s76, exec_lo
	s_delay_alu instid0(VALU_DEP_1)
	v_cmpx_eq_u32_e32 0, v2
; %bb.808:                              ;   in Loop: Header=BB6_136 Depth=3
	v_clz_i32_u32_e32 v1, v1
	s_delay_alu instid0(VALU_DEP_1) | instskip(NEXT) | instid1(VALU_DEP_1)
	v_min_u32_e32 v1, 32, v1
	v_subrev_nc_u32_e32 v2, 29, v1
	s_delay_alu instid0(VALU_DEP_1) | instskip(NEXT) | instid1(VALU_DEP_1)
	v_lshlrev_b64_e32 v[4:5], v2, v[0:1]
	v_dual_sub_nc_u32 v2, 30, v1 :: v_dual_bitop2_b32 v1, 3, v4 bitop3:0x40
; %bb.809:                              ;   in Loop: Header=BB6_136 Depth=3
	s_or_b32 exec_lo, exec_lo, s76
	v_lshlrev_b32_e32 v0, 24, v0
	s_delay_alu instid0(VALU_DEP_1) | instskip(NEXT) | instid1(VALU_DEP_1)
	v_and_b32_e32 v0, 0x80000000, v0
	v_lshl_add_u32 v0, v2, 23, v0
	s_delay_alu instid0(VALU_DEP_1) | instskip(NEXT) | instid1(VALU_DEP_1)
	v_lshl_or_b32 v0, v1, 21, v0
                                        ; implicit-def: $vgpr1
	v_add_nc_u32_e32 v2, 0x38000000, v0
                                        ; implicit-def: $vgpr0
.LBB6_810:                              ;   in Loop: Header=BB6_136 Depth=3
	s_and_not1_saveexec_b32 s75, s75
; %bb.811:                              ;   in Loop: Header=BB6_136 Depth=3
	v_bfe_i32 v0, v0, 0, 8
	s_delay_alu instid0(VALU_DEP_1) | instskip(SKIP_1) | instid1(VALU_DEP_1)
	v_cmp_lt_i16_e32 vcc_lo, -1, v0
	v_mov_b32_e32 v0, 0x7f800000
	v_cndmask_b32_e32 v0, 0xff800000, v0, vcc_lo
	v_cmp_eq_u32_e32 vcc_lo, 0, v1
	s_delay_alu instid0(VALU_DEP_2)
	v_cndmask_b32_e32 v2, 0x7f800001, v0, vcc_lo
; %bb.812:                              ;   in Loop: Header=BB6_136 Depth=3
	s_or_b32 exec_lo, exec_lo, s75
.LBB6_813:                              ;   in Loop: Header=BB6_136 Depth=3
	s_delay_alu instid0(SALU_CYCLE_1)
	s_or_b32 exec_lo, exec_lo, s74
.LBB6_814:                              ;   in Loop: Header=BB6_136 Depth=3
	s_delay_alu instid0(SALU_CYCLE_1) | instskip(NEXT) | instid1(VALU_DEP_1)
	s_or_b32 exec_lo, exec_lo, s13
	v_dual_mul_f32 v2, s73, v2 :: v_dual_mov_b32 v5, v113
	s_delay_alu instid0(VALU_DEP_1) | instskip(SKIP_2) | instid1(VALU_DEP_2)
	v_dual_mov_b32 v1, v113 :: v_dual_lshrrev_b32 v3, 24, v2
	v_and_b32_e32 v4, 0x7f800000, v2
	v_and_b32_e32 v0, 0x7fffff, v2
	v_cmp_ne_u64_e32 vcc_lo, 0x7f800000, v[4:5]
                                        ; implicit-def: $vgpr4
                                        ; kill: killed $vgpr4
	s_and_saveexec_b32 s13, vcc_lo
	s_delay_alu instid0(SALU_CYCLE_1)
	s_xor_b32 s74, exec_lo, s13
	s_cbranch_execz .LBB6_828
; %bb.815:                              ;   in Loop: Header=BB6_136 Depth=3
	v_and_b32_e32 v4, 0x7fffffff, v2
	v_mov_b32_e32 v5, v113
	s_delay_alu instid0(VALU_DEP_1) | instskip(SKIP_2) | instid1(SALU_CYCLE_1)
	v_cmp_gt_u64_e32 vcc_lo, 0x47600001, v[4:5]
	v_and_b32_e32 v4, 0x80, v3
                                        ; implicit-def: $vgpr3
                                        ; kill: killed $vgpr3
	s_and_saveexec_b32 s13, vcc_lo
	s_xor_b32 s75, exec_lo, s13
	s_cbranch_execz .LBB6_825
; %bb.816:                              ;   in Loop: Header=BB6_136 Depth=3
	v_mov_b32_e32 v3, 0
	s_mov_b32 s76, exec_lo
	scratch_store_b32 off, v3, s33 offset:488 ; 4-byte Folded Spill
	s_wait_xcnt 0x0
	v_cmpx_ne_u32_e32 0, v2
	s_cbranch_execz .LBB6_824
; %bb.817:                              ;   in Loop: Header=BB6_136 Depth=3
	v_bfe_u32 v5, v2, 23, 8
	v_or_b32_e32 v14, 0x800000, v0
	s_delay_alu instid0(VALU_DEP_2) | instskip(SKIP_1) | instid1(VALU_DEP_2)
	v_sub_nc_u32_e32 v2, 0x71, v5
	v_cmp_gt_u32_e32 vcc_lo, 0x72, v5
	v_cndmask_b32_e32 v2, 0, v2, vcc_lo
	v_cmp_eq_u32_e32 vcc_lo, 0, v5
	s_delay_alu instid0(VALU_DEP_2) | instskip(NEXT) | instid1(VALU_DEP_1)
	v_cndmask_b32_e64 v7, v2, 0x70, vcc_lo
	v_dual_cndmask_b32 v0, v14, v0, vcc_lo :: v_dual_add_nc_u32 v2, 21, v7
	v_add_nc_u32_e32 v15, 20, v7
	s_delay_alu instid0(VALU_DEP_2) | instskip(NEXT) | instid1(VALU_DEP_2)
	v_lshlrev_b64_e64 v[2:3], v2, -1
	v_lshlrev_b64_e64 v[14:15], v15, 1
	s_delay_alu instid0(VALU_DEP_2) | instskip(SKIP_1) | instid1(VALU_DEP_4)
	v_bfi_b32 v2, v2, 0, v0
	v_lshrrev_b64 v[0:1], v7, v[0:1]
	v_bfi_b32 v3, v3, 0, 0
	s_delay_alu instid0(VALU_DEP_1) | instskip(NEXT) | instid1(VALU_DEP_3)
	v_cmp_eq_u64_e64 s13, v[2:3], v[14:15]
	v_mov_b64_e32 v[2:3], v[0:1]
	s_and_saveexec_b32 s77, s13
; %bb.818:                              ;   in Loop: Header=BB6_136 Depth=3
	v_bfe_u32 v2, v0, 21, 1
	v_mov_b32_e32 v3, v113
	s_delay_alu instid0(VALU_DEP_1) | instskip(NEXT) | instid1(VALU_DEP_1)
	v_add_nc_u64_e32 v[2:3], v[0:1], v[2:3]
	v_add_nc_u64_e32 v[2:3], -1, v[2:3]
; %bb.819:                              ;   in Loop: Header=BB6_136 Depth=3
	s_or_b32 exec_lo, exec_lo, s77
	v_add_nc_u32_e32 v1, 0xffffff81, v5
	v_lshrrev_b32_e32 v3, 23, v0
	s_mov_b32 s13, exec_lo
	s_delay_alu instid0(VALU_DEP_2) | instskip(NEXT) | instid1(VALU_DEP_1)
	v_cndmask_b32_e64 v1, v1, 0xffffff82, vcc_lo
	v_add3_u32 v3, v7, v1, v3
	v_and_b32_e32 v1, 0x1fffff, v2
                                        ; implicit-def: $vgpr2
	s_delay_alu instid0(VALU_DEP_1) | instskip(SKIP_1) | instid1(VALU_DEP_2)
	v_dual_add_nc_u32 v5, 14, v3 :: v_dual_add_nc_u32 v0, v1, v0
	v_mov_b32_e32 v1, v113
	v_cmpx_ne_u32_e32 0, v5
	s_xor_b32 s13, exec_lo, s13
; %bb.820:                              ;   in Loop: Header=BB6_136 Depth=3
	s_delay_alu instid0(VALU_DEP_2) | instskip(SKIP_2) | instid1(VALU_DEP_2)
	v_cmp_lt_u64_e32 vcc_lo, 0xffffff, v[0:1]
	v_add_nc_u32_e32 v2, 15, v3
	v_cndmask_b32_e64 v3, 0, 1, vcc_lo
	v_cndmask_b32_e32 v2, v5, v2, vcc_lo
	s_delay_alu instid0(VALU_DEP_2)
	v_lshrrev_b64 v[0:1], v3, v[0:1]
; %bb.821:                              ;   in Loop: Header=BB6_136 Depth=3
	s_and_not1_saveexec_b32 s13, s13
; %bb.822:                              ;   in Loop: Header=BB6_136 Depth=3
	s_delay_alu instid0(VALU_DEP_1)
	v_bfe_u32 v2, v0, 23, 1
; %bb.823:                              ;   in Loop: Header=BB6_136 Depth=3
	s_or_b32 exec_lo, exec_lo, s13
	s_delay_alu instid0(VALU_DEP_2) | instskip(NEXT) | instid1(VALU_DEP_2)
	v_lshrrev_b64 v[0:1], 21, v[0:1]
	v_cmp_gt_i32_e32 vcc_lo, 32, v2
	v_min_i32_e32 v3, 31, v2
	v_cmp_eq_u32_e64 s13, 0, v2
	s_delay_alu instid0(VALU_DEP_2) | instskip(SKIP_1) | instid1(VALU_DEP_2)
	v_dual_cndmask_b32 v1, 0, v1, vcc_lo :: v_dual_lshlrev_b32 v3, 2, v3
	v_cndmask_b32_e32 v0, 3, v0, vcc_lo
	v_and_b32_e32 v3, 0xfc, v3
	s_delay_alu instid0(VALU_DEP_2) | instskip(NEXT) | instid1(VALU_DEP_2)
	v_cmp_eq_u64_e32 vcc_lo, 0, v[0:1]
	v_and_or_b32 v0, v0, 3, v3
	s_and_b32 s13, s13, vcc_lo
	s_delay_alu instid0(VALU_DEP_1) | instid1(SALU_CYCLE_1)
	v_cndmask_b32_e64 v0, v0, 0, s13
	s_delay_alu instid0(VALU_DEP_1)
	v_or_b32_e32 v0, v0, v4
	scratch_store_b32 off, v0, s33 offset:488 ; 4-byte Folded Spill
.LBB6_824:                              ;   in Loop: Header=BB6_136 Depth=3
	s_wait_xcnt 0x0
	s_or_b32 exec_lo, exec_lo, s76
                                        ; implicit-def: $vgpr4
.LBB6_825:                              ;   in Loop: Header=BB6_136 Depth=3
	s_and_not1_saveexec_b32 s13, s75
	s_cbranch_execz .LBB6_827
; %bb.826:                              ;   in Loop: Header=BB6_136 Depth=3
	v_or_b32_e32 v0, 0x7b, v4
	scratch_store_b32 off, v0, s33 offset:488 ; 4-byte Folded Spill
.LBB6_827:                              ;   in Loop: Header=BB6_136 Depth=3
	s_wait_xcnt 0x0
	s_or_b32 exec_lo, exec_lo, s13
                                        ; implicit-def: $vgpr2
                                        ; implicit-def: $vgpr0_vgpr1
                                        ; implicit-def: $vgpr3
.LBB6_828:                              ;   in Loop: Header=BB6_136 Depth=3
	s_and_not1_saveexec_b32 s13, s74
	s_cbranch_execz .LBB6_834
; %bb.829:                              ;   in Loop: Header=BB6_136 Depth=3
	v_cmp_ne_u64_e32 vcc_lo, 0, v[0:1]
                                        ; implicit-def: $vgpr0
                                        ; kill: killed $vgpr0
	s_and_saveexec_b32 s74, vcc_lo
	s_delay_alu instid0(SALU_CYCLE_1)
	s_xor_b32 s74, exec_lo, s74
	s_cbranch_execz .LBB6_831
; %bb.830:                              ;   in Loop: Header=BB6_136 Depth=3
	v_or_b32_e32 v0, 0x7f, v3
                                        ; implicit-def: $vgpr2
	scratch_store_b32 off, v0, s33 offset:488 ; 4-byte Folded Spill
.LBB6_831:                              ;   in Loop: Header=BB6_136 Depth=3
	s_wait_xcnt 0x0
	s_and_not1_saveexec_b32 s74, s74
	s_cbranch_execz .LBB6_833
; %bb.832:                              ;   in Loop: Header=BB6_136 Depth=3
	v_cmp_lt_i32_e32 vcc_lo, -1, v2
	v_mov_b32_e32 v0, 0x7c
	s_delay_alu instid0(VALU_DEP_1)
	v_cndmask_b32_e32 v0, 0xfc, v0, vcc_lo
	scratch_store_b32 off, v0, s33 offset:488 ; 4-byte Folded Spill
.LBB6_833:                              ;   in Loop: Header=BB6_136 Depth=3
	s_wait_xcnt 0x0
	s_or_b32 exec_lo, exec_lo, s74
.LBB6_834:                              ;   in Loop: Header=BB6_136 Depth=3
	s_delay_alu instid0(SALU_CYCLE_1)
	s_or_b32 exec_lo, exec_lo, s13
	v_mov_b32_e32 v1, 0
	s_mov_b32 s13, exec_lo
	v_cmpx_lt_u64_e64 s[22:23], v[8:9]
	s_cbranch_execz .LBB6_844
; %bb.835:                              ;   in Loop: Header=BB6_136 Depth=3
	v_lshrrev_b32_e32 v0, 24, v9
	v_bfrev_b32_e32 v1, 1
	s_mov_b32 s74, exec_lo
	s_delay_alu instid0(VALU_DEP_2)
	v_cmpx_ne_u32_e32 0x80, v0
	s_cbranch_execz .LBB6_843
; %bb.836:                              ;   in Loop: Header=BB6_136 Depth=3
	v_and_b32_e32 v1, 0x7c000000, v9
	v_bfe_u32 v2, v9, 24, 2
	s_delay_alu instid0(VALU_DEP_2) | instskip(SKIP_1) | instid1(SALU_CYCLE_1)
	v_cmp_ne_u32_e32 vcc_lo, 0x7c000000, v1
                                        ; implicit-def: $vgpr1
	s_and_saveexec_b32 s75, vcc_lo
	s_xor_b32 s75, exec_lo, s75
	s_cbranch_execz .LBB6_840
; %bb.837:                              ;   in Loop: Header=BB6_136 Depth=3
	v_bfe_u32 v1, v9, 26, 5
	s_mov_b32 s76, exec_lo
	s_delay_alu instid0(VALU_DEP_1)
	v_cmpx_eq_u32_e32 0, v1
; %bb.838:                              ;   in Loop: Header=BB6_136 Depth=3
	v_clz_i32_u32_e32 v1, v2
	s_delay_alu instid0(VALU_DEP_1) | instskip(NEXT) | instid1(VALU_DEP_1)
	v_min_u32_e32 v2, 32, v1
	v_subrev_nc_u32_e32 v1, 29, v2
	s_delay_alu instid0(VALU_DEP_1) | instskip(NEXT) | instid1(VALU_DEP_1)
	v_lshlrev_b64_e32 v[0:1], v1, v[0:1]
	v_dual_sub_nc_u32 v1, 30, v2 :: v_dual_bitop2_b32 v2, 3, v0 bitop3:0x40
; %bb.839:                              ;   in Loop: Header=BB6_136 Depth=3
	s_or_b32 exec_lo, exec_lo, s76
	v_and_b32_e32 v0, 0x80000000, v9
	s_delay_alu instid0(VALU_DEP_1) | instskip(NEXT) | instid1(VALU_DEP_1)
	v_lshl_add_u32 v0, v1, 23, v0
	v_lshl_or_b32 v0, v2, 21, v0
                                        ; implicit-def: $vgpr2
	s_delay_alu instid0(VALU_DEP_1)
	v_add_nc_u32_e32 v1, 0x38000000, v0
.LBB6_840:                              ;   in Loop: Header=BB6_136 Depth=3
	s_and_not1_saveexec_b32 s75, s75
; %bb.841:                              ;   in Loop: Header=BB6_136 Depth=3
	v_cmp_lt_i64_e32 vcc_lo, -1, v[8:9]
	v_mov_b32_e32 v0, 0x7f800000
	s_delay_alu instid0(VALU_DEP_1) | instskip(SKIP_1) | instid1(VALU_DEP_2)
	v_cndmask_b32_e32 v0, 0xff800000, v0, vcc_lo
	v_cmp_eq_u32_e32 vcc_lo, 0, v2
	v_cndmask_b32_e32 v1, 0x7f800001, v0, vcc_lo
; %bb.842:                              ;   in Loop: Header=BB6_136 Depth=3
	s_or_b32 exec_lo, exec_lo, s75
.LBB6_843:                              ;   in Loop: Header=BB6_136 Depth=3
	s_delay_alu instid0(SALU_CYCLE_1)
	s_or_b32 exec_lo, exec_lo, s74
.LBB6_844:                              ;   in Loop: Header=BB6_136 Depth=3
	s_delay_alu instid0(SALU_CYCLE_1) | instskip(NEXT) | instid1(VALU_DEP_1)
	s_or_b32 exec_lo, exec_lo, s13
	v_dual_mul_f32 v2, s73, v1 :: v_dual_mov_b32 v5, v113
	s_delay_alu instid0(VALU_DEP_1) | instskip(SKIP_2) | instid1(VALU_DEP_2)
	v_dual_mov_b32 v1, v113 :: v_dual_lshrrev_b32 v3, 24, v2
	v_and_b32_e32 v4, 0x7f800000, v2
	v_and_b32_e32 v0, 0x7fffff, v2
	v_cmp_ne_u64_e32 vcc_lo, 0x7f800000, v[4:5]
                                        ; implicit-def: $vgpr4
                                        ; kill: killed $vgpr4
	s_and_saveexec_b32 s13, vcc_lo
	s_delay_alu instid0(SALU_CYCLE_1)
	s_xor_b32 s74, exec_lo, s13
	s_cbranch_execz .LBB6_858
; %bb.845:                              ;   in Loop: Header=BB6_136 Depth=3
	v_and_b32_e32 v4, 0x7fffffff, v2
	v_mov_b32_e32 v5, v113
	s_delay_alu instid0(VALU_DEP_1) | instskip(SKIP_2) | instid1(SALU_CYCLE_1)
	v_cmp_gt_u64_e32 vcc_lo, 0x47600001, v[4:5]
	v_and_b32_e32 v4, 0x80, v3
                                        ; implicit-def: $vgpr3
                                        ; kill: killed $vgpr3
	s_and_saveexec_b32 s13, vcc_lo
	s_xor_b32 s75, exec_lo, s13
	s_cbranch_execz .LBB6_855
; %bb.846:                              ;   in Loop: Header=BB6_136 Depth=3
	v_mov_b32_e32 v3, 0
	s_mov_b32 s76, exec_lo
	scratch_store_b32 off, v3, s33 offset:492 ; 4-byte Folded Spill
	s_wait_xcnt 0x0
	v_cmpx_ne_u32_e32 0, v2
	s_cbranch_execz .LBB6_854
; %bb.847:                              ;   in Loop: Header=BB6_136 Depth=3
	v_bfe_u32 v5, v2, 23, 8
	v_or_b32_e32 v8, 0x800000, v0
	s_delay_alu instid0(VALU_DEP_2) | instskip(SKIP_1) | instid1(VALU_DEP_2)
	v_sub_nc_u32_e32 v2, 0x71, v5
	v_cmp_gt_u32_e32 vcc_lo, 0x72, v5
	v_cndmask_b32_e32 v2, 0, v2, vcc_lo
	v_cmp_eq_u32_e32 vcc_lo, 0, v5
	s_delay_alu instid0(VALU_DEP_2) | instskip(NEXT) | instid1(VALU_DEP_1)
	v_cndmask_b32_e64 v7, v2, 0x70, vcc_lo
	v_dual_cndmask_b32 v0, v8, v0, vcc_lo :: v_dual_add_nc_u32 v2, 21, v7
	v_add_nc_u32_e32 v9, 20, v7
	s_delay_alu instid0(VALU_DEP_2) | instskip(NEXT) | instid1(VALU_DEP_2)
	v_lshlrev_b64_e64 v[2:3], v2, -1
	v_lshlrev_b64_e64 v[8:9], v9, 1
	s_delay_alu instid0(VALU_DEP_2) | instskip(SKIP_1) | instid1(VALU_DEP_4)
	v_bfi_b32 v2, v2, 0, v0
	v_lshrrev_b64 v[0:1], v7, v[0:1]
	v_bfi_b32 v3, v3, 0, 0
	s_delay_alu instid0(VALU_DEP_1) | instskip(NEXT) | instid1(VALU_DEP_3)
	v_cmp_eq_u64_e64 s13, v[2:3], v[8:9]
	v_mov_b64_e32 v[2:3], v[0:1]
	s_and_saveexec_b32 s77, s13
; %bb.848:                              ;   in Loop: Header=BB6_136 Depth=3
	v_bfe_u32 v2, v0, 21, 1
	v_mov_b32_e32 v3, v113
	s_delay_alu instid0(VALU_DEP_1) | instskip(NEXT) | instid1(VALU_DEP_1)
	v_add_nc_u64_e32 v[2:3], v[0:1], v[2:3]
	v_add_nc_u64_e32 v[2:3], -1, v[2:3]
; %bb.849:                              ;   in Loop: Header=BB6_136 Depth=3
	s_or_b32 exec_lo, exec_lo, s77
	v_add_nc_u32_e32 v1, 0xffffff81, v5
	v_lshrrev_b32_e32 v3, 23, v0
	s_mov_b32 s13, exec_lo
	s_delay_alu instid0(VALU_DEP_2) | instskip(NEXT) | instid1(VALU_DEP_1)
	v_cndmask_b32_e64 v1, v1, 0xffffff82, vcc_lo
	v_add3_u32 v3, v7, v1, v3
	v_and_b32_e32 v1, 0x1fffff, v2
                                        ; implicit-def: $vgpr2
	s_delay_alu instid0(VALU_DEP_1) | instskip(SKIP_1) | instid1(VALU_DEP_2)
	v_dual_add_nc_u32 v5, 14, v3 :: v_dual_add_nc_u32 v0, v1, v0
	v_mov_b32_e32 v1, v113
	v_cmpx_ne_u32_e32 0, v5
	s_xor_b32 s13, exec_lo, s13
; %bb.850:                              ;   in Loop: Header=BB6_136 Depth=3
	s_delay_alu instid0(VALU_DEP_2) | instskip(SKIP_2) | instid1(VALU_DEP_2)
	v_cmp_lt_u64_e32 vcc_lo, 0xffffff, v[0:1]
	v_add_nc_u32_e32 v2, 15, v3
	v_cndmask_b32_e64 v3, 0, 1, vcc_lo
	v_cndmask_b32_e32 v2, v5, v2, vcc_lo
	s_delay_alu instid0(VALU_DEP_2)
	v_lshrrev_b64 v[0:1], v3, v[0:1]
; %bb.851:                              ;   in Loop: Header=BB6_136 Depth=3
	s_and_not1_saveexec_b32 s13, s13
; %bb.852:                              ;   in Loop: Header=BB6_136 Depth=3
	s_delay_alu instid0(VALU_DEP_1)
	v_bfe_u32 v2, v0, 23, 1
; %bb.853:                              ;   in Loop: Header=BB6_136 Depth=3
	s_or_b32 exec_lo, exec_lo, s13
	s_delay_alu instid0(VALU_DEP_2) | instskip(NEXT) | instid1(VALU_DEP_2)
	v_lshrrev_b64 v[0:1], 21, v[0:1]
	v_cmp_gt_i32_e32 vcc_lo, 32, v2
	v_min_i32_e32 v3, 31, v2
	v_cmp_eq_u32_e64 s13, 0, v2
	s_delay_alu instid0(VALU_DEP_2) | instskip(SKIP_1) | instid1(VALU_DEP_2)
	v_dual_cndmask_b32 v1, 0, v1, vcc_lo :: v_dual_lshlrev_b32 v3, 2, v3
	v_cndmask_b32_e32 v0, 3, v0, vcc_lo
	v_and_b32_e32 v3, 0xfc, v3
	s_delay_alu instid0(VALU_DEP_2) | instskip(NEXT) | instid1(VALU_DEP_2)
	v_cmp_eq_u64_e32 vcc_lo, 0, v[0:1]
	v_and_or_b32 v0, v0, 3, v3
	s_and_b32 s13, s13, vcc_lo
	s_delay_alu instid0(VALU_DEP_1) | instid1(SALU_CYCLE_1)
	v_cndmask_b32_e64 v0, v0, 0, s13
	s_delay_alu instid0(VALU_DEP_1)
	v_or_b32_e32 v0, v0, v4
	scratch_store_b32 off, v0, s33 offset:492 ; 4-byte Folded Spill
.LBB6_854:                              ;   in Loop: Header=BB6_136 Depth=3
	s_wait_xcnt 0x0
	s_or_b32 exec_lo, exec_lo, s76
                                        ; implicit-def: $vgpr4
.LBB6_855:                              ;   in Loop: Header=BB6_136 Depth=3
	s_and_not1_saveexec_b32 s13, s75
	s_cbranch_execz .LBB6_857
; %bb.856:                              ;   in Loop: Header=BB6_136 Depth=3
	v_or_b32_e32 v0, 0x7b, v4
	scratch_store_b32 off, v0, s33 offset:492 ; 4-byte Folded Spill
.LBB6_857:                              ;   in Loop: Header=BB6_136 Depth=3
	s_wait_xcnt 0x0
	s_or_b32 exec_lo, exec_lo, s13
                                        ; implicit-def: $vgpr2
                                        ; implicit-def: $vgpr0_vgpr1
                                        ; implicit-def: $vgpr3
.LBB6_858:                              ;   in Loop: Header=BB6_136 Depth=3
	s_and_not1_saveexec_b32 s13, s74
	s_cbranch_execz .LBB6_864
; %bb.859:                              ;   in Loop: Header=BB6_136 Depth=3
	v_cmp_ne_u64_e32 vcc_lo, 0, v[0:1]
                                        ; implicit-def: $vgpr0
                                        ; kill: killed $vgpr0
	s_and_saveexec_b32 s74, vcc_lo
	s_delay_alu instid0(SALU_CYCLE_1)
	s_xor_b32 s74, exec_lo, s74
	s_cbranch_execz .LBB6_861
; %bb.860:                              ;   in Loop: Header=BB6_136 Depth=3
	v_or_b32_e32 v0, 0x7f, v3
                                        ; implicit-def: $vgpr2
	scratch_store_b32 off, v0, s33 offset:492 ; 4-byte Folded Spill
.LBB6_861:                              ;   in Loop: Header=BB6_136 Depth=3
	s_wait_xcnt 0x0
	s_and_not1_saveexec_b32 s74, s74
	s_cbranch_execz .LBB6_863
; %bb.862:                              ;   in Loop: Header=BB6_136 Depth=3
	v_cmp_lt_i32_e32 vcc_lo, -1, v2
	v_mov_b32_e32 v0, 0x7c
	s_delay_alu instid0(VALU_DEP_1)
	v_cndmask_b32_e32 v0, 0xfc, v0, vcc_lo
	scratch_store_b32 off, v0, s33 offset:492 ; 4-byte Folded Spill
.LBB6_863:                              ;   in Loop: Header=BB6_136 Depth=3
	s_wait_xcnt 0x0
	s_or_b32 exec_lo, exec_lo, s74
.LBB6_864:                              ;   in Loop: Header=BB6_136 Depth=3
	s_delay_alu instid0(SALU_CYCLE_1) | instskip(SKIP_1) | instid1(VALU_DEP_1)
	s_or_b32 exec_lo, exec_lo, s13
	v_and_b32_e32 v0, 0xff, v10
	v_cmp_ne_u16_e32 vcc_lo, 0, v0
	v_mov_b32_e32 v0, 0
	s_and_saveexec_b32 s13, vcc_lo
	s_cbranch_execz .LBB6_874
; %bb.865:                              ;   in Loop: Header=BB6_136 Depth=3
	v_bfe_i32 v2, v10, 0, 8
	v_bfrev_b32_e32 v0, 1
	s_mov_b32 s74, exec_lo
	s_delay_alu instid0(VALU_DEP_2)
	v_cmpx_ne_u16_e32 0xff80, v2
	s_cbranch_execz .LBB6_873
; %bb.866:                              ;   in Loop: Header=BB6_136 Depth=3
	v_and_b32_e32 v0, 0x7c, v10
	v_and_b32_e32 v1, 3, v10
	s_delay_alu instid0(VALU_DEP_2) | instskip(SKIP_1) | instid1(SALU_CYCLE_1)
	v_cmp_ne_u32_e32 vcc_lo, 0x7c, v0
                                        ; implicit-def: $vgpr0
	s_and_saveexec_b32 s75, vcc_lo
	s_xor_b32 s75, exec_lo, s75
	s_cbranch_execz .LBB6_870
; %bb.867:                              ;   in Loop: Header=BB6_136 Depth=3
	v_bfe_u32 v0, v10, 2, 5
	s_mov_b32 s76, exec_lo
	s_delay_alu instid0(VALU_DEP_1)
	v_cmpx_eq_u32_e32 0, v0
; %bb.868:                              ;   in Loop: Header=BB6_136 Depth=3
	v_clz_i32_u32_e32 v0, v1
	s_delay_alu instid0(VALU_DEP_1) | instskip(NEXT) | instid1(VALU_DEP_1)
	v_min_u32_e32 v0, 32, v0
	v_subrev_nc_u32_e32 v1, 29, v0
	s_delay_alu instid0(VALU_DEP_1) | instskip(NEXT) | instid1(VALU_DEP_1)
	v_lshlrev_b64_e32 v[2:3], v1, v[10:11]
	v_dual_sub_nc_u32 v0, 30, v0 :: v_dual_bitop2_b32 v1, 3, v2 bitop3:0x40
; %bb.869:                              ;   in Loop: Header=BB6_136 Depth=3
	s_or_b32 exec_lo, exec_lo, s76
	v_lshlrev_b32_e32 v2, 24, v10
	s_delay_alu instid0(VALU_DEP_1) | instskip(NEXT) | instid1(VALU_DEP_1)
	v_and_b32_e32 v2, 0x80000000, v2
	v_lshl_add_u32 v0, v0, 23, v2
                                        ; implicit-def: $vgpr2
	s_delay_alu instid0(VALU_DEP_1) | instskip(NEXT) | instid1(VALU_DEP_1)
	v_lshl_or_b32 v0, v1, 21, v0
                                        ; implicit-def: $vgpr1
	v_add_nc_u32_e32 v0, 0x38000000, v0
.LBB6_870:                              ;   in Loop: Header=BB6_136 Depth=3
	s_and_not1_saveexec_b32 s75, s75
; %bb.871:                              ;   in Loop: Header=BB6_136 Depth=3
	v_cmp_lt_i16_e32 vcc_lo, -1, v2
	v_mov_b32_e32 v0, 0x7f800000
	s_delay_alu instid0(VALU_DEP_1) | instskip(SKIP_1) | instid1(VALU_DEP_2)
	v_cndmask_b32_e32 v0, 0xff800000, v0, vcc_lo
	v_cmp_eq_u32_e32 vcc_lo, 0, v1
	v_cndmask_b32_e32 v0, 0x7f800001, v0, vcc_lo
; %bb.872:                              ;   in Loop: Header=BB6_136 Depth=3
	s_or_b32 exec_lo, exec_lo, s75
.LBB6_873:                              ;   in Loop: Header=BB6_136 Depth=3
	s_delay_alu instid0(SALU_CYCLE_1)
	s_or_b32 exec_lo, exec_lo, s74
.LBB6_874:                              ;   in Loop: Header=BB6_136 Depth=3
	s_delay_alu instid0(SALU_CYCLE_1) | instskip(NEXT) | instid1(VALU_DEP_1)
	s_or_b32 exec_lo, exec_lo, s13
	v_dual_mul_f32 v2, s73, v0 :: v_dual_mov_b32 v5, v113
	v_mov_b32_e32 v1, v113
                                        ; implicit-def: $vgpr66
	s_mov_b32 s13, exec_lo
	s_delay_alu instid0(VALU_DEP_2) | instskip(SKIP_2) | instid1(VALU_DEP_3)
	v_and_b32_e32 v4, 0x7f800000, v2
	v_and_b32_e32 v0, 0x7fffff, v2
	v_lshrrev_b32_e32 v3, 24, v2
	v_cmpx_ne_u64_e32 0x7f800000, v[4:5]
	s_xor_b32 s74, exec_lo, s13
	s_cbranch_execz .LBB6_888
; %bb.875:                              ;   in Loop: Header=BB6_136 Depth=3
	v_and_b32_e32 v4, 0x7fffffff, v2
	v_mov_b32_e32 v5, v113
                                        ; implicit-def: $vgpr66
	s_delay_alu instid0(VALU_DEP_1) | instskip(SKIP_2) | instid1(SALU_CYCLE_1)
	v_cmp_gt_u64_e32 vcc_lo, 0x47600001, v[4:5]
	v_and_b32_e32 v4, 0x80, v3
	s_and_saveexec_b32 s13, vcc_lo
	s_xor_b32 s75, exec_lo, s13
	s_cbranch_execz .LBB6_885
; %bb.876:                              ;   in Loop: Header=BB6_136 Depth=3
	v_mov_b32_e32 v66, 0
	s_mov_b32 s76, exec_lo
	v_cmpx_ne_u32_e32 0, v2
	s_cbranch_execz .LBB6_884
; %bb.877:                              ;   in Loop: Header=BB6_136 Depth=3
	v_bfe_u32 v5, v2, 23, 8
	v_or_b32_e32 v8, 0x800000, v0
	s_delay_alu instid0(VALU_DEP_2) | instskip(SKIP_1) | instid1(VALU_DEP_2)
	v_sub_nc_u32_e32 v2, 0x71, v5
	v_cmp_gt_u32_e32 vcc_lo, 0x72, v5
	v_cndmask_b32_e32 v2, 0, v2, vcc_lo
	v_cmp_eq_u32_e32 vcc_lo, 0, v5
	s_delay_alu instid0(VALU_DEP_2) | instskip(NEXT) | instid1(VALU_DEP_1)
	v_cndmask_b32_e64 v7, v2, 0x70, vcc_lo
	v_dual_cndmask_b32 v0, v8, v0, vcc_lo :: v_dual_add_nc_u32 v2, 21, v7
	v_add_nc_u32_e32 v9, 20, v7
	s_delay_alu instid0(VALU_DEP_2) | instskip(NEXT) | instid1(VALU_DEP_2)
	v_lshlrev_b64_e64 v[2:3], v2, -1
	v_lshlrev_b64_e64 v[8:9], v9, 1
	s_delay_alu instid0(VALU_DEP_2) | instskip(SKIP_1) | instid1(VALU_DEP_4)
	v_bfi_b32 v2, v2, 0, v0
	v_lshrrev_b64 v[0:1], v7, v[0:1]
	v_bfi_b32 v3, v3, 0, 0
	s_delay_alu instid0(VALU_DEP_1) | instskip(NEXT) | instid1(VALU_DEP_3)
	v_cmp_eq_u64_e64 s13, v[2:3], v[8:9]
	v_mov_b64_e32 v[2:3], v[0:1]
	s_and_saveexec_b32 s77, s13
; %bb.878:                              ;   in Loop: Header=BB6_136 Depth=3
	v_bfe_u32 v2, v0, 21, 1
	v_mov_b32_e32 v3, v113
	s_delay_alu instid0(VALU_DEP_1) | instskip(NEXT) | instid1(VALU_DEP_1)
	v_add_nc_u64_e32 v[2:3], v[0:1], v[2:3]
	v_add_nc_u64_e32 v[2:3], -1, v[2:3]
; %bb.879:                              ;   in Loop: Header=BB6_136 Depth=3
	s_or_b32 exec_lo, exec_lo, s77
	v_add_nc_u32_e32 v1, 0xffffff81, v5
	v_lshrrev_b32_e32 v3, 23, v0
	s_mov_b32 s13, exec_lo
	s_delay_alu instid0(VALU_DEP_2) | instskip(NEXT) | instid1(VALU_DEP_1)
	v_cndmask_b32_e64 v1, v1, 0xffffff82, vcc_lo
	v_add3_u32 v3, v7, v1, v3
	v_and_b32_e32 v1, 0x1fffff, v2
                                        ; implicit-def: $vgpr2
	s_delay_alu instid0(VALU_DEP_1) | instskip(SKIP_1) | instid1(VALU_DEP_2)
	v_dual_add_nc_u32 v5, 14, v3 :: v_dual_add_nc_u32 v0, v1, v0
	v_mov_b32_e32 v1, v113
	v_cmpx_ne_u32_e32 0, v5
	s_xor_b32 s13, exec_lo, s13
; %bb.880:                              ;   in Loop: Header=BB6_136 Depth=3
	s_delay_alu instid0(VALU_DEP_2) | instskip(SKIP_2) | instid1(VALU_DEP_2)
	v_cmp_lt_u64_e32 vcc_lo, 0xffffff, v[0:1]
	v_add_nc_u32_e32 v2, 15, v3
	v_cndmask_b32_e64 v3, 0, 1, vcc_lo
	v_cndmask_b32_e32 v2, v5, v2, vcc_lo
	s_delay_alu instid0(VALU_DEP_2)
	v_lshrrev_b64 v[0:1], v3, v[0:1]
; %bb.881:                              ;   in Loop: Header=BB6_136 Depth=3
	s_and_not1_saveexec_b32 s13, s13
; %bb.882:                              ;   in Loop: Header=BB6_136 Depth=3
	s_delay_alu instid0(VALU_DEP_1)
	v_bfe_u32 v2, v0, 23, 1
; %bb.883:                              ;   in Loop: Header=BB6_136 Depth=3
	s_or_b32 exec_lo, exec_lo, s13
	s_delay_alu instid0(VALU_DEP_2) | instskip(NEXT) | instid1(VALU_DEP_2)
	v_lshrrev_b64 v[0:1], 21, v[0:1]
	v_cmp_gt_i32_e32 vcc_lo, 32, v2
	v_min_i32_e32 v3, 31, v2
	v_cmp_eq_u32_e64 s13, 0, v2
	s_delay_alu instid0(VALU_DEP_2) | instskip(SKIP_1) | instid1(VALU_DEP_2)
	v_dual_cndmask_b32 v1, 0, v1, vcc_lo :: v_dual_lshlrev_b32 v3, 2, v3
	v_cndmask_b32_e32 v0, 3, v0, vcc_lo
	v_and_b32_e32 v3, 0xfc, v3
	s_delay_alu instid0(VALU_DEP_2) | instskip(NEXT) | instid1(VALU_DEP_2)
	v_cmp_eq_u64_e32 vcc_lo, 0, v[0:1]
	v_and_or_b32 v0, v0, 3, v3
	s_and_b32 s13, s13, vcc_lo
	s_delay_alu instid0(VALU_DEP_1) | instid1(SALU_CYCLE_1)
	v_cndmask_b32_e64 v0, v0, 0, s13
	s_delay_alu instid0(VALU_DEP_1)
	v_or_b32_e32 v66, v0, v4
.LBB6_884:                              ;   in Loop: Header=BB6_136 Depth=3
	s_or_b32 exec_lo, exec_lo, s76
                                        ; implicit-def: $vgpr4
.LBB6_885:                              ;   in Loop: Header=BB6_136 Depth=3
	s_and_not1_saveexec_b32 s13, s75
; %bb.886:                              ;   in Loop: Header=BB6_136 Depth=3
	v_or_b32_e32 v66, 0x7b, v4
; %bb.887:                              ;   in Loop: Header=BB6_136 Depth=3
	s_or_b32 exec_lo, exec_lo, s13
                                        ; implicit-def: $vgpr2
                                        ; implicit-def: $vgpr0_vgpr1
                                        ; implicit-def: $vgpr3
.LBB6_888:                              ;   in Loop: Header=BB6_136 Depth=3
	s_and_not1_saveexec_b32 s13, s74
	s_cbranch_execz .LBB6_894
; %bb.889:                              ;   in Loop: Header=BB6_136 Depth=3
	s_mov_b32 s74, exec_lo
                                        ; implicit-def: $vgpr66
	v_cmpx_ne_u64_e32 0, v[0:1]
	s_xor_b32 s74, exec_lo, s74
; %bb.890:                              ;   in Loop: Header=BB6_136 Depth=3
	v_or_b32_e32 v66, 0x7f, v3
                                        ; implicit-def: $vgpr2
; %bb.891:                              ;   in Loop: Header=BB6_136 Depth=3
	s_and_not1_saveexec_b32 s74, s74
; %bb.892:                              ;   in Loop: Header=BB6_136 Depth=3
	v_cmp_lt_i32_e32 vcc_lo, -1, v2
	v_mov_b32_e32 v0, 0x7c
	s_delay_alu instid0(VALU_DEP_1)
	v_cndmask_b32_e32 v66, 0xfc, v0, vcc_lo
; %bb.893:                              ;   in Loop: Header=BB6_136 Depth=3
	s_or_b32 exec_lo, exec_lo, s74
.LBB6_894:                              ;   in Loop: Header=BB6_136 Depth=3
	s_delay_alu instid0(SALU_CYCLE_1) | instskip(SKIP_3) | instid1(VALU_DEP_2)
	s_or_b32 exec_lo, exec_lo, s13
	v_lshrrev_b16 v0, 8, v10
	v_mov_b32_e32 v2, 0
	s_mov_b32 s13, exec_lo
	v_cmpx_ne_u16_e32 0, v0
	s_cbranch_execz .LBB6_904
; %bb.895:                              ;   in Loop: Header=BB6_136 Depth=3
	v_bfrev_b32_e32 v2, 1
	s_mov_b32 s74, exec_lo
	v_cmpx_ne_u16_e32 0x80, v0
	s_cbranch_execz .LBB6_903
; %bb.896:                              ;   in Loop: Header=BB6_136 Depth=3
	v_and_b32_e32 v3, 0xffff, v0
	s_delay_alu instid0(VALU_DEP_1) | instskip(SKIP_1) | instid1(VALU_DEP_2)
	v_and_b32_e32 v2, 0x7c, v3
	v_and_b32_e32 v1, 3, v3
	v_cmp_ne_u32_e32 vcc_lo, 0x7c, v2
                                        ; implicit-def: $vgpr2
	s_and_saveexec_b32 s75, vcc_lo
	s_delay_alu instid0(SALU_CYCLE_1)
	s_xor_b32 s75, exec_lo, s75
	s_cbranch_execz .LBB6_900
; %bb.897:                              ;   in Loop: Header=BB6_136 Depth=3
	v_bfe_u32 v2, v3, 2, 5
	s_mov_b32 s76, exec_lo
	s_delay_alu instid0(VALU_DEP_1)
	v_cmpx_eq_u32_e32 0, v2
	s_cbranch_execz .LBB6_899
; %bb.898:                              ;   in Loop: Header=BB6_136 Depth=3
	v_clz_i32_u32_e32 v1, v1
	s_delay_alu instid0(VALU_DEP_1) | instskip(SKIP_1) | instid1(VALU_DEP_2)
	v_min_u32_e32 v2, 32, v1
	v_mov_b32_e32 v1, v113
	v_subrev_nc_u32_e32 v3, 29, v2
	v_sub_nc_u32_e32 v2, 30, v2
	s_delay_alu instid0(VALU_DEP_2) | instskip(NEXT) | instid1(VALU_DEP_1)
	v_lshlrev_b64_e32 v[0:1], v3, v[0:1]
	v_and_b32_e32 v1, 3, v0
.LBB6_899:                              ;   in Loop: Header=BB6_136 Depth=3
	s_or_b32 exec_lo, exec_lo, s76
	v_lshlrev_b32_e32 v0, 16, v10
	s_delay_alu instid0(VALU_DEP_1) | instskip(NEXT) | instid1(VALU_DEP_1)
	v_and_b32_e32 v0, 0x80000000, v0
	v_lshl_add_u32 v0, v2, 23, v0
	s_delay_alu instid0(VALU_DEP_1) | instskip(NEXT) | instid1(VALU_DEP_1)
	v_lshl_or_b32 v0, v1, 21, v0
                                        ; implicit-def: $vgpr1
	v_add_nc_u32_e32 v2, 0x38000000, v0
.LBB6_900:                              ;   in Loop: Header=BB6_136 Depth=3
	s_and_not1_saveexec_b32 s75, s75
; %bb.901:                              ;   in Loop: Header=BB6_136 Depth=3
	v_cmp_lt_i16_e32 vcc_lo, -1, v10
	v_mov_b32_e32 v0, 0x7f800000
	s_delay_alu instid0(VALU_DEP_1) | instskip(SKIP_1) | instid1(VALU_DEP_2)
	v_cndmask_b32_e32 v0, 0xff800000, v0, vcc_lo
	v_cmp_eq_u32_e32 vcc_lo, 0, v1
	v_cndmask_b32_e32 v2, 0x7f800001, v0, vcc_lo
; %bb.902:                              ;   in Loop: Header=BB6_136 Depth=3
	s_or_b32 exec_lo, exec_lo, s75
.LBB6_903:                              ;   in Loop: Header=BB6_136 Depth=3
	s_delay_alu instid0(SALU_CYCLE_1)
	s_or_b32 exec_lo, exec_lo, s74
.LBB6_904:                              ;   in Loop: Header=BB6_136 Depth=3
	s_delay_alu instid0(SALU_CYCLE_1) | instskip(NEXT) | instid1(VALU_DEP_1)
	s_or_b32 exec_lo, exec_lo, s13
	v_dual_mul_f32 v2, s73, v2 :: v_dual_mov_b32 v5, v113
	v_mov_b32_e32 v1, v113
                                        ; implicit-def: $vgpr67
	s_mov_b32 s13, exec_lo
	s_delay_alu instid0(VALU_DEP_2) | instskip(SKIP_2) | instid1(VALU_DEP_3)
	v_and_b32_e32 v4, 0x7f800000, v2
	v_and_b32_e32 v0, 0x7fffff, v2
	v_lshrrev_b32_e32 v3, 24, v2
	v_cmpx_ne_u64_e32 0x7f800000, v[4:5]
	s_xor_b32 s74, exec_lo, s13
	s_cbranch_execz .LBB6_918
; %bb.905:                              ;   in Loop: Header=BB6_136 Depth=3
	v_and_b32_e32 v4, 0x7fffffff, v2
	v_mov_b32_e32 v5, v113
                                        ; implicit-def: $vgpr67
	s_delay_alu instid0(VALU_DEP_1) | instskip(SKIP_2) | instid1(SALU_CYCLE_1)
	v_cmp_gt_u64_e32 vcc_lo, 0x47600001, v[4:5]
	v_and_b32_e32 v4, 0x80, v3
	s_and_saveexec_b32 s13, vcc_lo
	s_xor_b32 s75, exec_lo, s13
	s_cbranch_execz .LBB6_915
; %bb.906:                              ;   in Loop: Header=BB6_136 Depth=3
	v_mov_b32_e32 v67, 0
	s_mov_b32 s76, exec_lo
	v_cmpx_ne_u32_e32 0, v2
	s_cbranch_execz .LBB6_914
; %bb.907:                              ;   in Loop: Header=BB6_136 Depth=3
	v_bfe_u32 v5, v2, 23, 8
	v_or_b32_e32 v3, 0x800000, v0
	s_delay_alu instid0(VALU_DEP_2) | instskip(SKIP_2) | instid1(VALU_DEP_2)
	v_cmp_gt_u32_e64 s13, 0x72, v5
	v_sub_nc_u32_e32 v2, 0x71, v5
	v_cmp_eq_u32_e32 vcc_lo, 0, v5
	v_dual_cndmask_b32 v2, 0, v2, s13 :: v_dual_cndmask_b32 v0, v3, v0, vcc_lo
	s_delay_alu instid0(VALU_DEP_1) | instskip(NEXT) | instid1(VALU_DEP_1)
	v_cndmask_b32_e64 v7, v2, 0x70, vcc_lo
	v_dual_add_nc_u32 v2, 21, v7 :: v_dual_add_nc_u32 v8, 20, v7
	s_delay_alu instid0(VALU_DEP_1) | instskip(NEXT) | instid1(VALU_DEP_2)
	v_lshlrev_b64_e64 v[2:3], v2, -1
	v_lshlrev_b64_e64 v[8:9], v8, 1
	s_delay_alu instid0(VALU_DEP_2) | instskip(SKIP_1) | instid1(VALU_DEP_4)
	v_bfi_b32 v2, v2, 0, v0
	v_lshrrev_b64 v[0:1], v7, v[0:1]
	v_bfi_b32 v3, v3, 0, 0
	s_delay_alu instid0(VALU_DEP_1) | instskip(NEXT) | instid1(VALU_DEP_3)
	v_cmp_eq_u64_e64 s13, v[2:3], v[8:9]
	v_mov_b64_e32 v[2:3], v[0:1]
	s_and_saveexec_b32 s77, s13
; %bb.908:                              ;   in Loop: Header=BB6_136 Depth=3
	v_bfe_u32 v2, v0, 21, 1
	v_mov_b32_e32 v3, v113
	s_delay_alu instid0(VALU_DEP_1) | instskip(NEXT) | instid1(VALU_DEP_1)
	v_add_nc_u64_e32 v[2:3], v[0:1], v[2:3]
	v_add_nc_u64_e32 v[2:3], -1, v[2:3]
; %bb.909:                              ;   in Loop: Header=BB6_136 Depth=3
	s_or_b32 exec_lo, exec_lo, s77
	v_add_nc_u32_e32 v1, 0xffffff81, v5
	v_lshrrev_b32_e32 v3, 23, v0
	s_mov_b32 s13, exec_lo
	s_delay_alu instid0(VALU_DEP_2) | instskip(NEXT) | instid1(VALU_DEP_1)
	v_cndmask_b32_e64 v1, v1, 0xffffff82, vcc_lo
	v_add3_u32 v3, v7, v1, v3
	v_and_b32_e32 v1, 0x1fffff, v2
                                        ; implicit-def: $vgpr2
	s_delay_alu instid0(VALU_DEP_1) | instskip(SKIP_1) | instid1(VALU_DEP_2)
	v_dual_add_nc_u32 v5, 14, v3 :: v_dual_add_nc_u32 v0, v1, v0
	v_mov_b32_e32 v1, v113
	v_cmpx_ne_u32_e32 0, v5
	s_xor_b32 s13, exec_lo, s13
; %bb.910:                              ;   in Loop: Header=BB6_136 Depth=3
	s_delay_alu instid0(VALU_DEP_2) | instskip(SKIP_2) | instid1(VALU_DEP_2)
	v_cmp_lt_u64_e32 vcc_lo, 0xffffff, v[0:1]
	v_add_nc_u32_e32 v2, 15, v3
	v_cndmask_b32_e64 v3, 0, 1, vcc_lo
	v_cndmask_b32_e32 v2, v5, v2, vcc_lo
	s_delay_alu instid0(VALU_DEP_2)
	v_lshrrev_b64 v[0:1], v3, v[0:1]
; %bb.911:                              ;   in Loop: Header=BB6_136 Depth=3
	s_and_not1_saveexec_b32 s13, s13
; %bb.912:                              ;   in Loop: Header=BB6_136 Depth=3
	s_delay_alu instid0(VALU_DEP_1)
	v_bfe_u32 v2, v0, 23, 1
; %bb.913:                              ;   in Loop: Header=BB6_136 Depth=3
	s_or_b32 exec_lo, exec_lo, s13
	s_delay_alu instid0(VALU_DEP_2) | instskip(NEXT) | instid1(VALU_DEP_2)
	v_lshrrev_b64 v[0:1], 21, v[0:1]
	v_cmp_gt_i32_e32 vcc_lo, 32, v2
	v_min_i32_e32 v3, 31, v2
	v_cmp_eq_u32_e64 s13, 0, v2
	s_delay_alu instid0(VALU_DEP_2) | instskip(SKIP_1) | instid1(VALU_DEP_2)
	v_dual_cndmask_b32 v1, 0, v1, vcc_lo :: v_dual_lshlrev_b32 v3, 2, v3
	v_cndmask_b32_e32 v0, 3, v0, vcc_lo
	v_and_b32_e32 v3, 0xfc, v3
	s_delay_alu instid0(VALU_DEP_2) | instskip(NEXT) | instid1(VALU_DEP_2)
	v_cmp_eq_u64_e32 vcc_lo, 0, v[0:1]
	v_and_or_b32 v0, v0, 3, v3
	s_and_b32 s13, s13, vcc_lo
	s_delay_alu instid0(VALU_DEP_1) | instid1(SALU_CYCLE_1)
	v_cndmask_b32_e64 v0, v0, 0, s13
	s_delay_alu instid0(VALU_DEP_1)
	v_or_b32_e32 v67, v0, v4
.LBB6_914:                              ;   in Loop: Header=BB6_136 Depth=3
	s_or_b32 exec_lo, exec_lo, s76
                                        ; implicit-def: $vgpr4
.LBB6_915:                              ;   in Loop: Header=BB6_136 Depth=3
	s_and_not1_saveexec_b32 s13, s75
; %bb.916:                              ;   in Loop: Header=BB6_136 Depth=3
	v_or_b32_e32 v67, 0x7b, v4
; %bb.917:                              ;   in Loop: Header=BB6_136 Depth=3
	s_or_b32 exec_lo, exec_lo, s13
                                        ; implicit-def: $vgpr2
                                        ; implicit-def: $vgpr0_vgpr1
                                        ; implicit-def: $vgpr3
.LBB6_918:                              ;   in Loop: Header=BB6_136 Depth=3
	s_and_not1_saveexec_b32 s13, s74
	s_cbranch_execz .LBB6_924
; %bb.919:                              ;   in Loop: Header=BB6_136 Depth=3
	s_mov_b32 s74, exec_lo
                                        ; implicit-def: $vgpr67
	v_cmpx_ne_u64_e32 0, v[0:1]
	s_xor_b32 s74, exec_lo, s74
; %bb.920:                              ;   in Loop: Header=BB6_136 Depth=3
	v_or_b32_e32 v67, 0x7f, v3
                                        ; implicit-def: $vgpr2
; %bb.921:                              ;   in Loop: Header=BB6_136 Depth=3
	s_and_not1_saveexec_b32 s74, s74
; %bb.922:                              ;   in Loop: Header=BB6_136 Depth=3
	v_cmp_lt_i32_e32 vcc_lo, -1, v2
	v_mov_b32_e32 v0, 0x7c
	s_delay_alu instid0(VALU_DEP_1)
	v_cndmask_b32_e32 v67, 0xfc, v0, vcc_lo
; %bb.923:                              ;   in Loop: Header=BB6_136 Depth=3
	s_or_b32 exec_lo, exec_lo, s74
.LBB6_924:                              ;   in Loop: Header=BB6_136 Depth=3
	s_delay_alu instid0(SALU_CYCLE_1) | instskip(SKIP_2) | instid1(VALU_DEP_1)
	s_or_b32 exec_lo, exec_lo, s13
	v_dual_lshrrev_b32 v0, 16, v10 :: v_dual_mov_b32 v2, 0
	s_mov_b32 s13, exec_lo
	v_and_b32_e32 v1, 0xff, v0
	s_delay_alu instid0(VALU_DEP_1)
	v_cmpx_ne_u16_e32 0, v1
	s_cbranch_execz .LBB6_934
; %bb.925:                              ;   in Loop: Header=BB6_136 Depth=3
	v_bfrev_b32_e32 v2, 1
	s_mov_b32 s74, exec_lo
	v_cmpx_ne_u16_e32 0x80, v1
	s_cbranch_execz .LBB6_933
; %bb.926:                              ;   in Loop: Header=BB6_136 Depth=3
	v_and_b32_e32 v2, 0x7c0000, v10
	v_bfe_u32 v1, v10, 16, 2
	s_delay_alu instid0(VALU_DEP_2) | instskip(SKIP_1) | instid1(SALU_CYCLE_1)
	v_cmp_ne_u32_e32 vcc_lo, 0x7c0000, v2
                                        ; implicit-def: $vgpr2
	s_and_saveexec_b32 s75, vcc_lo
	s_xor_b32 s75, exec_lo, s75
	s_cbranch_execz .LBB6_930
; %bb.927:                              ;   in Loop: Header=BB6_136 Depth=3
	v_bfe_u32 v2, v10, 18, 5
	s_mov_b32 s76, exec_lo
	s_delay_alu instid0(VALU_DEP_1)
	v_cmpx_eq_u32_e32 0, v2
; %bb.928:                              ;   in Loop: Header=BB6_136 Depth=3
	v_clz_i32_u32_e32 v1, v1
	s_delay_alu instid0(VALU_DEP_1) | instskip(NEXT) | instid1(VALU_DEP_1)
	v_min_u32_e32 v1, 32, v1
	v_subrev_nc_u32_e32 v2, 29, v1
	s_delay_alu instid0(VALU_DEP_1) | instskip(NEXT) | instid1(VALU_DEP_1)
	v_lshlrev_b64_e32 v[4:5], v2, v[0:1]
	v_dual_sub_nc_u32 v2, 30, v1 :: v_dual_bitop2_b32 v1, 3, v4 bitop3:0x40
; %bb.929:                              ;   in Loop: Header=BB6_136 Depth=3
	s_or_b32 exec_lo, exec_lo, s76
	v_lshlrev_b32_e32 v0, 24, v0
	s_delay_alu instid0(VALU_DEP_1) | instskip(NEXT) | instid1(VALU_DEP_1)
	v_and_b32_e32 v0, 0x80000000, v0
	v_lshl_add_u32 v0, v2, 23, v0
	s_delay_alu instid0(VALU_DEP_1) | instskip(NEXT) | instid1(VALU_DEP_1)
	v_lshl_or_b32 v0, v1, 21, v0
                                        ; implicit-def: $vgpr1
	v_add_nc_u32_e32 v2, 0x38000000, v0
                                        ; implicit-def: $vgpr0
.LBB6_930:                              ;   in Loop: Header=BB6_136 Depth=3
	s_and_not1_saveexec_b32 s75, s75
; %bb.931:                              ;   in Loop: Header=BB6_136 Depth=3
	v_bfe_i32 v0, v0, 0, 8
	s_delay_alu instid0(VALU_DEP_1) | instskip(SKIP_1) | instid1(VALU_DEP_1)
	v_cmp_lt_i16_e32 vcc_lo, -1, v0
	v_mov_b32_e32 v0, 0x7f800000
	v_cndmask_b32_e32 v0, 0xff800000, v0, vcc_lo
	v_cmp_eq_u32_e32 vcc_lo, 0, v1
	s_delay_alu instid0(VALU_DEP_2)
	v_cndmask_b32_e32 v2, 0x7f800001, v0, vcc_lo
; %bb.932:                              ;   in Loop: Header=BB6_136 Depth=3
	s_or_b32 exec_lo, exec_lo, s75
.LBB6_933:                              ;   in Loop: Header=BB6_136 Depth=3
	s_delay_alu instid0(SALU_CYCLE_1)
	s_or_b32 exec_lo, exec_lo, s74
.LBB6_934:                              ;   in Loop: Header=BB6_136 Depth=3
	s_delay_alu instid0(SALU_CYCLE_1) | instskip(NEXT) | instid1(VALU_DEP_1)
	s_or_b32 exec_lo, exec_lo, s13
	v_dual_mul_f32 v2, s73, v2 :: v_dual_mov_b32 v5, v113
	v_mov_b32_e32 v1, v113
                                        ; implicit-def: $vgpr68
	s_mov_b32 s13, exec_lo
	s_delay_alu instid0(VALU_DEP_2) | instskip(SKIP_2) | instid1(VALU_DEP_3)
	v_and_b32_e32 v4, 0x7f800000, v2
	v_and_b32_e32 v0, 0x7fffff, v2
	v_lshrrev_b32_e32 v3, 24, v2
	v_cmpx_ne_u64_e32 0x7f800000, v[4:5]
	s_xor_b32 s74, exec_lo, s13
	s_cbranch_execz .LBB6_948
; %bb.935:                              ;   in Loop: Header=BB6_136 Depth=3
	v_and_b32_e32 v4, 0x7fffffff, v2
	v_mov_b32_e32 v5, v113
                                        ; implicit-def: $vgpr68
	s_delay_alu instid0(VALU_DEP_1) | instskip(SKIP_2) | instid1(SALU_CYCLE_1)
	v_cmp_gt_u64_e32 vcc_lo, 0x47600001, v[4:5]
	v_and_b32_e32 v4, 0x80, v3
	s_and_saveexec_b32 s13, vcc_lo
	s_xor_b32 s75, exec_lo, s13
	s_cbranch_execz .LBB6_945
; %bb.936:                              ;   in Loop: Header=BB6_136 Depth=3
	v_mov_b32_e32 v68, 0
	s_mov_b32 s76, exec_lo
	v_cmpx_ne_u32_e32 0, v2
	s_cbranch_execz .LBB6_944
; %bb.937:                              ;   in Loop: Header=BB6_136 Depth=3
	v_bfe_u32 v5, v2, 23, 8
	v_or_b32_e32 v3, 0x800000, v0
	s_delay_alu instid0(VALU_DEP_2) | instskip(SKIP_2) | instid1(VALU_DEP_2)
	v_cmp_gt_u32_e64 s13, 0x72, v5
	v_sub_nc_u32_e32 v2, 0x71, v5
	v_cmp_eq_u32_e32 vcc_lo, 0, v5
	v_dual_cndmask_b32 v2, 0, v2, s13 :: v_dual_cndmask_b32 v0, v3, v0, vcc_lo
	s_delay_alu instid0(VALU_DEP_1) | instskip(NEXT) | instid1(VALU_DEP_1)
	v_cndmask_b32_e64 v7, v2, 0x70, vcc_lo
	v_dual_add_nc_u32 v2, 21, v7 :: v_dual_add_nc_u32 v8, 20, v7
	s_delay_alu instid0(VALU_DEP_1) | instskip(NEXT) | instid1(VALU_DEP_2)
	v_lshlrev_b64_e64 v[2:3], v2, -1
	v_lshlrev_b64_e64 v[8:9], v8, 1
	s_delay_alu instid0(VALU_DEP_2) | instskip(SKIP_1) | instid1(VALU_DEP_4)
	v_bfi_b32 v2, v2, 0, v0
	v_lshrrev_b64 v[0:1], v7, v[0:1]
	v_bfi_b32 v3, v3, 0, 0
	s_delay_alu instid0(VALU_DEP_1) | instskip(NEXT) | instid1(VALU_DEP_3)
	v_cmp_eq_u64_e64 s13, v[2:3], v[8:9]
	v_mov_b64_e32 v[2:3], v[0:1]
	s_and_saveexec_b32 s77, s13
; %bb.938:                              ;   in Loop: Header=BB6_136 Depth=3
	v_bfe_u32 v2, v0, 21, 1
	v_mov_b32_e32 v3, v113
	s_delay_alu instid0(VALU_DEP_1) | instskip(NEXT) | instid1(VALU_DEP_1)
	v_add_nc_u64_e32 v[2:3], v[0:1], v[2:3]
	v_add_nc_u64_e32 v[2:3], -1, v[2:3]
; %bb.939:                              ;   in Loop: Header=BB6_136 Depth=3
	s_or_b32 exec_lo, exec_lo, s77
	v_add_nc_u32_e32 v1, 0xffffff81, v5
	v_lshrrev_b32_e32 v3, 23, v0
	s_mov_b32 s13, exec_lo
	s_delay_alu instid0(VALU_DEP_2) | instskip(NEXT) | instid1(VALU_DEP_1)
	v_cndmask_b32_e64 v1, v1, 0xffffff82, vcc_lo
	v_add3_u32 v3, v7, v1, v3
	v_and_b32_e32 v1, 0x1fffff, v2
                                        ; implicit-def: $vgpr2
	s_delay_alu instid0(VALU_DEP_1) | instskip(SKIP_1) | instid1(VALU_DEP_2)
	v_dual_add_nc_u32 v5, 14, v3 :: v_dual_add_nc_u32 v0, v1, v0
	v_mov_b32_e32 v1, v113
	v_cmpx_ne_u32_e32 0, v5
	s_xor_b32 s13, exec_lo, s13
; %bb.940:                              ;   in Loop: Header=BB6_136 Depth=3
	s_delay_alu instid0(VALU_DEP_2) | instskip(SKIP_2) | instid1(VALU_DEP_2)
	v_cmp_lt_u64_e32 vcc_lo, 0xffffff, v[0:1]
	v_add_nc_u32_e32 v2, 15, v3
	v_cndmask_b32_e64 v3, 0, 1, vcc_lo
	v_cndmask_b32_e32 v2, v5, v2, vcc_lo
	s_delay_alu instid0(VALU_DEP_2)
	v_lshrrev_b64 v[0:1], v3, v[0:1]
; %bb.941:                              ;   in Loop: Header=BB6_136 Depth=3
	s_and_not1_saveexec_b32 s13, s13
; %bb.942:                              ;   in Loop: Header=BB6_136 Depth=3
	s_delay_alu instid0(VALU_DEP_1)
	v_bfe_u32 v2, v0, 23, 1
; %bb.943:                              ;   in Loop: Header=BB6_136 Depth=3
	s_or_b32 exec_lo, exec_lo, s13
	s_delay_alu instid0(VALU_DEP_2) | instskip(NEXT) | instid1(VALU_DEP_2)
	v_lshrrev_b64 v[0:1], 21, v[0:1]
	v_cmp_gt_i32_e32 vcc_lo, 32, v2
	v_min_i32_e32 v3, 31, v2
	v_cmp_eq_u32_e64 s13, 0, v2
	s_delay_alu instid0(VALU_DEP_2) | instskip(SKIP_1) | instid1(VALU_DEP_2)
	v_dual_cndmask_b32 v1, 0, v1, vcc_lo :: v_dual_lshlrev_b32 v3, 2, v3
	v_cndmask_b32_e32 v0, 3, v0, vcc_lo
	v_and_b32_e32 v3, 0xfc, v3
	s_delay_alu instid0(VALU_DEP_2) | instskip(NEXT) | instid1(VALU_DEP_2)
	v_cmp_eq_u64_e32 vcc_lo, 0, v[0:1]
	v_and_or_b32 v0, v0, 3, v3
	s_and_b32 s13, s13, vcc_lo
	s_delay_alu instid0(VALU_DEP_1) | instid1(SALU_CYCLE_1)
	v_cndmask_b32_e64 v0, v0, 0, s13
	s_delay_alu instid0(VALU_DEP_1)
	v_or_b32_e32 v68, v0, v4
.LBB6_944:                              ;   in Loop: Header=BB6_136 Depth=3
	s_or_b32 exec_lo, exec_lo, s76
                                        ; implicit-def: $vgpr4
.LBB6_945:                              ;   in Loop: Header=BB6_136 Depth=3
	s_and_not1_saveexec_b32 s13, s75
; %bb.946:                              ;   in Loop: Header=BB6_136 Depth=3
	v_or_b32_e32 v68, 0x7b, v4
; %bb.947:                              ;   in Loop: Header=BB6_136 Depth=3
	s_or_b32 exec_lo, exec_lo, s13
                                        ; implicit-def: $vgpr2
                                        ; implicit-def: $vgpr0_vgpr1
                                        ; implicit-def: $vgpr3
.LBB6_948:                              ;   in Loop: Header=BB6_136 Depth=3
	s_and_not1_saveexec_b32 s13, s74
	s_cbranch_execz .LBB6_954
; %bb.949:                              ;   in Loop: Header=BB6_136 Depth=3
	s_mov_b32 s74, exec_lo
                                        ; implicit-def: $vgpr68
	v_cmpx_ne_u64_e32 0, v[0:1]
	s_xor_b32 s74, exec_lo, s74
; %bb.950:                              ;   in Loop: Header=BB6_136 Depth=3
	v_or_b32_e32 v68, 0x7f, v3
                                        ; implicit-def: $vgpr2
; %bb.951:                              ;   in Loop: Header=BB6_136 Depth=3
	s_and_not1_saveexec_b32 s74, s74
; %bb.952:                              ;   in Loop: Header=BB6_136 Depth=3
	v_cmp_lt_i32_e32 vcc_lo, -1, v2
	v_mov_b32_e32 v0, 0x7c
	s_delay_alu instid0(VALU_DEP_1)
	v_cndmask_b32_e32 v68, 0xfc, v0, vcc_lo
; %bb.953:                              ;   in Loop: Header=BB6_136 Depth=3
	s_or_b32 exec_lo, exec_lo, s74
.LBB6_954:                              ;   in Loop: Header=BB6_136 Depth=3
	s_delay_alu instid0(SALU_CYCLE_1)
	s_or_b32 exec_lo, exec_lo, s13
	v_mov_b32_e32 v1, 0
	s_mov_b32 s13, exec_lo
	v_cmpx_lt_u32_e32 0xffffff, v10
	s_cbranch_execz .LBB6_964
; %bb.955:                              ;   in Loop: Header=BB6_136 Depth=3
	v_lshrrev_b32_e32 v0, 24, v10
	v_bfrev_b32_e32 v1, 1
	s_mov_b32 s74, exec_lo
	s_delay_alu instid0(VALU_DEP_2)
	v_cmpx_ne_u32_e32 0x80, v0
	s_cbranch_execz .LBB6_963
; %bb.956:                              ;   in Loop: Header=BB6_136 Depth=3
	v_and_b32_e32 v1, 0x7c000000, v10
	v_bfe_u32 v2, v10, 24, 2
	s_delay_alu instid0(VALU_DEP_2) | instskip(SKIP_1) | instid1(SALU_CYCLE_1)
	v_cmp_ne_u32_e32 vcc_lo, 0x7c000000, v1
                                        ; implicit-def: $vgpr1
	s_and_saveexec_b32 s75, vcc_lo
	s_xor_b32 s75, exec_lo, s75
	s_cbranch_execz .LBB6_960
; %bb.957:                              ;   in Loop: Header=BB6_136 Depth=3
	v_bfe_u32 v1, v10, 26, 5
	s_mov_b32 s76, exec_lo
	s_delay_alu instid0(VALU_DEP_1)
	v_cmpx_eq_u32_e32 0, v1
; %bb.958:                              ;   in Loop: Header=BB6_136 Depth=3
	v_clz_i32_u32_e32 v1, v2
	s_delay_alu instid0(VALU_DEP_1) | instskip(NEXT) | instid1(VALU_DEP_1)
	v_min_u32_e32 v2, 32, v1
	v_subrev_nc_u32_e32 v1, 29, v2
	s_delay_alu instid0(VALU_DEP_1) | instskip(NEXT) | instid1(VALU_DEP_1)
	v_lshlrev_b64_e32 v[0:1], v1, v[0:1]
	v_dual_sub_nc_u32 v1, 30, v2 :: v_dual_bitop2_b32 v2, 3, v0 bitop3:0x40
; %bb.959:                              ;   in Loop: Header=BB6_136 Depth=3
	s_or_b32 exec_lo, exec_lo, s76
	v_and_b32_e32 v0, 0x80000000, v10
	s_delay_alu instid0(VALU_DEP_1) | instskip(NEXT) | instid1(VALU_DEP_1)
	v_lshl_add_u32 v0, v1, 23, v0
	v_lshl_or_b32 v0, v2, 21, v0
                                        ; implicit-def: $vgpr2
	s_delay_alu instid0(VALU_DEP_1)
	v_add_nc_u32_e32 v1, 0x38000000, v0
.LBB6_960:                              ;   in Loop: Header=BB6_136 Depth=3
	s_and_not1_saveexec_b32 s75, s75
; %bb.961:                              ;   in Loop: Header=BB6_136 Depth=3
	v_cmp_lt_i32_e32 vcc_lo, -1, v10
	v_mov_b32_e32 v0, 0x7f800000
	s_delay_alu instid0(VALU_DEP_1) | instskip(SKIP_1) | instid1(VALU_DEP_2)
	v_cndmask_b32_e32 v0, 0xff800000, v0, vcc_lo
	v_cmp_eq_u32_e32 vcc_lo, 0, v2
	v_cndmask_b32_e32 v1, 0x7f800001, v0, vcc_lo
; %bb.962:                              ;   in Loop: Header=BB6_136 Depth=3
	s_or_b32 exec_lo, exec_lo, s75
.LBB6_963:                              ;   in Loop: Header=BB6_136 Depth=3
	s_delay_alu instid0(SALU_CYCLE_1)
	s_or_b32 exec_lo, exec_lo, s74
.LBB6_964:                              ;   in Loop: Header=BB6_136 Depth=3
	s_delay_alu instid0(SALU_CYCLE_1) | instskip(NEXT) | instid1(VALU_DEP_1)
	s_or_b32 exec_lo, exec_lo, s13
	v_dual_mul_f32 v2, s73, v1 :: v_dual_mov_b32 v5, v113
	v_mov_b32_e32 v1, v113
                                        ; implicit-def: $vgpr69
	s_mov_b32 s13, exec_lo
	s_delay_alu instid0(VALU_DEP_2) | instskip(SKIP_2) | instid1(VALU_DEP_3)
	v_and_b32_e32 v4, 0x7f800000, v2
	v_and_b32_e32 v0, 0x7fffff, v2
	v_lshrrev_b32_e32 v3, 24, v2
	v_cmpx_ne_u64_e32 0x7f800000, v[4:5]
	s_xor_b32 s74, exec_lo, s13
	s_cbranch_execz .LBB6_978
; %bb.965:                              ;   in Loop: Header=BB6_136 Depth=3
	v_and_b32_e32 v4, 0x7fffffff, v2
	v_mov_b32_e32 v5, v113
                                        ; implicit-def: $vgpr69
	s_delay_alu instid0(VALU_DEP_1) | instskip(SKIP_2) | instid1(SALU_CYCLE_1)
	v_cmp_gt_u64_e32 vcc_lo, 0x47600001, v[4:5]
	v_and_b32_e32 v4, 0x80, v3
	s_and_saveexec_b32 s13, vcc_lo
	s_xor_b32 s75, exec_lo, s13
	s_cbranch_execz .LBB6_975
; %bb.966:                              ;   in Loop: Header=BB6_136 Depth=3
	v_mov_b32_e32 v69, 0
	s_mov_b32 s76, exec_lo
	v_cmpx_ne_u32_e32 0, v2
	s_cbranch_execz .LBB6_974
; %bb.967:                              ;   in Loop: Header=BB6_136 Depth=3
	v_bfe_u32 v5, v2, 23, 8
	v_or_b32_e32 v3, 0x800000, v0
	s_delay_alu instid0(VALU_DEP_2) | instskip(SKIP_2) | instid1(VALU_DEP_2)
	v_cmp_gt_u32_e64 s13, 0x72, v5
	v_sub_nc_u32_e32 v2, 0x71, v5
	v_cmp_eq_u32_e32 vcc_lo, 0, v5
	v_dual_cndmask_b32 v2, 0, v2, s13 :: v_dual_cndmask_b32 v0, v3, v0, vcc_lo
	s_delay_alu instid0(VALU_DEP_1) | instskip(NEXT) | instid1(VALU_DEP_1)
	v_cndmask_b32_e64 v7, v2, 0x70, vcc_lo
	v_dual_add_nc_u32 v2, 21, v7 :: v_dual_add_nc_u32 v8, 20, v7
	s_delay_alu instid0(VALU_DEP_1) | instskip(NEXT) | instid1(VALU_DEP_2)
	v_lshlrev_b64_e64 v[2:3], v2, -1
	v_lshlrev_b64_e64 v[8:9], v8, 1
	s_delay_alu instid0(VALU_DEP_2) | instskip(SKIP_1) | instid1(VALU_DEP_4)
	v_bfi_b32 v2, v2, 0, v0
	v_lshrrev_b64 v[0:1], v7, v[0:1]
	v_bfi_b32 v3, v3, 0, 0
	s_delay_alu instid0(VALU_DEP_1) | instskip(NEXT) | instid1(VALU_DEP_3)
	v_cmp_eq_u64_e64 s13, v[2:3], v[8:9]
	v_mov_b64_e32 v[2:3], v[0:1]
	s_and_saveexec_b32 s77, s13
; %bb.968:                              ;   in Loop: Header=BB6_136 Depth=3
	v_bfe_u32 v2, v0, 21, 1
	v_mov_b32_e32 v3, v113
	s_delay_alu instid0(VALU_DEP_1) | instskip(NEXT) | instid1(VALU_DEP_1)
	v_add_nc_u64_e32 v[2:3], v[0:1], v[2:3]
	v_add_nc_u64_e32 v[2:3], -1, v[2:3]
; %bb.969:                              ;   in Loop: Header=BB6_136 Depth=3
	s_or_b32 exec_lo, exec_lo, s77
	v_add_nc_u32_e32 v1, 0xffffff81, v5
	v_lshrrev_b32_e32 v3, 23, v0
	s_mov_b32 s13, exec_lo
	s_delay_alu instid0(VALU_DEP_2) | instskip(NEXT) | instid1(VALU_DEP_1)
	v_cndmask_b32_e64 v1, v1, 0xffffff82, vcc_lo
	v_add3_u32 v3, v7, v1, v3
	v_and_b32_e32 v1, 0x1fffff, v2
                                        ; implicit-def: $vgpr2
	s_delay_alu instid0(VALU_DEP_1) | instskip(SKIP_1) | instid1(VALU_DEP_2)
	v_dual_add_nc_u32 v5, 14, v3 :: v_dual_add_nc_u32 v0, v1, v0
	v_mov_b32_e32 v1, v113
	v_cmpx_ne_u32_e32 0, v5
	s_xor_b32 s13, exec_lo, s13
; %bb.970:                              ;   in Loop: Header=BB6_136 Depth=3
	s_delay_alu instid0(VALU_DEP_2) | instskip(SKIP_2) | instid1(VALU_DEP_2)
	v_cmp_lt_u64_e32 vcc_lo, 0xffffff, v[0:1]
	v_add_nc_u32_e32 v2, 15, v3
	v_cndmask_b32_e64 v3, 0, 1, vcc_lo
	v_cndmask_b32_e32 v2, v5, v2, vcc_lo
	s_delay_alu instid0(VALU_DEP_2)
	v_lshrrev_b64 v[0:1], v3, v[0:1]
; %bb.971:                              ;   in Loop: Header=BB6_136 Depth=3
	s_and_not1_saveexec_b32 s13, s13
; %bb.972:                              ;   in Loop: Header=BB6_136 Depth=3
	s_delay_alu instid0(VALU_DEP_1)
	v_bfe_u32 v2, v0, 23, 1
; %bb.973:                              ;   in Loop: Header=BB6_136 Depth=3
	s_or_b32 exec_lo, exec_lo, s13
	s_delay_alu instid0(VALU_DEP_2) | instskip(NEXT) | instid1(VALU_DEP_2)
	v_lshrrev_b64 v[0:1], 21, v[0:1]
	v_cmp_gt_i32_e32 vcc_lo, 32, v2
	v_min_i32_e32 v3, 31, v2
	v_cmp_eq_u32_e64 s13, 0, v2
	s_delay_alu instid0(VALU_DEP_2) | instskip(SKIP_1) | instid1(VALU_DEP_2)
	v_dual_cndmask_b32 v1, 0, v1, vcc_lo :: v_dual_lshlrev_b32 v3, 2, v3
	v_cndmask_b32_e32 v0, 3, v0, vcc_lo
	v_and_b32_e32 v3, 0xfc, v3
	s_delay_alu instid0(VALU_DEP_2) | instskip(NEXT) | instid1(VALU_DEP_2)
	v_cmp_eq_u64_e32 vcc_lo, 0, v[0:1]
	v_and_or_b32 v0, v0, 3, v3
	s_and_b32 s13, s13, vcc_lo
	s_delay_alu instid0(VALU_DEP_1) | instid1(SALU_CYCLE_1)
	v_cndmask_b32_e64 v0, v0, 0, s13
	s_delay_alu instid0(VALU_DEP_1)
	v_or_b32_e32 v69, v0, v4
.LBB6_974:                              ;   in Loop: Header=BB6_136 Depth=3
	s_or_b32 exec_lo, exec_lo, s76
                                        ; implicit-def: $vgpr4
.LBB6_975:                              ;   in Loop: Header=BB6_136 Depth=3
	s_and_not1_saveexec_b32 s13, s75
; %bb.976:                              ;   in Loop: Header=BB6_136 Depth=3
	v_or_b32_e32 v69, 0x7b, v4
; %bb.977:                              ;   in Loop: Header=BB6_136 Depth=3
	s_or_b32 exec_lo, exec_lo, s13
                                        ; implicit-def: $vgpr2
                                        ; implicit-def: $vgpr0_vgpr1
                                        ; implicit-def: $vgpr3
.LBB6_978:                              ;   in Loop: Header=BB6_136 Depth=3
	s_and_not1_saveexec_b32 s13, s74
	s_cbranch_execz .LBB6_984
; %bb.979:                              ;   in Loop: Header=BB6_136 Depth=3
	s_mov_b32 s74, exec_lo
                                        ; implicit-def: $vgpr69
	v_cmpx_ne_u64_e32 0, v[0:1]
	s_xor_b32 s74, exec_lo, s74
; %bb.980:                              ;   in Loop: Header=BB6_136 Depth=3
	v_or_b32_e32 v69, 0x7f, v3
                                        ; implicit-def: $vgpr2
; %bb.981:                              ;   in Loop: Header=BB6_136 Depth=3
	s_and_not1_saveexec_b32 s74, s74
; %bb.982:                              ;   in Loop: Header=BB6_136 Depth=3
	v_cmp_lt_i32_e32 vcc_lo, -1, v2
	v_mov_b32_e32 v0, 0x7c
	s_delay_alu instid0(VALU_DEP_1)
	v_cndmask_b32_e32 v69, 0xfc, v0, vcc_lo
; %bb.983:                              ;   in Loop: Header=BB6_136 Depth=3
	s_or_b32 exec_lo, exec_lo, s74
.LBB6_984:                              ;   in Loop: Header=BB6_136 Depth=3
	s_delay_alu instid0(SALU_CYCLE_1) | instskip(SKIP_4) | instid1(VALU_DEP_3)
	s_or_b32 exec_lo, exec_lo, s13
	v_and_b32_e32 v2, 0xff, v11
	v_dual_mov_b32 v0, v11 :: v_dual_mov_b32 v1, v113
	v_mov_b32_e32 v3, 0
	s_mov_b32 s13, exec_lo
	v_cmpx_ne_u16_e32 0, v2
	s_cbranch_execz .LBB6_994
; %bb.985:                              ;   in Loop: Header=BB6_136 Depth=3
	v_bfrev_b32_e32 v3, 1
	s_mov_b32 s74, exec_lo
	v_cmpx_ne_u16_e32 0x80, v2
	s_cbranch_execz .LBB6_993
; %bb.986:                              ;   in Loop: Header=BB6_136 Depth=3
	v_and_b32_e32 v3, 0x7c, v11
	v_and_b32_e32 v2, 3, v11
	s_delay_alu instid0(VALU_DEP_2) | instskip(SKIP_1) | instid1(SALU_CYCLE_1)
	v_cmp_ne_u32_e32 vcc_lo, 0x7c, v3
                                        ; implicit-def: $vgpr3
	s_and_saveexec_b32 s75, vcc_lo
	s_xor_b32 s75, exec_lo, s75
	s_cbranch_execz .LBB6_990
; %bb.987:                              ;   in Loop: Header=BB6_136 Depth=3
	v_bfe_u32 v3, v11, 2, 5
	s_mov_b32 s76, exec_lo
	s_delay_alu instid0(VALU_DEP_1)
	v_cmpx_eq_u32_e32 0, v3
; %bb.988:                              ;   in Loop: Header=BB6_136 Depth=3
	v_clz_i32_u32_e32 v2, v2
	s_delay_alu instid0(VALU_DEP_1) | instskip(NEXT) | instid1(VALU_DEP_1)
	v_min_u32_e32 v4, 32, v2
	v_subrev_nc_u32_e32 v2, 29, v4
	s_delay_alu instid0(VALU_DEP_1) | instskip(NEXT) | instid1(VALU_DEP_1)
	v_lshlrev_b64_e32 v[2:3], v2, v[0:1]
	v_dual_sub_nc_u32 v3, 30, v4 :: v_dual_bitop2_b32 v2, 3, v2 bitop3:0x40
; %bb.989:                              ;   in Loop: Header=BB6_136 Depth=3
	s_or_b32 exec_lo, exec_lo, s76
	v_lshlrev_b32_e32 v1, 24, v11
	s_delay_alu instid0(VALU_DEP_1) | instskip(NEXT) | instid1(VALU_DEP_1)
	v_and_b32_e32 v1, 0x80000000, v1
	v_lshl_add_u32 v1, v3, 23, v1
	s_delay_alu instid0(VALU_DEP_1) | instskip(NEXT) | instid1(VALU_DEP_1)
	v_lshl_or_b32 v1, v2, 21, v1
                                        ; implicit-def: $vgpr2
	v_add_nc_u32_e32 v3, 0x38000000, v1
.LBB6_990:                              ;   in Loop: Header=BB6_136 Depth=3
	s_and_not1_saveexec_b32 s75, s75
; %bb.991:                              ;   in Loop: Header=BB6_136 Depth=3
	v_bfe_i32 v1, v11, 0, 8
	s_delay_alu instid0(VALU_DEP_1) | instskip(SKIP_1) | instid1(VALU_DEP_1)
	v_cmp_lt_i16_e32 vcc_lo, -1, v1
	v_mov_b32_e32 v1, 0x7f800000
	v_cndmask_b32_e32 v1, 0xff800000, v1, vcc_lo
	v_cmp_eq_u32_e32 vcc_lo, 0, v2
	s_delay_alu instid0(VALU_DEP_2)
	v_cndmask_b32_e32 v3, 0x7f800001, v1, vcc_lo
; %bb.992:                              ;   in Loop: Header=BB6_136 Depth=3
	s_or_b32 exec_lo, exec_lo, s75
.LBB6_993:                              ;   in Loop: Header=BB6_136 Depth=3
	s_delay_alu instid0(SALU_CYCLE_1)
	s_or_b32 exec_lo, exec_lo, s74
.LBB6_994:                              ;   in Loop: Header=BB6_136 Depth=3
	s_delay_alu instid0(SALU_CYCLE_1) | instskip(NEXT) | instid1(VALU_DEP_1)
	s_or_b32 exec_lo, exec_lo, s13
	v_dual_mul_f32 v4, s73, v3 :: v_dual_mov_b32 v9, v113
	v_mov_b32_e32 v3, v113
                                        ; implicit-def: $vgpr70
	s_mov_b32 s13, exec_lo
	s_delay_alu instid0(VALU_DEP_2) | instskip(SKIP_2) | instid1(VALU_DEP_3)
	v_and_b32_e32 v8, 0x7f800000, v4
	v_and_b32_e32 v2, 0x7fffff, v4
	v_lshrrev_b32_e32 v1, 24, v4
	v_cmpx_ne_u64_e32 0x7f800000, v[8:9]
	s_xor_b32 s74, exec_lo, s13
	s_cbranch_execz .LBB6_1008
; %bb.995:                              ;   in Loop: Header=BB6_136 Depth=3
	v_and_b32_e32 v8, 0x7fffffff, v4
	v_mov_b32_e32 v9, v113
	v_and_b32_e32 v1, 0x80, v1
                                        ; implicit-def: $vgpr70
	s_mov_b32 s13, exec_lo
	s_delay_alu instid0(VALU_DEP_2)
	v_cmpx_gt_u64_e32 0x47600001, v[8:9]
	s_xor_b32 s75, exec_lo, s13
	s_cbranch_execz .LBB6_1005
; %bb.996:                              ;   in Loop: Header=BB6_136 Depth=3
	v_mov_b32_e32 v70, 0
	s_mov_b32 s76, exec_lo
	v_cmpx_ne_u32_e32 0, v4
	s_cbranch_execz .LBB6_1004
; %bb.997:                              ;   in Loop: Header=BB6_136 Depth=3
	v_bfe_u32 v7, v4, 23, 8
	v_or_b32_e32 v5, 0x800000, v2
	s_delay_alu instid0(VALU_DEP_2) | instskip(SKIP_2) | instid1(VALU_DEP_2)
	v_cmp_gt_u32_e64 s13, 0x72, v7
	v_sub_nc_u32_e32 v4, 0x71, v7
	v_cmp_eq_u32_e32 vcc_lo, 0, v7
	v_dual_cndmask_b32 v4, 0, v4, s13 :: v_dual_cndmask_b32 v2, v5, v2, vcc_lo
	s_delay_alu instid0(VALU_DEP_1) | instskip(NEXT) | instid1(VALU_DEP_1)
	v_cndmask_b32_e64 v8, v4, 0x70, vcc_lo
	v_dual_add_nc_u32 v4, 21, v8 :: v_dual_add_nc_u32 v9, 20, v8
	s_delay_alu instid0(VALU_DEP_1) | instskip(NEXT) | instid1(VALU_DEP_2)
	v_lshlrev_b64_e64 v[4:5], v4, -1
	v_lshlrev_b64_e64 v[14:15], v9, 1
	s_delay_alu instid0(VALU_DEP_2) | instskip(SKIP_1) | instid1(VALU_DEP_4)
	v_bfi_b32 v4, v4, 0, v2
	v_lshrrev_b64 v[2:3], v8, v[2:3]
	v_bfi_b32 v5, v5, 0, 0
	s_delay_alu instid0(VALU_DEP_1) | instskip(NEXT) | instid1(VALU_DEP_3)
	v_cmp_eq_u64_e64 s13, v[4:5], v[14:15]
	v_mov_b64_e32 v[4:5], v[2:3]
	s_and_saveexec_b32 s77, s13
; %bb.998:                              ;   in Loop: Header=BB6_136 Depth=3
	v_bfe_u32 v4, v2, 21, 1
	v_mov_b32_e32 v5, v113
	s_delay_alu instid0(VALU_DEP_1) | instskip(NEXT) | instid1(VALU_DEP_1)
	v_add_nc_u64_e32 v[4:5], v[2:3], v[4:5]
	v_add_nc_u64_e32 v[4:5], -1, v[4:5]
; %bb.999:                              ;   in Loop: Header=BB6_136 Depth=3
	s_or_b32 exec_lo, exec_lo, s77
	v_add_nc_u32_e32 v3, 0xffffff81, v7
	v_lshrrev_b32_e32 v5, 23, v2
	s_mov_b32 s13, exec_lo
	s_delay_alu instid0(VALU_DEP_2) | instskip(NEXT) | instid1(VALU_DEP_1)
	v_cndmask_b32_e64 v3, v3, 0xffffff82, vcc_lo
	v_add3_u32 v5, v8, v3, v5
	v_and_b32_e32 v3, 0x1fffff, v4
                                        ; implicit-def: $vgpr4
	s_delay_alu instid0(VALU_DEP_1) | instskip(SKIP_1) | instid1(VALU_DEP_2)
	v_dual_add_nc_u32 v7, 14, v5 :: v_dual_add_nc_u32 v2, v3, v2
	v_mov_b32_e32 v3, v113
	v_cmpx_ne_u32_e32 0, v7
	s_xor_b32 s13, exec_lo, s13
; %bb.1000:                             ;   in Loop: Header=BB6_136 Depth=3
	s_delay_alu instid0(VALU_DEP_2) | instskip(SKIP_2) | instid1(VALU_DEP_2)
	v_cmp_lt_u64_e32 vcc_lo, 0xffffff, v[2:3]
	v_add_nc_u32_e32 v4, 15, v5
	v_cndmask_b32_e64 v5, 0, 1, vcc_lo
	v_cndmask_b32_e32 v4, v7, v4, vcc_lo
	s_delay_alu instid0(VALU_DEP_2)
	v_lshrrev_b64 v[2:3], v5, v[2:3]
; %bb.1001:                             ;   in Loop: Header=BB6_136 Depth=3
	s_and_not1_saveexec_b32 s13, s13
; %bb.1002:                             ;   in Loop: Header=BB6_136 Depth=3
	s_delay_alu instid0(VALU_DEP_1)
	v_bfe_u32 v4, v2, 23, 1
; %bb.1003:                             ;   in Loop: Header=BB6_136 Depth=3
	s_or_b32 exec_lo, exec_lo, s13
	s_delay_alu instid0(VALU_DEP_2) | instskip(NEXT) | instid1(VALU_DEP_2)
	v_lshrrev_b64 v[2:3], 21, v[2:3]
	v_cmp_gt_i32_e32 vcc_lo, 32, v4
	v_min_i32_e32 v5, 31, v4
	v_cmp_eq_u32_e64 s13, 0, v4
	s_delay_alu instid0(VALU_DEP_2) | instskip(SKIP_1) | instid1(VALU_DEP_2)
	v_dual_cndmask_b32 v3, 0, v3, vcc_lo :: v_dual_lshlrev_b32 v5, 2, v5
	v_cndmask_b32_e32 v2, 3, v2, vcc_lo
	v_and_b32_e32 v5, 0xfc, v5
	s_delay_alu instid0(VALU_DEP_2) | instskip(NEXT) | instid1(VALU_DEP_2)
	v_cmp_eq_u64_e32 vcc_lo, 0, v[2:3]
	v_and_or_b32 v2, v2, 3, v5
	s_and_b32 s13, s13, vcc_lo
	s_delay_alu instid0(VALU_DEP_1) | instid1(SALU_CYCLE_1)
	v_cndmask_b32_e64 v2, v2, 0, s13
	s_delay_alu instid0(VALU_DEP_1)
	v_or_b32_e32 v70, v2, v1
.LBB6_1004:                             ;   in Loop: Header=BB6_136 Depth=3
	s_or_b32 exec_lo, exec_lo, s76
                                        ; implicit-def: $vgpr1
.LBB6_1005:                             ;   in Loop: Header=BB6_136 Depth=3
	s_and_not1_saveexec_b32 s13, s75
; %bb.1006:                             ;   in Loop: Header=BB6_136 Depth=3
	v_or_b32_e32 v70, 0x7b, v1
; %bb.1007:                             ;   in Loop: Header=BB6_136 Depth=3
	s_or_b32 exec_lo, exec_lo, s13
                                        ; implicit-def: $vgpr4
                                        ; implicit-def: $vgpr2_vgpr3
                                        ; implicit-def: $vgpr1
.LBB6_1008:                             ;   in Loop: Header=BB6_136 Depth=3
	s_and_not1_saveexec_b32 s13, s74
	s_cbranch_execz .LBB6_1014
; %bb.1009:                             ;   in Loop: Header=BB6_136 Depth=3
	s_mov_b32 s74, exec_lo
                                        ; implicit-def: $vgpr70
	v_cmpx_ne_u64_e32 0, v[2:3]
	s_xor_b32 s74, exec_lo, s74
; %bb.1010:                             ;   in Loop: Header=BB6_136 Depth=3
	v_or_b32_e32 v70, 0x7f, v1
                                        ; implicit-def: $vgpr4
; %bb.1011:                             ;   in Loop: Header=BB6_136 Depth=3
	s_and_not1_saveexec_b32 s74, s74
; %bb.1012:                             ;   in Loop: Header=BB6_136 Depth=3
	v_cmp_lt_i32_e32 vcc_lo, -1, v4
	v_mov_b32_e32 v1, 0x7c
	s_delay_alu instid0(VALU_DEP_1)
	v_cndmask_b32_e32 v70, 0xfc, v1, vcc_lo
; %bb.1013:                             ;   in Loop: Header=BB6_136 Depth=3
	s_or_b32 exec_lo, exec_lo, s74
.LBB6_1014:                             ;   in Loop: Header=BB6_136 Depth=3
	s_delay_alu instid0(SALU_CYCLE_1) | instskip(SKIP_3) | instid1(VALU_DEP_2)
	s_or_b32 exec_lo, exec_lo, s13
	v_lshrrev_b16 v2, 8, v0
	v_mov_b32_e32 v4, 0
	s_mov_b32 s13, exec_lo
	v_cmpx_ne_u16_e32 0, v2
	s_cbranch_execz .LBB6_1024
; %bb.1015:                             ;   in Loop: Header=BB6_136 Depth=3
	v_bfrev_b32_e32 v4, 1
	s_mov_b32 s74, exec_lo
	v_cmpx_ne_u16_e32 0x80, v2
	s_cbranch_execz .LBB6_1023
; %bb.1016:                             ;   in Loop: Header=BB6_136 Depth=3
	v_and_b32_e32 v1, 0xffff, v2
	s_delay_alu instid0(VALU_DEP_1) | instskip(SKIP_1) | instid1(VALU_DEP_2)
	v_and_b32_e32 v4, 0x7c, v1
	v_and_b32_e32 v3, 3, v1
	v_cmp_ne_u32_e32 vcc_lo, 0x7c, v4
                                        ; implicit-def: $vgpr4
	s_and_saveexec_b32 s75, vcc_lo
	s_delay_alu instid0(SALU_CYCLE_1)
	s_xor_b32 s75, exec_lo, s75
	s_cbranch_execz .LBB6_1020
; %bb.1017:                             ;   in Loop: Header=BB6_136 Depth=3
	v_bfe_u32 v1, v1, 2, 5
	s_mov_b32 s76, exec_lo
	s_delay_alu instid0(VALU_DEP_1)
	v_cmpx_eq_u32_e32 0, v1
	s_cbranch_execz .LBB6_1019
; %bb.1018:                             ;   in Loop: Header=BB6_136 Depth=3
	v_clz_i32_u32_e32 v1, v3
	s_delay_alu instid0(VALU_DEP_1) | instskip(SKIP_1) | instid1(VALU_DEP_2)
	v_min_u32_e32 v1, 32, v1
	v_mov_b32_e32 v3, v113
	v_subrev_nc_u32_e32 v4, 29, v1
	v_sub_nc_u32_e32 v1, 30, v1
	s_delay_alu instid0(VALU_DEP_2) | instskip(NEXT) | instid1(VALU_DEP_1)
	v_lshlrev_b64_e32 v[2:3], v4, v[2:3]
	v_and_b32_e32 v3, 3, v2
.LBB6_1019:                             ;   in Loop: Header=BB6_136 Depth=3
	s_or_b32 exec_lo, exec_lo, s76
	v_lshlrev_b32_e32 v0, 16, v0
	s_delay_alu instid0(VALU_DEP_1) | instskip(NEXT) | instid1(VALU_DEP_1)
	v_and_b32_e32 v0, 0x80000000, v0
	v_lshl_add_u32 v0, v1, 23, v0
	s_delay_alu instid0(VALU_DEP_1) | instskip(NEXT) | instid1(VALU_DEP_1)
	v_lshl_or_b32 v0, v3, 21, v0
                                        ; implicit-def: $vgpr3
	v_add_nc_u32_e32 v4, 0x38000000, v0
                                        ; implicit-def: $vgpr0_vgpr1
.LBB6_1020:                             ;   in Loop: Header=BB6_136 Depth=3
	s_and_not1_saveexec_b32 s75, s75
; %bb.1021:                             ;   in Loop: Header=BB6_136 Depth=3
	v_cmp_lt_i16_e32 vcc_lo, -1, v0
	v_mov_b32_e32 v0, 0x7f800000
	s_delay_alu instid0(VALU_DEP_1) | instskip(SKIP_1) | instid1(VALU_DEP_2)
	v_cndmask_b32_e32 v0, 0xff800000, v0, vcc_lo
	v_cmp_eq_u32_e32 vcc_lo, 0, v3
	v_cndmask_b32_e32 v4, 0x7f800001, v0, vcc_lo
; %bb.1022:                             ;   in Loop: Header=BB6_136 Depth=3
	s_or_b32 exec_lo, exec_lo, s75
.LBB6_1023:                             ;   in Loop: Header=BB6_136 Depth=3
	s_delay_alu instid0(SALU_CYCLE_1)
	s_or_b32 exec_lo, exec_lo, s74
.LBB6_1024:                             ;   in Loop: Header=BB6_136 Depth=3
	s_delay_alu instid0(SALU_CYCLE_1) | instskip(NEXT) | instid1(VALU_DEP_1)
	s_or_b32 exec_lo, exec_lo, s13
	v_dual_mul_f32 v2, s73, v4 :: v_dual_mov_b32 v5, v113
	v_mov_b32_e32 v1, v113
                                        ; implicit-def: $vgpr71
	s_mov_b32 s13, exec_lo
	s_delay_alu instid0(VALU_DEP_2) | instskip(SKIP_2) | instid1(VALU_DEP_3)
	v_and_b32_e32 v4, 0x7f800000, v2
	v_and_b32_e32 v0, 0x7fffff, v2
	v_lshrrev_b32_e32 v3, 24, v2
	v_cmpx_ne_u64_e32 0x7f800000, v[4:5]
	s_xor_b32 s74, exec_lo, s13
	s_cbranch_execz .LBB6_1038
; %bb.1025:                             ;   in Loop: Header=BB6_136 Depth=3
	v_and_b32_e32 v4, 0x7fffffff, v2
	v_mov_b32_e32 v5, v113
                                        ; implicit-def: $vgpr71
	s_delay_alu instid0(VALU_DEP_1) | instskip(SKIP_2) | instid1(SALU_CYCLE_1)
	v_cmp_gt_u64_e32 vcc_lo, 0x47600001, v[4:5]
	v_and_b32_e32 v4, 0x80, v3
	s_and_saveexec_b32 s13, vcc_lo
	s_xor_b32 s75, exec_lo, s13
	s_cbranch_execz .LBB6_1035
; %bb.1026:                             ;   in Loop: Header=BB6_136 Depth=3
	v_mov_b32_e32 v71, 0
	s_mov_b32 s76, exec_lo
	v_cmpx_ne_u32_e32 0, v2
	s_cbranch_execz .LBB6_1034
; %bb.1027:                             ;   in Loop: Header=BB6_136 Depth=3
	v_bfe_u32 v5, v2, 23, 8
	v_or_b32_e32 v3, 0x800000, v0
	s_delay_alu instid0(VALU_DEP_2) | instskip(SKIP_2) | instid1(VALU_DEP_2)
	v_cmp_gt_u32_e64 s13, 0x72, v5
	v_sub_nc_u32_e32 v2, 0x71, v5
	v_cmp_eq_u32_e32 vcc_lo, 0, v5
	v_dual_cndmask_b32 v2, 0, v2, s13 :: v_dual_cndmask_b32 v0, v3, v0, vcc_lo
	s_delay_alu instid0(VALU_DEP_1) | instskip(NEXT) | instid1(VALU_DEP_1)
	v_cndmask_b32_e64 v7, v2, 0x70, vcc_lo
	v_dual_add_nc_u32 v2, 21, v7 :: v_dual_add_nc_u32 v8, 20, v7
	s_delay_alu instid0(VALU_DEP_1) | instskip(NEXT) | instid1(VALU_DEP_2)
	v_lshlrev_b64_e64 v[2:3], v2, -1
	v_lshlrev_b64_e64 v[8:9], v8, 1
	s_delay_alu instid0(VALU_DEP_2) | instskip(SKIP_1) | instid1(VALU_DEP_4)
	v_bfi_b32 v2, v2, 0, v0
	v_lshrrev_b64 v[0:1], v7, v[0:1]
	v_bfi_b32 v3, v3, 0, 0
	s_delay_alu instid0(VALU_DEP_1) | instskip(NEXT) | instid1(VALU_DEP_3)
	v_cmp_eq_u64_e64 s13, v[2:3], v[8:9]
	v_mov_b64_e32 v[2:3], v[0:1]
	s_and_saveexec_b32 s77, s13
; %bb.1028:                             ;   in Loop: Header=BB6_136 Depth=3
	v_bfe_u32 v2, v0, 21, 1
	v_mov_b32_e32 v3, v113
	s_delay_alu instid0(VALU_DEP_1) | instskip(NEXT) | instid1(VALU_DEP_1)
	v_add_nc_u64_e32 v[2:3], v[0:1], v[2:3]
	v_add_nc_u64_e32 v[2:3], -1, v[2:3]
; %bb.1029:                             ;   in Loop: Header=BB6_136 Depth=3
	s_or_b32 exec_lo, exec_lo, s77
	v_add_nc_u32_e32 v1, 0xffffff81, v5
	v_lshrrev_b32_e32 v3, 23, v0
	s_mov_b32 s13, exec_lo
	s_delay_alu instid0(VALU_DEP_2) | instskip(NEXT) | instid1(VALU_DEP_1)
	v_cndmask_b32_e64 v1, v1, 0xffffff82, vcc_lo
	v_add3_u32 v3, v7, v1, v3
	v_and_b32_e32 v1, 0x1fffff, v2
                                        ; implicit-def: $vgpr2
	s_delay_alu instid0(VALU_DEP_1) | instskip(SKIP_1) | instid1(VALU_DEP_2)
	v_dual_add_nc_u32 v5, 14, v3 :: v_dual_add_nc_u32 v0, v1, v0
	v_mov_b32_e32 v1, v113
	v_cmpx_ne_u32_e32 0, v5
	s_xor_b32 s13, exec_lo, s13
; %bb.1030:                             ;   in Loop: Header=BB6_136 Depth=3
	s_delay_alu instid0(VALU_DEP_2) | instskip(SKIP_2) | instid1(VALU_DEP_2)
	v_cmp_lt_u64_e32 vcc_lo, 0xffffff, v[0:1]
	v_add_nc_u32_e32 v2, 15, v3
	v_cndmask_b32_e64 v3, 0, 1, vcc_lo
	v_cndmask_b32_e32 v2, v5, v2, vcc_lo
	s_delay_alu instid0(VALU_DEP_2)
	v_lshrrev_b64 v[0:1], v3, v[0:1]
; %bb.1031:                             ;   in Loop: Header=BB6_136 Depth=3
	s_and_not1_saveexec_b32 s13, s13
; %bb.1032:                             ;   in Loop: Header=BB6_136 Depth=3
	s_delay_alu instid0(VALU_DEP_1)
	v_bfe_u32 v2, v0, 23, 1
; %bb.1033:                             ;   in Loop: Header=BB6_136 Depth=3
	s_or_b32 exec_lo, exec_lo, s13
	s_delay_alu instid0(VALU_DEP_2) | instskip(NEXT) | instid1(VALU_DEP_2)
	v_lshrrev_b64 v[0:1], 21, v[0:1]
	v_cmp_gt_i32_e32 vcc_lo, 32, v2
	v_min_i32_e32 v3, 31, v2
	v_cmp_eq_u32_e64 s13, 0, v2
	s_delay_alu instid0(VALU_DEP_2) | instskip(SKIP_1) | instid1(VALU_DEP_2)
	v_dual_cndmask_b32 v1, 0, v1, vcc_lo :: v_dual_lshlrev_b32 v3, 2, v3
	v_cndmask_b32_e32 v0, 3, v0, vcc_lo
	v_and_b32_e32 v3, 0xfc, v3
	s_delay_alu instid0(VALU_DEP_2) | instskip(NEXT) | instid1(VALU_DEP_2)
	v_cmp_eq_u64_e32 vcc_lo, 0, v[0:1]
	v_and_or_b32 v0, v0, 3, v3
	s_and_b32 s13, s13, vcc_lo
	s_delay_alu instid0(VALU_DEP_1) | instid1(SALU_CYCLE_1)
	v_cndmask_b32_e64 v0, v0, 0, s13
	s_delay_alu instid0(VALU_DEP_1)
	v_or_b32_e32 v71, v0, v4
.LBB6_1034:                             ;   in Loop: Header=BB6_136 Depth=3
	s_or_b32 exec_lo, exec_lo, s76
                                        ; implicit-def: $vgpr4
.LBB6_1035:                             ;   in Loop: Header=BB6_136 Depth=3
	s_and_not1_saveexec_b32 s13, s75
; %bb.1036:                             ;   in Loop: Header=BB6_136 Depth=3
	v_or_b32_e32 v71, 0x7b, v4
; %bb.1037:                             ;   in Loop: Header=BB6_136 Depth=3
	s_or_b32 exec_lo, exec_lo, s13
                                        ; implicit-def: $vgpr2
                                        ; implicit-def: $vgpr0_vgpr1
                                        ; implicit-def: $vgpr3
.LBB6_1038:                             ;   in Loop: Header=BB6_136 Depth=3
	s_and_not1_saveexec_b32 s13, s74
	s_cbranch_execz .LBB6_1044
; %bb.1039:                             ;   in Loop: Header=BB6_136 Depth=3
	s_mov_b32 s74, exec_lo
                                        ; implicit-def: $vgpr71
	v_cmpx_ne_u64_e32 0, v[0:1]
	s_xor_b32 s74, exec_lo, s74
; %bb.1040:                             ;   in Loop: Header=BB6_136 Depth=3
	v_or_b32_e32 v71, 0x7f, v3
                                        ; implicit-def: $vgpr2
; %bb.1041:                             ;   in Loop: Header=BB6_136 Depth=3
	s_and_not1_saveexec_b32 s74, s74
; %bb.1042:                             ;   in Loop: Header=BB6_136 Depth=3
	v_cmp_lt_i32_e32 vcc_lo, -1, v2
	v_mov_b32_e32 v0, 0x7c
	s_delay_alu instid0(VALU_DEP_1)
	v_cndmask_b32_e32 v71, 0xfc, v0, vcc_lo
; %bb.1043:                             ;   in Loop: Header=BB6_136 Depth=3
	s_or_b32 exec_lo, exec_lo, s74
.LBB6_1044:                             ;   in Loop: Header=BB6_136 Depth=3
	s_delay_alu instid0(SALU_CYCLE_1) | instskip(SKIP_2) | instid1(VALU_DEP_1)
	s_or_b32 exec_lo, exec_lo, s13
	v_dual_lshrrev_b32 v0, 16, v11 :: v_dual_mov_b32 v2, 0
	s_mov_b32 s13, exec_lo
	v_and_b32_e32 v1, 0xff, v0
	s_delay_alu instid0(VALU_DEP_1)
	v_cmpx_ne_u16_e32 0, v1
	s_cbranch_execz .LBB6_1054
; %bb.1045:                             ;   in Loop: Header=BB6_136 Depth=3
	v_bfrev_b32_e32 v2, 1
	s_mov_b32 s74, exec_lo
	v_cmpx_ne_u16_e32 0x80, v1
	s_cbranch_execz .LBB6_1053
; %bb.1046:                             ;   in Loop: Header=BB6_136 Depth=3
	v_and_b32_e32 v2, 0x7c0000, v11
	v_bfe_u32 v1, v11, 16, 2
	s_delay_alu instid0(VALU_DEP_2) | instskip(SKIP_1) | instid1(SALU_CYCLE_1)
	v_cmp_ne_u32_e32 vcc_lo, 0x7c0000, v2
                                        ; implicit-def: $vgpr2
	s_and_saveexec_b32 s75, vcc_lo
	s_xor_b32 s75, exec_lo, s75
	s_cbranch_execz .LBB6_1050
; %bb.1047:                             ;   in Loop: Header=BB6_136 Depth=3
	v_bfe_u32 v2, v11, 18, 5
	s_mov_b32 s76, exec_lo
	s_delay_alu instid0(VALU_DEP_1)
	v_cmpx_eq_u32_e32 0, v2
; %bb.1048:                             ;   in Loop: Header=BB6_136 Depth=3
	v_clz_i32_u32_e32 v1, v1
	s_delay_alu instid0(VALU_DEP_1) | instskip(NEXT) | instid1(VALU_DEP_1)
	v_min_u32_e32 v1, 32, v1
	v_subrev_nc_u32_e32 v2, 29, v1
	s_delay_alu instid0(VALU_DEP_1) | instskip(NEXT) | instid1(VALU_DEP_1)
	v_lshlrev_b64_e32 v[4:5], v2, v[0:1]
	v_dual_sub_nc_u32 v2, 30, v1 :: v_dual_bitop2_b32 v1, 3, v4 bitop3:0x40
; %bb.1049:                             ;   in Loop: Header=BB6_136 Depth=3
	s_or_b32 exec_lo, exec_lo, s76
	v_lshlrev_b32_e32 v0, 24, v0
	s_delay_alu instid0(VALU_DEP_1) | instskip(NEXT) | instid1(VALU_DEP_1)
	v_and_b32_e32 v0, 0x80000000, v0
	v_lshl_add_u32 v0, v2, 23, v0
	s_delay_alu instid0(VALU_DEP_1) | instskip(NEXT) | instid1(VALU_DEP_1)
	v_lshl_or_b32 v0, v1, 21, v0
                                        ; implicit-def: $vgpr1
	v_add_nc_u32_e32 v2, 0x38000000, v0
                                        ; implicit-def: $vgpr0
.LBB6_1050:                             ;   in Loop: Header=BB6_136 Depth=3
	s_and_not1_saveexec_b32 s75, s75
; %bb.1051:                             ;   in Loop: Header=BB6_136 Depth=3
	v_bfe_i32 v0, v0, 0, 8
	s_delay_alu instid0(VALU_DEP_1) | instskip(SKIP_1) | instid1(VALU_DEP_1)
	v_cmp_lt_i16_e32 vcc_lo, -1, v0
	v_mov_b32_e32 v0, 0x7f800000
	v_cndmask_b32_e32 v0, 0xff800000, v0, vcc_lo
	v_cmp_eq_u32_e32 vcc_lo, 0, v1
	s_delay_alu instid0(VALU_DEP_2)
	v_cndmask_b32_e32 v2, 0x7f800001, v0, vcc_lo
; %bb.1052:                             ;   in Loop: Header=BB6_136 Depth=3
	s_or_b32 exec_lo, exec_lo, s75
.LBB6_1053:                             ;   in Loop: Header=BB6_136 Depth=3
	s_delay_alu instid0(SALU_CYCLE_1)
	s_or_b32 exec_lo, exec_lo, s74
.LBB6_1054:                             ;   in Loop: Header=BB6_136 Depth=3
	s_delay_alu instid0(SALU_CYCLE_1) | instskip(NEXT) | instid1(VALU_DEP_1)
	s_or_b32 exec_lo, exec_lo, s13
	v_dual_mul_f32 v2, s73, v2 :: v_dual_mov_b32 v5, v113
	v_mov_b32_e32 v1, v113
                                        ; implicit-def: $vgpr80
	s_mov_b32 s13, exec_lo
	s_delay_alu instid0(VALU_DEP_2) | instskip(SKIP_2) | instid1(VALU_DEP_3)
	v_and_b32_e32 v4, 0x7f800000, v2
	v_and_b32_e32 v0, 0x7fffff, v2
	v_lshrrev_b32_e32 v3, 24, v2
	v_cmpx_ne_u64_e32 0x7f800000, v[4:5]
	s_xor_b32 s74, exec_lo, s13
	s_cbranch_execz .LBB6_1068
; %bb.1055:                             ;   in Loop: Header=BB6_136 Depth=3
	v_and_b32_e32 v4, 0x7fffffff, v2
	v_mov_b32_e32 v5, v113
                                        ; implicit-def: $vgpr80
	s_delay_alu instid0(VALU_DEP_1) | instskip(SKIP_2) | instid1(SALU_CYCLE_1)
	v_cmp_gt_u64_e32 vcc_lo, 0x47600001, v[4:5]
	v_and_b32_e32 v4, 0x80, v3
	s_and_saveexec_b32 s13, vcc_lo
	s_xor_b32 s75, exec_lo, s13
	s_cbranch_execz .LBB6_1065
; %bb.1056:                             ;   in Loop: Header=BB6_136 Depth=3
	v_mov_b32_e32 v80, 0
	s_mov_b32 s76, exec_lo
	v_cmpx_ne_u32_e32 0, v2
	s_cbranch_execz .LBB6_1064
; %bb.1057:                             ;   in Loop: Header=BB6_136 Depth=3
	v_bfe_u32 v5, v2, 23, 8
	v_or_b32_e32 v3, 0x800000, v0
	s_delay_alu instid0(VALU_DEP_2) | instskip(SKIP_2) | instid1(VALU_DEP_2)
	v_cmp_gt_u32_e64 s13, 0x72, v5
	v_sub_nc_u32_e32 v2, 0x71, v5
	v_cmp_eq_u32_e32 vcc_lo, 0, v5
	v_dual_cndmask_b32 v2, 0, v2, s13 :: v_dual_cndmask_b32 v0, v3, v0, vcc_lo
	s_delay_alu instid0(VALU_DEP_1) | instskip(NEXT) | instid1(VALU_DEP_1)
	v_cndmask_b32_e64 v7, v2, 0x70, vcc_lo
	v_dual_add_nc_u32 v2, 21, v7 :: v_dual_add_nc_u32 v8, 20, v7
	s_delay_alu instid0(VALU_DEP_1) | instskip(NEXT) | instid1(VALU_DEP_2)
	v_lshlrev_b64_e64 v[2:3], v2, -1
	v_lshlrev_b64_e64 v[8:9], v8, 1
	s_delay_alu instid0(VALU_DEP_2) | instskip(SKIP_1) | instid1(VALU_DEP_4)
	v_bfi_b32 v2, v2, 0, v0
	v_lshrrev_b64 v[0:1], v7, v[0:1]
	v_bfi_b32 v3, v3, 0, 0
	s_delay_alu instid0(VALU_DEP_1) | instskip(NEXT) | instid1(VALU_DEP_3)
	v_cmp_eq_u64_e64 s13, v[2:3], v[8:9]
	v_mov_b64_e32 v[2:3], v[0:1]
	s_and_saveexec_b32 s77, s13
; %bb.1058:                             ;   in Loop: Header=BB6_136 Depth=3
	v_bfe_u32 v2, v0, 21, 1
	v_mov_b32_e32 v3, v113
	s_delay_alu instid0(VALU_DEP_1) | instskip(NEXT) | instid1(VALU_DEP_1)
	v_add_nc_u64_e32 v[2:3], v[0:1], v[2:3]
	v_add_nc_u64_e32 v[2:3], -1, v[2:3]
; %bb.1059:                             ;   in Loop: Header=BB6_136 Depth=3
	s_or_b32 exec_lo, exec_lo, s77
	v_add_nc_u32_e32 v1, 0xffffff81, v5
	v_lshrrev_b32_e32 v3, 23, v0
	s_mov_b32 s13, exec_lo
	s_delay_alu instid0(VALU_DEP_2) | instskip(NEXT) | instid1(VALU_DEP_1)
	v_cndmask_b32_e64 v1, v1, 0xffffff82, vcc_lo
	v_add3_u32 v5, v7, v1, v3
	v_and_b32_e32 v1, 0x1fffff, v2
                                        ; implicit-def: $vgpr2
	s_delay_alu instid0(VALU_DEP_1) | instskip(SKIP_1) | instid1(VALU_DEP_2)
	v_dual_add_nc_u32 v3, 14, v5 :: v_dual_add_nc_u32 v0, v1, v0
	v_mov_b32_e32 v1, v113
	v_cmpx_ne_u32_e32 0, v3
	s_xor_b32 s13, exec_lo, s13
; %bb.1060:                             ;   in Loop: Header=BB6_136 Depth=3
	s_delay_alu instid0(VALU_DEP_2) | instskip(SKIP_1) | instid1(VALU_DEP_1)
	v_cmp_lt_u64_e32 vcc_lo, 0xffffff, v[0:1]
	v_add_nc_u32_e32 v2, 15, v5
	v_cndmask_b32_e32 v2, v3, v2, vcc_lo
	v_cndmask_b32_e64 v3, 0, 1, vcc_lo
	s_delay_alu instid0(VALU_DEP_1)
	v_lshrrev_b64 v[0:1], v3, v[0:1]
; %bb.1061:                             ;   in Loop: Header=BB6_136 Depth=3
	s_and_not1_saveexec_b32 s13, s13
; %bb.1062:                             ;   in Loop: Header=BB6_136 Depth=3
	s_delay_alu instid0(VALU_DEP_1)
	v_bfe_u32 v2, v0, 23, 1
; %bb.1063:                             ;   in Loop: Header=BB6_136 Depth=3
	s_or_b32 exec_lo, exec_lo, s13
	s_delay_alu instid0(VALU_DEP_2) | instskip(NEXT) | instid1(VALU_DEP_2)
	v_lshrrev_b64 v[0:1], 21, v[0:1]
	v_cmp_gt_i32_e32 vcc_lo, 32, v2
	v_min_i32_e32 v3, 31, v2
	v_cmp_eq_u32_e64 s13, 0, v2
	s_delay_alu instid0(VALU_DEP_2) | instskip(SKIP_1) | instid1(VALU_DEP_2)
	v_dual_cndmask_b32 v1, 0, v1, vcc_lo :: v_dual_lshlrev_b32 v3, 2, v3
	v_cndmask_b32_e32 v0, 3, v0, vcc_lo
	v_and_b32_e32 v3, 0xfc, v3
	s_delay_alu instid0(VALU_DEP_2) | instskip(NEXT) | instid1(VALU_DEP_2)
	v_cmp_eq_u64_e32 vcc_lo, 0, v[0:1]
	v_and_or_b32 v0, v0, 3, v3
	s_and_b32 s13, s13, vcc_lo
	s_delay_alu instid0(VALU_DEP_1) | instid1(SALU_CYCLE_1)
	v_cndmask_b32_e64 v0, v0, 0, s13
	s_delay_alu instid0(VALU_DEP_1)
	v_or_b32_e32 v80, v0, v4
.LBB6_1064:                             ;   in Loop: Header=BB6_136 Depth=3
	s_or_b32 exec_lo, exec_lo, s76
                                        ; implicit-def: $vgpr4
.LBB6_1065:                             ;   in Loop: Header=BB6_136 Depth=3
	s_and_not1_saveexec_b32 s13, s75
; %bb.1066:                             ;   in Loop: Header=BB6_136 Depth=3
	v_or_b32_e32 v80, 0x7b, v4
; %bb.1067:                             ;   in Loop: Header=BB6_136 Depth=3
	s_or_b32 exec_lo, exec_lo, s13
                                        ; implicit-def: $vgpr2
                                        ; implicit-def: $vgpr0_vgpr1
                                        ; implicit-def: $vgpr3
.LBB6_1068:                             ;   in Loop: Header=BB6_136 Depth=3
	s_and_not1_saveexec_b32 s13, s74
	s_cbranch_execz .LBB6_1074
; %bb.1069:                             ;   in Loop: Header=BB6_136 Depth=3
	s_mov_b32 s74, exec_lo
                                        ; implicit-def: $vgpr80
	v_cmpx_ne_u64_e32 0, v[0:1]
	s_xor_b32 s74, exec_lo, s74
; %bb.1070:                             ;   in Loop: Header=BB6_136 Depth=3
	v_or_b32_e32 v80, 0x7f, v3
                                        ; implicit-def: $vgpr2
; %bb.1071:                             ;   in Loop: Header=BB6_136 Depth=3
	s_and_not1_saveexec_b32 s74, s74
; %bb.1072:                             ;   in Loop: Header=BB6_136 Depth=3
	v_cmp_lt_i32_e32 vcc_lo, -1, v2
	v_mov_b32_e32 v0, 0x7c
	s_delay_alu instid0(VALU_DEP_1)
	v_cndmask_b32_e32 v80, 0xfc, v0, vcc_lo
; %bb.1073:                             ;   in Loop: Header=BB6_136 Depth=3
	s_or_b32 exec_lo, exec_lo, s74
.LBB6_1074:                             ;   in Loop: Header=BB6_136 Depth=3
	s_delay_alu instid0(SALU_CYCLE_1)
	s_or_b32 exec_lo, exec_lo, s13
	v_mov_b32_e32 v1, 0
	s_mov_b32 s13, exec_lo
	v_cmpx_lt_u64_e64 s[22:23], v[10:11]
	s_cbranch_execz .LBB6_1084
; %bb.1075:                             ;   in Loop: Header=BB6_136 Depth=3
	v_lshrrev_b32_e32 v0, 24, v11
	v_bfrev_b32_e32 v1, 1
	s_mov_b32 s74, exec_lo
	s_delay_alu instid0(VALU_DEP_2)
	v_cmpx_ne_u32_e32 0x80, v0
	s_cbranch_execz .LBB6_1083
; %bb.1076:                             ;   in Loop: Header=BB6_136 Depth=3
	v_and_b32_e32 v1, 0x7c000000, v11
	v_bfe_u32 v2, v11, 24, 2
	s_delay_alu instid0(VALU_DEP_2) | instskip(SKIP_1) | instid1(SALU_CYCLE_1)
	v_cmp_ne_u32_e32 vcc_lo, 0x7c000000, v1
                                        ; implicit-def: $vgpr1
	s_and_saveexec_b32 s75, vcc_lo
	s_xor_b32 s75, exec_lo, s75
	s_cbranch_execz .LBB6_1080
; %bb.1077:                             ;   in Loop: Header=BB6_136 Depth=3
	v_bfe_u32 v1, v11, 26, 5
	s_mov_b32 s76, exec_lo
	s_delay_alu instid0(VALU_DEP_1)
	v_cmpx_eq_u32_e32 0, v1
; %bb.1078:                             ;   in Loop: Header=BB6_136 Depth=3
	v_clz_i32_u32_e32 v1, v2
	s_delay_alu instid0(VALU_DEP_1) | instskip(NEXT) | instid1(VALU_DEP_1)
	v_min_u32_e32 v2, 32, v1
	v_subrev_nc_u32_e32 v1, 29, v2
	s_delay_alu instid0(VALU_DEP_1) | instskip(NEXT) | instid1(VALU_DEP_1)
	v_lshlrev_b64_e32 v[0:1], v1, v[0:1]
	v_dual_sub_nc_u32 v1, 30, v2 :: v_dual_bitop2_b32 v2, 3, v0 bitop3:0x40
; %bb.1079:                             ;   in Loop: Header=BB6_136 Depth=3
	s_or_b32 exec_lo, exec_lo, s76
	v_and_b32_e32 v0, 0x80000000, v11
                                        ; implicit-def: $vgpr10_vgpr11
	s_delay_alu instid0(VALU_DEP_1) | instskip(NEXT) | instid1(VALU_DEP_1)
	v_lshl_add_u32 v0, v1, 23, v0
	v_lshl_or_b32 v0, v2, 21, v0
                                        ; implicit-def: $vgpr2
	s_delay_alu instid0(VALU_DEP_1)
	v_add_nc_u32_e32 v1, 0x38000000, v0
.LBB6_1080:                             ;   in Loop: Header=BB6_136 Depth=3
	s_and_not1_saveexec_b32 s75, s75
; %bb.1081:                             ;   in Loop: Header=BB6_136 Depth=3
	v_cmp_lt_i64_e32 vcc_lo, -1, v[10:11]
	v_mov_b32_e32 v0, 0x7f800000
	s_delay_alu instid0(VALU_DEP_1) | instskip(SKIP_1) | instid1(VALU_DEP_2)
	v_cndmask_b32_e32 v0, 0xff800000, v0, vcc_lo
	v_cmp_eq_u32_e32 vcc_lo, 0, v2
	v_cndmask_b32_e32 v1, 0x7f800001, v0, vcc_lo
; %bb.1082:                             ;   in Loop: Header=BB6_136 Depth=3
	s_or_b32 exec_lo, exec_lo, s75
.LBB6_1083:                             ;   in Loop: Header=BB6_136 Depth=3
	s_delay_alu instid0(SALU_CYCLE_1)
	s_or_b32 exec_lo, exec_lo, s74
.LBB6_1084:                             ;   in Loop: Header=BB6_136 Depth=3
	s_delay_alu instid0(SALU_CYCLE_1) | instskip(NEXT) | instid1(VALU_DEP_1)
	s_or_b32 exec_lo, exec_lo, s13
	v_dual_mul_f32 v2, s73, v1 :: v_dual_mov_b32 v5, v113
	v_mov_b32_e32 v1, v113
                                        ; implicit-def: $vgpr81
	s_mov_b32 s13, exec_lo
	s_delay_alu instid0(VALU_DEP_2) | instskip(SKIP_2) | instid1(VALU_DEP_3)
	v_and_b32_e32 v4, 0x7f800000, v2
	v_and_b32_e32 v0, 0x7fffff, v2
	v_lshrrev_b32_e32 v3, 24, v2
	v_cmpx_ne_u64_e32 0x7f800000, v[4:5]
	s_xor_b32 s74, exec_lo, s13
	s_cbranch_execz .LBB6_1098
; %bb.1085:                             ;   in Loop: Header=BB6_136 Depth=3
	v_and_b32_e32 v4, 0x7fffffff, v2
	v_mov_b32_e32 v5, v113
                                        ; implicit-def: $vgpr81
	s_delay_alu instid0(VALU_DEP_1) | instskip(SKIP_2) | instid1(SALU_CYCLE_1)
	v_cmp_gt_u64_e32 vcc_lo, 0x47600001, v[4:5]
	v_and_b32_e32 v4, 0x80, v3
	s_and_saveexec_b32 s13, vcc_lo
	s_xor_b32 s75, exec_lo, s13
	s_cbranch_execz .LBB6_1095
; %bb.1086:                             ;   in Loop: Header=BB6_136 Depth=3
	v_mov_b32_e32 v81, 0
	s_mov_b32 s76, exec_lo
	v_cmpx_ne_u32_e32 0, v2
	s_cbranch_execz .LBB6_1094
; %bb.1087:                             ;   in Loop: Header=BB6_136 Depth=3
	v_bfe_u32 v5, v2, 23, 8
	v_or_b32_e32 v3, 0x800000, v0
	s_delay_alu instid0(VALU_DEP_2) | instskip(SKIP_2) | instid1(VALU_DEP_2)
	v_cmp_gt_u32_e64 s13, 0x72, v5
	v_sub_nc_u32_e32 v2, 0x71, v5
	v_cmp_eq_u32_e32 vcc_lo, 0, v5
	v_dual_cndmask_b32 v2, 0, v2, s13 :: v_dual_cndmask_b32 v0, v3, v0, vcc_lo
	s_delay_alu instid0(VALU_DEP_1) | instskip(NEXT) | instid1(VALU_DEP_1)
	v_cndmask_b32_e64 v7, v2, 0x70, vcc_lo
	v_dual_add_nc_u32 v2, 21, v7 :: v_dual_add_nc_u32 v8, 20, v7
	s_delay_alu instid0(VALU_DEP_1) | instskip(NEXT) | instid1(VALU_DEP_2)
	v_lshlrev_b64_e64 v[2:3], v2, -1
	v_lshlrev_b64_e64 v[8:9], v8, 1
	s_delay_alu instid0(VALU_DEP_2) | instskip(SKIP_1) | instid1(VALU_DEP_4)
	v_bfi_b32 v2, v2, 0, v0
	v_lshrrev_b64 v[0:1], v7, v[0:1]
	v_bfi_b32 v3, v3, 0, 0
	s_delay_alu instid0(VALU_DEP_1) | instskip(NEXT) | instid1(VALU_DEP_3)
	v_cmp_eq_u64_e64 s13, v[2:3], v[8:9]
	v_mov_b64_e32 v[2:3], v[0:1]
	s_and_saveexec_b32 s77, s13
; %bb.1088:                             ;   in Loop: Header=BB6_136 Depth=3
	v_bfe_u32 v2, v0, 21, 1
	v_mov_b32_e32 v3, v113
	s_delay_alu instid0(VALU_DEP_1) | instskip(NEXT) | instid1(VALU_DEP_1)
	v_add_nc_u64_e32 v[2:3], v[0:1], v[2:3]
	v_add_nc_u64_e32 v[2:3], -1, v[2:3]
; %bb.1089:                             ;   in Loop: Header=BB6_136 Depth=3
	s_or_b32 exec_lo, exec_lo, s77
	v_add_nc_u32_e32 v1, 0xffffff81, v5
	v_lshrrev_b32_e32 v3, 23, v0
	s_mov_b32 s13, exec_lo
	s_delay_alu instid0(VALU_DEP_2) | instskip(NEXT) | instid1(VALU_DEP_1)
	v_cndmask_b32_e64 v1, v1, 0xffffff82, vcc_lo
	v_add3_u32 v3, v7, v1, v3
	v_and_b32_e32 v1, 0x1fffff, v2
                                        ; implicit-def: $vgpr2
	s_delay_alu instid0(VALU_DEP_1) | instskip(SKIP_1) | instid1(VALU_DEP_2)
	v_dual_add_nc_u32 v5, 14, v3 :: v_dual_add_nc_u32 v0, v1, v0
	v_mov_b32_e32 v1, v113
	v_cmpx_ne_u32_e32 0, v5
	s_xor_b32 s13, exec_lo, s13
; %bb.1090:                             ;   in Loop: Header=BB6_136 Depth=3
	s_delay_alu instid0(VALU_DEP_2) | instskip(SKIP_2) | instid1(VALU_DEP_2)
	v_cmp_lt_u64_e32 vcc_lo, 0xffffff, v[0:1]
	v_add_nc_u32_e32 v2, 15, v3
	v_cndmask_b32_e64 v3, 0, 1, vcc_lo
	v_cndmask_b32_e32 v2, v5, v2, vcc_lo
	s_delay_alu instid0(VALU_DEP_2)
	v_lshrrev_b64 v[0:1], v3, v[0:1]
; %bb.1091:                             ;   in Loop: Header=BB6_136 Depth=3
	s_and_not1_saveexec_b32 s13, s13
; %bb.1092:                             ;   in Loop: Header=BB6_136 Depth=3
	s_delay_alu instid0(VALU_DEP_1)
	v_bfe_u32 v2, v0, 23, 1
; %bb.1093:                             ;   in Loop: Header=BB6_136 Depth=3
	s_or_b32 exec_lo, exec_lo, s13
	s_delay_alu instid0(VALU_DEP_2) | instskip(NEXT) | instid1(VALU_DEP_2)
	v_lshrrev_b64 v[0:1], 21, v[0:1]
	v_cmp_gt_i32_e32 vcc_lo, 32, v2
	v_min_i32_e32 v3, 31, v2
	v_cmp_eq_u32_e64 s13, 0, v2
	s_delay_alu instid0(VALU_DEP_2) | instskip(SKIP_1) | instid1(VALU_DEP_2)
	v_dual_cndmask_b32 v1, 0, v1, vcc_lo :: v_dual_lshlrev_b32 v3, 2, v3
	v_cndmask_b32_e32 v0, 3, v0, vcc_lo
	v_and_b32_e32 v3, 0xfc, v3
	s_delay_alu instid0(VALU_DEP_2) | instskip(NEXT) | instid1(VALU_DEP_2)
	v_cmp_eq_u64_e32 vcc_lo, 0, v[0:1]
	v_and_or_b32 v0, v0, 3, v3
	s_and_b32 s13, s13, vcc_lo
	s_delay_alu instid0(VALU_DEP_1) | instid1(SALU_CYCLE_1)
	v_cndmask_b32_e64 v0, v0, 0, s13
	s_delay_alu instid0(VALU_DEP_1)
	v_or_b32_e32 v81, v0, v4
.LBB6_1094:                             ;   in Loop: Header=BB6_136 Depth=3
	s_or_b32 exec_lo, exec_lo, s76
                                        ; implicit-def: $vgpr4
.LBB6_1095:                             ;   in Loop: Header=BB6_136 Depth=3
	s_and_not1_saveexec_b32 s13, s75
; %bb.1096:                             ;   in Loop: Header=BB6_136 Depth=3
	v_or_b32_e32 v81, 0x7b, v4
; %bb.1097:                             ;   in Loop: Header=BB6_136 Depth=3
	s_or_b32 exec_lo, exec_lo, s13
                                        ; implicit-def: $vgpr2
                                        ; implicit-def: $vgpr0_vgpr1
                                        ; implicit-def: $vgpr3
.LBB6_1098:                             ;   in Loop: Header=BB6_136 Depth=3
	s_and_not1_saveexec_b32 s13, s74
	s_cbranch_execz .LBB6_1104
; %bb.1099:                             ;   in Loop: Header=BB6_136 Depth=3
	s_mov_b32 s74, exec_lo
                                        ; implicit-def: $vgpr81
	v_cmpx_ne_u64_e32 0, v[0:1]
	s_xor_b32 s74, exec_lo, s74
; %bb.1100:                             ;   in Loop: Header=BB6_136 Depth=3
	v_or_b32_e32 v81, 0x7f, v3
                                        ; implicit-def: $vgpr2
; %bb.1101:                             ;   in Loop: Header=BB6_136 Depth=3
	s_and_not1_saveexec_b32 s74, s74
; %bb.1102:                             ;   in Loop: Header=BB6_136 Depth=3
	v_cmp_lt_i32_e32 vcc_lo, -1, v2
	v_mov_b32_e32 v0, 0x7c
	s_delay_alu instid0(VALU_DEP_1)
	v_cndmask_b32_e32 v81, 0xfc, v0, vcc_lo
; %bb.1103:                             ;   in Loop: Header=BB6_136 Depth=3
	s_or_b32 exec_lo, exec_lo, s74
.LBB6_1104:                             ;   in Loop: Header=BB6_136 Depth=3
	s_delay_alu instid0(SALU_CYCLE_1) | instskip(SKIP_3) | instid1(VALU_DEP_1)
	s_or_b32 exec_lo, exec_lo, s13
	global_load_b128 v[8:11], v[12:13], off offset:1024 th:TH_LOAD_NT
	s_wait_loadcnt 0x0
	v_and_b32_e32 v0, 0xff, v8
	v_cmp_ne_u16_e32 vcc_lo, 0, v0
	v_mov_b32_e32 v0, 0
	s_wait_xcnt 0x0
	s_and_saveexec_b32 s74, vcc_lo
	s_cbranch_execz .LBB6_1114
; %bb.1105:                             ;   in Loop: Header=BB6_136 Depth=3
	v_bfe_i32 v2, v8, 0, 8
	v_bfrev_b32_e32 v0, 1
	s_mov_b32 s75, exec_lo
	s_delay_alu instid0(VALU_DEP_2)
	v_cmpx_ne_u16_e32 0xff80, v2
	s_cbranch_execz .LBB6_1113
; %bb.1106:                             ;   in Loop: Header=BB6_136 Depth=3
	v_and_b32_e32 v0, 0x7c, v8
	v_and_b32_e32 v1, 3, v8
	s_delay_alu instid0(VALU_DEP_2) | instskip(SKIP_1) | instid1(SALU_CYCLE_1)
	v_cmp_ne_u32_e32 vcc_lo, 0x7c, v0
                                        ; implicit-def: $vgpr0
	s_and_saveexec_b32 s13, vcc_lo
	s_xor_b32 s13, exec_lo, s13
	s_cbranch_execz .LBB6_1110
; %bb.1107:                             ;   in Loop: Header=BB6_136 Depth=3
	v_bfe_u32 v0, v8, 2, 5
	s_mov_b32 s76, exec_lo
	s_delay_alu instid0(VALU_DEP_1)
	v_cmpx_eq_u32_e32 0, v0
; %bb.1108:                             ;   in Loop: Header=BB6_136 Depth=3
	v_clz_i32_u32_e32 v0, v1
	s_delay_alu instid0(VALU_DEP_1) | instskip(NEXT) | instid1(VALU_DEP_1)
	v_min_u32_e32 v0, 32, v0
	v_subrev_nc_u32_e32 v1, 29, v0
	s_delay_alu instid0(VALU_DEP_1) | instskip(NEXT) | instid1(VALU_DEP_1)
	v_lshlrev_b64_e32 v[2:3], v1, v[8:9]
	v_dual_sub_nc_u32 v0, 30, v0 :: v_dual_bitop2_b32 v1, 3, v2 bitop3:0x40
; %bb.1109:                             ;   in Loop: Header=BB6_136 Depth=3
	s_or_b32 exec_lo, exec_lo, s76
	v_lshlrev_b32_e32 v2, 24, v8
	s_delay_alu instid0(VALU_DEP_1) | instskip(NEXT) | instid1(VALU_DEP_1)
	v_and_b32_e32 v2, 0x80000000, v2
	v_lshl_add_u32 v0, v0, 23, v2
                                        ; implicit-def: $vgpr2
	s_delay_alu instid0(VALU_DEP_1) | instskip(NEXT) | instid1(VALU_DEP_1)
	v_lshl_or_b32 v0, v1, 21, v0
                                        ; implicit-def: $vgpr1
	v_add_nc_u32_e32 v0, 0x38000000, v0
.LBB6_1110:                             ;   in Loop: Header=BB6_136 Depth=3
	s_and_not1_saveexec_b32 s76, s13
; %bb.1111:                             ;   in Loop: Header=BB6_136 Depth=3
	v_cmp_lt_i16_e64 s13, -1, v2
	v_mov_b32_e32 v0, 0x7f800000
	v_cmp_eq_u32_e32 vcc_lo, 0, v1
	s_delay_alu instid0(VALU_DEP_2) | instskip(NEXT) | instid1(VALU_DEP_1)
	v_cndmask_b32_e64 v0, 0xff800000, v0, s13
	v_cndmask_b32_e32 v0, 0x7f800001, v0, vcc_lo
; %bb.1112:                             ;   in Loop: Header=BB6_136 Depth=3
	s_or_b32 exec_lo, exec_lo, s76
.LBB6_1113:                             ;   in Loop: Header=BB6_136 Depth=3
	s_delay_alu instid0(SALU_CYCLE_1)
	s_or_b32 exec_lo, exec_lo, s75
.LBB6_1114:                             ;   in Loop: Header=BB6_136 Depth=3
	s_delay_alu instid0(SALU_CYCLE_1) | instskip(NEXT) | instid1(VALU_DEP_1)
	s_or_b32 exec_lo, exec_lo, s74
	v_dual_mul_f32 v2, s73, v0 :: v_dual_mov_b32 v5, v113
	v_mov_b32_e32 v1, v113
                                        ; implicit-def: $vgpr82
	s_mov_b32 s13, exec_lo
	s_delay_alu instid0(VALU_DEP_2) | instskip(SKIP_2) | instid1(VALU_DEP_3)
	v_and_b32_e32 v4, 0x7f800000, v2
	v_and_b32_e32 v0, 0x7fffff, v2
	v_lshrrev_b32_e32 v3, 24, v2
	v_cmpx_ne_u64_e32 0x7f800000, v[4:5]
	s_xor_b32 s74, exec_lo, s13
	s_cbranch_execz .LBB6_1128
; %bb.1115:                             ;   in Loop: Header=BB6_136 Depth=3
	v_and_b32_e32 v4, 0x7fffffff, v2
	v_mov_b32_e32 v5, v113
                                        ; implicit-def: $vgpr82
	s_delay_alu instid0(VALU_DEP_1) | instskip(SKIP_2) | instid1(SALU_CYCLE_1)
	v_cmp_gt_u64_e32 vcc_lo, 0x47600001, v[4:5]
	v_and_b32_e32 v4, 0x80, v3
	s_and_saveexec_b32 s13, vcc_lo
	s_xor_b32 s75, exec_lo, s13
	s_cbranch_execz .LBB6_1125
; %bb.1116:                             ;   in Loop: Header=BB6_136 Depth=3
	v_mov_b32_e32 v82, 0
	s_mov_b32 s76, exec_lo
	v_cmpx_ne_u32_e32 0, v2
	s_cbranch_execz .LBB6_1124
; %bb.1117:                             ;   in Loop: Header=BB6_136 Depth=3
	v_bfe_u32 v5, v2, 23, 8
	v_or_b32_e32 v3, 0x800000, v0
	s_delay_alu instid0(VALU_DEP_2) | instskip(SKIP_2) | instid1(VALU_DEP_2)
	v_cmp_gt_u32_e64 s13, 0x72, v5
	v_sub_nc_u32_e32 v2, 0x71, v5
	v_cmp_eq_u32_e32 vcc_lo, 0, v5
	v_dual_cndmask_b32 v2, 0, v2, s13 :: v_dual_cndmask_b32 v0, v3, v0, vcc_lo
	s_delay_alu instid0(VALU_DEP_1) | instskip(NEXT) | instid1(VALU_DEP_1)
	v_cndmask_b32_e64 v7, v2, 0x70, vcc_lo
	v_dual_add_nc_u32 v2, 21, v7 :: v_dual_add_nc_u32 v14, 20, v7
	s_delay_alu instid0(VALU_DEP_1) | instskip(NEXT) | instid1(VALU_DEP_2)
	v_lshlrev_b64_e64 v[2:3], v2, -1
	v_lshlrev_b64_e64 v[14:15], v14, 1
	s_delay_alu instid0(VALU_DEP_2) | instskip(SKIP_1) | instid1(VALU_DEP_4)
	v_bfi_b32 v2, v2, 0, v0
	v_lshrrev_b64 v[0:1], v7, v[0:1]
	v_bfi_b32 v3, v3, 0, 0
	s_delay_alu instid0(VALU_DEP_1) | instskip(NEXT) | instid1(VALU_DEP_3)
	v_cmp_eq_u64_e64 s13, v[2:3], v[14:15]
	v_mov_b64_e32 v[2:3], v[0:1]
	s_and_saveexec_b32 s77, s13
; %bb.1118:                             ;   in Loop: Header=BB6_136 Depth=3
	v_bfe_u32 v2, v0, 21, 1
	v_mov_b32_e32 v3, v113
	s_delay_alu instid0(VALU_DEP_1) | instskip(NEXT) | instid1(VALU_DEP_1)
	v_add_nc_u64_e32 v[2:3], v[0:1], v[2:3]
	v_add_nc_u64_e32 v[2:3], -1, v[2:3]
; %bb.1119:                             ;   in Loop: Header=BB6_136 Depth=3
	s_or_b32 exec_lo, exec_lo, s77
	v_add_nc_u32_e32 v1, 0xffffff81, v5
	v_lshrrev_b32_e32 v3, 23, v0
	s_mov_b32 s13, exec_lo
	s_delay_alu instid0(VALU_DEP_2) | instskip(NEXT) | instid1(VALU_DEP_1)
	v_cndmask_b32_e64 v1, v1, 0xffffff82, vcc_lo
	v_add3_u32 v5, v7, v1, v3
	v_and_b32_e32 v1, 0x1fffff, v2
                                        ; implicit-def: $vgpr2
	s_delay_alu instid0(VALU_DEP_1) | instskip(SKIP_1) | instid1(VALU_DEP_2)
	v_dual_add_nc_u32 v3, 14, v5 :: v_dual_add_nc_u32 v0, v1, v0
	v_mov_b32_e32 v1, v113
	v_cmpx_ne_u32_e32 0, v3
	s_xor_b32 s13, exec_lo, s13
; %bb.1120:                             ;   in Loop: Header=BB6_136 Depth=3
	s_delay_alu instid0(VALU_DEP_2) | instskip(SKIP_1) | instid1(VALU_DEP_1)
	v_cmp_lt_u64_e32 vcc_lo, 0xffffff, v[0:1]
	v_add_nc_u32_e32 v2, 15, v5
	v_cndmask_b32_e32 v2, v3, v2, vcc_lo
	v_cndmask_b32_e64 v3, 0, 1, vcc_lo
	s_delay_alu instid0(VALU_DEP_1)
	v_lshrrev_b64 v[0:1], v3, v[0:1]
; %bb.1121:                             ;   in Loop: Header=BB6_136 Depth=3
	s_and_not1_saveexec_b32 s13, s13
; %bb.1122:                             ;   in Loop: Header=BB6_136 Depth=3
	s_delay_alu instid0(VALU_DEP_1)
	v_bfe_u32 v2, v0, 23, 1
; %bb.1123:                             ;   in Loop: Header=BB6_136 Depth=3
	s_or_b32 exec_lo, exec_lo, s13
	s_delay_alu instid0(VALU_DEP_2) | instskip(NEXT) | instid1(VALU_DEP_2)
	v_lshrrev_b64 v[0:1], 21, v[0:1]
	v_cmp_gt_i32_e32 vcc_lo, 32, v2
	v_min_i32_e32 v3, 31, v2
	v_cmp_eq_u32_e64 s13, 0, v2
	s_delay_alu instid0(VALU_DEP_2) | instskip(SKIP_1) | instid1(VALU_DEP_2)
	v_dual_cndmask_b32 v1, 0, v1, vcc_lo :: v_dual_lshlrev_b32 v3, 2, v3
	v_cndmask_b32_e32 v0, 3, v0, vcc_lo
	v_and_b32_e32 v3, 0xfc, v3
	s_delay_alu instid0(VALU_DEP_2) | instskip(NEXT) | instid1(VALU_DEP_2)
	v_cmp_eq_u64_e32 vcc_lo, 0, v[0:1]
	v_and_or_b32 v0, v0, 3, v3
	s_and_b32 s13, s13, vcc_lo
	s_delay_alu instid0(VALU_DEP_1) | instid1(SALU_CYCLE_1)
	v_cndmask_b32_e64 v0, v0, 0, s13
	s_delay_alu instid0(VALU_DEP_1)
	v_or_b32_e32 v82, v0, v4
.LBB6_1124:                             ;   in Loop: Header=BB6_136 Depth=3
	s_or_b32 exec_lo, exec_lo, s76
                                        ; implicit-def: $vgpr4
.LBB6_1125:                             ;   in Loop: Header=BB6_136 Depth=3
	s_and_not1_saveexec_b32 s13, s75
; %bb.1126:                             ;   in Loop: Header=BB6_136 Depth=3
	v_or_b32_e32 v82, 0x7b, v4
; %bb.1127:                             ;   in Loop: Header=BB6_136 Depth=3
	s_or_b32 exec_lo, exec_lo, s13
                                        ; implicit-def: $vgpr2
                                        ; implicit-def: $vgpr0_vgpr1
                                        ; implicit-def: $vgpr3
.LBB6_1128:                             ;   in Loop: Header=BB6_136 Depth=3
	s_and_not1_saveexec_b32 s13, s74
	s_cbranch_execz .LBB6_1134
; %bb.1129:                             ;   in Loop: Header=BB6_136 Depth=3
	s_mov_b32 s74, exec_lo
                                        ; implicit-def: $vgpr82
	v_cmpx_ne_u64_e32 0, v[0:1]
	s_xor_b32 s74, exec_lo, s74
; %bb.1130:                             ;   in Loop: Header=BB6_136 Depth=3
	v_or_b32_e32 v82, 0x7f, v3
                                        ; implicit-def: $vgpr2
; %bb.1131:                             ;   in Loop: Header=BB6_136 Depth=3
	s_and_not1_saveexec_b32 s74, s74
; %bb.1132:                             ;   in Loop: Header=BB6_136 Depth=3
	v_cmp_lt_i32_e32 vcc_lo, -1, v2
	v_mov_b32_e32 v0, 0x7c
	s_delay_alu instid0(VALU_DEP_1)
	v_cndmask_b32_e32 v82, 0xfc, v0, vcc_lo
; %bb.1133:                             ;   in Loop: Header=BB6_136 Depth=3
	s_or_b32 exec_lo, exec_lo, s74
.LBB6_1134:                             ;   in Loop: Header=BB6_136 Depth=3
	s_delay_alu instid0(SALU_CYCLE_1) | instskip(SKIP_3) | instid1(VALU_DEP_2)
	s_or_b32 exec_lo, exec_lo, s13
	v_lshrrev_b16 v0, 8, v8
	v_mov_b32_e32 v1, 0
	s_mov_b32 s74, exec_lo
	v_cmpx_ne_u16_e32 0, v0
	s_cbranch_execz .LBB6_1144
; %bb.1135:                             ;   in Loop: Header=BB6_136 Depth=3
	v_bfrev_b32_e32 v1, 1
	s_mov_b32 s75, exec_lo
	v_cmpx_ne_u16_e32 0x80, v0
	s_cbranch_execz .LBB6_1143
; %bb.1136:                             ;   in Loop: Header=BB6_136 Depth=3
	v_and_b32_e32 v3, 0xffff, v0
	s_delay_alu instid0(VALU_DEP_1) | instskip(SKIP_1) | instid1(VALU_DEP_2)
	v_and_b32_e32 v1, 0x7c, v3
	v_and_b32_e32 v2, 3, v3
	v_cmp_ne_u32_e32 vcc_lo, 0x7c, v1
                                        ; implicit-def: $vgpr1
	s_and_saveexec_b32 s13, vcc_lo
	s_delay_alu instid0(SALU_CYCLE_1)
	s_xor_b32 s13, exec_lo, s13
	s_cbranch_execz .LBB6_1140
; %bb.1137:                             ;   in Loop: Header=BB6_136 Depth=3
	v_bfe_u32 v1, v3, 2, 5
	s_mov_b32 s76, exec_lo
	s_delay_alu instid0(VALU_DEP_1)
	v_cmpx_eq_u32_e32 0, v1
; %bb.1138:                             ;   in Loop: Header=BB6_136 Depth=3
	v_clz_i32_u32_e32 v1, v2
	s_delay_alu instid0(VALU_DEP_1) | instskip(SKIP_1) | instid1(VALU_DEP_2)
	v_min_u32_e32 v2, 32, v1
	v_mov_b32_e32 v1, v113
	v_subrev_nc_u32_e32 v3, 29, v2
	s_delay_alu instid0(VALU_DEP_1) | instskip(NEXT) | instid1(VALU_DEP_1)
	v_lshlrev_b64_e32 v[0:1], v3, v[0:1]
	v_dual_sub_nc_u32 v1, 30, v2 :: v_dual_bitop2_b32 v2, 3, v0 bitop3:0x40
; %bb.1139:                             ;   in Loop: Header=BB6_136 Depth=3
	s_or_b32 exec_lo, exec_lo, s76
	v_lshlrev_b32_e32 v0, 16, v8
	s_delay_alu instid0(VALU_DEP_1) | instskip(NEXT) | instid1(VALU_DEP_1)
	v_and_b32_e32 v0, 0x80000000, v0
	v_lshl_add_u32 v0, v1, 23, v0
	s_delay_alu instid0(VALU_DEP_1) | instskip(NEXT) | instid1(VALU_DEP_1)
	v_lshl_or_b32 v0, v2, 21, v0
                                        ; implicit-def: $vgpr2
	v_add_nc_u32_e32 v1, 0x38000000, v0
.LBB6_1140:                             ;   in Loop: Header=BB6_136 Depth=3
	s_and_not1_saveexec_b32 s76, s13
; %bb.1141:                             ;   in Loop: Header=BB6_136 Depth=3
	v_cmp_lt_i16_e64 s13, -1, v8
	v_mov_b32_e32 v0, 0x7f800000
	v_cmp_eq_u32_e32 vcc_lo, 0, v2
	s_delay_alu instid0(VALU_DEP_2) | instskip(NEXT) | instid1(VALU_DEP_1)
	v_cndmask_b32_e64 v0, 0xff800000, v0, s13
	v_cndmask_b32_e32 v1, 0x7f800001, v0, vcc_lo
; %bb.1142:                             ;   in Loop: Header=BB6_136 Depth=3
	s_or_b32 exec_lo, exec_lo, s76
.LBB6_1143:                             ;   in Loop: Header=BB6_136 Depth=3
	s_delay_alu instid0(SALU_CYCLE_1)
	s_or_b32 exec_lo, exec_lo, s75
.LBB6_1144:                             ;   in Loop: Header=BB6_136 Depth=3
	s_delay_alu instid0(SALU_CYCLE_1) | instskip(NEXT) | instid1(VALU_DEP_1)
	s_or_b32 exec_lo, exec_lo, s74
	v_dual_mul_f32 v2, s73, v1 :: v_dual_mov_b32 v5, v113
	v_mov_b32_e32 v1, v113
                                        ; implicit-def: $vgpr83
	s_mov_b32 s13, exec_lo
	s_delay_alu instid0(VALU_DEP_2) | instskip(SKIP_2) | instid1(VALU_DEP_3)
	v_and_b32_e32 v4, 0x7f800000, v2
	v_and_b32_e32 v0, 0x7fffff, v2
	v_lshrrev_b32_e32 v3, 24, v2
	v_cmpx_ne_u64_e32 0x7f800000, v[4:5]
	s_xor_b32 s74, exec_lo, s13
	s_cbranch_execz .LBB6_1158
; %bb.1145:                             ;   in Loop: Header=BB6_136 Depth=3
	v_and_b32_e32 v4, 0x7fffffff, v2
	v_mov_b32_e32 v5, v113
                                        ; implicit-def: $vgpr83
	s_delay_alu instid0(VALU_DEP_1) | instskip(SKIP_2) | instid1(SALU_CYCLE_1)
	v_cmp_gt_u64_e32 vcc_lo, 0x47600001, v[4:5]
	v_and_b32_e32 v4, 0x80, v3
	s_and_saveexec_b32 s13, vcc_lo
	s_xor_b32 s75, exec_lo, s13
	s_cbranch_execz .LBB6_1155
; %bb.1146:                             ;   in Loop: Header=BB6_136 Depth=3
	v_mov_b32_e32 v83, 0
	s_mov_b32 s76, exec_lo
	v_cmpx_ne_u32_e32 0, v2
	s_cbranch_execz .LBB6_1154
; %bb.1147:                             ;   in Loop: Header=BB6_136 Depth=3
	v_bfe_u32 v5, v2, 23, 8
	v_or_b32_e32 v3, 0x800000, v0
	s_delay_alu instid0(VALU_DEP_2) | instskip(SKIP_2) | instid1(VALU_DEP_2)
	v_cmp_gt_u32_e64 s13, 0x72, v5
	v_sub_nc_u32_e32 v2, 0x71, v5
	v_cmp_eq_u32_e32 vcc_lo, 0, v5
	v_dual_cndmask_b32 v2, 0, v2, s13 :: v_dual_cndmask_b32 v0, v3, v0, vcc_lo
	s_delay_alu instid0(VALU_DEP_1) | instskip(NEXT) | instid1(VALU_DEP_1)
	v_cndmask_b32_e64 v7, v2, 0x70, vcc_lo
	v_dual_add_nc_u32 v2, 21, v7 :: v_dual_add_nc_u32 v14, 20, v7
	s_delay_alu instid0(VALU_DEP_1) | instskip(NEXT) | instid1(VALU_DEP_2)
	v_lshlrev_b64_e64 v[2:3], v2, -1
	v_lshlrev_b64_e64 v[14:15], v14, 1
	s_delay_alu instid0(VALU_DEP_2) | instskip(SKIP_1) | instid1(VALU_DEP_4)
	v_bfi_b32 v2, v2, 0, v0
	v_lshrrev_b64 v[0:1], v7, v[0:1]
	v_bfi_b32 v3, v3, 0, 0
	s_delay_alu instid0(VALU_DEP_1) | instskip(NEXT) | instid1(VALU_DEP_3)
	v_cmp_eq_u64_e64 s13, v[2:3], v[14:15]
	v_mov_b64_e32 v[2:3], v[0:1]
	s_and_saveexec_b32 s77, s13
; %bb.1148:                             ;   in Loop: Header=BB6_136 Depth=3
	v_bfe_u32 v2, v0, 21, 1
	v_mov_b32_e32 v3, v113
	s_delay_alu instid0(VALU_DEP_1) | instskip(NEXT) | instid1(VALU_DEP_1)
	v_add_nc_u64_e32 v[2:3], v[0:1], v[2:3]
	v_add_nc_u64_e32 v[2:3], -1, v[2:3]
; %bb.1149:                             ;   in Loop: Header=BB6_136 Depth=3
	s_or_b32 exec_lo, exec_lo, s77
	v_add_nc_u32_e32 v1, 0xffffff81, v5
	v_lshrrev_b32_e32 v3, 23, v0
	s_mov_b32 s13, exec_lo
	s_delay_alu instid0(VALU_DEP_2) | instskip(NEXT) | instid1(VALU_DEP_1)
	v_cndmask_b32_e64 v1, v1, 0xffffff82, vcc_lo
	v_add3_u32 v5, v7, v1, v3
	v_and_b32_e32 v1, 0x1fffff, v2
                                        ; implicit-def: $vgpr2
	s_delay_alu instid0(VALU_DEP_1) | instskip(SKIP_1) | instid1(VALU_DEP_2)
	v_dual_add_nc_u32 v3, 14, v5 :: v_dual_add_nc_u32 v0, v1, v0
	v_mov_b32_e32 v1, v113
	v_cmpx_ne_u32_e32 0, v3
	s_xor_b32 s13, exec_lo, s13
; %bb.1150:                             ;   in Loop: Header=BB6_136 Depth=3
	s_delay_alu instid0(VALU_DEP_2) | instskip(SKIP_1) | instid1(VALU_DEP_1)
	v_cmp_lt_u64_e32 vcc_lo, 0xffffff, v[0:1]
	v_add_nc_u32_e32 v2, 15, v5
	v_cndmask_b32_e32 v2, v3, v2, vcc_lo
	v_cndmask_b32_e64 v3, 0, 1, vcc_lo
	s_delay_alu instid0(VALU_DEP_1)
	v_lshrrev_b64 v[0:1], v3, v[0:1]
; %bb.1151:                             ;   in Loop: Header=BB6_136 Depth=3
	s_and_not1_saveexec_b32 s13, s13
; %bb.1152:                             ;   in Loop: Header=BB6_136 Depth=3
	s_delay_alu instid0(VALU_DEP_1)
	v_bfe_u32 v2, v0, 23, 1
; %bb.1153:                             ;   in Loop: Header=BB6_136 Depth=3
	s_or_b32 exec_lo, exec_lo, s13
	s_delay_alu instid0(VALU_DEP_2) | instskip(NEXT) | instid1(VALU_DEP_2)
	v_lshrrev_b64 v[0:1], 21, v[0:1]
	v_cmp_gt_i32_e32 vcc_lo, 32, v2
	v_min_i32_e32 v3, 31, v2
	v_cmp_eq_u32_e64 s13, 0, v2
	s_delay_alu instid0(VALU_DEP_2) | instskip(SKIP_1) | instid1(VALU_DEP_2)
	v_dual_cndmask_b32 v1, 0, v1, vcc_lo :: v_dual_lshlrev_b32 v3, 2, v3
	v_cndmask_b32_e32 v0, 3, v0, vcc_lo
	v_and_b32_e32 v3, 0xfc, v3
	s_delay_alu instid0(VALU_DEP_2) | instskip(NEXT) | instid1(VALU_DEP_2)
	v_cmp_eq_u64_e32 vcc_lo, 0, v[0:1]
	v_and_or_b32 v0, v0, 3, v3
	s_and_b32 s13, s13, vcc_lo
	s_delay_alu instid0(VALU_DEP_1) | instid1(SALU_CYCLE_1)
	v_cndmask_b32_e64 v0, v0, 0, s13
	s_delay_alu instid0(VALU_DEP_1)
	v_or_b32_e32 v83, v0, v4
.LBB6_1154:                             ;   in Loop: Header=BB6_136 Depth=3
	s_or_b32 exec_lo, exec_lo, s76
                                        ; implicit-def: $vgpr4
.LBB6_1155:                             ;   in Loop: Header=BB6_136 Depth=3
	s_and_not1_saveexec_b32 s13, s75
; %bb.1156:                             ;   in Loop: Header=BB6_136 Depth=3
	v_or_b32_e32 v83, 0x7b, v4
; %bb.1157:                             ;   in Loop: Header=BB6_136 Depth=3
	s_or_b32 exec_lo, exec_lo, s13
                                        ; implicit-def: $vgpr2
                                        ; implicit-def: $vgpr0_vgpr1
                                        ; implicit-def: $vgpr3
.LBB6_1158:                             ;   in Loop: Header=BB6_136 Depth=3
	s_and_not1_saveexec_b32 s13, s74
	s_cbranch_execz .LBB6_1164
; %bb.1159:                             ;   in Loop: Header=BB6_136 Depth=3
	s_mov_b32 s74, exec_lo
                                        ; implicit-def: $vgpr83
	v_cmpx_ne_u64_e32 0, v[0:1]
	s_xor_b32 s74, exec_lo, s74
; %bb.1160:                             ;   in Loop: Header=BB6_136 Depth=3
	v_or_b32_e32 v83, 0x7f, v3
                                        ; implicit-def: $vgpr2
; %bb.1161:                             ;   in Loop: Header=BB6_136 Depth=3
	s_and_not1_saveexec_b32 s74, s74
; %bb.1162:                             ;   in Loop: Header=BB6_136 Depth=3
	v_cmp_lt_i32_e32 vcc_lo, -1, v2
	v_mov_b32_e32 v0, 0x7c
	s_delay_alu instid0(VALU_DEP_1)
	v_cndmask_b32_e32 v83, 0xfc, v0, vcc_lo
; %bb.1163:                             ;   in Loop: Header=BB6_136 Depth=3
	s_or_b32 exec_lo, exec_lo, s74
.LBB6_1164:                             ;   in Loop: Header=BB6_136 Depth=3
	s_delay_alu instid0(SALU_CYCLE_1) | instskip(SKIP_2) | instid1(VALU_DEP_1)
	s_or_b32 exec_lo, exec_lo, s13
	v_dual_mov_b32 v1, 0 :: v_dual_lshrrev_b32 v0, 16, v8
	s_mov_b32 s74, exec_lo
	v_and_b32_e32 v2, 0xff, v0
	s_delay_alu instid0(VALU_DEP_1)
	v_cmpx_ne_u16_e32 0, v2
	s_cbranch_execz .LBB6_1174
; %bb.1165:                             ;   in Loop: Header=BB6_136 Depth=3
	v_bfrev_b32_e32 v1, 1
	s_mov_b32 s75, exec_lo
	v_cmpx_ne_u16_e32 0x80, v2
	s_cbranch_execz .LBB6_1173
; %bb.1166:                             ;   in Loop: Header=BB6_136 Depth=3
	v_and_b32_e32 v1, 0x7c0000, v8
	v_bfe_u32 v2, v8, 16, 2
	s_delay_alu instid0(VALU_DEP_2) | instskip(SKIP_1) | instid1(SALU_CYCLE_1)
	v_cmp_ne_u32_e32 vcc_lo, 0x7c0000, v1
                                        ; implicit-def: $vgpr1
	s_and_saveexec_b32 s13, vcc_lo
	s_xor_b32 s13, exec_lo, s13
	s_cbranch_execz .LBB6_1170
; %bb.1167:                             ;   in Loop: Header=BB6_136 Depth=3
	v_bfe_u32 v1, v8, 18, 5
	s_mov_b32 s76, exec_lo
	s_delay_alu instid0(VALU_DEP_1)
	v_cmpx_eq_u32_e32 0, v1
; %bb.1168:                             ;   in Loop: Header=BB6_136 Depth=3
	v_clz_i32_u32_e32 v1, v2
	s_delay_alu instid0(VALU_DEP_1) | instskip(NEXT) | instid1(VALU_DEP_1)
	v_min_u32_e32 v1, 32, v1
	v_subrev_nc_u32_e32 v2, 29, v1
	s_delay_alu instid0(VALU_DEP_1) | instskip(NEXT) | instid1(VALU_DEP_1)
	v_lshlrev_b64_e32 v[2:3], v2, v[0:1]
	v_dual_sub_nc_u32 v1, 30, v1 :: v_dual_bitop2_b32 v2, 3, v2 bitop3:0x40
; %bb.1169:                             ;   in Loop: Header=BB6_136 Depth=3
	s_or_b32 exec_lo, exec_lo, s76
	v_lshlrev_b32_e32 v0, 24, v0
	s_delay_alu instid0(VALU_DEP_1) | instskip(NEXT) | instid1(VALU_DEP_1)
	v_and_b32_e32 v0, 0x80000000, v0
	v_lshl_add_u32 v0, v1, 23, v0
	s_delay_alu instid0(VALU_DEP_1) | instskip(NEXT) | instid1(VALU_DEP_1)
	v_lshl_or_b32 v0, v2, 21, v0
                                        ; implicit-def: $vgpr2
	v_add_nc_u32_e32 v1, 0x38000000, v0
                                        ; implicit-def: $vgpr0
.LBB6_1170:                             ;   in Loop: Header=BB6_136 Depth=3
	s_and_not1_saveexec_b32 s76, s13
; %bb.1171:                             ;   in Loop: Header=BB6_136 Depth=3
	v_bfe_i32 v0, v0, 0, 8
	v_cmp_eq_u32_e32 vcc_lo, 0, v2
	s_delay_alu instid0(VALU_DEP_2) | instskip(SKIP_1) | instid1(VALU_DEP_1)
	v_cmp_lt_i16_e64 s13, -1, v0
	v_mov_b32_e32 v0, 0x7f800000
	v_cndmask_b32_e64 v0, 0xff800000, v0, s13
	s_delay_alu instid0(VALU_DEP_1)
	v_cndmask_b32_e32 v1, 0x7f800001, v0, vcc_lo
; %bb.1172:                             ;   in Loop: Header=BB6_136 Depth=3
	s_or_b32 exec_lo, exec_lo, s76
.LBB6_1173:                             ;   in Loop: Header=BB6_136 Depth=3
	s_delay_alu instid0(SALU_CYCLE_1)
	s_or_b32 exec_lo, exec_lo, s75
.LBB6_1174:                             ;   in Loop: Header=BB6_136 Depth=3
	s_delay_alu instid0(SALU_CYCLE_1) | instskip(NEXT) | instid1(VALU_DEP_1)
	s_or_b32 exec_lo, exec_lo, s74
	v_dual_mul_f32 v2, s73, v1 :: v_dual_mov_b32 v5, v113
	v_mov_b32_e32 v1, v113
                                        ; implicit-def: $vgpr84
	s_mov_b32 s13, exec_lo
	s_delay_alu instid0(VALU_DEP_2) | instskip(SKIP_2) | instid1(VALU_DEP_3)
	v_and_b32_e32 v4, 0x7f800000, v2
	v_and_b32_e32 v0, 0x7fffff, v2
	v_lshrrev_b32_e32 v3, 24, v2
	v_cmpx_ne_u64_e32 0x7f800000, v[4:5]
	s_xor_b32 s74, exec_lo, s13
	s_cbranch_execz .LBB6_1188
; %bb.1175:                             ;   in Loop: Header=BB6_136 Depth=3
	v_and_b32_e32 v4, 0x7fffffff, v2
	v_mov_b32_e32 v5, v113
                                        ; implicit-def: $vgpr84
	s_delay_alu instid0(VALU_DEP_1) | instskip(SKIP_2) | instid1(SALU_CYCLE_1)
	v_cmp_gt_u64_e32 vcc_lo, 0x47600001, v[4:5]
	v_and_b32_e32 v4, 0x80, v3
	s_and_saveexec_b32 s13, vcc_lo
	s_xor_b32 s75, exec_lo, s13
	s_cbranch_execz .LBB6_1185
; %bb.1176:                             ;   in Loop: Header=BB6_136 Depth=3
	v_mov_b32_e32 v84, 0
	s_mov_b32 s76, exec_lo
	v_cmpx_ne_u32_e32 0, v2
	s_cbranch_execz .LBB6_1184
; %bb.1177:                             ;   in Loop: Header=BB6_136 Depth=3
	v_bfe_u32 v5, v2, 23, 8
	v_or_b32_e32 v3, 0x800000, v0
	s_delay_alu instid0(VALU_DEP_2) | instskip(SKIP_2) | instid1(VALU_DEP_2)
	v_cmp_gt_u32_e64 s13, 0x72, v5
	v_sub_nc_u32_e32 v2, 0x71, v5
	v_cmp_eq_u32_e32 vcc_lo, 0, v5
	v_dual_cndmask_b32 v2, 0, v2, s13 :: v_dual_cndmask_b32 v0, v3, v0, vcc_lo
	s_delay_alu instid0(VALU_DEP_1) | instskip(NEXT) | instid1(VALU_DEP_1)
	v_cndmask_b32_e64 v7, v2, 0x70, vcc_lo
	v_dual_add_nc_u32 v2, 21, v7 :: v_dual_add_nc_u32 v14, 20, v7
	s_delay_alu instid0(VALU_DEP_1) | instskip(NEXT) | instid1(VALU_DEP_2)
	v_lshlrev_b64_e64 v[2:3], v2, -1
	v_lshlrev_b64_e64 v[14:15], v14, 1
	s_delay_alu instid0(VALU_DEP_2) | instskip(SKIP_1) | instid1(VALU_DEP_4)
	v_bfi_b32 v2, v2, 0, v0
	v_lshrrev_b64 v[0:1], v7, v[0:1]
	v_bfi_b32 v3, v3, 0, 0
	s_delay_alu instid0(VALU_DEP_1) | instskip(NEXT) | instid1(VALU_DEP_3)
	v_cmp_eq_u64_e64 s13, v[2:3], v[14:15]
	v_mov_b64_e32 v[2:3], v[0:1]
	s_and_saveexec_b32 s77, s13
; %bb.1178:                             ;   in Loop: Header=BB6_136 Depth=3
	v_bfe_u32 v2, v0, 21, 1
	v_mov_b32_e32 v3, v113
	s_delay_alu instid0(VALU_DEP_1) | instskip(NEXT) | instid1(VALU_DEP_1)
	v_add_nc_u64_e32 v[2:3], v[0:1], v[2:3]
	v_add_nc_u64_e32 v[2:3], -1, v[2:3]
; %bb.1179:                             ;   in Loop: Header=BB6_136 Depth=3
	s_or_b32 exec_lo, exec_lo, s77
	v_add_nc_u32_e32 v1, 0xffffff81, v5
	v_lshrrev_b32_e32 v3, 23, v0
	s_mov_b32 s13, exec_lo
	s_delay_alu instid0(VALU_DEP_2) | instskip(NEXT) | instid1(VALU_DEP_1)
	v_cndmask_b32_e64 v1, v1, 0xffffff82, vcc_lo
	v_add3_u32 v5, v7, v1, v3
	v_and_b32_e32 v1, 0x1fffff, v2
                                        ; implicit-def: $vgpr2
	s_delay_alu instid0(VALU_DEP_1) | instskip(SKIP_1) | instid1(VALU_DEP_2)
	v_dual_add_nc_u32 v3, 14, v5 :: v_dual_add_nc_u32 v0, v1, v0
	v_mov_b32_e32 v1, v113
	v_cmpx_ne_u32_e32 0, v3
	s_xor_b32 s13, exec_lo, s13
; %bb.1180:                             ;   in Loop: Header=BB6_136 Depth=3
	s_delay_alu instid0(VALU_DEP_2) | instskip(SKIP_1) | instid1(VALU_DEP_1)
	v_cmp_lt_u64_e32 vcc_lo, 0xffffff, v[0:1]
	v_add_nc_u32_e32 v2, 15, v5
	v_cndmask_b32_e32 v2, v3, v2, vcc_lo
	v_cndmask_b32_e64 v3, 0, 1, vcc_lo
	s_delay_alu instid0(VALU_DEP_1)
	v_lshrrev_b64 v[0:1], v3, v[0:1]
; %bb.1181:                             ;   in Loop: Header=BB6_136 Depth=3
	s_and_not1_saveexec_b32 s13, s13
; %bb.1182:                             ;   in Loop: Header=BB6_136 Depth=3
	s_delay_alu instid0(VALU_DEP_1)
	v_bfe_u32 v2, v0, 23, 1
; %bb.1183:                             ;   in Loop: Header=BB6_136 Depth=3
	s_or_b32 exec_lo, exec_lo, s13
	s_delay_alu instid0(VALU_DEP_2) | instskip(NEXT) | instid1(VALU_DEP_2)
	v_lshrrev_b64 v[0:1], 21, v[0:1]
	v_cmp_gt_i32_e32 vcc_lo, 32, v2
	v_min_i32_e32 v3, 31, v2
	v_cmp_eq_u32_e64 s13, 0, v2
	s_delay_alu instid0(VALU_DEP_2) | instskip(SKIP_1) | instid1(VALU_DEP_2)
	v_dual_cndmask_b32 v1, 0, v1, vcc_lo :: v_dual_lshlrev_b32 v3, 2, v3
	v_cndmask_b32_e32 v0, 3, v0, vcc_lo
	v_and_b32_e32 v3, 0xfc, v3
	s_delay_alu instid0(VALU_DEP_2) | instskip(NEXT) | instid1(VALU_DEP_2)
	v_cmp_eq_u64_e32 vcc_lo, 0, v[0:1]
	v_and_or_b32 v0, v0, 3, v3
	s_and_b32 s13, s13, vcc_lo
	s_delay_alu instid0(VALU_DEP_1) | instid1(SALU_CYCLE_1)
	v_cndmask_b32_e64 v0, v0, 0, s13
	s_delay_alu instid0(VALU_DEP_1)
	v_or_b32_e32 v84, v0, v4
.LBB6_1184:                             ;   in Loop: Header=BB6_136 Depth=3
	s_or_b32 exec_lo, exec_lo, s76
                                        ; implicit-def: $vgpr4
.LBB6_1185:                             ;   in Loop: Header=BB6_136 Depth=3
	s_and_not1_saveexec_b32 s13, s75
; %bb.1186:                             ;   in Loop: Header=BB6_136 Depth=3
	v_or_b32_e32 v84, 0x7b, v4
; %bb.1187:                             ;   in Loop: Header=BB6_136 Depth=3
	s_or_b32 exec_lo, exec_lo, s13
                                        ; implicit-def: $vgpr2
                                        ; implicit-def: $vgpr0_vgpr1
                                        ; implicit-def: $vgpr3
.LBB6_1188:                             ;   in Loop: Header=BB6_136 Depth=3
	s_and_not1_saveexec_b32 s13, s74
	s_cbranch_execz .LBB6_1194
; %bb.1189:                             ;   in Loop: Header=BB6_136 Depth=3
	s_mov_b32 s74, exec_lo
                                        ; implicit-def: $vgpr84
	v_cmpx_ne_u64_e32 0, v[0:1]
	s_xor_b32 s74, exec_lo, s74
; %bb.1190:                             ;   in Loop: Header=BB6_136 Depth=3
	v_or_b32_e32 v84, 0x7f, v3
                                        ; implicit-def: $vgpr2
; %bb.1191:                             ;   in Loop: Header=BB6_136 Depth=3
	s_and_not1_saveexec_b32 s74, s74
; %bb.1192:                             ;   in Loop: Header=BB6_136 Depth=3
	v_cmp_lt_i32_e32 vcc_lo, -1, v2
	v_mov_b32_e32 v0, 0x7c
	s_delay_alu instid0(VALU_DEP_1)
	v_cndmask_b32_e32 v84, 0xfc, v0, vcc_lo
; %bb.1193:                             ;   in Loop: Header=BB6_136 Depth=3
	s_or_b32 exec_lo, exec_lo, s74
.LBB6_1194:                             ;   in Loop: Header=BB6_136 Depth=3
	s_delay_alu instid0(SALU_CYCLE_1)
	s_or_b32 exec_lo, exec_lo, s13
	v_mov_b32_e32 v1, 0
	s_mov_b32 s74, exec_lo
	v_cmpx_lt_u32_e32 0xffffff, v8
	s_cbranch_execz .LBB6_1204
; %bb.1195:                             ;   in Loop: Header=BB6_136 Depth=3
	v_lshrrev_b32_e32 v0, 24, v8
	v_bfrev_b32_e32 v1, 1
	s_mov_b32 s75, exec_lo
	s_delay_alu instid0(VALU_DEP_2)
	v_cmpx_ne_u32_e32 0x80, v0
	s_cbranch_execz .LBB6_1203
; %bb.1196:                             ;   in Loop: Header=BB6_136 Depth=3
	v_and_b32_e32 v1, 0x7c000000, v8
	v_bfe_u32 v2, v8, 24, 2
	s_delay_alu instid0(VALU_DEP_2) | instskip(SKIP_1) | instid1(SALU_CYCLE_1)
	v_cmp_ne_u32_e32 vcc_lo, 0x7c000000, v1
                                        ; implicit-def: $vgpr1
	s_and_saveexec_b32 s13, vcc_lo
	s_xor_b32 s13, exec_lo, s13
	s_cbranch_execz .LBB6_1200
; %bb.1197:                             ;   in Loop: Header=BB6_136 Depth=3
	v_bfe_u32 v1, v8, 26, 5
	s_mov_b32 s76, exec_lo
	s_delay_alu instid0(VALU_DEP_1)
	v_cmpx_eq_u32_e32 0, v1
; %bb.1198:                             ;   in Loop: Header=BB6_136 Depth=3
	v_clz_i32_u32_e32 v1, v2
	s_delay_alu instid0(VALU_DEP_1) | instskip(NEXT) | instid1(VALU_DEP_1)
	v_min_u32_e32 v2, 32, v1
	v_subrev_nc_u32_e32 v1, 29, v2
	s_delay_alu instid0(VALU_DEP_1) | instskip(NEXT) | instid1(VALU_DEP_1)
	v_lshlrev_b64_e32 v[0:1], v1, v[0:1]
	v_dual_sub_nc_u32 v1, 30, v2 :: v_dual_bitop2_b32 v2, 3, v0 bitop3:0x40
; %bb.1199:                             ;   in Loop: Header=BB6_136 Depth=3
	s_or_b32 exec_lo, exec_lo, s76
	v_and_b32_e32 v0, 0x80000000, v8
	s_delay_alu instid0(VALU_DEP_1) | instskip(NEXT) | instid1(VALU_DEP_1)
	v_lshl_add_u32 v0, v1, 23, v0
	v_lshl_or_b32 v0, v2, 21, v0
                                        ; implicit-def: $vgpr2
	s_delay_alu instid0(VALU_DEP_1)
	v_add_nc_u32_e32 v1, 0x38000000, v0
.LBB6_1200:                             ;   in Loop: Header=BB6_136 Depth=3
	s_and_not1_saveexec_b32 s76, s13
; %bb.1201:                             ;   in Loop: Header=BB6_136 Depth=3
	v_cmp_lt_i32_e64 s13, -1, v8
	v_mov_b32_e32 v0, 0x7f800000
	v_cmp_eq_u32_e32 vcc_lo, 0, v2
	s_delay_alu instid0(VALU_DEP_2) | instskip(NEXT) | instid1(VALU_DEP_1)
	v_cndmask_b32_e64 v0, 0xff800000, v0, s13
	v_cndmask_b32_e32 v1, 0x7f800001, v0, vcc_lo
; %bb.1202:                             ;   in Loop: Header=BB6_136 Depth=3
	s_or_b32 exec_lo, exec_lo, s76
.LBB6_1203:                             ;   in Loop: Header=BB6_136 Depth=3
	s_delay_alu instid0(SALU_CYCLE_1)
	s_or_b32 exec_lo, exec_lo, s75
.LBB6_1204:                             ;   in Loop: Header=BB6_136 Depth=3
	s_delay_alu instid0(SALU_CYCLE_1) | instskip(NEXT) | instid1(VALU_DEP_1)
	s_or_b32 exec_lo, exec_lo, s74
	v_dual_mul_f32 v2, s73, v1 :: v_dual_mov_b32 v5, v113
	v_mov_b32_e32 v1, v113
                                        ; implicit-def: $vgpr85
	s_mov_b32 s13, exec_lo
	s_delay_alu instid0(VALU_DEP_2) | instskip(SKIP_2) | instid1(VALU_DEP_3)
	v_and_b32_e32 v4, 0x7f800000, v2
	v_and_b32_e32 v0, 0x7fffff, v2
	v_lshrrev_b32_e32 v3, 24, v2
	v_cmpx_ne_u64_e32 0x7f800000, v[4:5]
	s_xor_b32 s74, exec_lo, s13
	s_cbranch_execz .LBB6_1218
; %bb.1205:                             ;   in Loop: Header=BB6_136 Depth=3
	v_and_b32_e32 v4, 0x7fffffff, v2
	v_mov_b32_e32 v5, v113
                                        ; implicit-def: $vgpr85
	s_delay_alu instid0(VALU_DEP_1) | instskip(SKIP_2) | instid1(SALU_CYCLE_1)
	v_cmp_gt_u64_e32 vcc_lo, 0x47600001, v[4:5]
	v_and_b32_e32 v4, 0x80, v3
	s_and_saveexec_b32 s13, vcc_lo
	s_xor_b32 s75, exec_lo, s13
	s_cbranch_execz .LBB6_1215
; %bb.1206:                             ;   in Loop: Header=BB6_136 Depth=3
	v_mov_b32_e32 v85, 0
	s_mov_b32 s76, exec_lo
	v_cmpx_ne_u32_e32 0, v2
	s_cbranch_execz .LBB6_1214
; %bb.1207:                             ;   in Loop: Header=BB6_136 Depth=3
	v_bfe_u32 v5, v2, 23, 8
	v_or_b32_e32 v3, 0x800000, v0
	s_delay_alu instid0(VALU_DEP_2) | instskip(SKIP_2) | instid1(VALU_DEP_2)
	v_cmp_gt_u32_e64 s13, 0x72, v5
	v_sub_nc_u32_e32 v2, 0x71, v5
	v_cmp_eq_u32_e32 vcc_lo, 0, v5
	v_dual_cndmask_b32 v2, 0, v2, s13 :: v_dual_cndmask_b32 v0, v3, v0, vcc_lo
	s_delay_alu instid0(VALU_DEP_1) | instskip(NEXT) | instid1(VALU_DEP_1)
	v_cndmask_b32_e64 v7, v2, 0x70, vcc_lo
	v_dual_add_nc_u32 v2, 21, v7 :: v_dual_add_nc_u32 v14, 20, v7
	s_delay_alu instid0(VALU_DEP_1) | instskip(NEXT) | instid1(VALU_DEP_2)
	v_lshlrev_b64_e64 v[2:3], v2, -1
	v_lshlrev_b64_e64 v[14:15], v14, 1
	s_delay_alu instid0(VALU_DEP_2) | instskip(SKIP_1) | instid1(VALU_DEP_4)
	v_bfi_b32 v2, v2, 0, v0
	v_lshrrev_b64 v[0:1], v7, v[0:1]
	v_bfi_b32 v3, v3, 0, 0
	s_delay_alu instid0(VALU_DEP_1) | instskip(NEXT) | instid1(VALU_DEP_3)
	v_cmp_eq_u64_e64 s13, v[2:3], v[14:15]
	v_mov_b64_e32 v[2:3], v[0:1]
	s_and_saveexec_b32 s77, s13
; %bb.1208:                             ;   in Loop: Header=BB6_136 Depth=3
	v_bfe_u32 v2, v0, 21, 1
	v_mov_b32_e32 v3, v113
	s_delay_alu instid0(VALU_DEP_1) | instskip(NEXT) | instid1(VALU_DEP_1)
	v_add_nc_u64_e32 v[2:3], v[0:1], v[2:3]
	v_add_nc_u64_e32 v[2:3], -1, v[2:3]
; %bb.1209:                             ;   in Loop: Header=BB6_136 Depth=3
	s_or_b32 exec_lo, exec_lo, s77
	v_add_nc_u32_e32 v1, 0xffffff81, v5
	v_lshrrev_b32_e32 v3, 23, v0
	s_mov_b32 s13, exec_lo
	s_delay_alu instid0(VALU_DEP_2) | instskip(NEXT) | instid1(VALU_DEP_1)
	v_cndmask_b32_e64 v1, v1, 0xffffff82, vcc_lo
	v_add3_u32 v5, v7, v1, v3
	v_and_b32_e32 v1, 0x1fffff, v2
                                        ; implicit-def: $vgpr2
	s_delay_alu instid0(VALU_DEP_1) | instskip(SKIP_1) | instid1(VALU_DEP_2)
	v_dual_add_nc_u32 v3, 14, v5 :: v_dual_add_nc_u32 v0, v1, v0
	v_mov_b32_e32 v1, v113
	v_cmpx_ne_u32_e32 0, v3
	s_xor_b32 s13, exec_lo, s13
; %bb.1210:                             ;   in Loop: Header=BB6_136 Depth=3
	s_delay_alu instid0(VALU_DEP_2) | instskip(SKIP_1) | instid1(VALU_DEP_1)
	v_cmp_lt_u64_e32 vcc_lo, 0xffffff, v[0:1]
	v_add_nc_u32_e32 v2, 15, v5
	v_cndmask_b32_e32 v2, v3, v2, vcc_lo
	v_cndmask_b32_e64 v3, 0, 1, vcc_lo
	s_delay_alu instid0(VALU_DEP_1)
	v_lshrrev_b64 v[0:1], v3, v[0:1]
; %bb.1211:                             ;   in Loop: Header=BB6_136 Depth=3
	s_and_not1_saveexec_b32 s13, s13
; %bb.1212:                             ;   in Loop: Header=BB6_136 Depth=3
	s_delay_alu instid0(VALU_DEP_1)
	v_bfe_u32 v2, v0, 23, 1
; %bb.1213:                             ;   in Loop: Header=BB6_136 Depth=3
	s_or_b32 exec_lo, exec_lo, s13
	s_delay_alu instid0(VALU_DEP_2) | instskip(NEXT) | instid1(VALU_DEP_2)
	v_lshrrev_b64 v[0:1], 21, v[0:1]
	v_cmp_gt_i32_e32 vcc_lo, 32, v2
	v_min_i32_e32 v3, 31, v2
	v_cmp_eq_u32_e64 s13, 0, v2
	s_delay_alu instid0(VALU_DEP_2) | instskip(SKIP_1) | instid1(VALU_DEP_2)
	v_dual_cndmask_b32 v1, 0, v1, vcc_lo :: v_dual_lshlrev_b32 v3, 2, v3
	v_cndmask_b32_e32 v0, 3, v0, vcc_lo
	v_and_b32_e32 v3, 0xfc, v3
	s_delay_alu instid0(VALU_DEP_2) | instskip(NEXT) | instid1(VALU_DEP_2)
	v_cmp_eq_u64_e32 vcc_lo, 0, v[0:1]
	v_and_or_b32 v0, v0, 3, v3
	s_and_b32 s13, s13, vcc_lo
	s_delay_alu instid0(VALU_DEP_1) | instid1(SALU_CYCLE_1)
	v_cndmask_b32_e64 v0, v0, 0, s13
	s_delay_alu instid0(VALU_DEP_1)
	v_or_b32_e32 v85, v0, v4
.LBB6_1214:                             ;   in Loop: Header=BB6_136 Depth=3
	s_or_b32 exec_lo, exec_lo, s76
                                        ; implicit-def: $vgpr4
.LBB6_1215:                             ;   in Loop: Header=BB6_136 Depth=3
	s_and_not1_saveexec_b32 s13, s75
; %bb.1216:                             ;   in Loop: Header=BB6_136 Depth=3
	v_or_b32_e32 v85, 0x7b, v4
; %bb.1217:                             ;   in Loop: Header=BB6_136 Depth=3
	s_or_b32 exec_lo, exec_lo, s13
                                        ; implicit-def: $vgpr2
                                        ; implicit-def: $vgpr0_vgpr1
                                        ; implicit-def: $vgpr3
.LBB6_1218:                             ;   in Loop: Header=BB6_136 Depth=3
	s_and_not1_saveexec_b32 s13, s74
	s_cbranch_execz .LBB6_1224
; %bb.1219:                             ;   in Loop: Header=BB6_136 Depth=3
	s_mov_b32 s74, exec_lo
                                        ; implicit-def: $vgpr85
	v_cmpx_ne_u64_e32 0, v[0:1]
	s_xor_b32 s74, exec_lo, s74
; %bb.1220:                             ;   in Loop: Header=BB6_136 Depth=3
	v_or_b32_e32 v85, 0x7f, v3
                                        ; implicit-def: $vgpr2
; %bb.1221:                             ;   in Loop: Header=BB6_136 Depth=3
	s_and_not1_saveexec_b32 s74, s74
; %bb.1222:                             ;   in Loop: Header=BB6_136 Depth=3
	v_cmp_lt_i32_e32 vcc_lo, -1, v2
	v_mov_b32_e32 v0, 0x7c
	s_delay_alu instid0(VALU_DEP_1)
	v_cndmask_b32_e32 v85, 0xfc, v0, vcc_lo
; %bb.1223:                             ;   in Loop: Header=BB6_136 Depth=3
	s_or_b32 exec_lo, exec_lo, s74
.LBB6_1224:                             ;   in Loop: Header=BB6_136 Depth=3
	s_delay_alu instid0(SALU_CYCLE_1) | instskip(SKIP_4) | instid1(VALU_DEP_3)
	s_or_b32 exec_lo, exec_lo, s13
	v_and_b32_e32 v3, 0xff, v9
	v_dual_mov_b32 v0, v9 :: v_dual_mov_b32 v1, v113
	v_mov_b32_e32 v2, 0
	s_mov_b32 s74, exec_lo
	v_cmpx_ne_u16_e32 0, v3
	s_cbranch_execz .LBB6_1234
; %bb.1225:                             ;   in Loop: Header=BB6_136 Depth=3
	v_bfrev_b32_e32 v2, 1
	s_mov_b32 s75, exec_lo
	v_cmpx_ne_u16_e32 0x80, v3
	s_cbranch_execz .LBB6_1233
; %bb.1226:                             ;   in Loop: Header=BB6_136 Depth=3
	v_and_b32_e32 v2, 0x7c, v9
	v_and_b32_e32 v3, 3, v9
	s_delay_alu instid0(VALU_DEP_2) | instskip(SKIP_1) | instid1(SALU_CYCLE_1)
	v_cmp_ne_u32_e32 vcc_lo, 0x7c, v2
                                        ; implicit-def: $vgpr2
	s_and_saveexec_b32 s13, vcc_lo
	s_xor_b32 s13, exec_lo, s13
	s_cbranch_execz .LBB6_1230
; %bb.1227:                             ;   in Loop: Header=BB6_136 Depth=3
	v_bfe_u32 v2, v9, 2, 5
	s_mov_b32 s76, exec_lo
	s_delay_alu instid0(VALU_DEP_1)
	v_cmpx_eq_u32_e32 0, v2
; %bb.1228:                             ;   in Loop: Header=BB6_136 Depth=3
	v_clz_i32_u32_e32 v2, v3
	s_delay_alu instid0(VALU_DEP_1) | instskip(NEXT) | instid1(VALU_DEP_1)
	v_min_u32_e32 v2, 32, v2
	v_subrev_nc_u32_e32 v3, 29, v2
	s_delay_alu instid0(VALU_DEP_1) | instskip(NEXT) | instid1(VALU_DEP_1)
	v_lshlrev_b64_e32 v[4:5], v3, v[0:1]
	v_dual_sub_nc_u32 v2, 30, v2 :: v_dual_bitop2_b32 v3, 3, v4 bitop3:0x40
; %bb.1229:                             ;   in Loop: Header=BB6_136 Depth=3
	s_or_b32 exec_lo, exec_lo, s76
	v_lshlrev_b32_e32 v1, 24, v9
	s_delay_alu instid0(VALU_DEP_1) | instskip(NEXT) | instid1(VALU_DEP_1)
	v_and_b32_e32 v1, 0x80000000, v1
	v_lshl_add_u32 v1, v2, 23, v1
	s_delay_alu instid0(VALU_DEP_1) | instskip(NEXT) | instid1(VALU_DEP_1)
	v_lshl_or_b32 v1, v3, 21, v1
                                        ; implicit-def: $vgpr3
	v_add_nc_u32_e32 v2, 0x38000000, v1
.LBB6_1230:                             ;   in Loop: Header=BB6_136 Depth=3
	s_and_not1_saveexec_b32 s76, s13
; %bb.1231:                             ;   in Loop: Header=BB6_136 Depth=3
	v_bfe_i32 v1, v9, 0, 8
	v_cmp_eq_u32_e32 vcc_lo, 0, v3
	s_delay_alu instid0(VALU_DEP_2) | instskip(SKIP_1) | instid1(VALU_DEP_1)
	v_cmp_lt_i16_e64 s13, -1, v1
	v_mov_b32_e32 v1, 0x7f800000
	v_cndmask_b32_e64 v1, 0xff800000, v1, s13
	s_delay_alu instid0(VALU_DEP_1)
	v_cndmask_b32_e32 v2, 0x7f800001, v1, vcc_lo
; %bb.1232:                             ;   in Loop: Header=BB6_136 Depth=3
	s_or_b32 exec_lo, exec_lo, s76
.LBB6_1233:                             ;   in Loop: Header=BB6_136 Depth=3
	s_delay_alu instid0(SALU_CYCLE_1)
	s_or_b32 exec_lo, exec_lo, s75
.LBB6_1234:                             ;   in Loop: Header=BB6_136 Depth=3
	s_delay_alu instid0(SALU_CYCLE_1) | instskip(NEXT) | instid1(VALU_DEP_1)
	s_or_b32 exec_lo, exec_lo, s74
	v_dual_mul_f32 v4, s73, v2 :: v_dual_mov_b32 v15, v113
	v_mov_b32_e32 v3, v113
                                        ; implicit-def: $vgpr20
	s_mov_b32 s13, exec_lo
	s_delay_alu instid0(VALU_DEP_2) | instskip(SKIP_2) | instid1(VALU_DEP_3)
	v_and_b32_e32 v14, 0x7f800000, v4
	v_and_b32_e32 v2, 0x7fffff, v4
	v_lshrrev_b32_e32 v1, 24, v4
	v_cmpx_ne_u64_e32 0x7f800000, v[14:15]
	s_xor_b32 s74, exec_lo, s13
	s_cbranch_execz .LBB6_1248
; %bb.1235:                             ;   in Loop: Header=BB6_136 Depth=3
	v_and_b32_e32 v14, 0x7fffffff, v4
	v_mov_b32_e32 v15, v113
	v_and_b32_e32 v1, 0x80, v1
                                        ; implicit-def: $vgpr20
	s_mov_b32 s13, exec_lo
	s_delay_alu instid0(VALU_DEP_2)
	v_cmpx_gt_u64_e32 0x47600001, v[14:15]
	s_xor_b32 s75, exec_lo, s13
	s_cbranch_execz .LBB6_1245
; %bb.1236:                             ;   in Loop: Header=BB6_136 Depth=3
	v_mov_b32_e32 v20, 0
	s_mov_b32 s76, exec_lo
	v_cmpx_ne_u32_e32 0, v4
	s_cbranch_execz .LBB6_1244
; %bb.1237:                             ;   in Loop: Header=BB6_136 Depth=3
	v_bfe_u32 v7, v4, 23, 8
	v_or_b32_e32 v5, 0x800000, v2
	s_delay_alu instid0(VALU_DEP_2) | instskip(SKIP_2) | instid1(VALU_DEP_2)
	v_cmp_gt_u32_e64 s13, 0x72, v7
	v_sub_nc_u32_e32 v4, 0x71, v7
	v_cmp_eq_u32_e32 vcc_lo, 0, v7
	v_dual_cndmask_b32 v4, 0, v4, s13 :: v_dual_cndmask_b32 v2, v5, v2, vcc_lo
	s_delay_alu instid0(VALU_DEP_1) | instskip(NEXT) | instid1(VALU_DEP_1)
	v_cndmask_b32_e64 v14, v4, 0x70, vcc_lo
	v_dual_add_nc_u32 v4, 21, v14 :: v_dual_add_nc_u32 v15, 20, v14
	s_delay_alu instid0(VALU_DEP_1) | instskip(NEXT) | instid1(VALU_DEP_2)
	v_lshlrev_b64_e64 v[4:5], v4, -1
	v_lshlrev_b64_e64 v[16:17], v15, 1
	s_delay_alu instid0(VALU_DEP_2) | instskip(SKIP_1) | instid1(VALU_DEP_4)
	v_bfi_b32 v4, v4, 0, v2
	v_lshrrev_b64 v[2:3], v14, v[2:3]
	v_bfi_b32 v5, v5, 0, 0
	s_delay_alu instid0(VALU_DEP_1) | instskip(NEXT) | instid1(VALU_DEP_3)
	v_cmp_eq_u64_e64 s13, v[4:5], v[16:17]
	v_mov_b64_e32 v[4:5], v[2:3]
	s_and_saveexec_b32 s77, s13
; %bb.1238:                             ;   in Loop: Header=BB6_136 Depth=3
	v_bfe_u32 v4, v2, 21, 1
	v_mov_b32_e32 v5, v113
	s_delay_alu instid0(VALU_DEP_1) | instskip(NEXT) | instid1(VALU_DEP_1)
	v_add_nc_u64_e32 v[4:5], v[2:3], v[4:5]
	v_add_nc_u64_e32 v[4:5], -1, v[4:5]
; %bb.1239:                             ;   in Loop: Header=BB6_136 Depth=3
	s_or_b32 exec_lo, exec_lo, s77
	v_add_nc_u32_e32 v3, 0xffffff81, v7
	v_lshrrev_b32_e32 v5, 23, v2
	s_mov_b32 s13, exec_lo
	s_delay_alu instid0(VALU_DEP_2) | instskip(NEXT) | instid1(VALU_DEP_1)
	v_cndmask_b32_e64 v3, v3, 0xffffff82, vcc_lo
	v_add3_u32 v7, v14, v3, v5
	v_and_b32_e32 v3, 0x1fffff, v4
                                        ; implicit-def: $vgpr4
	s_delay_alu instid0(VALU_DEP_1) | instskip(SKIP_1) | instid1(VALU_DEP_2)
	v_dual_add_nc_u32 v5, 14, v7 :: v_dual_add_nc_u32 v2, v3, v2
	v_mov_b32_e32 v3, v113
	v_cmpx_ne_u32_e32 0, v5
	s_xor_b32 s13, exec_lo, s13
; %bb.1240:                             ;   in Loop: Header=BB6_136 Depth=3
	s_delay_alu instid0(VALU_DEP_2) | instskip(SKIP_1) | instid1(VALU_DEP_1)
	v_cmp_lt_u64_e32 vcc_lo, 0xffffff, v[2:3]
	v_add_nc_u32_e32 v4, 15, v7
	v_cndmask_b32_e32 v4, v5, v4, vcc_lo
	v_cndmask_b32_e64 v5, 0, 1, vcc_lo
	s_delay_alu instid0(VALU_DEP_1)
	v_lshrrev_b64 v[2:3], v5, v[2:3]
; %bb.1241:                             ;   in Loop: Header=BB6_136 Depth=3
	s_and_not1_saveexec_b32 s13, s13
; %bb.1242:                             ;   in Loop: Header=BB6_136 Depth=3
	s_delay_alu instid0(VALU_DEP_1)
	v_bfe_u32 v4, v2, 23, 1
; %bb.1243:                             ;   in Loop: Header=BB6_136 Depth=3
	s_or_b32 exec_lo, exec_lo, s13
	s_delay_alu instid0(VALU_DEP_2) | instskip(NEXT) | instid1(VALU_DEP_2)
	v_lshrrev_b64 v[2:3], 21, v[2:3]
	v_cmp_gt_i32_e32 vcc_lo, 32, v4
	v_min_i32_e32 v5, 31, v4
	v_cmp_eq_u32_e64 s13, 0, v4
	s_delay_alu instid0(VALU_DEP_2) | instskip(SKIP_1) | instid1(VALU_DEP_2)
	v_dual_cndmask_b32 v3, 0, v3, vcc_lo :: v_dual_lshlrev_b32 v5, 2, v5
	v_cndmask_b32_e32 v2, 3, v2, vcc_lo
	v_and_b32_e32 v5, 0xfc, v5
	s_delay_alu instid0(VALU_DEP_2) | instskip(NEXT) | instid1(VALU_DEP_2)
	v_cmp_eq_u64_e32 vcc_lo, 0, v[2:3]
	v_and_or_b32 v2, v2, 3, v5
	s_and_b32 s13, s13, vcc_lo
	s_delay_alu instid0(VALU_DEP_1) | instid1(SALU_CYCLE_1)
	v_cndmask_b32_e64 v2, v2, 0, s13
	s_delay_alu instid0(VALU_DEP_1)
	v_or_b32_e32 v20, v2, v1
.LBB6_1244:                             ;   in Loop: Header=BB6_136 Depth=3
	s_or_b32 exec_lo, exec_lo, s76
                                        ; implicit-def: $vgpr1
.LBB6_1245:                             ;   in Loop: Header=BB6_136 Depth=3
	s_and_not1_saveexec_b32 s13, s75
; %bb.1246:                             ;   in Loop: Header=BB6_136 Depth=3
	v_or_b32_e32 v20, 0x7b, v1
; %bb.1247:                             ;   in Loop: Header=BB6_136 Depth=3
	s_or_b32 exec_lo, exec_lo, s13
                                        ; implicit-def: $vgpr4
                                        ; implicit-def: $vgpr2_vgpr3
                                        ; implicit-def: $vgpr1
.LBB6_1248:                             ;   in Loop: Header=BB6_136 Depth=3
	s_and_not1_saveexec_b32 s13, s74
	s_cbranch_execz .LBB6_1254
; %bb.1249:                             ;   in Loop: Header=BB6_136 Depth=3
	s_mov_b32 s74, exec_lo
                                        ; implicit-def: $vgpr20
	v_cmpx_ne_u64_e32 0, v[2:3]
	s_xor_b32 s74, exec_lo, s74
; %bb.1250:                             ;   in Loop: Header=BB6_136 Depth=3
	v_or_b32_e32 v20, 0x7f, v1
                                        ; implicit-def: $vgpr4
; %bb.1251:                             ;   in Loop: Header=BB6_136 Depth=3
	s_and_not1_saveexec_b32 s74, s74
; %bb.1252:                             ;   in Loop: Header=BB6_136 Depth=3
	v_cmp_lt_i32_e32 vcc_lo, -1, v4
	v_mov_b32_e32 v1, 0x7c
	s_delay_alu instid0(VALU_DEP_1)
	v_cndmask_b32_e32 v20, 0xfc, v1, vcc_lo
; %bb.1253:                             ;   in Loop: Header=BB6_136 Depth=3
	s_or_b32 exec_lo, exec_lo, s74
.LBB6_1254:                             ;   in Loop: Header=BB6_136 Depth=3
	s_delay_alu instid0(SALU_CYCLE_1) | instskip(SKIP_3) | instid1(VALU_DEP_2)
	s_or_b32 exec_lo, exec_lo, s13
	v_lshrrev_b16 v2, 8, v0
	v_mov_b32_e32 v3, 0
	s_mov_b32 s74, exec_lo
	v_cmpx_ne_u16_e32 0, v2
	s_cbranch_execz .LBB6_1264
; %bb.1255:                             ;   in Loop: Header=BB6_136 Depth=3
	v_bfrev_b32_e32 v3, 1
	s_mov_b32 s75, exec_lo
	v_cmpx_ne_u16_e32 0x80, v2
	s_cbranch_execz .LBB6_1263
; %bb.1256:                             ;   in Loop: Header=BB6_136 Depth=3
	v_and_b32_e32 v1, 0xffff, v2
	s_delay_alu instid0(VALU_DEP_1) | instskip(SKIP_1) | instid1(VALU_DEP_2)
	v_and_b32_e32 v3, 0x7c, v1
	v_and_b32_e32 v4, 3, v1
	v_cmp_ne_u32_e32 vcc_lo, 0x7c, v3
                                        ; implicit-def: $vgpr3
	s_and_saveexec_b32 s13, vcc_lo
	s_delay_alu instid0(SALU_CYCLE_1)
	s_xor_b32 s13, exec_lo, s13
	s_cbranch_execz .LBB6_1260
; %bb.1257:                             ;   in Loop: Header=BB6_136 Depth=3
	v_bfe_u32 v1, v1, 2, 5
	s_mov_b32 s76, exec_lo
	s_delay_alu instid0(VALU_DEP_1)
	v_cmpx_eq_u32_e32 0, v1
	s_cbranch_execz .LBB6_1259
; %bb.1258:                             ;   in Loop: Header=BB6_136 Depth=3
	v_clz_i32_u32_e32 v1, v4
	s_delay_alu instid0(VALU_DEP_1) | instskip(SKIP_1) | instid1(VALU_DEP_2)
	v_min_u32_e32 v1, 32, v1
	v_mov_b32_e32 v3, v113
	v_subrev_nc_u32_e32 v4, 29, v1
	v_sub_nc_u32_e32 v1, 30, v1
	s_delay_alu instid0(VALU_DEP_2) | instskip(NEXT) | instid1(VALU_DEP_1)
	v_lshlrev_b64_e32 v[2:3], v4, v[2:3]
	v_and_b32_e32 v4, 3, v2
.LBB6_1259:                             ;   in Loop: Header=BB6_136 Depth=3
	s_or_b32 exec_lo, exec_lo, s76
	v_lshlrev_b32_e32 v0, 16, v0
	s_delay_alu instid0(VALU_DEP_1) | instskip(NEXT) | instid1(VALU_DEP_1)
	v_and_b32_e32 v0, 0x80000000, v0
	v_lshl_add_u32 v0, v1, 23, v0
	s_delay_alu instid0(VALU_DEP_1) | instskip(NEXT) | instid1(VALU_DEP_1)
	v_lshl_or_b32 v0, v4, 21, v0
                                        ; implicit-def: $vgpr4
	v_add_nc_u32_e32 v3, 0x38000000, v0
                                        ; implicit-def: $vgpr0_vgpr1
.LBB6_1260:                             ;   in Loop: Header=BB6_136 Depth=3
	s_and_not1_saveexec_b32 s76, s13
; %bb.1261:                             ;   in Loop: Header=BB6_136 Depth=3
	v_cmp_lt_i16_e64 s13, -1, v0
	v_mov_b32_e32 v0, 0x7f800000
	v_cmp_eq_u32_e32 vcc_lo, 0, v4
	s_delay_alu instid0(VALU_DEP_2) | instskip(NEXT) | instid1(VALU_DEP_1)
	v_cndmask_b32_e64 v0, 0xff800000, v0, s13
	v_cndmask_b32_e32 v3, 0x7f800001, v0, vcc_lo
; %bb.1262:                             ;   in Loop: Header=BB6_136 Depth=3
	s_or_b32 exec_lo, exec_lo, s76
.LBB6_1263:                             ;   in Loop: Header=BB6_136 Depth=3
	s_delay_alu instid0(SALU_CYCLE_1)
	s_or_b32 exec_lo, exec_lo, s75
.LBB6_1264:                             ;   in Loop: Header=BB6_136 Depth=3
	s_delay_alu instid0(SALU_CYCLE_1) | instskip(NEXT) | instid1(VALU_DEP_1)
	s_or_b32 exec_lo, exec_lo, s74
	v_dual_mul_f32 v2, s73, v3 :: v_dual_mov_b32 v5, v113
	v_mov_b32_e32 v1, v113
                                        ; implicit-def: $vgpr21
	s_mov_b32 s13, exec_lo
	s_delay_alu instid0(VALU_DEP_2) | instskip(SKIP_2) | instid1(VALU_DEP_3)
	v_and_b32_e32 v4, 0x7f800000, v2
	v_and_b32_e32 v0, 0x7fffff, v2
	v_lshrrev_b32_e32 v3, 24, v2
	v_cmpx_ne_u64_e32 0x7f800000, v[4:5]
	s_xor_b32 s74, exec_lo, s13
	s_cbranch_execz .LBB6_1278
; %bb.1265:                             ;   in Loop: Header=BB6_136 Depth=3
	v_and_b32_e32 v4, 0x7fffffff, v2
	v_mov_b32_e32 v5, v113
                                        ; implicit-def: $vgpr21
	s_delay_alu instid0(VALU_DEP_1) | instskip(SKIP_2) | instid1(SALU_CYCLE_1)
	v_cmp_gt_u64_e32 vcc_lo, 0x47600001, v[4:5]
	v_and_b32_e32 v4, 0x80, v3
	s_and_saveexec_b32 s13, vcc_lo
	s_xor_b32 s75, exec_lo, s13
	s_cbranch_execz .LBB6_1275
; %bb.1266:                             ;   in Loop: Header=BB6_136 Depth=3
	v_mov_b32_e32 v21, 0
	s_mov_b32 s76, exec_lo
	v_cmpx_ne_u32_e32 0, v2
	s_cbranch_execz .LBB6_1274
; %bb.1267:                             ;   in Loop: Header=BB6_136 Depth=3
	v_bfe_u32 v5, v2, 23, 8
	v_or_b32_e32 v3, 0x800000, v0
	s_delay_alu instid0(VALU_DEP_2) | instskip(SKIP_2) | instid1(VALU_DEP_2)
	v_cmp_gt_u32_e64 s13, 0x72, v5
	v_sub_nc_u32_e32 v2, 0x71, v5
	v_cmp_eq_u32_e32 vcc_lo, 0, v5
	v_dual_cndmask_b32 v2, 0, v2, s13 :: v_dual_cndmask_b32 v0, v3, v0, vcc_lo
	s_delay_alu instid0(VALU_DEP_1) | instskip(NEXT) | instid1(VALU_DEP_1)
	v_cndmask_b32_e64 v7, v2, 0x70, vcc_lo
	v_dual_add_nc_u32 v2, 21, v7 :: v_dual_add_nc_u32 v14, 20, v7
	s_delay_alu instid0(VALU_DEP_1) | instskip(NEXT) | instid1(VALU_DEP_2)
	v_lshlrev_b64_e64 v[2:3], v2, -1
	v_lshlrev_b64_e64 v[14:15], v14, 1
	s_delay_alu instid0(VALU_DEP_2) | instskip(SKIP_1) | instid1(VALU_DEP_4)
	v_bfi_b32 v2, v2, 0, v0
	v_lshrrev_b64 v[0:1], v7, v[0:1]
	v_bfi_b32 v3, v3, 0, 0
	s_delay_alu instid0(VALU_DEP_1) | instskip(NEXT) | instid1(VALU_DEP_3)
	v_cmp_eq_u64_e64 s13, v[2:3], v[14:15]
	v_mov_b64_e32 v[2:3], v[0:1]
	s_and_saveexec_b32 s77, s13
; %bb.1268:                             ;   in Loop: Header=BB6_136 Depth=3
	v_bfe_u32 v2, v0, 21, 1
	v_mov_b32_e32 v3, v113
	s_delay_alu instid0(VALU_DEP_1) | instskip(NEXT) | instid1(VALU_DEP_1)
	v_add_nc_u64_e32 v[2:3], v[0:1], v[2:3]
	v_add_nc_u64_e32 v[2:3], -1, v[2:3]
; %bb.1269:                             ;   in Loop: Header=BB6_136 Depth=3
	s_or_b32 exec_lo, exec_lo, s77
	v_add_nc_u32_e32 v1, 0xffffff81, v5
	v_lshrrev_b32_e32 v3, 23, v0
	s_mov_b32 s13, exec_lo
	s_delay_alu instid0(VALU_DEP_2) | instskip(NEXT) | instid1(VALU_DEP_1)
	v_cndmask_b32_e64 v1, v1, 0xffffff82, vcc_lo
	v_add3_u32 v5, v7, v1, v3
	v_and_b32_e32 v1, 0x1fffff, v2
                                        ; implicit-def: $vgpr2
	s_delay_alu instid0(VALU_DEP_1) | instskip(SKIP_1) | instid1(VALU_DEP_2)
	v_dual_add_nc_u32 v3, 14, v5 :: v_dual_add_nc_u32 v0, v1, v0
	v_mov_b32_e32 v1, v113
	v_cmpx_ne_u32_e32 0, v3
	s_xor_b32 s13, exec_lo, s13
; %bb.1270:                             ;   in Loop: Header=BB6_136 Depth=3
	s_delay_alu instid0(VALU_DEP_2) | instskip(SKIP_1) | instid1(VALU_DEP_1)
	v_cmp_lt_u64_e32 vcc_lo, 0xffffff, v[0:1]
	v_add_nc_u32_e32 v2, 15, v5
	v_cndmask_b32_e32 v2, v3, v2, vcc_lo
	v_cndmask_b32_e64 v3, 0, 1, vcc_lo
	s_delay_alu instid0(VALU_DEP_1)
	v_lshrrev_b64 v[0:1], v3, v[0:1]
; %bb.1271:                             ;   in Loop: Header=BB6_136 Depth=3
	s_and_not1_saveexec_b32 s13, s13
; %bb.1272:                             ;   in Loop: Header=BB6_136 Depth=3
	s_delay_alu instid0(VALU_DEP_1)
	v_bfe_u32 v2, v0, 23, 1
; %bb.1273:                             ;   in Loop: Header=BB6_136 Depth=3
	s_or_b32 exec_lo, exec_lo, s13
	s_delay_alu instid0(VALU_DEP_2) | instskip(NEXT) | instid1(VALU_DEP_2)
	v_lshrrev_b64 v[0:1], 21, v[0:1]
	v_cmp_gt_i32_e32 vcc_lo, 32, v2
	v_min_i32_e32 v3, 31, v2
	v_cmp_eq_u32_e64 s13, 0, v2
	s_delay_alu instid0(VALU_DEP_2) | instskip(SKIP_1) | instid1(VALU_DEP_2)
	v_dual_cndmask_b32 v1, 0, v1, vcc_lo :: v_dual_lshlrev_b32 v3, 2, v3
	v_cndmask_b32_e32 v0, 3, v0, vcc_lo
	v_and_b32_e32 v3, 0xfc, v3
	s_delay_alu instid0(VALU_DEP_2) | instskip(NEXT) | instid1(VALU_DEP_2)
	v_cmp_eq_u64_e32 vcc_lo, 0, v[0:1]
	v_and_or_b32 v0, v0, 3, v3
	s_and_b32 s13, s13, vcc_lo
	s_delay_alu instid0(VALU_DEP_1) | instid1(SALU_CYCLE_1)
	v_cndmask_b32_e64 v0, v0, 0, s13
	s_delay_alu instid0(VALU_DEP_1)
	v_or_b32_e32 v21, v0, v4
.LBB6_1274:                             ;   in Loop: Header=BB6_136 Depth=3
	s_or_b32 exec_lo, exec_lo, s76
                                        ; implicit-def: $vgpr4
.LBB6_1275:                             ;   in Loop: Header=BB6_136 Depth=3
	s_and_not1_saveexec_b32 s13, s75
; %bb.1276:                             ;   in Loop: Header=BB6_136 Depth=3
	v_or_b32_e32 v21, 0x7b, v4
; %bb.1277:                             ;   in Loop: Header=BB6_136 Depth=3
	s_or_b32 exec_lo, exec_lo, s13
                                        ; implicit-def: $vgpr2
                                        ; implicit-def: $vgpr0_vgpr1
                                        ; implicit-def: $vgpr3
.LBB6_1278:                             ;   in Loop: Header=BB6_136 Depth=3
	s_and_not1_saveexec_b32 s13, s74
	s_cbranch_execz .LBB6_1284
; %bb.1279:                             ;   in Loop: Header=BB6_136 Depth=3
	s_mov_b32 s74, exec_lo
                                        ; implicit-def: $vgpr21
	v_cmpx_ne_u64_e32 0, v[0:1]
	s_xor_b32 s74, exec_lo, s74
; %bb.1280:                             ;   in Loop: Header=BB6_136 Depth=3
	v_or_b32_e32 v21, 0x7f, v3
                                        ; implicit-def: $vgpr2
; %bb.1281:                             ;   in Loop: Header=BB6_136 Depth=3
	s_and_not1_saveexec_b32 s74, s74
; %bb.1282:                             ;   in Loop: Header=BB6_136 Depth=3
	v_cmp_lt_i32_e32 vcc_lo, -1, v2
	v_mov_b32_e32 v0, 0x7c
	s_delay_alu instid0(VALU_DEP_1)
	v_cndmask_b32_e32 v21, 0xfc, v0, vcc_lo
; %bb.1283:                             ;   in Loop: Header=BB6_136 Depth=3
	s_or_b32 exec_lo, exec_lo, s74
.LBB6_1284:                             ;   in Loop: Header=BB6_136 Depth=3
	s_delay_alu instid0(SALU_CYCLE_1) | instskip(SKIP_2) | instid1(VALU_DEP_1)
	s_or_b32 exec_lo, exec_lo, s13
	v_dual_mov_b32 v1, 0 :: v_dual_lshrrev_b32 v0, 16, v9
	s_mov_b32 s74, exec_lo
	v_and_b32_e32 v2, 0xff, v0
	s_delay_alu instid0(VALU_DEP_1)
	v_cmpx_ne_u16_e32 0, v2
	s_cbranch_execz .LBB6_1294
; %bb.1285:                             ;   in Loop: Header=BB6_136 Depth=3
	v_bfrev_b32_e32 v1, 1
	s_mov_b32 s75, exec_lo
	v_cmpx_ne_u16_e32 0x80, v2
	s_cbranch_execz .LBB6_1293
; %bb.1286:                             ;   in Loop: Header=BB6_136 Depth=3
	v_and_b32_e32 v1, 0x7c0000, v9
	v_bfe_u32 v2, v9, 16, 2
	s_delay_alu instid0(VALU_DEP_2) | instskip(SKIP_1) | instid1(SALU_CYCLE_1)
	v_cmp_ne_u32_e32 vcc_lo, 0x7c0000, v1
                                        ; implicit-def: $vgpr1
	s_and_saveexec_b32 s13, vcc_lo
	s_xor_b32 s13, exec_lo, s13
	s_cbranch_execz .LBB6_1290
; %bb.1287:                             ;   in Loop: Header=BB6_136 Depth=3
	v_bfe_u32 v1, v9, 18, 5
	s_mov_b32 s76, exec_lo
	s_delay_alu instid0(VALU_DEP_1)
	v_cmpx_eq_u32_e32 0, v1
; %bb.1288:                             ;   in Loop: Header=BB6_136 Depth=3
	v_clz_i32_u32_e32 v1, v2
	s_delay_alu instid0(VALU_DEP_1) | instskip(NEXT) | instid1(VALU_DEP_1)
	v_min_u32_e32 v1, 32, v1
	v_subrev_nc_u32_e32 v2, 29, v1
	s_delay_alu instid0(VALU_DEP_1) | instskip(NEXT) | instid1(VALU_DEP_1)
	v_lshlrev_b64_e32 v[2:3], v2, v[0:1]
	v_dual_sub_nc_u32 v1, 30, v1 :: v_dual_bitop2_b32 v2, 3, v2 bitop3:0x40
; %bb.1289:                             ;   in Loop: Header=BB6_136 Depth=3
	s_or_b32 exec_lo, exec_lo, s76
	v_lshlrev_b32_e32 v0, 24, v0
	s_delay_alu instid0(VALU_DEP_1) | instskip(NEXT) | instid1(VALU_DEP_1)
	v_and_b32_e32 v0, 0x80000000, v0
	v_lshl_add_u32 v0, v1, 23, v0
	s_delay_alu instid0(VALU_DEP_1) | instskip(NEXT) | instid1(VALU_DEP_1)
	v_lshl_or_b32 v0, v2, 21, v0
                                        ; implicit-def: $vgpr2
	v_add_nc_u32_e32 v1, 0x38000000, v0
                                        ; implicit-def: $vgpr0
.LBB6_1290:                             ;   in Loop: Header=BB6_136 Depth=3
	s_and_not1_saveexec_b32 s76, s13
; %bb.1291:                             ;   in Loop: Header=BB6_136 Depth=3
	v_bfe_i32 v0, v0, 0, 8
	v_cmp_eq_u32_e32 vcc_lo, 0, v2
	s_delay_alu instid0(VALU_DEP_2) | instskip(SKIP_1) | instid1(VALU_DEP_1)
	v_cmp_lt_i16_e64 s13, -1, v0
	v_mov_b32_e32 v0, 0x7f800000
	v_cndmask_b32_e64 v0, 0xff800000, v0, s13
	s_delay_alu instid0(VALU_DEP_1)
	v_cndmask_b32_e32 v1, 0x7f800001, v0, vcc_lo
; %bb.1292:                             ;   in Loop: Header=BB6_136 Depth=3
	s_or_b32 exec_lo, exec_lo, s76
.LBB6_1293:                             ;   in Loop: Header=BB6_136 Depth=3
	s_delay_alu instid0(SALU_CYCLE_1)
	s_or_b32 exec_lo, exec_lo, s75
.LBB6_1294:                             ;   in Loop: Header=BB6_136 Depth=3
	s_delay_alu instid0(SALU_CYCLE_1) | instskip(NEXT) | instid1(VALU_DEP_1)
	s_or_b32 exec_lo, exec_lo, s74
	v_dual_mul_f32 v2, s73, v1 :: v_dual_mov_b32 v5, v113
	v_mov_b32_e32 v1, v113
                                        ; implicit-def: $vgpr22
	s_mov_b32 s13, exec_lo
	s_delay_alu instid0(VALU_DEP_2) | instskip(SKIP_2) | instid1(VALU_DEP_3)
	v_and_b32_e32 v4, 0x7f800000, v2
	v_and_b32_e32 v0, 0x7fffff, v2
	v_lshrrev_b32_e32 v3, 24, v2
	v_cmpx_ne_u64_e32 0x7f800000, v[4:5]
	s_xor_b32 s74, exec_lo, s13
	s_cbranch_execz .LBB6_1308
; %bb.1295:                             ;   in Loop: Header=BB6_136 Depth=3
	v_and_b32_e32 v4, 0x7fffffff, v2
	v_mov_b32_e32 v5, v113
                                        ; implicit-def: $vgpr22
	s_delay_alu instid0(VALU_DEP_1) | instskip(SKIP_2) | instid1(SALU_CYCLE_1)
	v_cmp_gt_u64_e32 vcc_lo, 0x47600001, v[4:5]
	v_and_b32_e32 v4, 0x80, v3
	s_and_saveexec_b32 s13, vcc_lo
	s_xor_b32 s75, exec_lo, s13
	s_cbranch_execz .LBB6_1305
; %bb.1296:                             ;   in Loop: Header=BB6_136 Depth=3
	v_mov_b32_e32 v22, 0
	s_mov_b32 s76, exec_lo
	v_cmpx_ne_u32_e32 0, v2
	s_cbranch_execz .LBB6_1304
; %bb.1297:                             ;   in Loop: Header=BB6_136 Depth=3
	v_bfe_u32 v5, v2, 23, 8
	v_or_b32_e32 v3, 0x800000, v0
	s_delay_alu instid0(VALU_DEP_2) | instskip(SKIP_2) | instid1(VALU_DEP_2)
	v_cmp_gt_u32_e64 s13, 0x72, v5
	v_sub_nc_u32_e32 v2, 0x71, v5
	v_cmp_eq_u32_e32 vcc_lo, 0, v5
	v_dual_cndmask_b32 v2, 0, v2, s13 :: v_dual_cndmask_b32 v0, v3, v0, vcc_lo
	s_delay_alu instid0(VALU_DEP_1) | instskip(NEXT) | instid1(VALU_DEP_1)
	v_cndmask_b32_e64 v7, v2, 0x70, vcc_lo
	v_dual_add_nc_u32 v2, 21, v7 :: v_dual_add_nc_u32 v14, 20, v7
	s_delay_alu instid0(VALU_DEP_1) | instskip(NEXT) | instid1(VALU_DEP_2)
	v_lshlrev_b64_e64 v[2:3], v2, -1
	v_lshlrev_b64_e64 v[14:15], v14, 1
	s_delay_alu instid0(VALU_DEP_2) | instskip(SKIP_1) | instid1(VALU_DEP_4)
	v_bfi_b32 v2, v2, 0, v0
	v_lshrrev_b64 v[0:1], v7, v[0:1]
	v_bfi_b32 v3, v3, 0, 0
	s_delay_alu instid0(VALU_DEP_1) | instskip(NEXT) | instid1(VALU_DEP_3)
	v_cmp_eq_u64_e64 s13, v[2:3], v[14:15]
	v_mov_b64_e32 v[2:3], v[0:1]
	s_and_saveexec_b32 s77, s13
; %bb.1298:                             ;   in Loop: Header=BB6_136 Depth=3
	v_bfe_u32 v2, v0, 21, 1
	v_mov_b32_e32 v3, v113
	s_delay_alu instid0(VALU_DEP_1) | instskip(NEXT) | instid1(VALU_DEP_1)
	v_add_nc_u64_e32 v[2:3], v[0:1], v[2:3]
	v_add_nc_u64_e32 v[2:3], -1, v[2:3]
; %bb.1299:                             ;   in Loop: Header=BB6_136 Depth=3
	s_or_b32 exec_lo, exec_lo, s77
	v_add_nc_u32_e32 v1, 0xffffff81, v5
	v_lshrrev_b32_e32 v3, 23, v0
	s_mov_b32 s13, exec_lo
	s_delay_alu instid0(VALU_DEP_2) | instskip(NEXT) | instid1(VALU_DEP_1)
	v_cndmask_b32_e64 v1, v1, 0xffffff82, vcc_lo
	v_add3_u32 v5, v7, v1, v3
	v_and_b32_e32 v1, 0x1fffff, v2
                                        ; implicit-def: $vgpr2
	s_delay_alu instid0(VALU_DEP_1) | instskip(SKIP_1) | instid1(VALU_DEP_2)
	v_dual_add_nc_u32 v3, 14, v5 :: v_dual_add_nc_u32 v0, v1, v0
	v_mov_b32_e32 v1, v113
	v_cmpx_ne_u32_e32 0, v3
	s_xor_b32 s13, exec_lo, s13
; %bb.1300:                             ;   in Loop: Header=BB6_136 Depth=3
	s_delay_alu instid0(VALU_DEP_2) | instskip(SKIP_1) | instid1(VALU_DEP_1)
	v_cmp_lt_u64_e32 vcc_lo, 0xffffff, v[0:1]
	v_add_nc_u32_e32 v2, 15, v5
	v_cndmask_b32_e32 v2, v3, v2, vcc_lo
	v_cndmask_b32_e64 v3, 0, 1, vcc_lo
	s_delay_alu instid0(VALU_DEP_1)
	v_lshrrev_b64 v[0:1], v3, v[0:1]
; %bb.1301:                             ;   in Loop: Header=BB6_136 Depth=3
	s_and_not1_saveexec_b32 s13, s13
; %bb.1302:                             ;   in Loop: Header=BB6_136 Depth=3
	s_delay_alu instid0(VALU_DEP_1)
	v_bfe_u32 v2, v0, 23, 1
; %bb.1303:                             ;   in Loop: Header=BB6_136 Depth=3
	s_or_b32 exec_lo, exec_lo, s13
	s_delay_alu instid0(VALU_DEP_2) | instskip(NEXT) | instid1(VALU_DEP_2)
	v_lshrrev_b64 v[0:1], 21, v[0:1]
	v_cmp_gt_i32_e32 vcc_lo, 32, v2
	v_min_i32_e32 v3, 31, v2
	v_cmp_eq_u32_e64 s13, 0, v2
	s_delay_alu instid0(VALU_DEP_2) | instskip(SKIP_1) | instid1(VALU_DEP_2)
	v_dual_cndmask_b32 v1, 0, v1, vcc_lo :: v_dual_lshlrev_b32 v3, 2, v3
	v_cndmask_b32_e32 v0, 3, v0, vcc_lo
	v_and_b32_e32 v3, 0xfc, v3
	s_delay_alu instid0(VALU_DEP_2) | instskip(NEXT) | instid1(VALU_DEP_2)
	v_cmp_eq_u64_e32 vcc_lo, 0, v[0:1]
	v_and_or_b32 v0, v0, 3, v3
	s_and_b32 s13, s13, vcc_lo
	s_delay_alu instid0(VALU_DEP_1) | instid1(SALU_CYCLE_1)
	v_cndmask_b32_e64 v0, v0, 0, s13
	s_delay_alu instid0(VALU_DEP_1)
	v_or_b32_e32 v22, v0, v4
.LBB6_1304:                             ;   in Loop: Header=BB6_136 Depth=3
	s_or_b32 exec_lo, exec_lo, s76
                                        ; implicit-def: $vgpr4
.LBB6_1305:                             ;   in Loop: Header=BB6_136 Depth=3
	s_and_not1_saveexec_b32 s13, s75
; %bb.1306:                             ;   in Loop: Header=BB6_136 Depth=3
	v_or_b32_e32 v22, 0x7b, v4
; %bb.1307:                             ;   in Loop: Header=BB6_136 Depth=3
	s_or_b32 exec_lo, exec_lo, s13
                                        ; implicit-def: $vgpr2
                                        ; implicit-def: $vgpr0_vgpr1
                                        ; implicit-def: $vgpr3
.LBB6_1308:                             ;   in Loop: Header=BB6_136 Depth=3
	s_and_not1_saveexec_b32 s13, s74
	s_cbranch_execz .LBB6_1314
; %bb.1309:                             ;   in Loop: Header=BB6_136 Depth=3
	s_mov_b32 s74, exec_lo
                                        ; implicit-def: $vgpr22
	v_cmpx_ne_u64_e32 0, v[0:1]
	s_xor_b32 s74, exec_lo, s74
; %bb.1310:                             ;   in Loop: Header=BB6_136 Depth=3
	v_or_b32_e32 v22, 0x7f, v3
                                        ; implicit-def: $vgpr2
; %bb.1311:                             ;   in Loop: Header=BB6_136 Depth=3
	s_and_not1_saveexec_b32 s74, s74
; %bb.1312:                             ;   in Loop: Header=BB6_136 Depth=3
	v_cmp_lt_i32_e32 vcc_lo, -1, v2
	v_mov_b32_e32 v0, 0x7c
	s_delay_alu instid0(VALU_DEP_1)
	v_cndmask_b32_e32 v22, 0xfc, v0, vcc_lo
; %bb.1313:                             ;   in Loop: Header=BB6_136 Depth=3
	s_or_b32 exec_lo, exec_lo, s74
.LBB6_1314:                             ;   in Loop: Header=BB6_136 Depth=3
	s_delay_alu instid0(SALU_CYCLE_1)
	s_or_b32 exec_lo, exec_lo, s13
	v_mov_b32_e32 v1, 0
	s_mov_b32 s74, exec_lo
	v_cmpx_lt_u64_e64 s[22:23], v[8:9]
	s_cbranch_execz .LBB6_1324
; %bb.1315:                             ;   in Loop: Header=BB6_136 Depth=3
	v_lshrrev_b32_e32 v0, 24, v9
	v_bfrev_b32_e32 v1, 1
	s_mov_b32 s75, exec_lo
	s_delay_alu instid0(VALU_DEP_2)
	v_cmpx_ne_u32_e32 0x80, v0
	s_cbranch_execz .LBB6_1323
; %bb.1316:                             ;   in Loop: Header=BB6_136 Depth=3
	v_and_b32_e32 v1, 0x7c000000, v9
	v_bfe_u32 v2, v9, 24, 2
	s_delay_alu instid0(VALU_DEP_2) | instskip(SKIP_1) | instid1(SALU_CYCLE_1)
	v_cmp_ne_u32_e32 vcc_lo, 0x7c000000, v1
                                        ; implicit-def: $vgpr1
	s_and_saveexec_b32 s13, vcc_lo
	s_xor_b32 s13, exec_lo, s13
	s_cbranch_execz .LBB6_1320
; %bb.1317:                             ;   in Loop: Header=BB6_136 Depth=3
	v_bfe_u32 v1, v9, 26, 5
	s_mov_b32 s76, exec_lo
	s_delay_alu instid0(VALU_DEP_1)
	v_cmpx_eq_u32_e32 0, v1
; %bb.1318:                             ;   in Loop: Header=BB6_136 Depth=3
	v_clz_i32_u32_e32 v1, v2
	s_delay_alu instid0(VALU_DEP_1) | instskip(NEXT) | instid1(VALU_DEP_1)
	v_min_u32_e32 v2, 32, v1
	v_subrev_nc_u32_e32 v1, 29, v2
	s_delay_alu instid0(VALU_DEP_1) | instskip(NEXT) | instid1(VALU_DEP_1)
	v_lshlrev_b64_e32 v[0:1], v1, v[0:1]
	v_dual_sub_nc_u32 v1, 30, v2 :: v_dual_bitop2_b32 v2, 3, v0 bitop3:0x40
; %bb.1319:                             ;   in Loop: Header=BB6_136 Depth=3
	s_or_b32 exec_lo, exec_lo, s76
	v_and_b32_e32 v0, 0x80000000, v9
	s_delay_alu instid0(VALU_DEP_1) | instskip(NEXT) | instid1(VALU_DEP_1)
	v_lshl_add_u32 v0, v1, 23, v0
	v_lshl_or_b32 v0, v2, 21, v0
                                        ; implicit-def: $vgpr2
	s_delay_alu instid0(VALU_DEP_1)
	v_add_nc_u32_e32 v1, 0x38000000, v0
.LBB6_1320:                             ;   in Loop: Header=BB6_136 Depth=3
	s_and_not1_saveexec_b32 s76, s13
; %bb.1321:                             ;   in Loop: Header=BB6_136 Depth=3
	v_cmp_lt_i64_e64 s13, -1, v[8:9]
	v_mov_b32_e32 v0, 0x7f800000
	v_cmp_eq_u32_e32 vcc_lo, 0, v2
	s_delay_alu instid0(VALU_DEP_2) | instskip(NEXT) | instid1(VALU_DEP_1)
	v_cndmask_b32_e64 v0, 0xff800000, v0, s13
	v_cndmask_b32_e32 v1, 0x7f800001, v0, vcc_lo
; %bb.1322:                             ;   in Loop: Header=BB6_136 Depth=3
	s_or_b32 exec_lo, exec_lo, s76
.LBB6_1323:                             ;   in Loop: Header=BB6_136 Depth=3
	s_delay_alu instid0(SALU_CYCLE_1)
	s_or_b32 exec_lo, exec_lo, s75
.LBB6_1324:                             ;   in Loop: Header=BB6_136 Depth=3
	s_delay_alu instid0(SALU_CYCLE_1) | instskip(NEXT) | instid1(VALU_DEP_1)
	s_or_b32 exec_lo, exec_lo, s74
	v_dual_mul_f32 v2, s73, v1 :: v_dual_mov_b32 v5, v113
	v_mov_b32_e32 v1, v113
                                        ; implicit-def: $vgpr23
	s_mov_b32 s13, exec_lo
	s_delay_alu instid0(VALU_DEP_2) | instskip(SKIP_2) | instid1(VALU_DEP_3)
	v_and_b32_e32 v4, 0x7f800000, v2
	v_and_b32_e32 v0, 0x7fffff, v2
	v_lshrrev_b32_e32 v3, 24, v2
	v_cmpx_ne_u64_e32 0x7f800000, v[4:5]
	s_xor_b32 s74, exec_lo, s13
	s_cbranch_execz .LBB6_1338
; %bb.1325:                             ;   in Loop: Header=BB6_136 Depth=3
	v_and_b32_e32 v4, 0x7fffffff, v2
	v_mov_b32_e32 v5, v113
                                        ; implicit-def: $vgpr23
	s_delay_alu instid0(VALU_DEP_1) | instskip(SKIP_2) | instid1(SALU_CYCLE_1)
	v_cmp_gt_u64_e32 vcc_lo, 0x47600001, v[4:5]
	v_and_b32_e32 v4, 0x80, v3
	s_and_saveexec_b32 s13, vcc_lo
	s_xor_b32 s75, exec_lo, s13
	s_cbranch_execz .LBB6_1335
; %bb.1326:                             ;   in Loop: Header=BB6_136 Depth=3
	v_mov_b32_e32 v23, 0
	s_mov_b32 s76, exec_lo
	v_cmpx_ne_u32_e32 0, v2
	s_cbranch_execz .LBB6_1334
; %bb.1327:                             ;   in Loop: Header=BB6_136 Depth=3
	v_bfe_u32 v5, v2, 23, 8
	v_or_b32_e32 v3, 0x800000, v0
	s_delay_alu instid0(VALU_DEP_2) | instskip(SKIP_2) | instid1(VALU_DEP_2)
	v_cmp_gt_u32_e64 s13, 0x72, v5
	v_sub_nc_u32_e32 v2, 0x71, v5
	v_cmp_eq_u32_e32 vcc_lo, 0, v5
	v_dual_cndmask_b32 v2, 0, v2, s13 :: v_dual_cndmask_b32 v0, v3, v0, vcc_lo
	s_delay_alu instid0(VALU_DEP_1) | instskip(NEXT) | instid1(VALU_DEP_1)
	v_cndmask_b32_e64 v7, v2, 0x70, vcc_lo
	v_dual_add_nc_u32 v2, 21, v7 :: v_dual_add_nc_u32 v8, 20, v7
	s_delay_alu instid0(VALU_DEP_1) | instskip(NEXT) | instid1(VALU_DEP_2)
	v_lshlrev_b64_e64 v[2:3], v2, -1
	v_lshlrev_b64_e64 v[8:9], v8, 1
	s_delay_alu instid0(VALU_DEP_2) | instskip(SKIP_1) | instid1(VALU_DEP_4)
	v_bfi_b32 v2, v2, 0, v0
	v_lshrrev_b64 v[0:1], v7, v[0:1]
	v_bfi_b32 v3, v3, 0, 0
	s_delay_alu instid0(VALU_DEP_1) | instskip(NEXT) | instid1(VALU_DEP_3)
	v_cmp_eq_u64_e64 s13, v[2:3], v[8:9]
	v_mov_b64_e32 v[2:3], v[0:1]
	s_and_saveexec_b32 s77, s13
; %bb.1328:                             ;   in Loop: Header=BB6_136 Depth=3
	v_bfe_u32 v2, v0, 21, 1
	v_mov_b32_e32 v3, v113
	s_delay_alu instid0(VALU_DEP_1) | instskip(NEXT) | instid1(VALU_DEP_1)
	v_add_nc_u64_e32 v[2:3], v[0:1], v[2:3]
	v_add_nc_u64_e32 v[2:3], -1, v[2:3]
; %bb.1329:                             ;   in Loop: Header=BB6_136 Depth=3
	s_or_b32 exec_lo, exec_lo, s77
	v_add_nc_u32_e32 v1, 0xffffff81, v5
	v_lshrrev_b32_e32 v3, 23, v0
	s_mov_b32 s13, exec_lo
	s_delay_alu instid0(VALU_DEP_2) | instskip(NEXT) | instid1(VALU_DEP_1)
	v_cndmask_b32_e64 v1, v1, 0xffffff82, vcc_lo
	v_add3_u32 v5, v7, v1, v3
	v_and_b32_e32 v1, 0x1fffff, v2
                                        ; implicit-def: $vgpr2
	s_delay_alu instid0(VALU_DEP_1) | instskip(SKIP_1) | instid1(VALU_DEP_2)
	v_dual_add_nc_u32 v3, 14, v5 :: v_dual_add_nc_u32 v0, v1, v0
	v_mov_b32_e32 v1, v113
	v_cmpx_ne_u32_e32 0, v3
	s_xor_b32 s13, exec_lo, s13
; %bb.1330:                             ;   in Loop: Header=BB6_136 Depth=3
	s_delay_alu instid0(VALU_DEP_2) | instskip(SKIP_1) | instid1(VALU_DEP_1)
	v_cmp_lt_u64_e32 vcc_lo, 0xffffff, v[0:1]
	v_add_nc_u32_e32 v2, 15, v5
	v_cndmask_b32_e32 v2, v3, v2, vcc_lo
	v_cndmask_b32_e64 v3, 0, 1, vcc_lo
	s_delay_alu instid0(VALU_DEP_1)
	v_lshrrev_b64 v[0:1], v3, v[0:1]
; %bb.1331:                             ;   in Loop: Header=BB6_136 Depth=3
	s_and_not1_saveexec_b32 s13, s13
; %bb.1332:                             ;   in Loop: Header=BB6_136 Depth=3
	s_delay_alu instid0(VALU_DEP_1)
	v_bfe_u32 v2, v0, 23, 1
; %bb.1333:                             ;   in Loop: Header=BB6_136 Depth=3
	s_or_b32 exec_lo, exec_lo, s13
	s_delay_alu instid0(VALU_DEP_2) | instskip(NEXT) | instid1(VALU_DEP_2)
	v_lshrrev_b64 v[0:1], 21, v[0:1]
	v_cmp_gt_i32_e32 vcc_lo, 32, v2
	v_min_i32_e32 v3, 31, v2
	v_cmp_eq_u32_e64 s13, 0, v2
	s_delay_alu instid0(VALU_DEP_2) | instskip(SKIP_1) | instid1(VALU_DEP_2)
	v_dual_cndmask_b32 v1, 0, v1, vcc_lo :: v_dual_lshlrev_b32 v3, 2, v3
	v_cndmask_b32_e32 v0, 3, v0, vcc_lo
	v_and_b32_e32 v3, 0xfc, v3
	s_delay_alu instid0(VALU_DEP_2) | instskip(NEXT) | instid1(VALU_DEP_2)
	v_cmp_eq_u64_e32 vcc_lo, 0, v[0:1]
	v_and_or_b32 v0, v0, 3, v3
	s_and_b32 s13, s13, vcc_lo
	s_delay_alu instid0(VALU_DEP_1) | instid1(SALU_CYCLE_1)
	v_cndmask_b32_e64 v0, v0, 0, s13
	s_delay_alu instid0(VALU_DEP_1)
	v_or_b32_e32 v23, v0, v4
.LBB6_1334:                             ;   in Loop: Header=BB6_136 Depth=3
	s_or_b32 exec_lo, exec_lo, s76
                                        ; implicit-def: $vgpr4
.LBB6_1335:                             ;   in Loop: Header=BB6_136 Depth=3
	s_and_not1_saveexec_b32 s13, s75
; %bb.1336:                             ;   in Loop: Header=BB6_136 Depth=3
	v_or_b32_e32 v23, 0x7b, v4
; %bb.1337:                             ;   in Loop: Header=BB6_136 Depth=3
	s_or_b32 exec_lo, exec_lo, s13
                                        ; implicit-def: $vgpr2
                                        ; implicit-def: $vgpr0_vgpr1
                                        ; implicit-def: $vgpr3
.LBB6_1338:                             ;   in Loop: Header=BB6_136 Depth=3
	s_and_not1_saveexec_b32 s13, s74
	s_cbranch_execz .LBB6_1344
; %bb.1339:                             ;   in Loop: Header=BB6_136 Depth=3
	s_mov_b32 s74, exec_lo
                                        ; implicit-def: $vgpr23
	v_cmpx_ne_u64_e32 0, v[0:1]
	s_xor_b32 s74, exec_lo, s74
; %bb.1340:                             ;   in Loop: Header=BB6_136 Depth=3
	v_or_b32_e32 v23, 0x7f, v3
                                        ; implicit-def: $vgpr2
; %bb.1341:                             ;   in Loop: Header=BB6_136 Depth=3
	s_and_not1_saveexec_b32 s74, s74
; %bb.1342:                             ;   in Loop: Header=BB6_136 Depth=3
	v_cmp_lt_i32_e32 vcc_lo, -1, v2
	v_mov_b32_e32 v0, 0x7c
	s_delay_alu instid0(VALU_DEP_1)
	v_cndmask_b32_e32 v23, 0xfc, v0, vcc_lo
; %bb.1343:                             ;   in Loop: Header=BB6_136 Depth=3
	s_or_b32 exec_lo, exec_lo, s74
.LBB6_1344:                             ;   in Loop: Header=BB6_136 Depth=3
	s_delay_alu instid0(SALU_CYCLE_1) | instskip(SKIP_1) | instid1(VALU_DEP_1)
	s_or_b32 exec_lo, exec_lo, s13
	v_and_b32_e32 v0, 0xff, v10
	v_cmp_ne_u16_e32 vcc_lo, 0, v0
	v_mov_b32_e32 v0, 0
	s_and_saveexec_b32 s74, vcc_lo
	s_cbranch_execz .LBB6_1354
; %bb.1345:                             ;   in Loop: Header=BB6_136 Depth=3
	v_bfe_i32 v2, v10, 0, 8
	v_bfrev_b32_e32 v0, 1
	s_mov_b32 s75, exec_lo
	s_delay_alu instid0(VALU_DEP_2)
	v_cmpx_ne_u16_e32 0xff80, v2
	s_cbranch_execz .LBB6_1353
; %bb.1346:                             ;   in Loop: Header=BB6_136 Depth=3
	v_and_b32_e32 v0, 0x7c, v10
	v_and_b32_e32 v1, 3, v10
	s_delay_alu instid0(VALU_DEP_2) | instskip(SKIP_1) | instid1(SALU_CYCLE_1)
	v_cmp_ne_u32_e32 vcc_lo, 0x7c, v0
                                        ; implicit-def: $vgpr0
	s_and_saveexec_b32 s13, vcc_lo
	s_xor_b32 s13, exec_lo, s13
	s_cbranch_execz .LBB6_1350
; %bb.1347:                             ;   in Loop: Header=BB6_136 Depth=3
	v_bfe_u32 v0, v10, 2, 5
	s_mov_b32 s76, exec_lo
	s_delay_alu instid0(VALU_DEP_1)
	v_cmpx_eq_u32_e32 0, v0
; %bb.1348:                             ;   in Loop: Header=BB6_136 Depth=3
	v_clz_i32_u32_e32 v0, v1
	s_delay_alu instid0(VALU_DEP_1) | instskip(NEXT) | instid1(VALU_DEP_1)
	v_min_u32_e32 v0, 32, v0
	v_subrev_nc_u32_e32 v1, 29, v0
	s_delay_alu instid0(VALU_DEP_1) | instskip(NEXT) | instid1(VALU_DEP_1)
	v_lshlrev_b64_e32 v[2:3], v1, v[10:11]
	v_dual_sub_nc_u32 v0, 30, v0 :: v_dual_bitop2_b32 v1, 3, v2 bitop3:0x40
; %bb.1349:                             ;   in Loop: Header=BB6_136 Depth=3
	s_or_b32 exec_lo, exec_lo, s76
	v_lshlrev_b32_e32 v2, 24, v10
	s_delay_alu instid0(VALU_DEP_1) | instskip(NEXT) | instid1(VALU_DEP_1)
	v_and_b32_e32 v2, 0x80000000, v2
	v_lshl_add_u32 v0, v0, 23, v2
                                        ; implicit-def: $vgpr2
	s_delay_alu instid0(VALU_DEP_1) | instskip(NEXT) | instid1(VALU_DEP_1)
	v_lshl_or_b32 v0, v1, 21, v0
                                        ; implicit-def: $vgpr1
	v_add_nc_u32_e32 v0, 0x38000000, v0
.LBB6_1350:                             ;   in Loop: Header=BB6_136 Depth=3
	s_and_not1_saveexec_b32 s76, s13
; %bb.1351:                             ;   in Loop: Header=BB6_136 Depth=3
	v_cmp_lt_i16_e64 s13, -1, v2
	v_mov_b32_e32 v0, 0x7f800000
	v_cmp_eq_u32_e32 vcc_lo, 0, v1
	s_delay_alu instid0(VALU_DEP_2) | instskip(NEXT) | instid1(VALU_DEP_1)
	v_cndmask_b32_e64 v0, 0xff800000, v0, s13
	v_cndmask_b32_e32 v0, 0x7f800001, v0, vcc_lo
; %bb.1352:                             ;   in Loop: Header=BB6_136 Depth=3
	s_or_b32 exec_lo, exec_lo, s76
.LBB6_1353:                             ;   in Loop: Header=BB6_136 Depth=3
	s_delay_alu instid0(SALU_CYCLE_1)
	s_or_b32 exec_lo, exec_lo, s75
.LBB6_1354:                             ;   in Loop: Header=BB6_136 Depth=3
	s_delay_alu instid0(SALU_CYCLE_1) | instskip(NEXT) | instid1(VALU_DEP_1)
	s_or_b32 exec_lo, exec_lo, s74
	v_dual_mul_f32 v2, s73, v0 :: v_dual_mov_b32 v5, v113
	v_mov_b32_e32 v1, v113
                                        ; implicit-def: $vgpr86
	s_mov_b32 s13, exec_lo
	s_delay_alu instid0(VALU_DEP_2) | instskip(SKIP_2) | instid1(VALU_DEP_3)
	v_and_b32_e32 v4, 0x7f800000, v2
	v_and_b32_e32 v0, 0x7fffff, v2
	v_lshrrev_b32_e32 v3, 24, v2
	v_cmpx_ne_u64_e32 0x7f800000, v[4:5]
	s_xor_b32 s74, exec_lo, s13
	s_cbranch_execz .LBB6_1368
; %bb.1355:                             ;   in Loop: Header=BB6_136 Depth=3
	v_and_b32_e32 v4, 0x7fffffff, v2
	v_mov_b32_e32 v5, v113
                                        ; implicit-def: $vgpr86
	s_delay_alu instid0(VALU_DEP_1) | instskip(SKIP_2) | instid1(SALU_CYCLE_1)
	v_cmp_gt_u64_e32 vcc_lo, 0x47600001, v[4:5]
	v_and_b32_e32 v4, 0x80, v3
	s_and_saveexec_b32 s13, vcc_lo
	s_xor_b32 s75, exec_lo, s13
	s_cbranch_execz .LBB6_1365
; %bb.1356:                             ;   in Loop: Header=BB6_136 Depth=3
	v_mov_b32_e32 v86, 0
	s_mov_b32 s76, exec_lo
	v_cmpx_ne_u32_e32 0, v2
	s_cbranch_execz .LBB6_1364
; %bb.1357:                             ;   in Loop: Header=BB6_136 Depth=3
	v_bfe_u32 v5, v2, 23, 8
	v_or_b32_e32 v3, 0x800000, v0
	s_delay_alu instid0(VALU_DEP_2) | instskip(SKIP_2) | instid1(VALU_DEP_2)
	v_cmp_gt_u32_e64 s13, 0x72, v5
	v_sub_nc_u32_e32 v2, 0x71, v5
	v_cmp_eq_u32_e32 vcc_lo, 0, v5
	v_dual_cndmask_b32 v2, 0, v2, s13 :: v_dual_cndmask_b32 v0, v3, v0, vcc_lo
	s_delay_alu instid0(VALU_DEP_1) | instskip(NEXT) | instid1(VALU_DEP_1)
	v_cndmask_b32_e64 v7, v2, 0x70, vcc_lo
	v_dual_add_nc_u32 v2, 21, v7 :: v_dual_add_nc_u32 v8, 20, v7
	s_delay_alu instid0(VALU_DEP_1) | instskip(NEXT) | instid1(VALU_DEP_2)
	v_lshlrev_b64_e64 v[2:3], v2, -1
	v_lshlrev_b64_e64 v[8:9], v8, 1
	s_delay_alu instid0(VALU_DEP_2) | instskip(SKIP_1) | instid1(VALU_DEP_4)
	v_bfi_b32 v2, v2, 0, v0
	v_lshrrev_b64 v[0:1], v7, v[0:1]
	v_bfi_b32 v3, v3, 0, 0
	s_delay_alu instid0(VALU_DEP_1) | instskip(NEXT) | instid1(VALU_DEP_3)
	v_cmp_eq_u64_e64 s13, v[2:3], v[8:9]
	v_mov_b64_e32 v[2:3], v[0:1]
	s_and_saveexec_b32 s77, s13
; %bb.1358:                             ;   in Loop: Header=BB6_136 Depth=3
	v_bfe_u32 v2, v0, 21, 1
	v_mov_b32_e32 v3, v113
	s_delay_alu instid0(VALU_DEP_1) | instskip(NEXT) | instid1(VALU_DEP_1)
	v_add_nc_u64_e32 v[2:3], v[0:1], v[2:3]
	v_add_nc_u64_e32 v[2:3], -1, v[2:3]
; %bb.1359:                             ;   in Loop: Header=BB6_136 Depth=3
	s_or_b32 exec_lo, exec_lo, s77
	v_add_nc_u32_e32 v1, 0xffffff81, v5
	v_lshrrev_b32_e32 v3, 23, v0
	s_mov_b32 s13, exec_lo
	s_delay_alu instid0(VALU_DEP_2) | instskip(NEXT) | instid1(VALU_DEP_1)
	v_cndmask_b32_e64 v1, v1, 0xffffff82, vcc_lo
	v_add3_u32 v5, v7, v1, v3
	v_and_b32_e32 v1, 0x1fffff, v2
                                        ; implicit-def: $vgpr2
	s_delay_alu instid0(VALU_DEP_1) | instskip(SKIP_1) | instid1(VALU_DEP_2)
	v_dual_add_nc_u32 v3, 14, v5 :: v_dual_add_nc_u32 v0, v1, v0
	v_mov_b32_e32 v1, v113
	v_cmpx_ne_u32_e32 0, v3
	s_xor_b32 s13, exec_lo, s13
; %bb.1360:                             ;   in Loop: Header=BB6_136 Depth=3
	s_delay_alu instid0(VALU_DEP_2) | instskip(SKIP_1) | instid1(VALU_DEP_1)
	v_cmp_lt_u64_e32 vcc_lo, 0xffffff, v[0:1]
	v_add_nc_u32_e32 v2, 15, v5
	v_cndmask_b32_e32 v2, v3, v2, vcc_lo
	v_cndmask_b32_e64 v3, 0, 1, vcc_lo
	s_delay_alu instid0(VALU_DEP_1)
	v_lshrrev_b64 v[0:1], v3, v[0:1]
; %bb.1361:                             ;   in Loop: Header=BB6_136 Depth=3
	s_and_not1_saveexec_b32 s13, s13
; %bb.1362:                             ;   in Loop: Header=BB6_136 Depth=3
	s_delay_alu instid0(VALU_DEP_1)
	v_bfe_u32 v2, v0, 23, 1
; %bb.1363:                             ;   in Loop: Header=BB6_136 Depth=3
	s_or_b32 exec_lo, exec_lo, s13
	s_delay_alu instid0(VALU_DEP_2) | instskip(NEXT) | instid1(VALU_DEP_2)
	v_lshrrev_b64 v[0:1], 21, v[0:1]
	v_cmp_gt_i32_e32 vcc_lo, 32, v2
	v_min_i32_e32 v3, 31, v2
	v_cmp_eq_u32_e64 s13, 0, v2
	s_delay_alu instid0(VALU_DEP_2) | instskip(SKIP_1) | instid1(VALU_DEP_2)
	v_dual_cndmask_b32 v1, 0, v1, vcc_lo :: v_dual_lshlrev_b32 v3, 2, v3
	v_cndmask_b32_e32 v0, 3, v0, vcc_lo
	v_and_b32_e32 v3, 0xfc, v3
	s_delay_alu instid0(VALU_DEP_2) | instskip(NEXT) | instid1(VALU_DEP_2)
	v_cmp_eq_u64_e32 vcc_lo, 0, v[0:1]
	v_and_or_b32 v0, v0, 3, v3
	s_and_b32 s13, s13, vcc_lo
	s_delay_alu instid0(VALU_DEP_1) | instid1(SALU_CYCLE_1)
	v_cndmask_b32_e64 v0, v0, 0, s13
	s_delay_alu instid0(VALU_DEP_1)
	v_or_b32_e32 v86, v0, v4
.LBB6_1364:                             ;   in Loop: Header=BB6_136 Depth=3
	s_or_b32 exec_lo, exec_lo, s76
                                        ; implicit-def: $vgpr4
.LBB6_1365:                             ;   in Loop: Header=BB6_136 Depth=3
	s_and_not1_saveexec_b32 s13, s75
; %bb.1366:                             ;   in Loop: Header=BB6_136 Depth=3
	v_or_b32_e32 v86, 0x7b, v4
; %bb.1367:                             ;   in Loop: Header=BB6_136 Depth=3
	s_or_b32 exec_lo, exec_lo, s13
                                        ; implicit-def: $vgpr2
                                        ; implicit-def: $vgpr0_vgpr1
                                        ; implicit-def: $vgpr3
.LBB6_1368:                             ;   in Loop: Header=BB6_136 Depth=3
	s_and_not1_saveexec_b32 s13, s74
	s_cbranch_execz .LBB6_1374
; %bb.1369:                             ;   in Loop: Header=BB6_136 Depth=3
	s_mov_b32 s74, exec_lo
                                        ; implicit-def: $vgpr86
	v_cmpx_ne_u64_e32 0, v[0:1]
	s_xor_b32 s74, exec_lo, s74
; %bb.1370:                             ;   in Loop: Header=BB6_136 Depth=3
	v_or_b32_e32 v86, 0x7f, v3
                                        ; implicit-def: $vgpr2
; %bb.1371:                             ;   in Loop: Header=BB6_136 Depth=3
	s_and_not1_saveexec_b32 s74, s74
; %bb.1372:                             ;   in Loop: Header=BB6_136 Depth=3
	v_cmp_lt_i32_e32 vcc_lo, -1, v2
	v_mov_b32_e32 v0, 0x7c
	s_delay_alu instid0(VALU_DEP_1)
	v_cndmask_b32_e32 v86, 0xfc, v0, vcc_lo
; %bb.1373:                             ;   in Loop: Header=BB6_136 Depth=3
	s_or_b32 exec_lo, exec_lo, s74
.LBB6_1374:                             ;   in Loop: Header=BB6_136 Depth=3
	s_delay_alu instid0(SALU_CYCLE_1) | instskip(SKIP_3) | instid1(VALU_DEP_2)
	s_or_b32 exec_lo, exec_lo, s13
	v_lshrrev_b16 v0, 8, v10
	v_mov_b32_e32 v1, 0
	s_mov_b32 s74, exec_lo
	v_cmpx_ne_u16_e32 0, v0
	s_cbranch_execz .LBB6_1384
; %bb.1375:                             ;   in Loop: Header=BB6_136 Depth=3
	v_bfrev_b32_e32 v1, 1
	s_mov_b32 s75, exec_lo
	v_cmpx_ne_u16_e32 0x80, v0
	s_cbranch_execz .LBB6_1383
; %bb.1376:                             ;   in Loop: Header=BB6_136 Depth=3
	v_and_b32_e32 v3, 0xffff, v0
	s_delay_alu instid0(VALU_DEP_1) | instskip(SKIP_1) | instid1(VALU_DEP_2)
	v_and_b32_e32 v1, 0x7c, v3
	v_and_b32_e32 v2, 3, v3
	v_cmp_ne_u32_e32 vcc_lo, 0x7c, v1
                                        ; implicit-def: $vgpr1
	s_and_saveexec_b32 s13, vcc_lo
	s_delay_alu instid0(SALU_CYCLE_1)
	s_xor_b32 s13, exec_lo, s13
	s_cbranch_execz .LBB6_1380
; %bb.1377:                             ;   in Loop: Header=BB6_136 Depth=3
	v_bfe_u32 v1, v3, 2, 5
	s_mov_b32 s76, exec_lo
	s_delay_alu instid0(VALU_DEP_1)
	v_cmpx_eq_u32_e32 0, v1
; %bb.1378:                             ;   in Loop: Header=BB6_136 Depth=3
	v_clz_i32_u32_e32 v1, v2
	s_delay_alu instid0(VALU_DEP_1) | instskip(SKIP_1) | instid1(VALU_DEP_2)
	v_min_u32_e32 v2, 32, v1
	v_mov_b32_e32 v1, v113
	v_subrev_nc_u32_e32 v3, 29, v2
	s_delay_alu instid0(VALU_DEP_1) | instskip(NEXT) | instid1(VALU_DEP_1)
	v_lshlrev_b64_e32 v[0:1], v3, v[0:1]
	v_dual_sub_nc_u32 v1, 30, v2 :: v_dual_bitop2_b32 v2, 3, v0 bitop3:0x40
; %bb.1379:                             ;   in Loop: Header=BB6_136 Depth=3
	s_or_b32 exec_lo, exec_lo, s76
	v_lshlrev_b32_e32 v0, 16, v10
	s_delay_alu instid0(VALU_DEP_1) | instskip(NEXT) | instid1(VALU_DEP_1)
	v_and_b32_e32 v0, 0x80000000, v0
	v_lshl_add_u32 v0, v1, 23, v0
	s_delay_alu instid0(VALU_DEP_1) | instskip(NEXT) | instid1(VALU_DEP_1)
	v_lshl_or_b32 v0, v2, 21, v0
                                        ; implicit-def: $vgpr2
	v_add_nc_u32_e32 v1, 0x38000000, v0
.LBB6_1380:                             ;   in Loop: Header=BB6_136 Depth=3
	s_and_not1_saveexec_b32 s76, s13
; %bb.1381:                             ;   in Loop: Header=BB6_136 Depth=3
	v_cmp_lt_i16_e64 s13, -1, v10
	v_mov_b32_e32 v0, 0x7f800000
	v_cmp_eq_u32_e32 vcc_lo, 0, v2
	s_delay_alu instid0(VALU_DEP_2) | instskip(NEXT) | instid1(VALU_DEP_1)
	v_cndmask_b32_e64 v0, 0xff800000, v0, s13
	v_cndmask_b32_e32 v1, 0x7f800001, v0, vcc_lo
; %bb.1382:                             ;   in Loop: Header=BB6_136 Depth=3
	s_or_b32 exec_lo, exec_lo, s76
.LBB6_1383:                             ;   in Loop: Header=BB6_136 Depth=3
	s_delay_alu instid0(SALU_CYCLE_1)
	s_or_b32 exec_lo, exec_lo, s75
.LBB6_1384:                             ;   in Loop: Header=BB6_136 Depth=3
	s_delay_alu instid0(SALU_CYCLE_1) | instskip(NEXT) | instid1(VALU_DEP_1)
	s_or_b32 exec_lo, exec_lo, s74
	v_dual_mul_f32 v2, s73, v1 :: v_dual_mov_b32 v5, v113
	v_mov_b32_e32 v1, v113
                                        ; implicit-def: $vgpr87
	s_mov_b32 s13, exec_lo
	s_delay_alu instid0(VALU_DEP_2) | instskip(SKIP_2) | instid1(VALU_DEP_3)
	v_and_b32_e32 v4, 0x7f800000, v2
	v_and_b32_e32 v0, 0x7fffff, v2
	v_lshrrev_b32_e32 v3, 24, v2
	v_cmpx_ne_u64_e32 0x7f800000, v[4:5]
	s_xor_b32 s74, exec_lo, s13
	s_cbranch_execz .LBB6_1398
; %bb.1385:                             ;   in Loop: Header=BB6_136 Depth=3
	v_and_b32_e32 v4, 0x7fffffff, v2
	v_mov_b32_e32 v5, v113
                                        ; implicit-def: $vgpr87
	s_delay_alu instid0(VALU_DEP_1) | instskip(SKIP_2) | instid1(SALU_CYCLE_1)
	v_cmp_gt_u64_e32 vcc_lo, 0x47600001, v[4:5]
	v_and_b32_e32 v4, 0x80, v3
	s_and_saveexec_b32 s13, vcc_lo
	s_xor_b32 s75, exec_lo, s13
	s_cbranch_execz .LBB6_1395
; %bb.1386:                             ;   in Loop: Header=BB6_136 Depth=3
	v_mov_b32_e32 v87, 0
	s_mov_b32 s76, exec_lo
	v_cmpx_ne_u32_e32 0, v2
	s_cbranch_execz .LBB6_1394
; %bb.1387:                             ;   in Loop: Header=BB6_136 Depth=3
	v_bfe_u32 v5, v2, 23, 8
	v_or_b32_e32 v3, 0x800000, v0
	s_delay_alu instid0(VALU_DEP_2) | instskip(SKIP_2) | instid1(VALU_DEP_2)
	v_cmp_gt_u32_e64 s13, 0x72, v5
	v_sub_nc_u32_e32 v2, 0x71, v5
	v_cmp_eq_u32_e32 vcc_lo, 0, v5
	v_dual_cndmask_b32 v2, 0, v2, s13 :: v_dual_cndmask_b32 v0, v3, v0, vcc_lo
	s_delay_alu instid0(VALU_DEP_1) | instskip(NEXT) | instid1(VALU_DEP_1)
	v_cndmask_b32_e64 v7, v2, 0x70, vcc_lo
	v_dual_add_nc_u32 v2, 21, v7 :: v_dual_add_nc_u32 v8, 20, v7
	s_delay_alu instid0(VALU_DEP_1) | instskip(NEXT) | instid1(VALU_DEP_2)
	v_lshlrev_b64_e64 v[2:3], v2, -1
	v_lshlrev_b64_e64 v[8:9], v8, 1
	s_delay_alu instid0(VALU_DEP_2) | instskip(SKIP_1) | instid1(VALU_DEP_4)
	v_bfi_b32 v2, v2, 0, v0
	v_lshrrev_b64 v[0:1], v7, v[0:1]
	v_bfi_b32 v3, v3, 0, 0
	s_delay_alu instid0(VALU_DEP_1) | instskip(NEXT) | instid1(VALU_DEP_3)
	v_cmp_eq_u64_e64 s13, v[2:3], v[8:9]
	v_mov_b64_e32 v[2:3], v[0:1]
	s_and_saveexec_b32 s77, s13
; %bb.1388:                             ;   in Loop: Header=BB6_136 Depth=3
	v_bfe_u32 v2, v0, 21, 1
	v_mov_b32_e32 v3, v113
	s_delay_alu instid0(VALU_DEP_1) | instskip(NEXT) | instid1(VALU_DEP_1)
	v_add_nc_u64_e32 v[2:3], v[0:1], v[2:3]
	v_add_nc_u64_e32 v[2:3], -1, v[2:3]
; %bb.1389:                             ;   in Loop: Header=BB6_136 Depth=3
	s_or_b32 exec_lo, exec_lo, s77
	v_add_nc_u32_e32 v1, 0xffffff81, v5
	v_lshrrev_b32_e32 v3, 23, v0
	s_mov_b32 s13, exec_lo
	s_delay_alu instid0(VALU_DEP_2) | instskip(NEXT) | instid1(VALU_DEP_1)
	v_cndmask_b32_e64 v1, v1, 0xffffff82, vcc_lo
	v_add3_u32 v5, v7, v1, v3
	v_and_b32_e32 v1, 0x1fffff, v2
                                        ; implicit-def: $vgpr2
	s_delay_alu instid0(VALU_DEP_1) | instskip(SKIP_1) | instid1(VALU_DEP_2)
	v_dual_add_nc_u32 v3, 14, v5 :: v_dual_add_nc_u32 v0, v1, v0
	v_mov_b32_e32 v1, v113
	v_cmpx_ne_u32_e32 0, v3
	s_xor_b32 s13, exec_lo, s13
; %bb.1390:                             ;   in Loop: Header=BB6_136 Depth=3
	s_delay_alu instid0(VALU_DEP_2) | instskip(SKIP_1) | instid1(VALU_DEP_1)
	v_cmp_lt_u64_e32 vcc_lo, 0xffffff, v[0:1]
	v_add_nc_u32_e32 v2, 15, v5
	v_cndmask_b32_e32 v2, v3, v2, vcc_lo
	v_cndmask_b32_e64 v3, 0, 1, vcc_lo
	s_delay_alu instid0(VALU_DEP_1)
	v_lshrrev_b64 v[0:1], v3, v[0:1]
; %bb.1391:                             ;   in Loop: Header=BB6_136 Depth=3
	s_and_not1_saveexec_b32 s13, s13
; %bb.1392:                             ;   in Loop: Header=BB6_136 Depth=3
	s_delay_alu instid0(VALU_DEP_1)
	v_bfe_u32 v2, v0, 23, 1
; %bb.1393:                             ;   in Loop: Header=BB6_136 Depth=3
	s_or_b32 exec_lo, exec_lo, s13
	s_delay_alu instid0(VALU_DEP_2) | instskip(NEXT) | instid1(VALU_DEP_2)
	v_lshrrev_b64 v[0:1], 21, v[0:1]
	v_cmp_gt_i32_e32 vcc_lo, 32, v2
	v_min_i32_e32 v3, 31, v2
	v_cmp_eq_u32_e64 s13, 0, v2
	s_delay_alu instid0(VALU_DEP_2) | instskip(SKIP_1) | instid1(VALU_DEP_2)
	v_dual_cndmask_b32 v1, 0, v1, vcc_lo :: v_dual_lshlrev_b32 v3, 2, v3
	v_cndmask_b32_e32 v0, 3, v0, vcc_lo
	v_and_b32_e32 v3, 0xfc, v3
	s_delay_alu instid0(VALU_DEP_2) | instskip(NEXT) | instid1(VALU_DEP_2)
	v_cmp_eq_u64_e32 vcc_lo, 0, v[0:1]
	v_and_or_b32 v0, v0, 3, v3
	s_and_b32 s13, s13, vcc_lo
	s_delay_alu instid0(VALU_DEP_1) | instid1(SALU_CYCLE_1)
	v_cndmask_b32_e64 v0, v0, 0, s13
	s_delay_alu instid0(VALU_DEP_1)
	v_or_b32_e32 v87, v0, v4
.LBB6_1394:                             ;   in Loop: Header=BB6_136 Depth=3
	s_or_b32 exec_lo, exec_lo, s76
                                        ; implicit-def: $vgpr4
.LBB6_1395:                             ;   in Loop: Header=BB6_136 Depth=3
	s_and_not1_saveexec_b32 s13, s75
; %bb.1396:                             ;   in Loop: Header=BB6_136 Depth=3
	v_or_b32_e32 v87, 0x7b, v4
; %bb.1397:                             ;   in Loop: Header=BB6_136 Depth=3
	s_or_b32 exec_lo, exec_lo, s13
                                        ; implicit-def: $vgpr2
                                        ; implicit-def: $vgpr0_vgpr1
                                        ; implicit-def: $vgpr3
.LBB6_1398:                             ;   in Loop: Header=BB6_136 Depth=3
	s_and_not1_saveexec_b32 s13, s74
	s_cbranch_execz .LBB6_1404
; %bb.1399:                             ;   in Loop: Header=BB6_136 Depth=3
	s_mov_b32 s74, exec_lo
                                        ; implicit-def: $vgpr87
	v_cmpx_ne_u64_e32 0, v[0:1]
	s_xor_b32 s74, exec_lo, s74
; %bb.1400:                             ;   in Loop: Header=BB6_136 Depth=3
	v_or_b32_e32 v87, 0x7f, v3
                                        ; implicit-def: $vgpr2
; %bb.1401:                             ;   in Loop: Header=BB6_136 Depth=3
	s_and_not1_saveexec_b32 s74, s74
; %bb.1402:                             ;   in Loop: Header=BB6_136 Depth=3
	v_cmp_lt_i32_e32 vcc_lo, -1, v2
	v_mov_b32_e32 v0, 0x7c
	s_delay_alu instid0(VALU_DEP_1)
	v_cndmask_b32_e32 v87, 0xfc, v0, vcc_lo
; %bb.1403:                             ;   in Loop: Header=BB6_136 Depth=3
	s_or_b32 exec_lo, exec_lo, s74
.LBB6_1404:                             ;   in Loop: Header=BB6_136 Depth=3
	s_delay_alu instid0(SALU_CYCLE_1) | instskip(SKIP_2) | instid1(VALU_DEP_1)
	s_or_b32 exec_lo, exec_lo, s13
	v_dual_mov_b32 v1, 0 :: v_dual_lshrrev_b32 v0, 16, v10
	s_mov_b32 s74, exec_lo
	v_and_b32_e32 v2, 0xff, v0
	s_delay_alu instid0(VALU_DEP_1)
	v_cmpx_ne_u16_e32 0, v2
	s_cbranch_execz .LBB6_1414
; %bb.1405:                             ;   in Loop: Header=BB6_136 Depth=3
	v_bfrev_b32_e32 v1, 1
	s_mov_b32 s75, exec_lo
	v_cmpx_ne_u16_e32 0x80, v2
	s_cbranch_execz .LBB6_1413
; %bb.1406:                             ;   in Loop: Header=BB6_136 Depth=3
	v_and_b32_e32 v1, 0x7c0000, v10
	v_bfe_u32 v2, v10, 16, 2
	s_delay_alu instid0(VALU_DEP_2) | instskip(SKIP_1) | instid1(SALU_CYCLE_1)
	v_cmp_ne_u32_e32 vcc_lo, 0x7c0000, v1
                                        ; implicit-def: $vgpr1
	s_and_saveexec_b32 s13, vcc_lo
	s_xor_b32 s13, exec_lo, s13
	s_cbranch_execz .LBB6_1410
; %bb.1407:                             ;   in Loop: Header=BB6_136 Depth=3
	v_bfe_u32 v1, v10, 18, 5
	s_mov_b32 s76, exec_lo
	s_delay_alu instid0(VALU_DEP_1)
	v_cmpx_eq_u32_e32 0, v1
; %bb.1408:                             ;   in Loop: Header=BB6_136 Depth=3
	v_clz_i32_u32_e32 v1, v2
	s_delay_alu instid0(VALU_DEP_1) | instskip(NEXT) | instid1(VALU_DEP_1)
	v_min_u32_e32 v1, 32, v1
	v_subrev_nc_u32_e32 v2, 29, v1
	s_delay_alu instid0(VALU_DEP_1) | instskip(NEXT) | instid1(VALU_DEP_1)
	v_lshlrev_b64_e32 v[2:3], v2, v[0:1]
	v_dual_sub_nc_u32 v1, 30, v1 :: v_dual_bitop2_b32 v2, 3, v2 bitop3:0x40
; %bb.1409:                             ;   in Loop: Header=BB6_136 Depth=3
	s_or_b32 exec_lo, exec_lo, s76
	v_lshlrev_b32_e32 v0, 24, v0
	s_delay_alu instid0(VALU_DEP_1) | instskip(NEXT) | instid1(VALU_DEP_1)
	v_and_b32_e32 v0, 0x80000000, v0
	v_lshl_add_u32 v0, v1, 23, v0
	s_delay_alu instid0(VALU_DEP_1) | instskip(NEXT) | instid1(VALU_DEP_1)
	v_lshl_or_b32 v0, v2, 21, v0
                                        ; implicit-def: $vgpr2
	v_add_nc_u32_e32 v1, 0x38000000, v0
                                        ; implicit-def: $vgpr0
.LBB6_1410:                             ;   in Loop: Header=BB6_136 Depth=3
	s_and_not1_saveexec_b32 s76, s13
; %bb.1411:                             ;   in Loop: Header=BB6_136 Depth=3
	v_bfe_i32 v0, v0, 0, 8
	v_cmp_eq_u32_e32 vcc_lo, 0, v2
	s_delay_alu instid0(VALU_DEP_2) | instskip(SKIP_1) | instid1(VALU_DEP_1)
	v_cmp_lt_i16_e64 s13, -1, v0
	v_mov_b32_e32 v0, 0x7f800000
	v_cndmask_b32_e64 v0, 0xff800000, v0, s13
	s_delay_alu instid0(VALU_DEP_1)
	v_cndmask_b32_e32 v1, 0x7f800001, v0, vcc_lo
; %bb.1412:                             ;   in Loop: Header=BB6_136 Depth=3
	s_or_b32 exec_lo, exec_lo, s76
.LBB6_1413:                             ;   in Loop: Header=BB6_136 Depth=3
	s_delay_alu instid0(SALU_CYCLE_1)
	s_or_b32 exec_lo, exec_lo, s75
.LBB6_1414:                             ;   in Loop: Header=BB6_136 Depth=3
	s_delay_alu instid0(SALU_CYCLE_1) | instskip(NEXT) | instid1(VALU_DEP_1)
	s_or_b32 exec_lo, exec_lo, s74
	v_dual_mul_f32 v2, s73, v1 :: v_dual_mov_b32 v5, v113
	v_mov_b32_e32 v1, v113
                                        ; implicit-def: $vgpr96
	s_mov_b32 s13, exec_lo
	s_delay_alu instid0(VALU_DEP_2) | instskip(SKIP_2) | instid1(VALU_DEP_3)
	v_and_b32_e32 v4, 0x7f800000, v2
	v_and_b32_e32 v0, 0x7fffff, v2
	v_lshrrev_b32_e32 v3, 24, v2
	v_cmpx_ne_u64_e32 0x7f800000, v[4:5]
	s_xor_b32 s74, exec_lo, s13
	s_cbranch_execz .LBB6_1428
; %bb.1415:                             ;   in Loop: Header=BB6_136 Depth=3
	v_and_b32_e32 v4, 0x7fffffff, v2
	v_mov_b32_e32 v5, v113
                                        ; implicit-def: $vgpr96
	s_delay_alu instid0(VALU_DEP_1) | instskip(SKIP_2) | instid1(SALU_CYCLE_1)
	v_cmp_gt_u64_e32 vcc_lo, 0x47600001, v[4:5]
	v_and_b32_e32 v4, 0x80, v3
	s_and_saveexec_b32 s13, vcc_lo
	s_xor_b32 s75, exec_lo, s13
	s_cbranch_execz .LBB6_1425
; %bb.1416:                             ;   in Loop: Header=BB6_136 Depth=3
	v_mov_b32_e32 v96, 0
	s_mov_b32 s76, exec_lo
	v_cmpx_ne_u32_e32 0, v2
	s_cbranch_execz .LBB6_1424
; %bb.1417:                             ;   in Loop: Header=BB6_136 Depth=3
	v_bfe_u32 v5, v2, 23, 8
	v_or_b32_e32 v3, 0x800000, v0
	s_delay_alu instid0(VALU_DEP_2) | instskip(SKIP_2) | instid1(VALU_DEP_2)
	v_cmp_gt_u32_e64 s13, 0x72, v5
	v_sub_nc_u32_e32 v2, 0x71, v5
	v_cmp_eq_u32_e32 vcc_lo, 0, v5
	v_dual_cndmask_b32 v2, 0, v2, s13 :: v_dual_cndmask_b32 v0, v3, v0, vcc_lo
	s_delay_alu instid0(VALU_DEP_1) | instskip(NEXT) | instid1(VALU_DEP_1)
	v_cndmask_b32_e64 v7, v2, 0x70, vcc_lo
	v_dual_add_nc_u32 v2, 21, v7 :: v_dual_add_nc_u32 v8, 20, v7
	s_delay_alu instid0(VALU_DEP_1) | instskip(NEXT) | instid1(VALU_DEP_2)
	v_lshlrev_b64_e64 v[2:3], v2, -1
	v_lshlrev_b64_e64 v[8:9], v8, 1
	s_delay_alu instid0(VALU_DEP_2) | instskip(SKIP_1) | instid1(VALU_DEP_4)
	v_bfi_b32 v2, v2, 0, v0
	v_lshrrev_b64 v[0:1], v7, v[0:1]
	v_bfi_b32 v3, v3, 0, 0
	s_delay_alu instid0(VALU_DEP_1) | instskip(NEXT) | instid1(VALU_DEP_3)
	v_cmp_eq_u64_e64 s13, v[2:3], v[8:9]
	v_mov_b64_e32 v[2:3], v[0:1]
	s_and_saveexec_b32 s77, s13
; %bb.1418:                             ;   in Loop: Header=BB6_136 Depth=3
	v_bfe_u32 v2, v0, 21, 1
	v_mov_b32_e32 v3, v113
	s_delay_alu instid0(VALU_DEP_1) | instskip(NEXT) | instid1(VALU_DEP_1)
	v_add_nc_u64_e32 v[2:3], v[0:1], v[2:3]
	v_add_nc_u64_e32 v[2:3], -1, v[2:3]
; %bb.1419:                             ;   in Loop: Header=BB6_136 Depth=3
	s_or_b32 exec_lo, exec_lo, s77
	v_add_nc_u32_e32 v1, 0xffffff81, v5
	v_lshrrev_b32_e32 v3, 23, v0
	s_mov_b32 s13, exec_lo
	s_delay_alu instid0(VALU_DEP_2) | instskip(NEXT) | instid1(VALU_DEP_1)
	v_cndmask_b32_e64 v1, v1, 0xffffff82, vcc_lo
	v_add3_u32 v5, v7, v1, v3
	v_and_b32_e32 v1, 0x1fffff, v2
                                        ; implicit-def: $vgpr2
	s_delay_alu instid0(VALU_DEP_1) | instskip(SKIP_1) | instid1(VALU_DEP_2)
	v_dual_add_nc_u32 v3, 14, v5 :: v_dual_add_nc_u32 v0, v1, v0
	v_mov_b32_e32 v1, v113
	v_cmpx_ne_u32_e32 0, v3
	s_xor_b32 s13, exec_lo, s13
; %bb.1420:                             ;   in Loop: Header=BB6_136 Depth=3
	s_delay_alu instid0(VALU_DEP_2) | instskip(SKIP_1) | instid1(VALU_DEP_1)
	v_cmp_lt_u64_e32 vcc_lo, 0xffffff, v[0:1]
	v_add_nc_u32_e32 v2, 15, v5
	v_cndmask_b32_e32 v2, v3, v2, vcc_lo
	v_cndmask_b32_e64 v3, 0, 1, vcc_lo
	s_delay_alu instid0(VALU_DEP_1)
	v_lshrrev_b64 v[0:1], v3, v[0:1]
; %bb.1421:                             ;   in Loop: Header=BB6_136 Depth=3
	s_and_not1_saveexec_b32 s13, s13
; %bb.1422:                             ;   in Loop: Header=BB6_136 Depth=3
	s_delay_alu instid0(VALU_DEP_1)
	v_bfe_u32 v2, v0, 23, 1
; %bb.1423:                             ;   in Loop: Header=BB6_136 Depth=3
	s_or_b32 exec_lo, exec_lo, s13
	s_delay_alu instid0(VALU_DEP_2) | instskip(NEXT) | instid1(VALU_DEP_2)
	v_lshrrev_b64 v[0:1], 21, v[0:1]
	v_cmp_gt_i32_e32 vcc_lo, 32, v2
	v_min_i32_e32 v3, 31, v2
	v_cmp_eq_u32_e64 s13, 0, v2
	s_delay_alu instid0(VALU_DEP_2) | instskip(SKIP_1) | instid1(VALU_DEP_2)
	v_dual_cndmask_b32 v1, 0, v1, vcc_lo :: v_dual_lshlrev_b32 v3, 2, v3
	v_cndmask_b32_e32 v0, 3, v0, vcc_lo
	v_and_b32_e32 v3, 0xfc, v3
	s_delay_alu instid0(VALU_DEP_2) | instskip(NEXT) | instid1(VALU_DEP_2)
	v_cmp_eq_u64_e32 vcc_lo, 0, v[0:1]
	v_and_or_b32 v0, v0, 3, v3
	s_and_b32 s13, s13, vcc_lo
	s_delay_alu instid0(VALU_DEP_1) | instid1(SALU_CYCLE_1)
	v_cndmask_b32_e64 v0, v0, 0, s13
	s_delay_alu instid0(VALU_DEP_1)
	v_or_b32_e32 v96, v0, v4
.LBB6_1424:                             ;   in Loop: Header=BB6_136 Depth=3
	s_or_b32 exec_lo, exec_lo, s76
                                        ; implicit-def: $vgpr4
.LBB6_1425:                             ;   in Loop: Header=BB6_136 Depth=3
	s_and_not1_saveexec_b32 s13, s75
; %bb.1426:                             ;   in Loop: Header=BB6_136 Depth=3
	v_or_b32_e32 v96, 0x7b, v4
; %bb.1427:                             ;   in Loop: Header=BB6_136 Depth=3
	s_or_b32 exec_lo, exec_lo, s13
                                        ; implicit-def: $vgpr2
                                        ; implicit-def: $vgpr0_vgpr1
                                        ; implicit-def: $vgpr3
.LBB6_1428:                             ;   in Loop: Header=BB6_136 Depth=3
	s_and_not1_saveexec_b32 s13, s74
	s_cbranch_execz .LBB6_1434
; %bb.1429:                             ;   in Loop: Header=BB6_136 Depth=3
	s_mov_b32 s74, exec_lo
                                        ; implicit-def: $vgpr96
	v_cmpx_ne_u64_e32 0, v[0:1]
	s_xor_b32 s74, exec_lo, s74
; %bb.1430:                             ;   in Loop: Header=BB6_136 Depth=3
	v_or_b32_e32 v96, 0x7f, v3
                                        ; implicit-def: $vgpr2
; %bb.1431:                             ;   in Loop: Header=BB6_136 Depth=3
	s_and_not1_saveexec_b32 s74, s74
; %bb.1432:                             ;   in Loop: Header=BB6_136 Depth=3
	v_cmp_lt_i32_e32 vcc_lo, -1, v2
	v_mov_b32_e32 v0, 0x7c
	s_delay_alu instid0(VALU_DEP_1)
	v_cndmask_b32_e32 v96, 0xfc, v0, vcc_lo
; %bb.1433:                             ;   in Loop: Header=BB6_136 Depth=3
	s_or_b32 exec_lo, exec_lo, s74
.LBB6_1434:                             ;   in Loop: Header=BB6_136 Depth=3
	s_delay_alu instid0(SALU_CYCLE_1)
	s_or_b32 exec_lo, exec_lo, s13
	v_mov_b32_e32 v1, 0
	s_mov_b32 s74, exec_lo
	v_cmpx_lt_u32_e32 0xffffff, v10
	s_cbranch_execz .LBB6_1444
; %bb.1435:                             ;   in Loop: Header=BB6_136 Depth=3
	v_lshrrev_b32_e32 v0, 24, v10
	v_bfrev_b32_e32 v1, 1
	s_mov_b32 s75, exec_lo
	s_delay_alu instid0(VALU_DEP_2)
	v_cmpx_ne_u32_e32 0x80, v0
	s_cbranch_execz .LBB6_1443
; %bb.1436:                             ;   in Loop: Header=BB6_136 Depth=3
	v_and_b32_e32 v1, 0x7c000000, v10
	v_bfe_u32 v2, v10, 24, 2
	s_delay_alu instid0(VALU_DEP_2) | instskip(SKIP_1) | instid1(SALU_CYCLE_1)
	v_cmp_ne_u32_e32 vcc_lo, 0x7c000000, v1
                                        ; implicit-def: $vgpr1
	s_and_saveexec_b32 s13, vcc_lo
	s_xor_b32 s13, exec_lo, s13
	s_cbranch_execz .LBB6_1440
; %bb.1437:                             ;   in Loop: Header=BB6_136 Depth=3
	v_bfe_u32 v1, v10, 26, 5
	s_mov_b32 s76, exec_lo
	s_delay_alu instid0(VALU_DEP_1)
	v_cmpx_eq_u32_e32 0, v1
; %bb.1438:                             ;   in Loop: Header=BB6_136 Depth=3
	v_clz_i32_u32_e32 v1, v2
	s_delay_alu instid0(VALU_DEP_1) | instskip(NEXT) | instid1(VALU_DEP_1)
	v_min_u32_e32 v2, 32, v1
	v_subrev_nc_u32_e32 v1, 29, v2
	s_delay_alu instid0(VALU_DEP_1) | instskip(NEXT) | instid1(VALU_DEP_1)
	v_lshlrev_b64_e32 v[0:1], v1, v[0:1]
	v_dual_sub_nc_u32 v1, 30, v2 :: v_dual_bitop2_b32 v2, 3, v0 bitop3:0x40
; %bb.1439:                             ;   in Loop: Header=BB6_136 Depth=3
	s_or_b32 exec_lo, exec_lo, s76
	v_and_b32_e32 v0, 0x80000000, v10
	s_delay_alu instid0(VALU_DEP_1) | instskip(NEXT) | instid1(VALU_DEP_1)
	v_lshl_add_u32 v0, v1, 23, v0
	v_lshl_or_b32 v0, v2, 21, v0
                                        ; implicit-def: $vgpr2
	s_delay_alu instid0(VALU_DEP_1)
	v_add_nc_u32_e32 v1, 0x38000000, v0
.LBB6_1440:                             ;   in Loop: Header=BB6_136 Depth=3
	s_and_not1_saveexec_b32 s76, s13
; %bb.1441:                             ;   in Loop: Header=BB6_136 Depth=3
	v_cmp_lt_i32_e64 s13, -1, v10
	v_mov_b32_e32 v0, 0x7f800000
	v_cmp_eq_u32_e32 vcc_lo, 0, v2
	s_delay_alu instid0(VALU_DEP_2) | instskip(NEXT) | instid1(VALU_DEP_1)
	v_cndmask_b32_e64 v0, 0xff800000, v0, s13
	v_cndmask_b32_e32 v1, 0x7f800001, v0, vcc_lo
; %bb.1442:                             ;   in Loop: Header=BB6_136 Depth=3
	s_or_b32 exec_lo, exec_lo, s76
.LBB6_1443:                             ;   in Loop: Header=BB6_136 Depth=3
	s_delay_alu instid0(SALU_CYCLE_1)
	s_or_b32 exec_lo, exec_lo, s75
.LBB6_1444:                             ;   in Loop: Header=BB6_136 Depth=3
	s_delay_alu instid0(SALU_CYCLE_1) | instskip(NEXT) | instid1(VALU_DEP_1)
	s_or_b32 exec_lo, exec_lo, s74
	v_dual_mul_f32 v2, s73, v1 :: v_dual_mov_b32 v5, v113
	v_mov_b32_e32 v1, v113
                                        ; implicit-def: $vgpr97
	s_mov_b32 s13, exec_lo
	s_delay_alu instid0(VALU_DEP_2) | instskip(SKIP_2) | instid1(VALU_DEP_3)
	v_and_b32_e32 v4, 0x7f800000, v2
	v_and_b32_e32 v0, 0x7fffff, v2
	v_lshrrev_b32_e32 v3, 24, v2
	v_cmpx_ne_u64_e32 0x7f800000, v[4:5]
	s_xor_b32 s74, exec_lo, s13
	s_cbranch_execz .LBB6_1458
; %bb.1445:                             ;   in Loop: Header=BB6_136 Depth=3
	v_and_b32_e32 v4, 0x7fffffff, v2
	v_mov_b32_e32 v5, v113
                                        ; implicit-def: $vgpr97
	s_delay_alu instid0(VALU_DEP_1) | instskip(SKIP_2) | instid1(SALU_CYCLE_1)
	v_cmp_gt_u64_e32 vcc_lo, 0x47600001, v[4:5]
	v_and_b32_e32 v4, 0x80, v3
	s_and_saveexec_b32 s13, vcc_lo
	s_xor_b32 s75, exec_lo, s13
	s_cbranch_execz .LBB6_1455
; %bb.1446:                             ;   in Loop: Header=BB6_136 Depth=3
	v_mov_b32_e32 v97, 0
	s_mov_b32 s76, exec_lo
	v_cmpx_ne_u32_e32 0, v2
	s_cbranch_execz .LBB6_1454
; %bb.1447:                             ;   in Loop: Header=BB6_136 Depth=3
	v_bfe_u32 v5, v2, 23, 8
	v_or_b32_e32 v3, 0x800000, v0
	s_delay_alu instid0(VALU_DEP_2) | instskip(SKIP_2) | instid1(VALU_DEP_2)
	v_cmp_gt_u32_e64 s13, 0x72, v5
	v_sub_nc_u32_e32 v2, 0x71, v5
	v_cmp_eq_u32_e32 vcc_lo, 0, v5
	v_dual_cndmask_b32 v2, 0, v2, s13 :: v_dual_cndmask_b32 v0, v3, v0, vcc_lo
	s_delay_alu instid0(VALU_DEP_1) | instskip(NEXT) | instid1(VALU_DEP_1)
	v_cndmask_b32_e64 v7, v2, 0x70, vcc_lo
	v_dual_add_nc_u32 v2, 21, v7 :: v_dual_add_nc_u32 v8, 20, v7
	s_delay_alu instid0(VALU_DEP_1) | instskip(NEXT) | instid1(VALU_DEP_2)
	v_lshlrev_b64_e64 v[2:3], v2, -1
	v_lshlrev_b64_e64 v[8:9], v8, 1
	s_delay_alu instid0(VALU_DEP_2) | instskip(SKIP_1) | instid1(VALU_DEP_4)
	v_bfi_b32 v2, v2, 0, v0
	v_lshrrev_b64 v[0:1], v7, v[0:1]
	v_bfi_b32 v3, v3, 0, 0
	s_delay_alu instid0(VALU_DEP_1) | instskip(NEXT) | instid1(VALU_DEP_3)
	v_cmp_eq_u64_e64 s13, v[2:3], v[8:9]
	v_mov_b64_e32 v[2:3], v[0:1]
	s_and_saveexec_b32 s77, s13
; %bb.1448:                             ;   in Loop: Header=BB6_136 Depth=3
	v_bfe_u32 v2, v0, 21, 1
	v_mov_b32_e32 v3, v113
	s_delay_alu instid0(VALU_DEP_1) | instskip(NEXT) | instid1(VALU_DEP_1)
	v_add_nc_u64_e32 v[2:3], v[0:1], v[2:3]
	v_add_nc_u64_e32 v[2:3], -1, v[2:3]
; %bb.1449:                             ;   in Loop: Header=BB6_136 Depth=3
	s_or_b32 exec_lo, exec_lo, s77
	v_add_nc_u32_e32 v1, 0xffffff81, v5
	v_lshrrev_b32_e32 v3, 23, v0
	s_mov_b32 s13, exec_lo
	s_delay_alu instid0(VALU_DEP_2) | instskip(NEXT) | instid1(VALU_DEP_1)
	v_cndmask_b32_e64 v1, v1, 0xffffff82, vcc_lo
	v_add3_u32 v5, v7, v1, v3
	v_and_b32_e32 v1, 0x1fffff, v2
                                        ; implicit-def: $vgpr2
	s_delay_alu instid0(VALU_DEP_1) | instskip(SKIP_1) | instid1(VALU_DEP_2)
	v_dual_add_nc_u32 v3, 14, v5 :: v_dual_add_nc_u32 v0, v1, v0
	v_mov_b32_e32 v1, v113
	v_cmpx_ne_u32_e32 0, v3
	s_xor_b32 s13, exec_lo, s13
; %bb.1450:                             ;   in Loop: Header=BB6_136 Depth=3
	s_delay_alu instid0(VALU_DEP_2) | instskip(SKIP_1) | instid1(VALU_DEP_1)
	v_cmp_lt_u64_e32 vcc_lo, 0xffffff, v[0:1]
	v_add_nc_u32_e32 v2, 15, v5
	v_cndmask_b32_e32 v2, v3, v2, vcc_lo
	v_cndmask_b32_e64 v3, 0, 1, vcc_lo
	s_delay_alu instid0(VALU_DEP_1)
	v_lshrrev_b64 v[0:1], v3, v[0:1]
; %bb.1451:                             ;   in Loop: Header=BB6_136 Depth=3
	s_and_not1_saveexec_b32 s13, s13
; %bb.1452:                             ;   in Loop: Header=BB6_136 Depth=3
	s_delay_alu instid0(VALU_DEP_1)
	v_bfe_u32 v2, v0, 23, 1
; %bb.1453:                             ;   in Loop: Header=BB6_136 Depth=3
	s_or_b32 exec_lo, exec_lo, s13
	s_delay_alu instid0(VALU_DEP_2) | instskip(NEXT) | instid1(VALU_DEP_2)
	v_lshrrev_b64 v[0:1], 21, v[0:1]
	v_cmp_gt_i32_e32 vcc_lo, 32, v2
	v_min_i32_e32 v3, 31, v2
	v_cmp_eq_u32_e64 s13, 0, v2
	s_delay_alu instid0(VALU_DEP_2) | instskip(SKIP_1) | instid1(VALU_DEP_2)
	v_dual_cndmask_b32 v1, 0, v1, vcc_lo :: v_dual_lshlrev_b32 v3, 2, v3
	v_cndmask_b32_e32 v0, 3, v0, vcc_lo
	v_and_b32_e32 v3, 0xfc, v3
	s_delay_alu instid0(VALU_DEP_2) | instskip(NEXT) | instid1(VALU_DEP_2)
	v_cmp_eq_u64_e32 vcc_lo, 0, v[0:1]
	v_and_or_b32 v0, v0, 3, v3
	s_and_b32 s13, s13, vcc_lo
	s_delay_alu instid0(VALU_DEP_1) | instid1(SALU_CYCLE_1)
	v_cndmask_b32_e64 v0, v0, 0, s13
	s_delay_alu instid0(VALU_DEP_1)
	v_or_b32_e32 v97, v0, v4
.LBB6_1454:                             ;   in Loop: Header=BB6_136 Depth=3
	s_or_b32 exec_lo, exec_lo, s76
                                        ; implicit-def: $vgpr4
.LBB6_1455:                             ;   in Loop: Header=BB6_136 Depth=3
	s_and_not1_saveexec_b32 s13, s75
; %bb.1456:                             ;   in Loop: Header=BB6_136 Depth=3
	v_or_b32_e32 v97, 0x7b, v4
; %bb.1457:                             ;   in Loop: Header=BB6_136 Depth=3
	s_or_b32 exec_lo, exec_lo, s13
                                        ; implicit-def: $vgpr2
                                        ; implicit-def: $vgpr0_vgpr1
                                        ; implicit-def: $vgpr3
.LBB6_1458:                             ;   in Loop: Header=BB6_136 Depth=3
	s_and_not1_saveexec_b32 s13, s74
	s_cbranch_execz .LBB6_1464
; %bb.1459:                             ;   in Loop: Header=BB6_136 Depth=3
	s_mov_b32 s74, exec_lo
                                        ; implicit-def: $vgpr97
	v_cmpx_ne_u64_e32 0, v[0:1]
	s_xor_b32 s74, exec_lo, s74
; %bb.1460:                             ;   in Loop: Header=BB6_136 Depth=3
	v_or_b32_e32 v97, 0x7f, v3
                                        ; implicit-def: $vgpr2
; %bb.1461:                             ;   in Loop: Header=BB6_136 Depth=3
	s_and_not1_saveexec_b32 s74, s74
; %bb.1462:                             ;   in Loop: Header=BB6_136 Depth=3
	v_cmp_lt_i32_e32 vcc_lo, -1, v2
	v_mov_b32_e32 v0, 0x7c
	s_delay_alu instid0(VALU_DEP_1)
	v_cndmask_b32_e32 v97, 0xfc, v0, vcc_lo
; %bb.1463:                             ;   in Loop: Header=BB6_136 Depth=3
	s_or_b32 exec_lo, exec_lo, s74
.LBB6_1464:                             ;   in Loop: Header=BB6_136 Depth=3
	s_delay_alu instid0(SALU_CYCLE_1) | instskip(SKIP_4) | instid1(VALU_DEP_3)
	s_or_b32 exec_lo, exec_lo, s13
	v_and_b32_e32 v3, 0xff, v11
	v_dual_mov_b32 v0, v11 :: v_dual_mov_b32 v1, v113
	v_mov_b32_e32 v2, 0
	s_mov_b32 s74, exec_lo
	v_cmpx_ne_u16_e32 0, v3
	s_cbranch_execz .LBB6_1474
; %bb.1465:                             ;   in Loop: Header=BB6_136 Depth=3
	v_bfrev_b32_e32 v2, 1
	s_mov_b32 s75, exec_lo
	v_cmpx_ne_u16_e32 0x80, v3
	s_cbranch_execz .LBB6_1473
; %bb.1466:                             ;   in Loop: Header=BB6_136 Depth=3
	v_and_b32_e32 v2, 0x7c, v11
	v_and_b32_e32 v3, 3, v11
	s_delay_alu instid0(VALU_DEP_2) | instskip(SKIP_1) | instid1(SALU_CYCLE_1)
	v_cmp_ne_u32_e32 vcc_lo, 0x7c, v2
                                        ; implicit-def: $vgpr2
	s_and_saveexec_b32 s13, vcc_lo
	s_xor_b32 s13, exec_lo, s13
	s_cbranch_execz .LBB6_1470
; %bb.1467:                             ;   in Loop: Header=BB6_136 Depth=3
	v_bfe_u32 v2, v11, 2, 5
	s_mov_b32 s76, exec_lo
	s_delay_alu instid0(VALU_DEP_1)
	v_cmpx_eq_u32_e32 0, v2
; %bb.1468:                             ;   in Loop: Header=BB6_136 Depth=3
	v_clz_i32_u32_e32 v2, v3
	s_delay_alu instid0(VALU_DEP_1) | instskip(NEXT) | instid1(VALU_DEP_1)
	v_min_u32_e32 v2, 32, v2
	v_subrev_nc_u32_e32 v3, 29, v2
	s_delay_alu instid0(VALU_DEP_1) | instskip(NEXT) | instid1(VALU_DEP_1)
	v_lshlrev_b64_e32 v[4:5], v3, v[0:1]
	v_dual_sub_nc_u32 v2, 30, v2 :: v_dual_bitop2_b32 v3, 3, v4 bitop3:0x40
; %bb.1469:                             ;   in Loop: Header=BB6_136 Depth=3
	s_or_b32 exec_lo, exec_lo, s76
	v_lshlrev_b32_e32 v1, 24, v11
	s_delay_alu instid0(VALU_DEP_1) | instskip(NEXT) | instid1(VALU_DEP_1)
	v_and_b32_e32 v1, 0x80000000, v1
	v_lshl_add_u32 v1, v2, 23, v1
	s_delay_alu instid0(VALU_DEP_1) | instskip(NEXT) | instid1(VALU_DEP_1)
	v_lshl_or_b32 v1, v3, 21, v1
                                        ; implicit-def: $vgpr3
	v_add_nc_u32_e32 v2, 0x38000000, v1
.LBB6_1470:                             ;   in Loop: Header=BB6_136 Depth=3
	s_and_not1_saveexec_b32 s76, s13
; %bb.1471:                             ;   in Loop: Header=BB6_136 Depth=3
	v_bfe_i32 v1, v11, 0, 8
	v_cmp_eq_u32_e32 vcc_lo, 0, v3
	s_delay_alu instid0(VALU_DEP_2) | instskip(SKIP_1) | instid1(VALU_DEP_1)
	v_cmp_lt_i16_e64 s13, -1, v1
	v_mov_b32_e32 v1, 0x7f800000
	v_cndmask_b32_e64 v1, 0xff800000, v1, s13
	s_delay_alu instid0(VALU_DEP_1)
	v_cndmask_b32_e32 v2, 0x7f800001, v1, vcc_lo
; %bb.1472:                             ;   in Loop: Header=BB6_136 Depth=3
	s_or_b32 exec_lo, exec_lo, s76
.LBB6_1473:                             ;   in Loop: Header=BB6_136 Depth=3
	s_delay_alu instid0(SALU_CYCLE_1)
	s_or_b32 exec_lo, exec_lo, s75
.LBB6_1474:                             ;   in Loop: Header=BB6_136 Depth=3
	s_delay_alu instid0(SALU_CYCLE_1) | instskip(NEXT) | instid1(VALU_DEP_1)
	s_or_b32 exec_lo, exec_lo, s74
	v_dual_mul_f32 v4, s73, v2 :: v_dual_mov_b32 v9, v113
	v_mov_b32_e32 v3, v113
                                        ; implicit-def: $vgpr98
	s_mov_b32 s13, exec_lo
	s_delay_alu instid0(VALU_DEP_2) | instskip(SKIP_2) | instid1(VALU_DEP_3)
	v_and_b32_e32 v8, 0x7f800000, v4
	v_and_b32_e32 v2, 0x7fffff, v4
	v_lshrrev_b32_e32 v1, 24, v4
	v_cmpx_ne_u64_e32 0x7f800000, v[8:9]
	s_xor_b32 s74, exec_lo, s13
	s_cbranch_execz .LBB6_1488
; %bb.1475:                             ;   in Loop: Header=BB6_136 Depth=3
	v_and_b32_e32 v8, 0x7fffffff, v4
	v_mov_b32_e32 v9, v113
	v_and_b32_e32 v1, 0x80, v1
                                        ; implicit-def: $vgpr98
	s_mov_b32 s13, exec_lo
	s_delay_alu instid0(VALU_DEP_2)
	v_cmpx_gt_u64_e32 0x47600001, v[8:9]
	s_xor_b32 s75, exec_lo, s13
	s_cbranch_execz .LBB6_1485
; %bb.1476:                             ;   in Loop: Header=BB6_136 Depth=3
	v_mov_b32_e32 v98, 0
	s_mov_b32 s76, exec_lo
	v_cmpx_ne_u32_e32 0, v4
	s_cbranch_execz .LBB6_1484
; %bb.1477:                             ;   in Loop: Header=BB6_136 Depth=3
	v_bfe_u32 v7, v4, 23, 8
	v_or_b32_e32 v5, 0x800000, v2
	s_delay_alu instid0(VALU_DEP_2) | instskip(SKIP_2) | instid1(VALU_DEP_2)
	v_cmp_gt_u32_e64 s13, 0x72, v7
	v_sub_nc_u32_e32 v4, 0x71, v7
	v_cmp_eq_u32_e32 vcc_lo, 0, v7
	v_dual_cndmask_b32 v4, 0, v4, s13 :: v_dual_cndmask_b32 v2, v5, v2, vcc_lo
	s_delay_alu instid0(VALU_DEP_1) | instskip(NEXT) | instid1(VALU_DEP_1)
	v_cndmask_b32_e64 v8, v4, 0x70, vcc_lo
	v_dual_add_nc_u32 v4, 21, v8 :: v_dual_add_nc_u32 v9, 20, v8
	s_delay_alu instid0(VALU_DEP_1) | instskip(NEXT) | instid1(VALU_DEP_2)
	v_lshlrev_b64_e64 v[4:5], v4, -1
	v_lshlrev_b64_e64 v[14:15], v9, 1
	s_delay_alu instid0(VALU_DEP_2) | instskip(SKIP_1) | instid1(VALU_DEP_4)
	v_bfi_b32 v4, v4, 0, v2
	v_lshrrev_b64 v[2:3], v8, v[2:3]
	v_bfi_b32 v5, v5, 0, 0
	s_delay_alu instid0(VALU_DEP_1) | instskip(NEXT) | instid1(VALU_DEP_3)
	v_cmp_eq_u64_e64 s13, v[4:5], v[14:15]
	v_mov_b64_e32 v[4:5], v[2:3]
	s_and_saveexec_b32 s77, s13
; %bb.1478:                             ;   in Loop: Header=BB6_136 Depth=3
	v_bfe_u32 v4, v2, 21, 1
	v_mov_b32_e32 v5, v113
	s_delay_alu instid0(VALU_DEP_1) | instskip(NEXT) | instid1(VALU_DEP_1)
	v_add_nc_u64_e32 v[4:5], v[2:3], v[4:5]
	v_add_nc_u64_e32 v[4:5], -1, v[4:5]
; %bb.1479:                             ;   in Loop: Header=BB6_136 Depth=3
	s_or_b32 exec_lo, exec_lo, s77
	v_add_nc_u32_e32 v3, 0xffffff81, v7
	v_lshrrev_b32_e32 v5, 23, v2
	s_mov_b32 s13, exec_lo
	s_delay_alu instid0(VALU_DEP_2) | instskip(NEXT) | instid1(VALU_DEP_1)
	v_cndmask_b32_e64 v3, v3, 0xffffff82, vcc_lo
	v_add3_u32 v7, v8, v3, v5
	v_and_b32_e32 v3, 0x1fffff, v4
                                        ; implicit-def: $vgpr4
	s_delay_alu instid0(VALU_DEP_1) | instskip(SKIP_1) | instid1(VALU_DEP_2)
	v_dual_add_nc_u32 v5, 14, v7 :: v_dual_add_nc_u32 v2, v3, v2
	v_mov_b32_e32 v3, v113
	v_cmpx_ne_u32_e32 0, v5
	s_xor_b32 s13, exec_lo, s13
; %bb.1480:                             ;   in Loop: Header=BB6_136 Depth=3
	s_delay_alu instid0(VALU_DEP_2) | instskip(SKIP_1) | instid1(VALU_DEP_1)
	v_cmp_lt_u64_e32 vcc_lo, 0xffffff, v[2:3]
	v_add_nc_u32_e32 v4, 15, v7
	v_cndmask_b32_e32 v4, v5, v4, vcc_lo
	v_cndmask_b32_e64 v5, 0, 1, vcc_lo
	s_delay_alu instid0(VALU_DEP_1)
	v_lshrrev_b64 v[2:3], v5, v[2:3]
; %bb.1481:                             ;   in Loop: Header=BB6_136 Depth=3
	s_and_not1_saveexec_b32 s13, s13
; %bb.1482:                             ;   in Loop: Header=BB6_136 Depth=3
	s_delay_alu instid0(VALU_DEP_1)
	v_bfe_u32 v4, v2, 23, 1
; %bb.1483:                             ;   in Loop: Header=BB6_136 Depth=3
	s_or_b32 exec_lo, exec_lo, s13
	s_delay_alu instid0(VALU_DEP_2) | instskip(NEXT) | instid1(VALU_DEP_2)
	v_lshrrev_b64 v[2:3], 21, v[2:3]
	v_cmp_gt_i32_e32 vcc_lo, 32, v4
	v_min_i32_e32 v5, 31, v4
	v_cmp_eq_u32_e64 s13, 0, v4
	s_delay_alu instid0(VALU_DEP_2) | instskip(SKIP_1) | instid1(VALU_DEP_2)
	v_dual_cndmask_b32 v3, 0, v3, vcc_lo :: v_dual_lshlrev_b32 v5, 2, v5
	v_cndmask_b32_e32 v2, 3, v2, vcc_lo
	v_and_b32_e32 v5, 0xfc, v5
	s_delay_alu instid0(VALU_DEP_2) | instskip(NEXT) | instid1(VALU_DEP_2)
	v_cmp_eq_u64_e32 vcc_lo, 0, v[2:3]
	v_and_or_b32 v2, v2, 3, v5
	s_and_b32 s13, s13, vcc_lo
	s_delay_alu instid0(VALU_DEP_1) | instid1(SALU_CYCLE_1)
	v_cndmask_b32_e64 v2, v2, 0, s13
	s_delay_alu instid0(VALU_DEP_1)
	v_or_b32_e32 v98, v2, v1
.LBB6_1484:                             ;   in Loop: Header=BB6_136 Depth=3
	s_or_b32 exec_lo, exec_lo, s76
                                        ; implicit-def: $vgpr1
.LBB6_1485:                             ;   in Loop: Header=BB6_136 Depth=3
	s_and_not1_saveexec_b32 s13, s75
; %bb.1486:                             ;   in Loop: Header=BB6_136 Depth=3
	v_or_b32_e32 v98, 0x7b, v1
; %bb.1487:                             ;   in Loop: Header=BB6_136 Depth=3
	s_or_b32 exec_lo, exec_lo, s13
                                        ; implicit-def: $vgpr4
                                        ; implicit-def: $vgpr2_vgpr3
                                        ; implicit-def: $vgpr1
.LBB6_1488:                             ;   in Loop: Header=BB6_136 Depth=3
	s_and_not1_saveexec_b32 s13, s74
	s_cbranch_execz .LBB6_1494
; %bb.1489:                             ;   in Loop: Header=BB6_136 Depth=3
	s_mov_b32 s74, exec_lo
                                        ; implicit-def: $vgpr98
	v_cmpx_ne_u64_e32 0, v[2:3]
	s_xor_b32 s74, exec_lo, s74
; %bb.1490:                             ;   in Loop: Header=BB6_136 Depth=3
	v_or_b32_e32 v98, 0x7f, v1
                                        ; implicit-def: $vgpr4
; %bb.1491:                             ;   in Loop: Header=BB6_136 Depth=3
	s_and_not1_saveexec_b32 s74, s74
; %bb.1492:                             ;   in Loop: Header=BB6_136 Depth=3
	v_cmp_lt_i32_e32 vcc_lo, -1, v4
	v_mov_b32_e32 v1, 0x7c
	s_delay_alu instid0(VALU_DEP_1)
	v_cndmask_b32_e32 v98, 0xfc, v1, vcc_lo
; %bb.1493:                             ;   in Loop: Header=BB6_136 Depth=3
	s_or_b32 exec_lo, exec_lo, s74
.LBB6_1494:                             ;   in Loop: Header=BB6_136 Depth=3
	s_delay_alu instid0(SALU_CYCLE_1) | instskip(SKIP_3) | instid1(VALU_DEP_2)
	s_or_b32 exec_lo, exec_lo, s13
	v_lshrrev_b16 v2, 8, v0
	v_mov_b32_e32 v3, 0
	s_mov_b32 s74, exec_lo
	v_cmpx_ne_u16_e32 0, v2
	s_cbranch_execz .LBB6_1504
; %bb.1495:                             ;   in Loop: Header=BB6_136 Depth=3
	v_bfrev_b32_e32 v3, 1
	s_mov_b32 s75, exec_lo
	v_cmpx_ne_u16_e32 0x80, v2
	s_cbranch_execz .LBB6_1503
; %bb.1496:                             ;   in Loop: Header=BB6_136 Depth=3
	v_and_b32_e32 v1, 0xffff, v2
	s_delay_alu instid0(VALU_DEP_1) | instskip(SKIP_1) | instid1(VALU_DEP_2)
	v_and_b32_e32 v3, 0x7c, v1
	v_and_b32_e32 v4, 3, v1
	v_cmp_ne_u32_e32 vcc_lo, 0x7c, v3
                                        ; implicit-def: $vgpr3
	s_and_saveexec_b32 s13, vcc_lo
	s_delay_alu instid0(SALU_CYCLE_1)
	s_xor_b32 s13, exec_lo, s13
	s_cbranch_execz .LBB6_1500
; %bb.1497:                             ;   in Loop: Header=BB6_136 Depth=3
	v_bfe_u32 v1, v1, 2, 5
	s_mov_b32 s76, exec_lo
	s_delay_alu instid0(VALU_DEP_1)
	v_cmpx_eq_u32_e32 0, v1
	s_cbranch_execz .LBB6_1499
; %bb.1498:                             ;   in Loop: Header=BB6_136 Depth=3
	v_clz_i32_u32_e32 v1, v4
	s_delay_alu instid0(VALU_DEP_1) | instskip(SKIP_1) | instid1(VALU_DEP_2)
	v_min_u32_e32 v1, 32, v1
	v_mov_b32_e32 v3, v113
	v_subrev_nc_u32_e32 v4, 29, v1
	v_sub_nc_u32_e32 v1, 30, v1
	s_delay_alu instid0(VALU_DEP_2) | instskip(NEXT) | instid1(VALU_DEP_1)
	v_lshlrev_b64_e32 v[2:3], v4, v[2:3]
	v_and_b32_e32 v4, 3, v2
.LBB6_1499:                             ;   in Loop: Header=BB6_136 Depth=3
	s_or_b32 exec_lo, exec_lo, s76
	v_lshlrev_b32_e32 v0, 16, v0
	s_delay_alu instid0(VALU_DEP_1) | instskip(NEXT) | instid1(VALU_DEP_1)
	v_and_b32_e32 v0, 0x80000000, v0
	v_lshl_add_u32 v0, v1, 23, v0
	s_delay_alu instid0(VALU_DEP_1) | instskip(NEXT) | instid1(VALU_DEP_1)
	v_lshl_or_b32 v0, v4, 21, v0
                                        ; implicit-def: $vgpr4
	v_add_nc_u32_e32 v3, 0x38000000, v0
                                        ; implicit-def: $vgpr0_vgpr1
.LBB6_1500:                             ;   in Loop: Header=BB6_136 Depth=3
	s_and_not1_saveexec_b32 s76, s13
; %bb.1501:                             ;   in Loop: Header=BB6_136 Depth=3
	v_cmp_lt_i16_e64 s13, -1, v0
	v_mov_b32_e32 v0, 0x7f800000
	v_cmp_eq_u32_e32 vcc_lo, 0, v4
	s_delay_alu instid0(VALU_DEP_2) | instskip(NEXT) | instid1(VALU_DEP_1)
	v_cndmask_b32_e64 v0, 0xff800000, v0, s13
	v_cndmask_b32_e32 v3, 0x7f800001, v0, vcc_lo
; %bb.1502:                             ;   in Loop: Header=BB6_136 Depth=3
	s_or_b32 exec_lo, exec_lo, s76
.LBB6_1503:                             ;   in Loop: Header=BB6_136 Depth=3
	s_delay_alu instid0(SALU_CYCLE_1)
	s_or_b32 exec_lo, exec_lo, s75
.LBB6_1504:                             ;   in Loop: Header=BB6_136 Depth=3
	s_delay_alu instid0(SALU_CYCLE_1) | instskip(NEXT) | instid1(VALU_DEP_1)
	s_or_b32 exec_lo, exec_lo, s74
	v_dual_mul_f32 v2, s73, v3 :: v_dual_mov_b32 v5, v113
	v_mov_b32_e32 v1, v113
                                        ; implicit-def: $vgpr99
	s_mov_b32 s13, exec_lo
	s_delay_alu instid0(VALU_DEP_2) | instskip(SKIP_2) | instid1(VALU_DEP_3)
	v_and_b32_e32 v4, 0x7f800000, v2
	v_and_b32_e32 v0, 0x7fffff, v2
	v_lshrrev_b32_e32 v3, 24, v2
	v_cmpx_ne_u64_e32 0x7f800000, v[4:5]
	s_xor_b32 s74, exec_lo, s13
	s_cbranch_execz .LBB6_1518
; %bb.1505:                             ;   in Loop: Header=BB6_136 Depth=3
	v_and_b32_e32 v4, 0x7fffffff, v2
	v_mov_b32_e32 v5, v113
                                        ; implicit-def: $vgpr99
	s_delay_alu instid0(VALU_DEP_1) | instskip(SKIP_2) | instid1(SALU_CYCLE_1)
	v_cmp_gt_u64_e32 vcc_lo, 0x47600001, v[4:5]
	v_and_b32_e32 v4, 0x80, v3
	s_and_saveexec_b32 s13, vcc_lo
	s_xor_b32 s75, exec_lo, s13
	s_cbranch_execz .LBB6_1515
; %bb.1506:                             ;   in Loop: Header=BB6_136 Depth=3
	v_mov_b32_e32 v99, 0
	s_mov_b32 s76, exec_lo
	v_cmpx_ne_u32_e32 0, v2
	s_cbranch_execz .LBB6_1514
; %bb.1507:                             ;   in Loop: Header=BB6_136 Depth=3
	v_bfe_u32 v5, v2, 23, 8
	v_or_b32_e32 v3, 0x800000, v0
	s_delay_alu instid0(VALU_DEP_2) | instskip(SKIP_2) | instid1(VALU_DEP_2)
	v_cmp_gt_u32_e64 s13, 0x72, v5
	v_sub_nc_u32_e32 v2, 0x71, v5
	v_cmp_eq_u32_e32 vcc_lo, 0, v5
	v_dual_cndmask_b32 v2, 0, v2, s13 :: v_dual_cndmask_b32 v0, v3, v0, vcc_lo
	s_delay_alu instid0(VALU_DEP_1) | instskip(NEXT) | instid1(VALU_DEP_1)
	v_cndmask_b32_e64 v7, v2, 0x70, vcc_lo
	v_dual_add_nc_u32 v2, 21, v7 :: v_dual_add_nc_u32 v8, 20, v7
	s_delay_alu instid0(VALU_DEP_1) | instskip(NEXT) | instid1(VALU_DEP_2)
	v_lshlrev_b64_e64 v[2:3], v2, -1
	v_lshlrev_b64_e64 v[8:9], v8, 1
	s_delay_alu instid0(VALU_DEP_2) | instskip(SKIP_1) | instid1(VALU_DEP_4)
	v_bfi_b32 v2, v2, 0, v0
	v_lshrrev_b64 v[0:1], v7, v[0:1]
	v_bfi_b32 v3, v3, 0, 0
	s_delay_alu instid0(VALU_DEP_1) | instskip(NEXT) | instid1(VALU_DEP_3)
	v_cmp_eq_u64_e64 s13, v[2:3], v[8:9]
	v_mov_b64_e32 v[2:3], v[0:1]
	s_and_saveexec_b32 s77, s13
; %bb.1508:                             ;   in Loop: Header=BB6_136 Depth=3
	v_bfe_u32 v2, v0, 21, 1
	v_mov_b32_e32 v3, v113
	s_delay_alu instid0(VALU_DEP_1) | instskip(NEXT) | instid1(VALU_DEP_1)
	v_add_nc_u64_e32 v[2:3], v[0:1], v[2:3]
	v_add_nc_u64_e32 v[2:3], -1, v[2:3]
; %bb.1509:                             ;   in Loop: Header=BB6_136 Depth=3
	s_or_b32 exec_lo, exec_lo, s77
	v_add_nc_u32_e32 v1, 0xffffff81, v5
	v_lshrrev_b32_e32 v3, 23, v0
	s_mov_b32 s13, exec_lo
	s_delay_alu instid0(VALU_DEP_2) | instskip(NEXT) | instid1(VALU_DEP_1)
	v_cndmask_b32_e64 v1, v1, 0xffffff82, vcc_lo
	v_add3_u32 v5, v7, v1, v3
	v_and_b32_e32 v1, 0x1fffff, v2
                                        ; implicit-def: $vgpr2
	s_delay_alu instid0(VALU_DEP_1) | instskip(SKIP_1) | instid1(VALU_DEP_2)
	v_dual_add_nc_u32 v3, 14, v5 :: v_dual_add_nc_u32 v0, v1, v0
	v_mov_b32_e32 v1, v113
	v_cmpx_ne_u32_e32 0, v3
	s_xor_b32 s13, exec_lo, s13
; %bb.1510:                             ;   in Loop: Header=BB6_136 Depth=3
	s_delay_alu instid0(VALU_DEP_2) | instskip(SKIP_1) | instid1(VALU_DEP_1)
	v_cmp_lt_u64_e32 vcc_lo, 0xffffff, v[0:1]
	v_add_nc_u32_e32 v2, 15, v5
	v_cndmask_b32_e32 v2, v3, v2, vcc_lo
	v_cndmask_b32_e64 v3, 0, 1, vcc_lo
	s_delay_alu instid0(VALU_DEP_1)
	v_lshrrev_b64 v[0:1], v3, v[0:1]
; %bb.1511:                             ;   in Loop: Header=BB6_136 Depth=3
	s_and_not1_saveexec_b32 s13, s13
; %bb.1512:                             ;   in Loop: Header=BB6_136 Depth=3
	s_delay_alu instid0(VALU_DEP_1)
	v_bfe_u32 v2, v0, 23, 1
; %bb.1513:                             ;   in Loop: Header=BB6_136 Depth=3
	s_or_b32 exec_lo, exec_lo, s13
	s_delay_alu instid0(VALU_DEP_2) | instskip(NEXT) | instid1(VALU_DEP_2)
	v_lshrrev_b64 v[0:1], 21, v[0:1]
	v_cmp_gt_i32_e32 vcc_lo, 32, v2
	v_min_i32_e32 v3, 31, v2
	v_cmp_eq_u32_e64 s13, 0, v2
	s_delay_alu instid0(VALU_DEP_2) | instskip(SKIP_1) | instid1(VALU_DEP_2)
	v_dual_cndmask_b32 v1, 0, v1, vcc_lo :: v_dual_lshlrev_b32 v3, 2, v3
	v_cndmask_b32_e32 v0, 3, v0, vcc_lo
	v_and_b32_e32 v3, 0xfc, v3
	s_delay_alu instid0(VALU_DEP_2) | instskip(NEXT) | instid1(VALU_DEP_2)
	v_cmp_eq_u64_e32 vcc_lo, 0, v[0:1]
	v_and_or_b32 v0, v0, 3, v3
	s_and_b32 s13, s13, vcc_lo
	s_delay_alu instid0(VALU_DEP_1) | instid1(SALU_CYCLE_1)
	v_cndmask_b32_e64 v0, v0, 0, s13
	s_delay_alu instid0(VALU_DEP_1)
	v_or_b32_e32 v99, v0, v4
.LBB6_1514:                             ;   in Loop: Header=BB6_136 Depth=3
	s_or_b32 exec_lo, exec_lo, s76
                                        ; implicit-def: $vgpr4
.LBB6_1515:                             ;   in Loop: Header=BB6_136 Depth=3
	s_and_not1_saveexec_b32 s13, s75
; %bb.1516:                             ;   in Loop: Header=BB6_136 Depth=3
	v_or_b32_e32 v99, 0x7b, v4
; %bb.1517:                             ;   in Loop: Header=BB6_136 Depth=3
	s_or_b32 exec_lo, exec_lo, s13
                                        ; implicit-def: $vgpr2
                                        ; implicit-def: $vgpr0_vgpr1
                                        ; implicit-def: $vgpr3
.LBB6_1518:                             ;   in Loop: Header=BB6_136 Depth=3
	s_and_not1_saveexec_b32 s13, s74
	s_cbranch_execz .LBB6_1524
; %bb.1519:                             ;   in Loop: Header=BB6_136 Depth=3
	s_mov_b32 s74, exec_lo
                                        ; implicit-def: $vgpr99
	v_cmpx_ne_u64_e32 0, v[0:1]
	s_xor_b32 s74, exec_lo, s74
; %bb.1520:                             ;   in Loop: Header=BB6_136 Depth=3
	v_or_b32_e32 v99, 0x7f, v3
                                        ; implicit-def: $vgpr2
; %bb.1521:                             ;   in Loop: Header=BB6_136 Depth=3
	s_and_not1_saveexec_b32 s74, s74
; %bb.1522:                             ;   in Loop: Header=BB6_136 Depth=3
	v_cmp_lt_i32_e32 vcc_lo, -1, v2
	v_mov_b32_e32 v0, 0x7c
	s_delay_alu instid0(VALU_DEP_1)
	v_cndmask_b32_e32 v99, 0xfc, v0, vcc_lo
; %bb.1523:                             ;   in Loop: Header=BB6_136 Depth=3
	s_or_b32 exec_lo, exec_lo, s74
.LBB6_1524:                             ;   in Loop: Header=BB6_136 Depth=3
	s_delay_alu instid0(SALU_CYCLE_1) | instskip(SKIP_2) | instid1(VALU_DEP_1)
	s_or_b32 exec_lo, exec_lo, s13
	v_dual_mov_b32 v1, 0 :: v_dual_lshrrev_b32 v0, 16, v11
	s_mov_b32 s74, exec_lo
	v_and_b32_e32 v2, 0xff, v0
	s_delay_alu instid0(VALU_DEP_1)
	v_cmpx_ne_u16_e32 0, v2
	s_cbranch_execz .LBB6_1534
; %bb.1525:                             ;   in Loop: Header=BB6_136 Depth=3
	v_bfrev_b32_e32 v1, 1
	s_mov_b32 s75, exec_lo
	v_cmpx_ne_u16_e32 0x80, v2
	s_cbranch_execz .LBB6_1533
; %bb.1526:                             ;   in Loop: Header=BB6_136 Depth=3
	v_and_b32_e32 v1, 0x7c0000, v11
	v_bfe_u32 v2, v11, 16, 2
	s_delay_alu instid0(VALU_DEP_2) | instskip(SKIP_1) | instid1(SALU_CYCLE_1)
	v_cmp_ne_u32_e32 vcc_lo, 0x7c0000, v1
                                        ; implicit-def: $vgpr1
	s_and_saveexec_b32 s13, vcc_lo
	s_xor_b32 s13, exec_lo, s13
	s_cbranch_execz .LBB6_1530
; %bb.1527:                             ;   in Loop: Header=BB6_136 Depth=3
	v_bfe_u32 v1, v11, 18, 5
	s_mov_b32 s76, exec_lo
	s_delay_alu instid0(VALU_DEP_1)
	v_cmpx_eq_u32_e32 0, v1
; %bb.1528:                             ;   in Loop: Header=BB6_136 Depth=3
	v_clz_i32_u32_e32 v1, v2
	s_delay_alu instid0(VALU_DEP_1) | instskip(NEXT) | instid1(VALU_DEP_1)
	v_min_u32_e32 v1, 32, v1
	v_subrev_nc_u32_e32 v2, 29, v1
	s_delay_alu instid0(VALU_DEP_1) | instskip(NEXT) | instid1(VALU_DEP_1)
	v_lshlrev_b64_e32 v[2:3], v2, v[0:1]
	v_dual_sub_nc_u32 v1, 30, v1 :: v_dual_bitop2_b32 v2, 3, v2 bitop3:0x40
; %bb.1529:                             ;   in Loop: Header=BB6_136 Depth=3
	s_or_b32 exec_lo, exec_lo, s76
	v_lshlrev_b32_e32 v0, 24, v0
	s_delay_alu instid0(VALU_DEP_1) | instskip(NEXT) | instid1(VALU_DEP_1)
	v_and_b32_e32 v0, 0x80000000, v0
	v_lshl_add_u32 v0, v1, 23, v0
	s_delay_alu instid0(VALU_DEP_1) | instskip(NEXT) | instid1(VALU_DEP_1)
	v_lshl_or_b32 v0, v2, 21, v0
                                        ; implicit-def: $vgpr2
	v_add_nc_u32_e32 v1, 0x38000000, v0
                                        ; implicit-def: $vgpr0
.LBB6_1530:                             ;   in Loop: Header=BB6_136 Depth=3
	s_and_not1_saveexec_b32 s76, s13
; %bb.1531:                             ;   in Loop: Header=BB6_136 Depth=3
	v_bfe_i32 v0, v0, 0, 8
	v_cmp_eq_u32_e32 vcc_lo, 0, v2
	s_delay_alu instid0(VALU_DEP_2) | instskip(SKIP_1) | instid1(VALU_DEP_1)
	v_cmp_lt_i16_e64 s13, -1, v0
	v_mov_b32_e32 v0, 0x7f800000
	v_cndmask_b32_e64 v0, 0xff800000, v0, s13
	s_delay_alu instid0(VALU_DEP_1)
	v_cndmask_b32_e32 v1, 0x7f800001, v0, vcc_lo
; %bb.1532:                             ;   in Loop: Header=BB6_136 Depth=3
	s_or_b32 exec_lo, exec_lo, s76
.LBB6_1533:                             ;   in Loop: Header=BB6_136 Depth=3
	s_delay_alu instid0(SALU_CYCLE_1)
	s_or_b32 exec_lo, exec_lo, s75
.LBB6_1534:                             ;   in Loop: Header=BB6_136 Depth=3
	s_delay_alu instid0(SALU_CYCLE_1) | instskip(NEXT) | instid1(VALU_DEP_1)
	s_or_b32 exec_lo, exec_lo, s74
	v_dual_mul_f32 v2, s73, v1 :: v_dual_mov_b32 v5, v113
	v_mov_b32_e32 v1, v113
                                        ; implicit-def: $vgpr100
	s_mov_b32 s13, exec_lo
	s_delay_alu instid0(VALU_DEP_2) | instskip(SKIP_2) | instid1(VALU_DEP_3)
	v_and_b32_e32 v4, 0x7f800000, v2
	v_and_b32_e32 v0, 0x7fffff, v2
	v_lshrrev_b32_e32 v3, 24, v2
	v_cmpx_ne_u64_e32 0x7f800000, v[4:5]
	s_xor_b32 s74, exec_lo, s13
	s_cbranch_execz .LBB6_1548
; %bb.1535:                             ;   in Loop: Header=BB6_136 Depth=3
	v_and_b32_e32 v4, 0x7fffffff, v2
	v_mov_b32_e32 v5, v113
                                        ; implicit-def: $vgpr100
	s_delay_alu instid0(VALU_DEP_1) | instskip(SKIP_2) | instid1(SALU_CYCLE_1)
	v_cmp_gt_u64_e32 vcc_lo, 0x47600001, v[4:5]
	v_and_b32_e32 v4, 0x80, v3
	s_and_saveexec_b32 s13, vcc_lo
	s_xor_b32 s75, exec_lo, s13
	s_cbranch_execz .LBB6_1545
; %bb.1536:                             ;   in Loop: Header=BB6_136 Depth=3
	v_mov_b32_e32 v100, 0
	s_mov_b32 s76, exec_lo
	v_cmpx_ne_u32_e32 0, v2
	s_cbranch_execz .LBB6_1544
; %bb.1537:                             ;   in Loop: Header=BB6_136 Depth=3
	v_bfe_u32 v5, v2, 23, 8
	v_or_b32_e32 v3, 0x800000, v0
	s_delay_alu instid0(VALU_DEP_2) | instskip(SKIP_2) | instid1(VALU_DEP_2)
	v_cmp_gt_u32_e64 s13, 0x72, v5
	v_sub_nc_u32_e32 v2, 0x71, v5
	v_cmp_eq_u32_e32 vcc_lo, 0, v5
	v_dual_cndmask_b32 v2, 0, v2, s13 :: v_dual_cndmask_b32 v0, v3, v0, vcc_lo
	s_delay_alu instid0(VALU_DEP_1) | instskip(NEXT) | instid1(VALU_DEP_1)
	v_cndmask_b32_e64 v7, v2, 0x70, vcc_lo
	v_dual_add_nc_u32 v2, 21, v7 :: v_dual_add_nc_u32 v8, 20, v7
	s_delay_alu instid0(VALU_DEP_1) | instskip(NEXT) | instid1(VALU_DEP_2)
	v_lshlrev_b64_e64 v[2:3], v2, -1
	v_lshlrev_b64_e64 v[8:9], v8, 1
	s_delay_alu instid0(VALU_DEP_2) | instskip(SKIP_1) | instid1(VALU_DEP_4)
	v_bfi_b32 v2, v2, 0, v0
	v_lshrrev_b64 v[0:1], v7, v[0:1]
	v_bfi_b32 v3, v3, 0, 0
	s_delay_alu instid0(VALU_DEP_1) | instskip(NEXT) | instid1(VALU_DEP_3)
	v_cmp_eq_u64_e64 s13, v[2:3], v[8:9]
	v_mov_b64_e32 v[2:3], v[0:1]
	s_and_saveexec_b32 s77, s13
; %bb.1538:                             ;   in Loop: Header=BB6_136 Depth=3
	v_bfe_u32 v2, v0, 21, 1
	v_mov_b32_e32 v3, v113
	s_delay_alu instid0(VALU_DEP_1) | instskip(NEXT) | instid1(VALU_DEP_1)
	v_add_nc_u64_e32 v[2:3], v[0:1], v[2:3]
	v_add_nc_u64_e32 v[2:3], -1, v[2:3]
; %bb.1539:                             ;   in Loop: Header=BB6_136 Depth=3
	s_or_b32 exec_lo, exec_lo, s77
	v_add_nc_u32_e32 v1, 0xffffff81, v5
	v_lshrrev_b32_e32 v3, 23, v0
	s_mov_b32 s13, exec_lo
	s_delay_alu instid0(VALU_DEP_2) | instskip(NEXT) | instid1(VALU_DEP_1)
	v_cndmask_b32_e64 v1, v1, 0xffffff82, vcc_lo
	v_add3_u32 v5, v7, v1, v3
	v_and_b32_e32 v1, 0x1fffff, v2
                                        ; implicit-def: $vgpr2
	s_delay_alu instid0(VALU_DEP_1) | instskip(SKIP_1) | instid1(VALU_DEP_2)
	v_dual_add_nc_u32 v3, 14, v5 :: v_dual_add_nc_u32 v0, v1, v0
	v_mov_b32_e32 v1, v113
	v_cmpx_ne_u32_e32 0, v3
	s_xor_b32 s13, exec_lo, s13
; %bb.1540:                             ;   in Loop: Header=BB6_136 Depth=3
	s_delay_alu instid0(VALU_DEP_2) | instskip(SKIP_1) | instid1(VALU_DEP_1)
	v_cmp_lt_u64_e32 vcc_lo, 0xffffff, v[0:1]
	v_add_nc_u32_e32 v2, 15, v5
	v_cndmask_b32_e32 v2, v3, v2, vcc_lo
	v_cndmask_b32_e64 v3, 0, 1, vcc_lo
	s_delay_alu instid0(VALU_DEP_1)
	v_lshrrev_b64 v[0:1], v3, v[0:1]
; %bb.1541:                             ;   in Loop: Header=BB6_136 Depth=3
	s_and_not1_saveexec_b32 s13, s13
; %bb.1542:                             ;   in Loop: Header=BB6_136 Depth=3
	s_delay_alu instid0(VALU_DEP_1)
	v_bfe_u32 v2, v0, 23, 1
; %bb.1543:                             ;   in Loop: Header=BB6_136 Depth=3
	s_or_b32 exec_lo, exec_lo, s13
	s_delay_alu instid0(VALU_DEP_2) | instskip(NEXT) | instid1(VALU_DEP_2)
	v_lshrrev_b64 v[0:1], 21, v[0:1]
	v_cmp_gt_i32_e32 vcc_lo, 32, v2
	v_min_i32_e32 v3, 31, v2
	v_cmp_eq_u32_e64 s13, 0, v2
	s_delay_alu instid0(VALU_DEP_2) | instskip(SKIP_1) | instid1(VALU_DEP_2)
	v_dual_cndmask_b32 v1, 0, v1, vcc_lo :: v_dual_lshlrev_b32 v3, 2, v3
	v_cndmask_b32_e32 v0, 3, v0, vcc_lo
	v_and_b32_e32 v3, 0xfc, v3
	s_delay_alu instid0(VALU_DEP_2) | instskip(NEXT) | instid1(VALU_DEP_2)
	v_cmp_eq_u64_e32 vcc_lo, 0, v[0:1]
	v_and_or_b32 v0, v0, 3, v3
	s_and_b32 s13, s13, vcc_lo
	s_delay_alu instid0(VALU_DEP_1) | instid1(SALU_CYCLE_1)
	v_cndmask_b32_e64 v0, v0, 0, s13
	s_delay_alu instid0(VALU_DEP_1)
	v_or_b32_e32 v100, v0, v4
.LBB6_1544:                             ;   in Loop: Header=BB6_136 Depth=3
	s_or_b32 exec_lo, exec_lo, s76
                                        ; implicit-def: $vgpr4
.LBB6_1545:                             ;   in Loop: Header=BB6_136 Depth=3
	s_and_not1_saveexec_b32 s13, s75
; %bb.1546:                             ;   in Loop: Header=BB6_136 Depth=3
	v_or_b32_e32 v100, 0x7b, v4
; %bb.1547:                             ;   in Loop: Header=BB6_136 Depth=3
	s_or_b32 exec_lo, exec_lo, s13
                                        ; implicit-def: $vgpr2
                                        ; implicit-def: $vgpr0_vgpr1
                                        ; implicit-def: $vgpr3
.LBB6_1548:                             ;   in Loop: Header=BB6_136 Depth=3
	s_and_not1_saveexec_b32 s13, s74
	s_cbranch_execz .LBB6_1554
; %bb.1549:                             ;   in Loop: Header=BB6_136 Depth=3
	s_mov_b32 s74, exec_lo
                                        ; implicit-def: $vgpr100
	v_cmpx_ne_u64_e32 0, v[0:1]
	s_xor_b32 s74, exec_lo, s74
; %bb.1550:                             ;   in Loop: Header=BB6_136 Depth=3
	v_or_b32_e32 v100, 0x7f, v3
                                        ; implicit-def: $vgpr2
; %bb.1551:                             ;   in Loop: Header=BB6_136 Depth=3
	s_and_not1_saveexec_b32 s74, s74
; %bb.1552:                             ;   in Loop: Header=BB6_136 Depth=3
	v_cmp_lt_i32_e32 vcc_lo, -1, v2
	v_mov_b32_e32 v0, 0x7c
	s_delay_alu instid0(VALU_DEP_1)
	v_cndmask_b32_e32 v100, 0xfc, v0, vcc_lo
; %bb.1553:                             ;   in Loop: Header=BB6_136 Depth=3
	s_or_b32 exec_lo, exec_lo, s74
.LBB6_1554:                             ;   in Loop: Header=BB6_136 Depth=3
	s_delay_alu instid0(SALU_CYCLE_1)
	s_or_b32 exec_lo, exec_lo, s13
	v_mov_b32_e32 v1, 0
	s_mov_b32 s74, exec_lo
	v_cmpx_lt_u64_e64 s[22:23], v[10:11]
	s_cbranch_execz .LBB6_1564
; %bb.1555:                             ;   in Loop: Header=BB6_136 Depth=3
	v_lshrrev_b32_e32 v0, 24, v11
	v_bfrev_b32_e32 v1, 1
	s_mov_b32 s75, exec_lo
	s_delay_alu instid0(VALU_DEP_2)
	v_cmpx_ne_u32_e32 0x80, v0
	s_cbranch_execz .LBB6_1563
; %bb.1556:                             ;   in Loop: Header=BB6_136 Depth=3
	v_and_b32_e32 v1, 0x7c000000, v11
	v_bfe_u32 v2, v11, 24, 2
	s_delay_alu instid0(VALU_DEP_2) | instskip(SKIP_1) | instid1(SALU_CYCLE_1)
	v_cmp_ne_u32_e32 vcc_lo, 0x7c000000, v1
                                        ; implicit-def: $vgpr1
	s_and_saveexec_b32 s13, vcc_lo
	s_xor_b32 s13, exec_lo, s13
	s_cbranch_execz .LBB6_1560
; %bb.1557:                             ;   in Loop: Header=BB6_136 Depth=3
	v_bfe_u32 v1, v11, 26, 5
	s_mov_b32 s76, exec_lo
	s_delay_alu instid0(VALU_DEP_1)
	v_cmpx_eq_u32_e32 0, v1
; %bb.1558:                             ;   in Loop: Header=BB6_136 Depth=3
	v_clz_i32_u32_e32 v1, v2
	s_delay_alu instid0(VALU_DEP_1) | instskip(NEXT) | instid1(VALU_DEP_1)
	v_min_u32_e32 v2, 32, v1
	v_subrev_nc_u32_e32 v1, 29, v2
	s_delay_alu instid0(VALU_DEP_1) | instskip(NEXT) | instid1(VALU_DEP_1)
	v_lshlrev_b64_e32 v[0:1], v1, v[0:1]
	v_dual_sub_nc_u32 v1, 30, v2 :: v_dual_bitop2_b32 v2, 3, v0 bitop3:0x40
; %bb.1559:                             ;   in Loop: Header=BB6_136 Depth=3
	s_or_b32 exec_lo, exec_lo, s76
	v_and_b32_e32 v0, 0x80000000, v11
                                        ; implicit-def: $vgpr10_vgpr11
	s_delay_alu instid0(VALU_DEP_1) | instskip(NEXT) | instid1(VALU_DEP_1)
	v_lshl_add_u32 v0, v1, 23, v0
	v_lshl_or_b32 v0, v2, 21, v0
                                        ; implicit-def: $vgpr2
	s_delay_alu instid0(VALU_DEP_1)
	v_add_nc_u32_e32 v1, 0x38000000, v0
.LBB6_1560:                             ;   in Loop: Header=BB6_136 Depth=3
	s_and_not1_saveexec_b32 s76, s13
; %bb.1561:                             ;   in Loop: Header=BB6_136 Depth=3
	v_cmp_lt_i64_e64 s13, -1, v[10:11]
	v_mov_b32_e32 v0, 0x7f800000
	v_cmp_eq_u32_e32 vcc_lo, 0, v2
	s_delay_alu instid0(VALU_DEP_2) | instskip(NEXT) | instid1(VALU_DEP_1)
	v_cndmask_b32_e64 v0, 0xff800000, v0, s13
	v_cndmask_b32_e32 v1, 0x7f800001, v0, vcc_lo
; %bb.1562:                             ;   in Loop: Header=BB6_136 Depth=3
	s_or_b32 exec_lo, exec_lo, s76
.LBB6_1563:                             ;   in Loop: Header=BB6_136 Depth=3
	s_delay_alu instid0(SALU_CYCLE_1)
	s_or_b32 exec_lo, exec_lo, s75
.LBB6_1564:                             ;   in Loop: Header=BB6_136 Depth=3
	s_delay_alu instid0(SALU_CYCLE_1) | instskip(NEXT) | instid1(VALU_DEP_1)
	s_or_b32 exec_lo, exec_lo, s74
	v_dual_mul_f32 v2, s73, v1 :: v_dual_mov_b32 v5, v113
	v_mov_b32_e32 v1, v113
                                        ; implicit-def: $vgpr101
	s_mov_b32 s13, exec_lo
	s_delay_alu instid0(VALU_DEP_2) | instskip(SKIP_2) | instid1(VALU_DEP_3)
	v_and_b32_e32 v4, 0x7f800000, v2
	v_and_b32_e32 v0, 0x7fffff, v2
	v_lshrrev_b32_e32 v3, 24, v2
	v_cmpx_ne_u64_e32 0x7f800000, v[4:5]
	s_xor_b32 s74, exec_lo, s13
	s_cbranch_execz .LBB6_1578
; %bb.1565:                             ;   in Loop: Header=BB6_136 Depth=3
	v_and_b32_e32 v4, 0x7fffffff, v2
	v_mov_b32_e32 v5, v113
                                        ; implicit-def: $vgpr101
	s_delay_alu instid0(VALU_DEP_1) | instskip(SKIP_2) | instid1(SALU_CYCLE_1)
	v_cmp_gt_u64_e32 vcc_lo, 0x47600001, v[4:5]
	v_and_b32_e32 v4, 0x80, v3
	s_and_saveexec_b32 s13, vcc_lo
	s_xor_b32 s75, exec_lo, s13
	s_cbranch_execz .LBB6_1575
; %bb.1566:                             ;   in Loop: Header=BB6_136 Depth=3
	v_mov_b32_e32 v101, 0
	s_mov_b32 s76, exec_lo
	v_cmpx_ne_u32_e32 0, v2
	s_cbranch_execz .LBB6_1574
; %bb.1567:                             ;   in Loop: Header=BB6_136 Depth=3
	v_bfe_u32 v5, v2, 23, 8
	v_or_b32_e32 v3, 0x800000, v0
	s_delay_alu instid0(VALU_DEP_2) | instskip(SKIP_2) | instid1(VALU_DEP_2)
	v_cmp_gt_u32_e64 s13, 0x72, v5
	v_sub_nc_u32_e32 v2, 0x71, v5
	v_cmp_eq_u32_e32 vcc_lo, 0, v5
	v_dual_cndmask_b32 v2, 0, v2, s13 :: v_dual_cndmask_b32 v0, v3, v0, vcc_lo
	s_delay_alu instid0(VALU_DEP_1) | instskip(NEXT) | instid1(VALU_DEP_1)
	v_cndmask_b32_e64 v7, v2, 0x70, vcc_lo
	v_dual_add_nc_u32 v2, 21, v7 :: v_dual_add_nc_u32 v8, 20, v7
	s_delay_alu instid0(VALU_DEP_1) | instskip(NEXT) | instid1(VALU_DEP_2)
	v_lshlrev_b64_e64 v[2:3], v2, -1
	v_lshlrev_b64_e64 v[8:9], v8, 1
	s_delay_alu instid0(VALU_DEP_2) | instskip(SKIP_1) | instid1(VALU_DEP_4)
	v_bfi_b32 v2, v2, 0, v0
	v_lshrrev_b64 v[0:1], v7, v[0:1]
	v_bfi_b32 v3, v3, 0, 0
	s_delay_alu instid0(VALU_DEP_1) | instskip(NEXT) | instid1(VALU_DEP_3)
	v_cmp_eq_u64_e64 s13, v[2:3], v[8:9]
	v_mov_b64_e32 v[2:3], v[0:1]
	s_and_saveexec_b32 s77, s13
; %bb.1568:                             ;   in Loop: Header=BB6_136 Depth=3
	v_bfe_u32 v2, v0, 21, 1
	v_mov_b32_e32 v3, v113
	s_delay_alu instid0(VALU_DEP_1) | instskip(NEXT) | instid1(VALU_DEP_1)
	v_add_nc_u64_e32 v[2:3], v[0:1], v[2:3]
	v_add_nc_u64_e32 v[2:3], -1, v[2:3]
; %bb.1569:                             ;   in Loop: Header=BB6_136 Depth=3
	s_or_b32 exec_lo, exec_lo, s77
	v_add_nc_u32_e32 v1, 0xffffff81, v5
	v_lshrrev_b32_e32 v3, 23, v0
	s_mov_b32 s13, exec_lo
	s_delay_alu instid0(VALU_DEP_2) | instskip(NEXT) | instid1(VALU_DEP_1)
	v_cndmask_b32_e64 v1, v1, 0xffffff82, vcc_lo
	v_add3_u32 v5, v7, v1, v3
	v_and_b32_e32 v1, 0x1fffff, v2
                                        ; implicit-def: $vgpr2
	s_delay_alu instid0(VALU_DEP_1) | instskip(SKIP_1) | instid1(VALU_DEP_2)
	v_dual_add_nc_u32 v3, 14, v5 :: v_dual_add_nc_u32 v0, v1, v0
	v_mov_b32_e32 v1, v113
	v_cmpx_ne_u32_e32 0, v3
	s_xor_b32 s13, exec_lo, s13
; %bb.1570:                             ;   in Loop: Header=BB6_136 Depth=3
	s_delay_alu instid0(VALU_DEP_2) | instskip(SKIP_1) | instid1(VALU_DEP_1)
	v_cmp_lt_u64_e32 vcc_lo, 0xffffff, v[0:1]
	v_add_nc_u32_e32 v2, 15, v5
	v_cndmask_b32_e32 v2, v3, v2, vcc_lo
	v_cndmask_b32_e64 v3, 0, 1, vcc_lo
	s_delay_alu instid0(VALU_DEP_1)
	v_lshrrev_b64 v[0:1], v3, v[0:1]
; %bb.1571:                             ;   in Loop: Header=BB6_136 Depth=3
	s_and_not1_saveexec_b32 s13, s13
; %bb.1572:                             ;   in Loop: Header=BB6_136 Depth=3
	s_delay_alu instid0(VALU_DEP_1)
	v_bfe_u32 v2, v0, 23, 1
; %bb.1573:                             ;   in Loop: Header=BB6_136 Depth=3
	s_or_b32 exec_lo, exec_lo, s13
	s_delay_alu instid0(VALU_DEP_2) | instskip(NEXT) | instid1(VALU_DEP_2)
	v_lshrrev_b64 v[0:1], 21, v[0:1]
	v_cmp_gt_i32_e32 vcc_lo, 32, v2
	v_min_i32_e32 v3, 31, v2
	v_cmp_eq_u32_e64 s13, 0, v2
	s_delay_alu instid0(VALU_DEP_2) | instskip(SKIP_1) | instid1(VALU_DEP_2)
	v_dual_cndmask_b32 v1, 0, v1, vcc_lo :: v_dual_lshlrev_b32 v3, 2, v3
	v_cndmask_b32_e32 v0, 3, v0, vcc_lo
	v_and_b32_e32 v3, 0xfc, v3
	s_delay_alu instid0(VALU_DEP_2) | instskip(NEXT) | instid1(VALU_DEP_2)
	v_cmp_eq_u64_e32 vcc_lo, 0, v[0:1]
	v_and_or_b32 v0, v0, 3, v3
	s_and_b32 s13, s13, vcc_lo
	s_delay_alu instid0(VALU_DEP_1) | instid1(SALU_CYCLE_1)
	v_cndmask_b32_e64 v0, v0, 0, s13
	s_delay_alu instid0(VALU_DEP_1)
	v_or_b32_e32 v101, v0, v4
.LBB6_1574:                             ;   in Loop: Header=BB6_136 Depth=3
	s_or_b32 exec_lo, exec_lo, s76
                                        ; implicit-def: $vgpr4
.LBB6_1575:                             ;   in Loop: Header=BB6_136 Depth=3
	s_and_not1_saveexec_b32 s13, s75
; %bb.1576:                             ;   in Loop: Header=BB6_136 Depth=3
	v_or_b32_e32 v101, 0x7b, v4
; %bb.1577:                             ;   in Loop: Header=BB6_136 Depth=3
	s_or_b32 exec_lo, exec_lo, s13
                                        ; implicit-def: $vgpr2
                                        ; implicit-def: $vgpr0_vgpr1
                                        ; implicit-def: $vgpr3
.LBB6_1578:                             ;   in Loop: Header=BB6_136 Depth=3
	s_and_not1_saveexec_b32 s13, s74
	s_cbranch_execz .LBB6_1584
; %bb.1579:                             ;   in Loop: Header=BB6_136 Depth=3
	s_mov_b32 s74, exec_lo
                                        ; implicit-def: $vgpr101
	v_cmpx_ne_u64_e32 0, v[0:1]
	s_xor_b32 s74, exec_lo, s74
; %bb.1580:                             ;   in Loop: Header=BB6_136 Depth=3
	v_or_b32_e32 v101, 0x7f, v3
                                        ; implicit-def: $vgpr2
; %bb.1581:                             ;   in Loop: Header=BB6_136 Depth=3
	s_and_not1_saveexec_b32 s74, s74
; %bb.1582:                             ;   in Loop: Header=BB6_136 Depth=3
	v_cmp_lt_i32_e32 vcc_lo, -1, v2
	v_mov_b32_e32 v0, 0x7c
	s_delay_alu instid0(VALU_DEP_1)
	v_cndmask_b32_e32 v101, 0xfc, v0, vcc_lo
; %bb.1583:                             ;   in Loop: Header=BB6_136 Depth=3
	s_or_b32 exec_lo, exec_lo, s74
.LBB6_1584:                             ;   in Loop: Header=BB6_136 Depth=3
	s_delay_alu instid0(SALU_CYCLE_1) | instskip(SKIP_3) | instid1(VALU_DEP_1)
	s_or_b32 exec_lo, exec_lo, s13
	global_load_b128 v[8:11], v[12:13], off offset:1536 th:TH_LOAD_NT
	s_wait_loadcnt 0x0
	v_and_b32_e32 v0, 0xff, v8
	v_cmp_ne_u16_e32 vcc_lo, 0, v0
	v_mov_b32_e32 v0, 0
	s_wait_xcnt 0x0
	s_and_saveexec_b32 s74, vcc_lo
	s_cbranch_execz .LBB6_1594
; %bb.1585:                             ;   in Loop: Header=BB6_136 Depth=3
	v_bfe_i32 v2, v8, 0, 8
	v_bfrev_b32_e32 v0, 1
	s_mov_b32 s75, exec_lo
	s_delay_alu instid0(VALU_DEP_2)
	v_cmpx_ne_u16_e32 0xff80, v2
	s_cbranch_execz .LBB6_1593
; %bb.1586:                             ;   in Loop: Header=BB6_136 Depth=3
	v_and_b32_e32 v0, 0x7c, v8
	v_and_b32_e32 v1, 3, v8
	s_delay_alu instid0(VALU_DEP_2) | instskip(SKIP_1) | instid1(SALU_CYCLE_1)
	v_cmp_ne_u32_e32 vcc_lo, 0x7c, v0
                                        ; implicit-def: $vgpr0
	s_and_saveexec_b32 s13, vcc_lo
	s_xor_b32 s13, exec_lo, s13
	s_cbranch_execz .LBB6_1590
; %bb.1587:                             ;   in Loop: Header=BB6_136 Depth=3
	v_bfe_u32 v0, v8, 2, 5
	s_mov_b32 s76, exec_lo
	s_delay_alu instid0(VALU_DEP_1)
	v_cmpx_eq_u32_e32 0, v0
; %bb.1588:                             ;   in Loop: Header=BB6_136 Depth=3
	v_clz_i32_u32_e32 v0, v1
	s_delay_alu instid0(VALU_DEP_1) | instskip(NEXT) | instid1(VALU_DEP_1)
	v_min_u32_e32 v0, 32, v0
	v_subrev_nc_u32_e32 v1, 29, v0
	s_delay_alu instid0(VALU_DEP_1) | instskip(NEXT) | instid1(VALU_DEP_1)
	v_lshlrev_b64_e32 v[2:3], v1, v[8:9]
	v_dual_sub_nc_u32 v0, 30, v0 :: v_dual_bitop2_b32 v1, 3, v2 bitop3:0x40
; %bb.1589:                             ;   in Loop: Header=BB6_136 Depth=3
	s_or_b32 exec_lo, exec_lo, s76
	v_lshlrev_b32_e32 v2, 24, v8
	s_delay_alu instid0(VALU_DEP_1) | instskip(NEXT) | instid1(VALU_DEP_1)
	v_and_b32_e32 v2, 0x80000000, v2
	v_lshl_add_u32 v0, v0, 23, v2
                                        ; implicit-def: $vgpr2
	s_delay_alu instid0(VALU_DEP_1) | instskip(NEXT) | instid1(VALU_DEP_1)
	v_lshl_or_b32 v0, v1, 21, v0
                                        ; implicit-def: $vgpr1
	v_add_nc_u32_e32 v0, 0x38000000, v0
.LBB6_1590:                             ;   in Loop: Header=BB6_136 Depth=3
	s_and_not1_saveexec_b32 s76, s13
; %bb.1591:                             ;   in Loop: Header=BB6_136 Depth=3
	v_cmp_lt_i16_e64 s13, -1, v2
	v_mov_b32_e32 v0, 0x7f800000
	v_cmp_eq_u32_e32 vcc_lo, 0, v1
	s_delay_alu instid0(VALU_DEP_2) | instskip(NEXT) | instid1(VALU_DEP_1)
	v_cndmask_b32_e64 v0, 0xff800000, v0, s13
	v_cndmask_b32_e32 v0, 0x7f800001, v0, vcc_lo
; %bb.1592:                             ;   in Loop: Header=BB6_136 Depth=3
	s_or_b32 exec_lo, exec_lo, s76
.LBB6_1593:                             ;   in Loop: Header=BB6_136 Depth=3
	s_delay_alu instid0(SALU_CYCLE_1)
	s_or_b32 exec_lo, exec_lo, s75
.LBB6_1594:                             ;   in Loop: Header=BB6_136 Depth=3
	s_delay_alu instid0(SALU_CYCLE_1) | instskip(NEXT) | instid1(VALU_DEP_1)
	s_or_b32 exec_lo, exec_lo, s74
	v_dual_mul_f32 v2, s73, v0 :: v_dual_mov_b32 v5, v113
	v_mov_b32_e32 v1, v113
                                        ; implicit-def: $vgpr102
	s_mov_b32 s13, exec_lo
	s_delay_alu instid0(VALU_DEP_2) | instskip(SKIP_2) | instid1(VALU_DEP_3)
	v_and_b32_e32 v4, 0x7f800000, v2
	v_and_b32_e32 v0, 0x7fffff, v2
	v_lshrrev_b32_e32 v3, 24, v2
	v_cmpx_ne_u64_e32 0x7f800000, v[4:5]
	s_xor_b32 s74, exec_lo, s13
	s_cbranch_execz .LBB6_1608
; %bb.1595:                             ;   in Loop: Header=BB6_136 Depth=3
	v_and_b32_e32 v4, 0x7fffffff, v2
	v_mov_b32_e32 v5, v113
                                        ; implicit-def: $vgpr102
	s_delay_alu instid0(VALU_DEP_1) | instskip(SKIP_2) | instid1(SALU_CYCLE_1)
	v_cmp_gt_u64_e32 vcc_lo, 0x47600001, v[4:5]
	v_and_b32_e32 v4, 0x80, v3
	s_and_saveexec_b32 s13, vcc_lo
	s_xor_b32 s75, exec_lo, s13
	s_cbranch_execz .LBB6_1605
; %bb.1596:                             ;   in Loop: Header=BB6_136 Depth=3
	v_mov_b32_e32 v102, 0
	s_mov_b32 s76, exec_lo
	v_cmpx_ne_u32_e32 0, v2
	s_cbranch_execz .LBB6_1604
; %bb.1597:                             ;   in Loop: Header=BB6_136 Depth=3
	v_bfe_u32 v5, v2, 23, 8
	v_or_b32_e32 v3, 0x800000, v0
	s_delay_alu instid0(VALU_DEP_2) | instskip(SKIP_2) | instid1(VALU_DEP_2)
	v_cmp_gt_u32_e64 s13, 0x72, v5
	v_sub_nc_u32_e32 v2, 0x71, v5
	v_cmp_eq_u32_e32 vcc_lo, 0, v5
	v_dual_cndmask_b32 v2, 0, v2, s13 :: v_dual_cndmask_b32 v0, v3, v0, vcc_lo
	s_delay_alu instid0(VALU_DEP_1) | instskip(NEXT) | instid1(VALU_DEP_1)
	v_cndmask_b32_e64 v7, v2, 0x70, vcc_lo
	v_dual_add_nc_u32 v2, 21, v7 :: v_dual_add_nc_u32 v14, 20, v7
	s_delay_alu instid0(VALU_DEP_1) | instskip(NEXT) | instid1(VALU_DEP_2)
	v_lshlrev_b64_e64 v[2:3], v2, -1
	v_lshlrev_b64_e64 v[14:15], v14, 1
	s_delay_alu instid0(VALU_DEP_2) | instskip(SKIP_1) | instid1(VALU_DEP_4)
	v_bfi_b32 v2, v2, 0, v0
	v_lshrrev_b64 v[0:1], v7, v[0:1]
	v_bfi_b32 v3, v3, 0, 0
	s_delay_alu instid0(VALU_DEP_1) | instskip(NEXT) | instid1(VALU_DEP_3)
	v_cmp_eq_u64_e64 s13, v[2:3], v[14:15]
	v_mov_b64_e32 v[2:3], v[0:1]
	s_and_saveexec_b32 s77, s13
; %bb.1598:                             ;   in Loop: Header=BB6_136 Depth=3
	v_bfe_u32 v2, v0, 21, 1
	v_mov_b32_e32 v3, v113
	s_delay_alu instid0(VALU_DEP_1) | instskip(NEXT) | instid1(VALU_DEP_1)
	v_add_nc_u64_e32 v[2:3], v[0:1], v[2:3]
	v_add_nc_u64_e32 v[2:3], -1, v[2:3]
; %bb.1599:                             ;   in Loop: Header=BB6_136 Depth=3
	s_or_b32 exec_lo, exec_lo, s77
	v_add_nc_u32_e32 v1, 0xffffff81, v5
	v_lshrrev_b32_e32 v3, 23, v0
	s_mov_b32 s13, exec_lo
	s_delay_alu instid0(VALU_DEP_2) | instskip(NEXT) | instid1(VALU_DEP_1)
	v_cndmask_b32_e64 v1, v1, 0xffffff82, vcc_lo
	v_add3_u32 v5, v7, v1, v3
	v_and_b32_e32 v1, 0x1fffff, v2
                                        ; implicit-def: $vgpr2
	s_delay_alu instid0(VALU_DEP_1) | instskip(SKIP_1) | instid1(VALU_DEP_2)
	v_dual_add_nc_u32 v3, 14, v5 :: v_dual_add_nc_u32 v0, v1, v0
	v_mov_b32_e32 v1, v113
	v_cmpx_ne_u32_e32 0, v3
	s_xor_b32 s13, exec_lo, s13
; %bb.1600:                             ;   in Loop: Header=BB6_136 Depth=3
	s_delay_alu instid0(VALU_DEP_2) | instskip(SKIP_1) | instid1(VALU_DEP_1)
	v_cmp_lt_u64_e32 vcc_lo, 0xffffff, v[0:1]
	v_add_nc_u32_e32 v2, 15, v5
	v_cndmask_b32_e32 v2, v3, v2, vcc_lo
	v_cndmask_b32_e64 v3, 0, 1, vcc_lo
	s_delay_alu instid0(VALU_DEP_1)
	v_lshrrev_b64 v[0:1], v3, v[0:1]
; %bb.1601:                             ;   in Loop: Header=BB6_136 Depth=3
	s_and_not1_saveexec_b32 s13, s13
; %bb.1602:                             ;   in Loop: Header=BB6_136 Depth=3
	s_delay_alu instid0(VALU_DEP_1)
	v_bfe_u32 v2, v0, 23, 1
; %bb.1603:                             ;   in Loop: Header=BB6_136 Depth=3
	s_or_b32 exec_lo, exec_lo, s13
	s_delay_alu instid0(VALU_DEP_2) | instskip(NEXT) | instid1(VALU_DEP_2)
	v_lshrrev_b64 v[0:1], 21, v[0:1]
	v_cmp_gt_i32_e32 vcc_lo, 32, v2
	v_min_i32_e32 v3, 31, v2
	v_cmp_eq_u32_e64 s13, 0, v2
	s_delay_alu instid0(VALU_DEP_2) | instskip(SKIP_1) | instid1(VALU_DEP_2)
	v_dual_cndmask_b32 v1, 0, v1, vcc_lo :: v_dual_lshlrev_b32 v3, 2, v3
	v_cndmask_b32_e32 v0, 3, v0, vcc_lo
	v_and_b32_e32 v3, 0xfc, v3
	s_delay_alu instid0(VALU_DEP_2) | instskip(NEXT) | instid1(VALU_DEP_2)
	v_cmp_eq_u64_e32 vcc_lo, 0, v[0:1]
	v_and_or_b32 v0, v0, 3, v3
	s_and_b32 s13, s13, vcc_lo
	s_delay_alu instid0(VALU_DEP_1) | instid1(SALU_CYCLE_1)
	v_cndmask_b32_e64 v0, v0, 0, s13
	s_delay_alu instid0(VALU_DEP_1)
	v_or_b32_e32 v102, v0, v4
.LBB6_1604:                             ;   in Loop: Header=BB6_136 Depth=3
	s_or_b32 exec_lo, exec_lo, s76
                                        ; implicit-def: $vgpr4
.LBB6_1605:                             ;   in Loop: Header=BB6_136 Depth=3
	s_and_not1_saveexec_b32 s13, s75
; %bb.1606:                             ;   in Loop: Header=BB6_136 Depth=3
	v_or_b32_e32 v102, 0x7b, v4
; %bb.1607:                             ;   in Loop: Header=BB6_136 Depth=3
	s_or_b32 exec_lo, exec_lo, s13
                                        ; implicit-def: $vgpr2
                                        ; implicit-def: $vgpr0_vgpr1
                                        ; implicit-def: $vgpr3
.LBB6_1608:                             ;   in Loop: Header=BB6_136 Depth=3
	s_and_not1_saveexec_b32 s13, s74
	s_cbranch_execz .LBB6_1614
; %bb.1609:                             ;   in Loop: Header=BB6_136 Depth=3
	s_mov_b32 s74, exec_lo
                                        ; implicit-def: $vgpr102
	v_cmpx_ne_u64_e32 0, v[0:1]
	s_xor_b32 s74, exec_lo, s74
; %bb.1610:                             ;   in Loop: Header=BB6_136 Depth=3
	v_or_b32_e32 v102, 0x7f, v3
                                        ; implicit-def: $vgpr2
; %bb.1611:                             ;   in Loop: Header=BB6_136 Depth=3
	s_and_not1_saveexec_b32 s74, s74
; %bb.1612:                             ;   in Loop: Header=BB6_136 Depth=3
	v_cmp_lt_i32_e32 vcc_lo, -1, v2
	v_mov_b32_e32 v0, 0x7c
	s_delay_alu instid0(VALU_DEP_1)
	v_cndmask_b32_e32 v102, 0xfc, v0, vcc_lo
; %bb.1613:                             ;   in Loop: Header=BB6_136 Depth=3
	s_or_b32 exec_lo, exec_lo, s74
.LBB6_1614:                             ;   in Loop: Header=BB6_136 Depth=3
	s_delay_alu instid0(SALU_CYCLE_1) | instskip(SKIP_3) | instid1(VALU_DEP_2)
	s_or_b32 exec_lo, exec_lo, s13
	v_lshrrev_b16 v0, 8, v8
	v_mov_b32_e32 v1, 0
	s_mov_b32 s74, exec_lo
	v_cmpx_ne_u16_e32 0, v0
	s_cbranch_execz .LBB6_1624
; %bb.1615:                             ;   in Loop: Header=BB6_136 Depth=3
	v_bfrev_b32_e32 v1, 1
	s_mov_b32 s75, exec_lo
	v_cmpx_ne_u16_e32 0x80, v0
	s_cbranch_execz .LBB6_1623
; %bb.1616:                             ;   in Loop: Header=BB6_136 Depth=3
	v_and_b32_e32 v3, 0xffff, v0
	s_delay_alu instid0(VALU_DEP_1) | instskip(SKIP_1) | instid1(VALU_DEP_2)
	v_and_b32_e32 v1, 0x7c, v3
	v_and_b32_e32 v2, 3, v3
	v_cmp_ne_u32_e32 vcc_lo, 0x7c, v1
                                        ; implicit-def: $vgpr1
	s_and_saveexec_b32 s13, vcc_lo
	s_delay_alu instid0(SALU_CYCLE_1)
	s_xor_b32 s13, exec_lo, s13
	s_cbranch_execz .LBB6_1620
; %bb.1617:                             ;   in Loop: Header=BB6_136 Depth=3
	v_bfe_u32 v1, v3, 2, 5
	s_mov_b32 s76, exec_lo
	s_delay_alu instid0(VALU_DEP_1)
	v_cmpx_eq_u32_e32 0, v1
; %bb.1618:                             ;   in Loop: Header=BB6_136 Depth=3
	v_clz_i32_u32_e32 v1, v2
	s_delay_alu instid0(VALU_DEP_1) | instskip(SKIP_1) | instid1(VALU_DEP_2)
	v_min_u32_e32 v2, 32, v1
	v_mov_b32_e32 v1, v113
	v_subrev_nc_u32_e32 v3, 29, v2
	s_delay_alu instid0(VALU_DEP_1) | instskip(NEXT) | instid1(VALU_DEP_1)
	v_lshlrev_b64_e32 v[0:1], v3, v[0:1]
	v_dual_sub_nc_u32 v1, 30, v2 :: v_dual_bitop2_b32 v2, 3, v0 bitop3:0x40
; %bb.1619:                             ;   in Loop: Header=BB6_136 Depth=3
	s_or_b32 exec_lo, exec_lo, s76
	v_lshlrev_b32_e32 v0, 16, v8
	s_delay_alu instid0(VALU_DEP_1) | instskip(NEXT) | instid1(VALU_DEP_1)
	v_and_b32_e32 v0, 0x80000000, v0
	v_lshl_add_u32 v0, v1, 23, v0
	s_delay_alu instid0(VALU_DEP_1) | instskip(NEXT) | instid1(VALU_DEP_1)
	v_lshl_or_b32 v0, v2, 21, v0
                                        ; implicit-def: $vgpr2
	v_add_nc_u32_e32 v1, 0x38000000, v0
.LBB6_1620:                             ;   in Loop: Header=BB6_136 Depth=3
	s_and_not1_saveexec_b32 s76, s13
; %bb.1621:                             ;   in Loop: Header=BB6_136 Depth=3
	v_cmp_lt_i16_e64 s13, -1, v8
	v_mov_b32_e32 v0, 0x7f800000
	v_cmp_eq_u32_e32 vcc_lo, 0, v2
	s_delay_alu instid0(VALU_DEP_2) | instskip(NEXT) | instid1(VALU_DEP_1)
	v_cndmask_b32_e64 v0, 0xff800000, v0, s13
	v_cndmask_b32_e32 v1, 0x7f800001, v0, vcc_lo
; %bb.1622:                             ;   in Loop: Header=BB6_136 Depth=3
	s_or_b32 exec_lo, exec_lo, s76
.LBB6_1623:                             ;   in Loop: Header=BB6_136 Depth=3
	s_delay_alu instid0(SALU_CYCLE_1)
	s_or_b32 exec_lo, exec_lo, s75
.LBB6_1624:                             ;   in Loop: Header=BB6_136 Depth=3
	s_delay_alu instid0(SALU_CYCLE_1) | instskip(NEXT) | instid1(VALU_DEP_1)
	s_or_b32 exec_lo, exec_lo, s74
	v_dual_mul_f32 v2, s73, v1 :: v_dual_mov_b32 v5, v113
	v_mov_b32_e32 v1, v113
                                        ; implicit-def: $vgpr103
	s_mov_b32 s13, exec_lo
	s_delay_alu instid0(VALU_DEP_2) | instskip(SKIP_2) | instid1(VALU_DEP_3)
	v_and_b32_e32 v4, 0x7f800000, v2
	v_and_b32_e32 v0, 0x7fffff, v2
	v_lshrrev_b32_e32 v3, 24, v2
	v_cmpx_ne_u64_e32 0x7f800000, v[4:5]
	s_xor_b32 s74, exec_lo, s13
	s_cbranch_execz .LBB6_1638
; %bb.1625:                             ;   in Loop: Header=BB6_136 Depth=3
	v_and_b32_e32 v4, 0x7fffffff, v2
	v_mov_b32_e32 v5, v113
                                        ; implicit-def: $vgpr103
	s_delay_alu instid0(VALU_DEP_1) | instskip(SKIP_2) | instid1(SALU_CYCLE_1)
	v_cmp_gt_u64_e32 vcc_lo, 0x47600001, v[4:5]
	v_and_b32_e32 v4, 0x80, v3
	s_and_saveexec_b32 s13, vcc_lo
	s_xor_b32 s75, exec_lo, s13
	s_cbranch_execz .LBB6_1635
; %bb.1626:                             ;   in Loop: Header=BB6_136 Depth=3
	v_mov_b32_e32 v103, 0
	s_mov_b32 s76, exec_lo
	v_cmpx_ne_u32_e32 0, v2
	s_cbranch_execz .LBB6_1634
; %bb.1627:                             ;   in Loop: Header=BB6_136 Depth=3
	v_bfe_u32 v5, v2, 23, 8
	v_or_b32_e32 v3, 0x800000, v0
	s_delay_alu instid0(VALU_DEP_2) | instskip(SKIP_2) | instid1(VALU_DEP_2)
	v_cmp_gt_u32_e64 s13, 0x72, v5
	v_sub_nc_u32_e32 v2, 0x71, v5
	v_cmp_eq_u32_e32 vcc_lo, 0, v5
	v_dual_cndmask_b32 v2, 0, v2, s13 :: v_dual_cndmask_b32 v0, v3, v0, vcc_lo
	s_delay_alu instid0(VALU_DEP_1) | instskip(NEXT) | instid1(VALU_DEP_1)
	v_cndmask_b32_e64 v7, v2, 0x70, vcc_lo
	v_dual_add_nc_u32 v2, 21, v7 :: v_dual_add_nc_u32 v14, 20, v7
	s_delay_alu instid0(VALU_DEP_1) | instskip(NEXT) | instid1(VALU_DEP_2)
	v_lshlrev_b64_e64 v[2:3], v2, -1
	v_lshlrev_b64_e64 v[14:15], v14, 1
	s_delay_alu instid0(VALU_DEP_2) | instskip(SKIP_1) | instid1(VALU_DEP_4)
	v_bfi_b32 v2, v2, 0, v0
	v_lshrrev_b64 v[0:1], v7, v[0:1]
	v_bfi_b32 v3, v3, 0, 0
	s_delay_alu instid0(VALU_DEP_1) | instskip(NEXT) | instid1(VALU_DEP_3)
	v_cmp_eq_u64_e64 s13, v[2:3], v[14:15]
	v_mov_b64_e32 v[2:3], v[0:1]
	s_and_saveexec_b32 s77, s13
; %bb.1628:                             ;   in Loop: Header=BB6_136 Depth=3
	v_bfe_u32 v2, v0, 21, 1
	v_mov_b32_e32 v3, v113
	s_delay_alu instid0(VALU_DEP_1) | instskip(NEXT) | instid1(VALU_DEP_1)
	v_add_nc_u64_e32 v[2:3], v[0:1], v[2:3]
	v_add_nc_u64_e32 v[2:3], -1, v[2:3]
; %bb.1629:                             ;   in Loop: Header=BB6_136 Depth=3
	s_or_b32 exec_lo, exec_lo, s77
	v_add_nc_u32_e32 v1, 0xffffff81, v5
	v_lshrrev_b32_e32 v3, 23, v0
	s_mov_b32 s13, exec_lo
	s_delay_alu instid0(VALU_DEP_2) | instskip(NEXT) | instid1(VALU_DEP_1)
	v_cndmask_b32_e64 v1, v1, 0xffffff82, vcc_lo
	v_add3_u32 v5, v7, v1, v3
	v_and_b32_e32 v1, 0x1fffff, v2
                                        ; implicit-def: $vgpr2
	s_delay_alu instid0(VALU_DEP_1) | instskip(SKIP_1) | instid1(VALU_DEP_2)
	v_dual_add_nc_u32 v3, 14, v5 :: v_dual_add_nc_u32 v0, v1, v0
	v_mov_b32_e32 v1, v113
	v_cmpx_ne_u32_e32 0, v3
	s_xor_b32 s13, exec_lo, s13
; %bb.1630:                             ;   in Loop: Header=BB6_136 Depth=3
	s_delay_alu instid0(VALU_DEP_2) | instskip(SKIP_1) | instid1(VALU_DEP_1)
	v_cmp_lt_u64_e32 vcc_lo, 0xffffff, v[0:1]
	v_add_nc_u32_e32 v2, 15, v5
	v_cndmask_b32_e32 v2, v3, v2, vcc_lo
	v_cndmask_b32_e64 v3, 0, 1, vcc_lo
	s_delay_alu instid0(VALU_DEP_1)
	v_lshrrev_b64 v[0:1], v3, v[0:1]
; %bb.1631:                             ;   in Loop: Header=BB6_136 Depth=3
	s_and_not1_saveexec_b32 s13, s13
; %bb.1632:                             ;   in Loop: Header=BB6_136 Depth=3
	s_delay_alu instid0(VALU_DEP_1)
	v_bfe_u32 v2, v0, 23, 1
; %bb.1633:                             ;   in Loop: Header=BB6_136 Depth=3
	s_or_b32 exec_lo, exec_lo, s13
	s_delay_alu instid0(VALU_DEP_2) | instskip(NEXT) | instid1(VALU_DEP_2)
	v_lshrrev_b64 v[0:1], 21, v[0:1]
	v_cmp_gt_i32_e32 vcc_lo, 32, v2
	v_min_i32_e32 v3, 31, v2
	v_cmp_eq_u32_e64 s13, 0, v2
	s_delay_alu instid0(VALU_DEP_2) | instskip(SKIP_1) | instid1(VALU_DEP_2)
	v_dual_cndmask_b32 v1, 0, v1, vcc_lo :: v_dual_lshlrev_b32 v3, 2, v3
	v_cndmask_b32_e32 v0, 3, v0, vcc_lo
	v_and_b32_e32 v3, 0xfc, v3
	s_delay_alu instid0(VALU_DEP_2) | instskip(NEXT) | instid1(VALU_DEP_2)
	v_cmp_eq_u64_e32 vcc_lo, 0, v[0:1]
	v_and_or_b32 v0, v0, 3, v3
	s_and_b32 s13, s13, vcc_lo
	s_delay_alu instid0(VALU_DEP_1) | instid1(SALU_CYCLE_1)
	v_cndmask_b32_e64 v0, v0, 0, s13
	s_delay_alu instid0(VALU_DEP_1)
	v_or_b32_e32 v103, v0, v4
.LBB6_1634:                             ;   in Loop: Header=BB6_136 Depth=3
	s_or_b32 exec_lo, exec_lo, s76
                                        ; implicit-def: $vgpr4
.LBB6_1635:                             ;   in Loop: Header=BB6_136 Depth=3
	s_and_not1_saveexec_b32 s13, s75
; %bb.1636:                             ;   in Loop: Header=BB6_136 Depth=3
	v_or_b32_e32 v103, 0x7b, v4
; %bb.1637:                             ;   in Loop: Header=BB6_136 Depth=3
	s_or_b32 exec_lo, exec_lo, s13
                                        ; implicit-def: $vgpr2
                                        ; implicit-def: $vgpr0_vgpr1
                                        ; implicit-def: $vgpr3
.LBB6_1638:                             ;   in Loop: Header=BB6_136 Depth=3
	s_and_not1_saveexec_b32 s13, s74
	s_cbranch_execz .LBB6_1644
; %bb.1639:                             ;   in Loop: Header=BB6_136 Depth=3
	s_mov_b32 s74, exec_lo
                                        ; implicit-def: $vgpr103
	v_cmpx_ne_u64_e32 0, v[0:1]
	s_xor_b32 s74, exec_lo, s74
; %bb.1640:                             ;   in Loop: Header=BB6_136 Depth=3
	v_or_b32_e32 v103, 0x7f, v3
                                        ; implicit-def: $vgpr2
; %bb.1641:                             ;   in Loop: Header=BB6_136 Depth=3
	s_and_not1_saveexec_b32 s74, s74
; %bb.1642:                             ;   in Loop: Header=BB6_136 Depth=3
	v_cmp_lt_i32_e32 vcc_lo, -1, v2
	v_mov_b32_e32 v0, 0x7c
	s_delay_alu instid0(VALU_DEP_1)
	v_cndmask_b32_e32 v103, 0xfc, v0, vcc_lo
; %bb.1643:                             ;   in Loop: Header=BB6_136 Depth=3
	s_or_b32 exec_lo, exec_lo, s74
.LBB6_1644:                             ;   in Loop: Header=BB6_136 Depth=3
	s_delay_alu instid0(SALU_CYCLE_1) | instskip(SKIP_2) | instid1(VALU_DEP_1)
	s_or_b32 exec_lo, exec_lo, s13
	v_dual_mov_b32 v1, 0 :: v_dual_lshrrev_b32 v0, 16, v8
	s_mov_b32 s74, exec_lo
	v_and_b32_e32 v2, 0xff, v0
	s_delay_alu instid0(VALU_DEP_1)
	v_cmpx_ne_u16_e32 0, v2
	s_cbranch_execz .LBB6_1654
; %bb.1645:                             ;   in Loop: Header=BB6_136 Depth=3
	v_bfrev_b32_e32 v1, 1
	s_mov_b32 s75, exec_lo
	v_cmpx_ne_u16_e32 0x80, v2
	s_cbranch_execz .LBB6_1653
; %bb.1646:                             ;   in Loop: Header=BB6_136 Depth=3
	v_and_b32_e32 v1, 0x7c0000, v8
	v_bfe_u32 v2, v8, 16, 2
	s_delay_alu instid0(VALU_DEP_2) | instskip(SKIP_1) | instid1(SALU_CYCLE_1)
	v_cmp_ne_u32_e32 vcc_lo, 0x7c0000, v1
                                        ; implicit-def: $vgpr1
	s_and_saveexec_b32 s13, vcc_lo
	s_xor_b32 s13, exec_lo, s13
	s_cbranch_execz .LBB6_1650
; %bb.1647:                             ;   in Loop: Header=BB6_136 Depth=3
	v_bfe_u32 v1, v8, 18, 5
	s_mov_b32 s76, exec_lo
	s_delay_alu instid0(VALU_DEP_1)
	v_cmpx_eq_u32_e32 0, v1
; %bb.1648:                             ;   in Loop: Header=BB6_136 Depth=3
	v_clz_i32_u32_e32 v1, v2
	s_delay_alu instid0(VALU_DEP_1) | instskip(NEXT) | instid1(VALU_DEP_1)
	v_min_u32_e32 v1, 32, v1
	v_subrev_nc_u32_e32 v2, 29, v1
	s_delay_alu instid0(VALU_DEP_1) | instskip(NEXT) | instid1(VALU_DEP_1)
	v_lshlrev_b64_e32 v[2:3], v2, v[0:1]
	v_dual_sub_nc_u32 v1, 30, v1 :: v_dual_bitop2_b32 v2, 3, v2 bitop3:0x40
; %bb.1649:                             ;   in Loop: Header=BB6_136 Depth=3
	s_or_b32 exec_lo, exec_lo, s76
	v_lshlrev_b32_e32 v0, 24, v0
	s_delay_alu instid0(VALU_DEP_1) | instskip(NEXT) | instid1(VALU_DEP_1)
	v_and_b32_e32 v0, 0x80000000, v0
	v_lshl_add_u32 v0, v1, 23, v0
	s_delay_alu instid0(VALU_DEP_1) | instskip(NEXT) | instid1(VALU_DEP_1)
	v_lshl_or_b32 v0, v2, 21, v0
                                        ; implicit-def: $vgpr2
	v_add_nc_u32_e32 v1, 0x38000000, v0
                                        ; implicit-def: $vgpr0
.LBB6_1650:                             ;   in Loop: Header=BB6_136 Depth=3
	s_and_not1_saveexec_b32 s76, s13
; %bb.1651:                             ;   in Loop: Header=BB6_136 Depth=3
	v_bfe_i32 v0, v0, 0, 8
	v_cmp_eq_u32_e32 vcc_lo, 0, v2
	s_delay_alu instid0(VALU_DEP_2) | instskip(SKIP_1) | instid1(VALU_DEP_1)
	v_cmp_lt_i16_e64 s13, -1, v0
	v_mov_b32_e32 v0, 0x7f800000
	v_cndmask_b32_e64 v0, 0xff800000, v0, s13
	s_delay_alu instid0(VALU_DEP_1)
	v_cndmask_b32_e32 v1, 0x7f800001, v0, vcc_lo
; %bb.1652:                             ;   in Loop: Header=BB6_136 Depth=3
	s_or_b32 exec_lo, exec_lo, s76
.LBB6_1653:                             ;   in Loop: Header=BB6_136 Depth=3
	s_delay_alu instid0(SALU_CYCLE_1)
	s_or_b32 exec_lo, exec_lo, s75
.LBB6_1654:                             ;   in Loop: Header=BB6_136 Depth=3
	s_delay_alu instid0(SALU_CYCLE_1) | instskip(NEXT) | instid1(VALU_DEP_1)
	s_or_b32 exec_lo, exec_lo, s74
	v_dual_mul_f32 v2, s73, v1 :: v_dual_mov_b32 v5, v113
	v_mov_b32_e32 v1, v113
                                        ; implicit-def: $vgpr112
	s_mov_b32 s13, exec_lo
	s_delay_alu instid0(VALU_DEP_2) | instskip(SKIP_2) | instid1(VALU_DEP_3)
	v_and_b32_e32 v4, 0x7f800000, v2
	v_and_b32_e32 v0, 0x7fffff, v2
	v_lshrrev_b32_e32 v3, 24, v2
	v_cmpx_ne_u64_e32 0x7f800000, v[4:5]
	s_xor_b32 s74, exec_lo, s13
	s_cbranch_execz .LBB6_1668
; %bb.1655:                             ;   in Loop: Header=BB6_136 Depth=3
	v_and_b32_e32 v4, 0x7fffffff, v2
	v_mov_b32_e32 v5, v113
                                        ; implicit-def: $vgpr112
	s_delay_alu instid0(VALU_DEP_1) | instskip(SKIP_2) | instid1(SALU_CYCLE_1)
	v_cmp_gt_u64_e32 vcc_lo, 0x47600001, v[4:5]
	v_and_b32_e32 v4, 0x80, v3
	s_and_saveexec_b32 s13, vcc_lo
	s_xor_b32 s75, exec_lo, s13
	s_cbranch_execz .LBB6_1665
; %bb.1656:                             ;   in Loop: Header=BB6_136 Depth=3
	v_mov_b32_e32 v112, 0
	s_mov_b32 s76, exec_lo
	v_cmpx_ne_u32_e32 0, v2
	s_cbranch_execz .LBB6_1664
; %bb.1657:                             ;   in Loop: Header=BB6_136 Depth=3
	v_bfe_u32 v5, v2, 23, 8
	v_or_b32_e32 v3, 0x800000, v0
	s_delay_alu instid0(VALU_DEP_2) | instskip(SKIP_2) | instid1(VALU_DEP_2)
	v_cmp_gt_u32_e64 s13, 0x72, v5
	v_sub_nc_u32_e32 v2, 0x71, v5
	v_cmp_eq_u32_e32 vcc_lo, 0, v5
	v_dual_cndmask_b32 v2, 0, v2, s13 :: v_dual_cndmask_b32 v0, v3, v0, vcc_lo
	s_delay_alu instid0(VALU_DEP_1) | instskip(NEXT) | instid1(VALU_DEP_1)
	v_cndmask_b32_e64 v7, v2, 0x70, vcc_lo
	v_dual_add_nc_u32 v2, 21, v7 :: v_dual_add_nc_u32 v14, 20, v7
	s_delay_alu instid0(VALU_DEP_1) | instskip(NEXT) | instid1(VALU_DEP_2)
	v_lshlrev_b64_e64 v[2:3], v2, -1
	v_lshlrev_b64_e64 v[14:15], v14, 1
	s_delay_alu instid0(VALU_DEP_2) | instskip(SKIP_1) | instid1(VALU_DEP_4)
	v_bfi_b32 v2, v2, 0, v0
	v_lshrrev_b64 v[0:1], v7, v[0:1]
	v_bfi_b32 v3, v3, 0, 0
	s_delay_alu instid0(VALU_DEP_1) | instskip(NEXT) | instid1(VALU_DEP_3)
	v_cmp_eq_u64_e64 s13, v[2:3], v[14:15]
	v_mov_b64_e32 v[2:3], v[0:1]
	s_and_saveexec_b32 s77, s13
; %bb.1658:                             ;   in Loop: Header=BB6_136 Depth=3
	v_bfe_u32 v2, v0, 21, 1
	v_mov_b32_e32 v3, v113
	s_delay_alu instid0(VALU_DEP_1) | instskip(NEXT) | instid1(VALU_DEP_1)
	v_add_nc_u64_e32 v[2:3], v[0:1], v[2:3]
	v_add_nc_u64_e32 v[2:3], -1, v[2:3]
; %bb.1659:                             ;   in Loop: Header=BB6_136 Depth=3
	s_or_b32 exec_lo, exec_lo, s77
	v_add_nc_u32_e32 v1, 0xffffff81, v5
	v_lshrrev_b32_e32 v3, 23, v0
	s_mov_b32 s13, exec_lo
	s_delay_alu instid0(VALU_DEP_2) | instskip(NEXT) | instid1(VALU_DEP_1)
	v_cndmask_b32_e64 v1, v1, 0xffffff82, vcc_lo
	v_add3_u32 v5, v7, v1, v3
	v_and_b32_e32 v1, 0x1fffff, v2
                                        ; implicit-def: $vgpr2
	s_delay_alu instid0(VALU_DEP_1) | instskip(SKIP_1) | instid1(VALU_DEP_2)
	v_dual_add_nc_u32 v3, 14, v5 :: v_dual_add_nc_u32 v0, v1, v0
	v_mov_b32_e32 v1, v113
	v_cmpx_ne_u32_e32 0, v3
	s_xor_b32 s13, exec_lo, s13
; %bb.1660:                             ;   in Loop: Header=BB6_136 Depth=3
	s_delay_alu instid0(VALU_DEP_2) | instskip(SKIP_1) | instid1(VALU_DEP_1)
	v_cmp_lt_u64_e32 vcc_lo, 0xffffff, v[0:1]
	v_add_nc_u32_e32 v2, 15, v5
	v_cndmask_b32_e32 v2, v3, v2, vcc_lo
	v_cndmask_b32_e64 v3, 0, 1, vcc_lo
	s_delay_alu instid0(VALU_DEP_1)
	v_lshrrev_b64 v[0:1], v3, v[0:1]
; %bb.1661:                             ;   in Loop: Header=BB6_136 Depth=3
	s_and_not1_saveexec_b32 s13, s13
; %bb.1662:                             ;   in Loop: Header=BB6_136 Depth=3
	s_delay_alu instid0(VALU_DEP_1)
	v_bfe_u32 v2, v0, 23, 1
; %bb.1663:                             ;   in Loop: Header=BB6_136 Depth=3
	s_or_b32 exec_lo, exec_lo, s13
	s_delay_alu instid0(VALU_DEP_2) | instskip(NEXT) | instid1(VALU_DEP_2)
	v_lshrrev_b64 v[0:1], 21, v[0:1]
	v_cmp_gt_i32_e32 vcc_lo, 32, v2
	v_min_i32_e32 v3, 31, v2
	v_cmp_eq_u32_e64 s13, 0, v2
	s_delay_alu instid0(VALU_DEP_2) | instskip(SKIP_1) | instid1(VALU_DEP_2)
	v_dual_cndmask_b32 v1, 0, v1, vcc_lo :: v_dual_lshlrev_b32 v3, 2, v3
	v_cndmask_b32_e32 v0, 3, v0, vcc_lo
	v_and_b32_e32 v3, 0xfc, v3
	s_delay_alu instid0(VALU_DEP_2) | instskip(NEXT) | instid1(VALU_DEP_2)
	v_cmp_eq_u64_e32 vcc_lo, 0, v[0:1]
	v_and_or_b32 v0, v0, 3, v3
	s_and_b32 s13, s13, vcc_lo
	s_delay_alu instid0(VALU_DEP_1) | instid1(SALU_CYCLE_1)
	v_cndmask_b32_e64 v0, v0, 0, s13
	s_delay_alu instid0(VALU_DEP_1)
	v_or_b32_e32 v112, v0, v4
.LBB6_1664:                             ;   in Loop: Header=BB6_136 Depth=3
	s_or_b32 exec_lo, exec_lo, s76
                                        ; implicit-def: $vgpr4
.LBB6_1665:                             ;   in Loop: Header=BB6_136 Depth=3
	s_and_not1_saveexec_b32 s13, s75
; %bb.1666:                             ;   in Loop: Header=BB6_136 Depth=3
	v_or_b32_e32 v112, 0x7b, v4
; %bb.1667:                             ;   in Loop: Header=BB6_136 Depth=3
	s_or_b32 exec_lo, exec_lo, s13
                                        ; implicit-def: $vgpr2
                                        ; implicit-def: $vgpr0_vgpr1
                                        ; implicit-def: $vgpr3
.LBB6_1668:                             ;   in Loop: Header=BB6_136 Depth=3
	s_and_not1_saveexec_b32 s13, s74
	s_cbranch_execz .LBB6_1674
; %bb.1669:                             ;   in Loop: Header=BB6_136 Depth=3
	s_mov_b32 s74, exec_lo
                                        ; implicit-def: $vgpr112
	v_cmpx_ne_u64_e32 0, v[0:1]
	s_xor_b32 s74, exec_lo, s74
; %bb.1670:                             ;   in Loop: Header=BB6_136 Depth=3
	v_or_b32_e32 v112, 0x7f, v3
                                        ; implicit-def: $vgpr2
; %bb.1671:                             ;   in Loop: Header=BB6_136 Depth=3
	s_and_not1_saveexec_b32 s74, s74
; %bb.1672:                             ;   in Loop: Header=BB6_136 Depth=3
	v_cmp_lt_i32_e32 vcc_lo, -1, v2
	v_mov_b32_e32 v0, 0x7c
	s_delay_alu instid0(VALU_DEP_1)
	v_cndmask_b32_e32 v112, 0xfc, v0, vcc_lo
; %bb.1673:                             ;   in Loop: Header=BB6_136 Depth=3
	s_or_b32 exec_lo, exec_lo, s74
.LBB6_1674:                             ;   in Loop: Header=BB6_136 Depth=3
	s_delay_alu instid0(SALU_CYCLE_1)
	s_or_b32 exec_lo, exec_lo, s13
	v_mov_b32_e32 v1, 0
	s_mov_b32 s74, exec_lo
	v_cmpx_lt_u32_e32 0xffffff, v8
	s_cbranch_execz .LBB6_1684
; %bb.1675:                             ;   in Loop: Header=BB6_136 Depth=3
	v_lshrrev_b32_e32 v0, 24, v8
	v_bfrev_b32_e32 v1, 1
	s_mov_b32 s75, exec_lo
	s_delay_alu instid0(VALU_DEP_2)
	v_cmpx_ne_u32_e32 0x80, v0
	s_cbranch_execz .LBB6_1683
; %bb.1676:                             ;   in Loop: Header=BB6_136 Depth=3
	v_and_b32_e32 v1, 0x7c000000, v8
	v_bfe_u32 v2, v8, 24, 2
	s_delay_alu instid0(VALU_DEP_2) | instskip(SKIP_1) | instid1(SALU_CYCLE_1)
	v_cmp_ne_u32_e32 vcc_lo, 0x7c000000, v1
                                        ; implicit-def: $vgpr1
	s_and_saveexec_b32 s13, vcc_lo
	s_xor_b32 s13, exec_lo, s13
	s_cbranch_execz .LBB6_1680
; %bb.1677:                             ;   in Loop: Header=BB6_136 Depth=3
	v_bfe_u32 v1, v8, 26, 5
	s_mov_b32 s76, exec_lo
	s_delay_alu instid0(VALU_DEP_1)
	v_cmpx_eq_u32_e32 0, v1
; %bb.1678:                             ;   in Loop: Header=BB6_136 Depth=3
	v_clz_i32_u32_e32 v1, v2
	s_delay_alu instid0(VALU_DEP_1) | instskip(NEXT) | instid1(VALU_DEP_1)
	v_min_u32_e32 v2, 32, v1
	v_subrev_nc_u32_e32 v1, 29, v2
	s_delay_alu instid0(VALU_DEP_1) | instskip(NEXT) | instid1(VALU_DEP_1)
	v_lshlrev_b64_e32 v[0:1], v1, v[0:1]
	v_dual_sub_nc_u32 v1, 30, v2 :: v_dual_bitop2_b32 v2, 3, v0 bitop3:0x40
; %bb.1679:                             ;   in Loop: Header=BB6_136 Depth=3
	s_or_b32 exec_lo, exec_lo, s76
	v_and_b32_e32 v0, 0x80000000, v8
	s_delay_alu instid0(VALU_DEP_1) | instskip(NEXT) | instid1(VALU_DEP_1)
	v_lshl_add_u32 v0, v1, 23, v0
	v_lshl_or_b32 v0, v2, 21, v0
                                        ; implicit-def: $vgpr2
	s_delay_alu instid0(VALU_DEP_1)
	v_add_nc_u32_e32 v1, 0x38000000, v0
.LBB6_1680:                             ;   in Loop: Header=BB6_136 Depth=3
	s_and_not1_saveexec_b32 s76, s13
; %bb.1681:                             ;   in Loop: Header=BB6_136 Depth=3
	v_cmp_lt_i32_e64 s13, -1, v8
	v_mov_b32_e32 v0, 0x7f800000
	v_cmp_eq_u32_e32 vcc_lo, 0, v2
	s_delay_alu instid0(VALU_DEP_2) | instskip(NEXT) | instid1(VALU_DEP_1)
	v_cndmask_b32_e64 v0, 0xff800000, v0, s13
	v_cndmask_b32_e32 v1, 0x7f800001, v0, vcc_lo
; %bb.1682:                             ;   in Loop: Header=BB6_136 Depth=3
	s_or_b32 exec_lo, exec_lo, s76
.LBB6_1683:                             ;   in Loop: Header=BB6_136 Depth=3
	s_delay_alu instid0(SALU_CYCLE_1)
	s_or_b32 exec_lo, exec_lo, s75
.LBB6_1684:                             ;   in Loop: Header=BB6_136 Depth=3
	s_delay_alu instid0(SALU_CYCLE_1) | instskip(NEXT) | instid1(VALU_DEP_1)
	s_or_b32 exec_lo, exec_lo, s74
	v_dual_mul_f32 v2, s73, v1 :: v_dual_mov_b32 v5, v113
	v_mov_b32_e32 v1, v113
                                        ; implicit-def: $vgpr114
	s_mov_b32 s13, exec_lo
	s_delay_alu instid0(VALU_DEP_2) | instskip(SKIP_2) | instid1(VALU_DEP_3)
	v_and_b32_e32 v4, 0x7f800000, v2
	v_and_b32_e32 v0, 0x7fffff, v2
	v_lshrrev_b32_e32 v3, 24, v2
	v_cmpx_ne_u64_e32 0x7f800000, v[4:5]
	s_xor_b32 s74, exec_lo, s13
	s_cbranch_execz .LBB6_1698
; %bb.1685:                             ;   in Loop: Header=BB6_136 Depth=3
	v_and_b32_e32 v4, 0x7fffffff, v2
	v_mov_b32_e32 v5, v113
                                        ; implicit-def: $vgpr114
	s_delay_alu instid0(VALU_DEP_1) | instskip(SKIP_2) | instid1(SALU_CYCLE_1)
	v_cmp_gt_u64_e32 vcc_lo, 0x47600001, v[4:5]
	v_and_b32_e32 v4, 0x80, v3
	s_and_saveexec_b32 s13, vcc_lo
	s_xor_b32 s75, exec_lo, s13
	s_cbranch_execz .LBB6_1695
; %bb.1686:                             ;   in Loop: Header=BB6_136 Depth=3
	v_mov_b32_e32 v114, 0
	s_mov_b32 s76, exec_lo
	v_cmpx_ne_u32_e32 0, v2
	s_cbranch_execz .LBB6_1694
; %bb.1687:                             ;   in Loop: Header=BB6_136 Depth=3
	v_bfe_u32 v5, v2, 23, 8
	v_or_b32_e32 v3, 0x800000, v0
	s_delay_alu instid0(VALU_DEP_2) | instskip(SKIP_2) | instid1(VALU_DEP_2)
	v_cmp_gt_u32_e64 s13, 0x72, v5
	v_sub_nc_u32_e32 v2, 0x71, v5
	v_cmp_eq_u32_e32 vcc_lo, 0, v5
	v_dual_cndmask_b32 v2, 0, v2, s13 :: v_dual_cndmask_b32 v0, v3, v0, vcc_lo
	s_delay_alu instid0(VALU_DEP_1) | instskip(NEXT) | instid1(VALU_DEP_1)
	v_cndmask_b32_e64 v7, v2, 0x70, vcc_lo
	v_dual_add_nc_u32 v2, 21, v7 :: v_dual_add_nc_u32 v14, 20, v7
	s_delay_alu instid0(VALU_DEP_1) | instskip(NEXT) | instid1(VALU_DEP_2)
	v_lshlrev_b64_e64 v[2:3], v2, -1
	v_lshlrev_b64_e64 v[14:15], v14, 1
	s_delay_alu instid0(VALU_DEP_2) | instskip(SKIP_1) | instid1(VALU_DEP_4)
	v_bfi_b32 v2, v2, 0, v0
	v_lshrrev_b64 v[0:1], v7, v[0:1]
	v_bfi_b32 v3, v3, 0, 0
	s_delay_alu instid0(VALU_DEP_1) | instskip(NEXT) | instid1(VALU_DEP_3)
	v_cmp_eq_u64_e64 s13, v[2:3], v[14:15]
	v_mov_b64_e32 v[2:3], v[0:1]
	s_and_saveexec_b32 s77, s13
; %bb.1688:                             ;   in Loop: Header=BB6_136 Depth=3
	v_bfe_u32 v2, v0, 21, 1
	v_mov_b32_e32 v3, v113
	s_delay_alu instid0(VALU_DEP_1) | instskip(NEXT) | instid1(VALU_DEP_1)
	v_add_nc_u64_e32 v[2:3], v[0:1], v[2:3]
	v_add_nc_u64_e32 v[2:3], -1, v[2:3]
; %bb.1689:                             ;   in Loop: Header=BB6_136 Depth=3
	s_or_b32 exec_lo, exec_lo, s77
	v_add_nc_u32_e32 v1, 0xffffff81, v5
	v_lshrrev_b32_e32 v3, 23, v0
	s_mov_b32 s13, exec_lo
	s_delay_alu instid0(VALU_DEP_2) | instskip(NEXT) | instid1(VALU_DEP_1)
	v_cndmask_b32_e64 v1, v1, 0xffffff82, vcc_lo
	v_add3_u32 v5, v7, v1, v3
	v_and_b32_e32 v1, 0x1fffff, v2
                                        ; implicit-def: $vgpr2
	s_delay_alu instid0(VALU_DEP_1) | instskip(SKIP_1) | instid1(VALU_DEP_2)
	v_dual_add_nc_u32 v3, 14, v5 :: v_dual_add_nc_u32 v0, v1, v0
	v_mov_b32_e32 v1, v113
	v_cmpx_ne_u32_e32 0, v3
	s_xor_b32 s13, exec_lo, s13
; %bb.1690:                             ;   in Loop: Header=BB6_136 Depth=3
	s_delay_alu instid0(VALU_DEP_2) | instskip(SKIP_1) | instid1(VALU_DEP_1)
	v_cmp_lt_u64_e32 vcc_lo, 0xffffff, v[0:1]
	v_add_nc_u32_e32 v2, 15, v5
	v_cndmask_b32_e32 v2, v3, v2, vcc_lo
	v_cndmask_b32_e64 v3, 0, 1, vcc_lo
	s_delay_alu instid0(VALU_DEP_1)
	v_lshrrev_b64 v[0:1], v3, v[0:1]
; %bb.1691:                             ;   in Loop: Header=BB6_136 Depth=3
	s_and_not1_saveexec_b32 s13, s13
; %bb.1692:                             ;   in Loop: Header=BB6_136 Depth=3
	s_delay_alu instid0(VALU_DEP_1)
	v_bfe_u32 v2, v0, 23, 1
; %bb.1693:                             ;   in Loop: Header=BB6_136 Depth=3
	s_or_b32 exec_lo, exec_lo, s13
	s_delay_alu instid0(VALU_DEP_2) | instskip(NEXT) | instid1(VALU_DEP_2)
	v_lshrrev_b64 v[0:1], 21, v[0:1]
	v_cmp_gt_i32_e32 vcc_lo, 32, v2
	v_min_i32_e32 v3, 31, v2
	v_cmp_eq_u32_e64 s13, 0, v2
	s_delay_alu instid0(VALU_DEP_2) | instskip(SKIP_1) | instid1(VALU_DEP_2)
	v_dual_cndmask_b32 v1, 0, v1, vcc_lo :: v_dual_lshlrev_b32 v3, 2, v3
	v_cndmask_b32_e32 v0, 3, v0, vcc_lo
	v_and_b32_e32 v3, 0xfc, v3
	s_delay_alu instid0(VALU_DEP_2) | instskip(NEXT) | instid1(VALU_DEP_2)
	v_cmp_eq_u64_e32 vcc_lo, 0, v[0:1]
	v_and_or_b32 v0, v0, 3, v3
	s_and_b32 s13, s13, vcc_lo
	s_delay_alu instid0(VALU_DEP_1) | instid1(SALU_CYCLE_1)
	v_cndmask_b32_e64 v0, v0, 0, s13
	s_delay_alu instid0(VALU_DEP_1)
	v_or_b32_e32 v114, v0, v4
.LBB6_1694:                             ;   in Loop: Header=BB6_136 Depth=3
	s_or_b32 exec_lo, exec_lo, s76
                                        ; implicit-def: $vgpr4
.LBB6_1695:                             ;   in Loop: Header=BB6_136 Depth=3
	s_and_not1_saveexec_b32 s13, s75
; %bb.1696:                             ;   in Loop: Header=BB6_136 Depth=3
	v_or_b32_e32 v114, 0x7b, v4
; %bb.1697:                             ;   in Loop: Header=BB6_136 Depth=3
	s_or_b32 exec_lo, exec_lo, s13
                                        ; implicit-def: $vgpr2
                                        ; implicit-def: $vgpr0_vgpr1
                                        ; implicit-def: $vgpr3
.LBB6_1698:                             ;   in Loop: Header=BB6_136 Depth=3
	s_and_not1_saveexec_b32 s13, s74
	s_cbranch_execz .LBB6_1704
; %bb.1699:                             ;   in Loop: Header=BB6_136 Depth=3
	s_mov_b32 s74, exec_lo
                                        ; implicit-def: $vgpr114
	v_cmpx_ne_u64_e32 0, v[0:1]
	s_xor_b32 s74, exec_lo, s74
; %bb.1700:                             ;   in Loop: Header=BB6_136 Depth=3
	v_or_b32_e32 v114, 0x7f, v3
                                        ; implicit-def: $vgpr2
; %bb.1701:                             ;   in Loop: Header=BB6_136 Depth=3
	s_and_not1_saveexec_b32 s74, s74
; %bb.1702:                             ;   in Loop: Header=BB6_136 Depth=3
	v_cmp_lt_i32_e32 vcc_lo, -1, v2
	v_mov_b32_e32 v0, 0x7c
	s_delay_alu instid0(VALU_DEP_1)
	v_cndmask_b32_e32 v114, 0xfc, v0, vcc_lo
; %bb.1703:                             ;   in Loop: Header=BB6_136 Depth=3
	s_or_b32 exec_lo, exec_lo, s74
.LBB6_1704:                             ;   in Loop: Header=BB6_136 Depth=3
	s_delay_alu instid0(SALU_CYCLE_1) | instskip(SKIP_4) | instid1(VALU_DEP_3)
	s_or_b32 exec_lo, exec_lo, s13
	v_and_b32_e32 v3, 0xff, v9
	v_dual_mov_b32 v0, v9 :: v_dual_mov_b32 v1, v113
	v_mov_b32_e32 v2, 0
	s_mov_b32 s74, exec_lo
	v_cmpx_ne_u16_e32 0, v3
	s_cbranch_execz .LBB6_1714
; %bb.1705:                             ;   in Loop: Header=BB6_136 Depth=3
	v_bfrev_b32_e32 v2, 1
	s_mov_b32 s75, exec_lo
	v_cmpx_ne_u16_e32 0x80, v3
	s_cbranch_execz .LBB6_1713
; %bb.1706:                             ;   in Loop: Header=BB6_136 Depth=3
	v_and_b32_e32 v2, 0x7c, v9
	v_and_b32_e32 v3, 3, v9
	s_delay_alu instid0(VALU_DEP_2) | instskip(SKIP_1) | instid1(SALU_CYCLE_1)
	v_cmp_ne_u32_e32 vcc_lo, 0x7c, v2
                                        ; implicit-def: $vgpr2
	s_and_saveexec_b32 s13, vcc_lo
	s_xor_b32 s13, exec_lo, s13
	s_cbranch_execz .LBB6_1710
; %bb.1707:                             ;   in Loop: Header=BB6_136 Depth=3
	v_bfe_u32 v2, v9, 2, 5
	s_mov_b32 s76, exec_lo
	s_delay_alu instid0(VALU_DEP_1)
	v_cmpx_eq_u32_e32 0, v2
; %bb.1708:                             ;   in Loop: Header=BB6_136 Depth=3
	v_clz_i32_u32_e32 v2, v3
	s_delay_alu instid0(VALU_DEP_1) | instskip(NEXT) | instid1(VALU_DEP_1)
	v_min_u32_e32 v2, 32, v2
	v_subrev_nc_u32_e32 v3, 29, v2
	s_delay_alu instid0(VALU_DEP_1) | instskip(NEXT) | instid1(VALU_DEP_1)
	v_lshlrev_b64_e32 v[4:5], v3, v[0:1]
	v_dual_sub_nc_u32 v2, 30, v2 :: v_dual_bitop2_b32 v3, 3, v4 bitop3:0x40
; %bb.1709:                             ;   in Loop: Header=BB6_136 Depth=3
	s_or_b32 exec_lo, exec_lo, s76
	v_lshlrev_b32_e32 v1, 24, v9
	s_delay_alu instid0(VALU_DEP_1) | instskip(NEXT) | instid1(VALU_DEP_1)
	v_and_b32_e32 v1, 0x80000000, v1
	v_lshl_add_u32 v1, v2, 23, v1
	s_delay_alu instid0(VALU_DEP_1) | instskip(NEXT) | instid1(VALU_DEP_1)
	v_lshl_or_b32 v1, v3, 21, v1
                                        ; implicit-def: $vgpr3
	v_add_nc_u32_e32 v2, 0x38000000, v1
.LBB6_1710:                             ;   in Loop: Header=BB6_136 Depth=3
	s_and_not1_saveexec_b32 s76, s13
; %bb.1711:                             ;   in Loop: Header=BB6_136 Depth=3
	v_bfe_i32 v1, v9, 0, 8
	v_cmp_eq_u32_e32 vcc_lo, 0, v3
	s_delay_alu instid0(VALU_DEP_2) | instskip(SKIP_1) | instid1(VALU_DEP_1)
	v_cmp_lt_i16_e64 s13, -1, v1
	v_mov_b32_e32 v1, 0x7f800000
	v_cndmask_b32_e64 v1, 0xff800000, v1, s13
	s_delay_alu instid0(VALU_DEP_1)
	v_cndmask_b32_e32 v2, 0x7f800001, v1, vcc_lo
; %bb.1712:                             ;   in Loop: Header=BB6_136 Depth=3
	s_or_b32 exec_lo, exec_lo, s76
.LBB6_1713:                             ;   in Loop: Header=BB6_136 Depth=3
	s_delay_alu instid0(SALU_CYCLE_1)
	s_or_b32 exec_lo, exec_lo, s75
.LBB6_1714:                             ;   in Loop: Header=BB6_136 Depth=3
	s_delay_alu instid0(SALU_CYCLE_1) | instskip(NEXT) | instid1(VALU_DEP_1)
	s_or_b32 exec_lo, exec_lo, s74
	v_dual_mul_f32 v4, s73, v2 :: v_dual_mov_b32 v15, v113
	v_mov_b32_e32 v3, v113
                                        ; implicit-def: $vgpr115
	s_mov_b32 s13, exec_lo
	s_delay_alu instid0(VALU_DEP_2) | instskip(SKIP_2) | instid1(VALU_DEP_3)
	v_and_b32_e32 v14, 0x7f800000, v4
	v_and_b32_e32 v2, 0x7fffff, v4
	v_lshrrev_b32_e32 v1, 24, v4
	v_cmpx_ne_u64_e32 0x7f800000, v[14:15]
	s_xor_b32 s74, exec_lo, s13
	s_cbranch_execz .LBB6_1728
; %bb.1715:                             ;   in Loop: Header=BB6_136 Depth=3
	v_and_b32_e32 v14, 0x7fffffff, v4
	v_mov_b32_e32 v15, v113
	v_and_b32_e32 v1, 0x80, v1
                                        ; implicit-def: $vgpr115
	s_mov_b32 s13, exec_lo
	s_delay_alu instid0(VALU_DEP_2)
	v_cmpx_gt_u64_e32 0x47600001, v[14:15]
	s_xor_b32 s75, exec_lo, s13
	s_cbranch_execz .LBB6_1725
; %bb.1716:                             ;   in Loop: Header=BB6_136 Depth=3
	v_mov_b32_e32 v115, 0
	s_mov_b32 s76, exec_lo
	v_cmpx_ne_u32_e32 0, v4
	s_cbranch_execz .LBB6_1724
; %bb.1717:                             ;   in Loop: Header=BB6_136 Depth=3
	v_bfe_u32 v7, v4, 23, 8
	v_or_b32_e32 v5, 0x800000, v2
	s_delay_alu instid0(VALU_DEP_2) | instskip(SKIP_2) | instid1(VALU_DEP_2)
	v_cmp_gt_u32_e64 s13, 0x72, v7
	v_sub_nc_u32_e32 v4, 0x71, v7
	v_cmp_eq_u32_e32 vcc_lo, 0, v7
	v_dual_cndmask_b32 v4, 0, v4, s13 :: v_dual_cndmask_b32 v2, v5, v2, vcc_lo
	s_delay_alu instid0(VALU_DEP_1) | instskip(NEXT) | instid1(VALU_DEP_1)
	v_cndmask_b32_e64 v14, v4, 0x70, vcc_lo
	v_dual_add_nc_u32 v4, 21, v14 :: v_dual_add_nc_u32 v15, 20, v14
	s_delay_alu instid0(VALU_DEP_1) | instskip(NEXT) | instid1(VALU_DEP_2)
	v_lshlrev_b64_e64 v[4:5], v4, -1
	v_lshlrev_b64_e64 v[16:17], v15, 1
	s_delay_alu instid0(VALU_DEP_2) | instskip(SKIP_1) | instid1(VALU_DEP_4)
	v_bfi_b32 v4, v4, 0, v2
	v_lshrrev_b64 v[2:3], v14, v[2:3]
	v_bfi_b32 v5, v5, 0, 0
	s_delay_alu instid0(VALU_DEP_1) | instskip(NEXT) | instid1(VALU_DEP_3)
	v_cmp_eq_u64_e64 s13, v[4:5], v[16:17]
	v_mov_b64_e32 v[4:5], v[2:3]
	s_and_saveexec_b32 s77, s13
; %bb.1718:                             ;   in Loop: Header=BB6_136 Depth=3
	v_bfe_u32 v4, v2, 21, 1
	v_mov_b32_e32 v5, v113
	s_delay_alu instid0(VALU_DEP_1) | instskip(NEXT) | instid1(VALU_DEP_1)
	v_add_nc_u64_e32 v[4:5], v[2:3], v[4:5]
	v_add_nc_u64_e32 v[4:5], -1, v[4:5]
; %bb.1719:                             ;   in Loop: Header=BB6_136 Depth=3
	s_or_b32 exec_lo, exec_lo, s77
	v_add_nc_u32_e32 v3, 0xffffff81, v7
	v_lshrrev_b32_e32 v5, 23, v2
	s_mov_b32 s13, exec_lo
	s_delay_alu instid0(VALU_DEP_2) | instskip(NEXT) | instid1(VALU_DEP_1)
	v_cndmask_b32_e64 v3, v3, 0xffffff82, vcc_lo
	v_add3_u32 v7, v14, v3, v5
	v_and_b32_e32 v3, 0x1fffff, v4
                                        ; implicit-def: $vgpr4
	s_delay_alu instid0(VALU_DEP_1) | instskip(SKIP_1) | instid1(VALU_DEP_2)
	v_dual_add_nc_u32 v5, 14, v7 :: v_dual_add_nc_u32 v2, v3, v2
	v_mov_b32_e32 v3, v113
	v_cmpx_ne_u32_e32 0, v5
	s_xor_b32 s13, exec_lo, s13
; %bb.1720:                             ;   in Loop: Header=BB6_136 Depth=3
	s_delay_alu instid0(VALU_DEP_2) | instskip(SKIP_1) | instid1(VALU_DEP_1)
	v_cmp_lt_u64_e32 vcc_lo, 0xffffff, v[2:3]
	v_add_nc_u32_e32 v4, 15, v7
	v_cndmask_b32_e32 v4, v5, v4, vcc_lo
	v_cndmask_b32_e64 v5, 0, 1, vcc_lo
	s_delay_alu instid0(VALU_DEP_1)
	v_lshrrev_b64 v[2:3], v5, v[2:3]
; %bb.1721:                             ;   in Loop: Header=BB6_136 Depth=3
	s_and_not1_saveexec_b32 s13, s13
; %bb.1722:                             ;   in Loop: Header=BB6_136 Depth=3
	s_delay_alu instid0(VALU_DEP_1)
	v_bfe_u32 v4, v2, 23, 1
; %bb.1723:                             ;   in Loop: Header=BB6_136 Depth=3
	s_or_b32 exec_lo, exec_lo, s13
	s_delay_alu instid0(VALU_DEP_2) | instskip(NEXT) | instid1(VALU_DEP_2)
	v_lshrrev_b64 v[2:3], 21, v[2:3]
	v_cmp_gt_i32_e32 vcc_lo, 32, v4
	v_min_i32_e32 v5, 31, v4
	v_cmp_eq_u32_e64 s13, 0, v4
	s_delay_alu instid0(VALU_DEP_2) | instskip(SKIP_1) | instid1(VALU_DEP_2)
	v_dual_cndmask_b32 v3, 0, v3, vcc_lo :: v_dual_lshlrev_b32 v5, 2, v5
	v_cndmask_b32_e32 v2, 3, v2, vcc_lo
	v_and_b32_e32 v5, 0xfc, v5
	s_delay_alu instid0(VALU_DEP_2) | instskip(NEXT) | instid1(VALU_DEP_2)
	v_cmp_eq_u64_e32 vcc_lo, 0, v[2:3]
	v_and_or_b32 v2, v2, 3, v5
	s_and_b32 s13, s13, vcc_lo
	s_delay_alu instid0(VALU_DEP_1) | instid1(SALU_CYCLE_1)
	v_cndmask_b32_e64 v2, v2, 0, s13
	s_delay_alu instid0(VALU_DEP_1)
	v_or_b32_e32 v115, v2, v1
.LBB6_1724:                             ;   in Loop: Header=BB6_136 Depth=3
	s_or_b32 exec_lo, exec_lo, s76
                                        ; implicit-def: $vgpr1
.LBB6_1725:                             ;   in Loop: Header=BB6_136 Depth=3
	s_and_not1_saveexec_b32 s13, s75
; %bb.1726:                             ;   in Loop: Header=BB6_136 Depth=3
	v_or_b32_e32 v115, 0x7b, v1
; %bb.1727:                             ;   in Loop: Header=BB6_136 Depth=3
	s_or_b32 exec_lo, exec_lo, s13
                                        ; implicit-def: $vgpr4
                                        ; implicit-def: $vgpr2_vgpr3
                                        ; implicit-def: $vgpr1
.LBB6_1728:                             ;   in Loop: Header=BB6_136 Depth=3
	s_and_not1_saveexec_b32 s13, s74
	s_cbranch_execz .LBB6_1734
; %bb.1729:                             ;   in Loop: Header=BB6_136 Depth=3
	s_mov_b32 s74, exec_lo
                                        ; implicit-def: $vgpr115
	v_cmpx_ne_u64_e32 0, v[2:3]
	s_xor_b32 s74, exec_lo, s74
; %bb.1730:                             ;   in Loop: Header=BB6_136 Depth=3
	v_or_b32_e32 v115, 0x7f, v1
                                        ; implicit-def: $vgpr4
; %bb.1731:                             ;   in Loop: Header=BB6_136 Depth=3
	s_and_not1_saveexec_b32 s74, s74
; %bb.1732:                             ;   in Loop: Header=BB6_136 Depth=3
	v_cmp_lt_i32_e32 vcc_lo, -1, v4
	v_mov_b32_e32 v1, 0x7c
	s_delay_alu instid0(VALU_DEP_1)
	v_cndmask_b32_e32 v115, 0xfc, v1, vcc_lo
; %bb.1733:                             ;   in Loop: Header=BB6_136 Depth=3
	s_or_b32 exec_lo, exec_lo, s74
.LBB6_1734:                             ;   in Loop: Header=BB6_136 Depth=3
	s_delay_alu instid0(SALU_CYCLE_1) | instskip(SKIP_3) | instid1(VALU_DEP_2)
	s_or_b32 exec_lo, exec_lo, s13
	v_lshrrev_b16 v2, 8, v0
	v_mov_b32_e32 v3, 0
	s_mov_b32 s74, exec_lo
	v_cmpx_ne_u16_e32 0, v2
	s_cbranch_execz .LBB6_1744
; %bb.1735:                             ;   in Loop: Header=BB6_136 Depth=3
	v_bfrev_b32_e32 v3, 1
	s_mov_b32 s75, exec_lo
	v_cmpx_ne_u16_e32 0x80, v2
	s_cbranch_execz .LBB6_1743
; %bb.1736:                             ;   in Loop: Header=BB6_136 Depth=3
	v_and_b32_e32 v1, 0xffff, v2
	s_delay_alu instid0(VALU_DEP_1) | instskip(SKIP_1) | instid1(VALU_DEP_2)
	v_and_b32_e32 v3, 0x7c, v1
	v_and_b32_e32 v4, 3, v1
	v_cmp_ne_u32_e32 vcc_lo, 0x7c, v3
                                        ; implicit-def: $vgpr3
	s_and_saveexec_b32 s13, vcc_lo
	s_delay_alu instid0(SALU_CYCLE_1)
	s_xor_b32 s13, exec_lo, s13
	s_cbranch_execz .LBB6_1740
; %bb.1737:                             ;   in Loop: Header=BB6_136 Depth=3
	v_bfe_u32 v1, v1, 2, 5
	s_mov_b32 s76, exec_lo
	s_delay_alu instid0(VALU_DEP_1)
	v_cmpx_eq_u32_e32 0, v1
	s_cbranch_execz .LBB6_1739
; %bb.1738:                             ;   in Loop: Header=BB6_136 Depth=3
	v_clz_i32_u32_e32 v1, v4
	s_delay_alu instid0(VALU_DEP_1) | instskip(SKIP_1) | instid1(VALU_DEP_2)
	v_min_u32_e32 v1, 32, v1
	v_mov_b32_e32 v3, v113
	v_subrev_nc_u32_e32 v4, 29, v1
	v_sub_nc_u32_e32 v1, 30, v1
	s_delay_alu instid0(VALU_DEP_2) | instskip(NEXT) | instid1(VALU_DEP_1)
	v_lshlrev_b64_e32 v[2:3], v4, v[2:3]
	v_and_b32_e32 v4, 3, v2
.LBB6_1739:                             ;   in Loop: Header=BB6_136 Depth=3
	s_or_b32 exec_lo, exec_lo, s76
	v_lshlrev_b32_e32 v0, 16, v0
	s_delay_alu instid0(VALU_DEP_1) | instskip(NEXT) | instid1(VALU_DEP_1)
	v_and_b32_e32 v0, 0x80000000, v0
	v_lshl_add_u32 v0, v1, 23, v0
	s_delay_alu instid0(VALU_DEP_1) | instskip(NEXT) | instid1(VALU_DEP_1)
	v_lshl_or_b32 v0, v4, 21, v0
                                        ; implicit-def: $vgpr4
	v_add_nc_u32_e32 v3, 0x38000000, v0
                                        ; implicit-def: $vgpr0_vgpr1
.LBB6_1740:                             ;   in Loop: Header=BB6_136 Depth=3
	s_and_not1_saveexec_b32 s76, s13
; %bb.1741:                             ;   in Loop: Header=BB6_136 Depth=3
	v_cmp_lt_i16_e64 s13, -1, v0
	v_mov_b32_e32 v0, 0x7f800000
	v_cmp_eq_u32_e32 vcc_lo, 0, v4
	s_delay_alu instid0(VALU_DEP_2) | instskip(NEXT) | instid1(VALU_DEP_1)
	v_cndmask_b32_e64 v0, 0xff800000, v0, s13
	v_cndmask_b32_e32 v3, 0x7f800001, v0, vcc_lo
; %bb.1742:                             ;   in Loop: Header=BB6_136 Depth=3
	s_or_b32 exec_lo, exec_lo, s76
.LBB6_1743:                             ;   in Loop: Header=BB6_136 Depth=3
	s_delay_alu instid0(SALU_CYCLE_1)
	s_or_b32 exec_lo, exec_lo, s75
.LBB6_1744:                             ;   in Loop: Header=BB6_136 Depth=3
	s_delay_alu instid0(SALU_CYCLE_1) | instskip(NEXT) | instid1(VALU_DEP_1)
	s_or_b32 exec_lo, exec_lo, s74
	v_dual_mul_f32 v2, s73, v3 :: v_dual_mov_b32 v5, v113
	v_mov_b32_e32 v1, v113
                                        ; implicit-def: $vgpr116
	s_mov_b32 s13, exec_lo
	s_delay_alu instid0(VALU_DEP_2) | instskip(SKIP_2) | instid1(VALU_DEP_3)
	v_and_b32_e32 v4, 0x7f800000, v2
	v_and_b32_e32 v0, 0x7fffff, v2
	v_lshrrev_b32_e32 v3, 24, v2
	v_cmpx_ne_u64_e32 0x7f800000, v[4:5]
	s_xor_b32 s74, exec_lo, s13
	s_cbranch_execz .LBB6_1758
; %bb.1745:                             ;   in Loop: Header=BB6_136 Depth=3
	v_and_b32_e32 v4, 0x7fffffff, v2
	v_mov_b32_e32 v5, v113
                                        ; implicit-def: $vgpr116
	s_delay_alu instid0(VALU_DEP_1) | instskip(SKIP_2) | instid1(SALU_CYCLE_1)
	v_cmp_gt_u64_e32 vcc_lo, 0x47600001, v[4:5]
	v_and_b32_e32 v4, 0x80, v3
	s_and_saveexec_b32 s13, vcc_lo
	s_xor_b32 s75, exec_lo, s13
	s_cbranch_execz .LBB6_1755
; %bb.1746:                             ;   in Loop: Header=BB6_136 Depth=3
	v_mov_b32_e32 v116, 0
	s_mov_b32 s76, exec_lo
	v_cmpx_ne_u32_e32 0, v2
	s_cbranch_execz .LBB6_1754
; %bb.1747:                             ;   in Loop: Header=BB6_136 Depth=3
	v_bfe_u32 v5, v2, 23, 8
	v_or_b32_e32 v3, 0x800000, v0
	s_delay_alu instid0(VALU_DEP_2) | instskip(SKIP_2) | instid1(VALU_DEP_2)
	v_cmp_gt_u32_e64 s13, 0x72, v5
	v_sub_nc_u32_e32 v2, 0x71, v5
	v_cmp_eq_u32_e32 vcc_lo, 0, v5
	v_dual_cndmask_b32 v2, 0, v2, s13 :: v_dual_cndmask_b32 v0, v3, v0, vcc_lo
	s_delay_alu instid0(VALU_DEP_1) | instskip(NEXT) | instid1(VALU_DEP_1)
	v_cndmask_b32_e64 v7, v2, 0x70, vcc_lo
	v_dual_add_nc_u32 v2, 21, v7 :: v_dual_add_nc_u32 v14, 20, v7
	s_delay_alu instid0(VALU_DEP_1) | instskip(NEXT) | instid1(VALU_DEP_2)
	v_lshlrev_b64_e64 v[2:3], v2, -1
	v_lshlrev_b64_e64 v[14:15], v14, 1
	s_delay_alu instid0(VALU_DEP_2) | instskip(SKIP_1) | instid1(VALU_DEP_4)
	v_bfi_b32 v2, v2, 0, v0
	v_lshrrev_b64 v[0:1], v7, v[0:1]
	v_bfi_b32 v3, v3, 0, 0
	s_delay_alu instid0(VALU_DEP_1) | instskip(NEXT) | instid1(VALU_DEP_3)
	v_cmp_eq_u64_e64 s13, v[2:3], v[14:15]
	v_mov_b64_e32 v[2:3], v[0:1]
	s_and_saveexec_b32 s77, s13
; %bb.1748:                             ;   in Loop: Header=BB6_136 Depth=3
	v_bfe_u32 v2, v0, 21, 1
	v_mov_b32_e32 v3, v113
	s_delay_alu instid0(VALU_DEP_1) | instskip(NEXT) | instid1(VALU_DEP_1)
	v_add_nc_u64_e32 v[2:3], v[0:1], v[2:3]
	v_add_nc_u64_e32 v[2:3], -1, v[2:3]
; %bb.1749:                             ;   in Loop: Header=BB6_136 Depth=3
	s_or_b32 exec_lo, exec_lo, s77
	v_add_nc_u32_e32 v1, 0xffffff81, v5
	v_lshrrev_b32_e32 v3, 23, v0
	s_mov_b32 s13, exec_lo
	s_delay_alu instid0(VALU_DEP_2) | instskip(NEXT) | instid1(VALU_DEP_1)
	v_cndmask_b32_e64 v1, v1, 0xffffff82, vcc_lo
	v_add3_u32 v5, v7, v1, v3
	v_and_b32_e32 v1, 0x1fffff, v2
                                        ; implicit-def: $vgpr2
	s_delay_alu instid0(VALU_DEP_1) | instskip(SKIP_1) | instid1(VALU_DEP_2)
	v_dual_add_nc_u32 v3, 14, v5 :: v_dual_add_nc_u32 v0, v1, v0
	v_mov_b32_e32 v1, v113
	v_cmpx_ne_u32_e32 0, v3
	s_xor_b32 s13, exec_lo, s13
; %bb.1750:                             ;   in Loop: Header=BB6_136 Depth=3
	s_delay_alu instid0(VALU_DEP_2) | instskip(SKIP_1) | instid1(VALU_DEP_1)
	v_cmp_lt_u64_e32 vcc_lo, 0xffffff, v[0:1]
	v_add_nc_u32_e32 v2, 15, v5
	v_cndmask_b32_e32 v2, v3, v2, vcc_lo
	v_cndmask_b32_e64 v3, 0, 1, vcc_lo
	s_delay_alu instid0(VALU_DEP_1)
	v_lshrrev_b64 v[0:1], v3, v[0:1]
; %bb.1751:                             ;   in Loop: Header=BB6_136 Depth=3
	s_and_not1_saveexec_b32 s13, s13
; %bb.1752:                             ;   in Loop: Header=BB6_136 Depth=3
	s_delay_alu instid0(VALU_DEP_1)
	v_bfe_u32 v2, v0, 23, 1
; %bb.1753:                             ;   in Loop: Header=BB6_136 Depth=3
	s_or_b32 exec_lo, exec_lo, s13
	s_delay_alu instid0(VALU_DEP_2) | instskip(NEXT) | instid1(VALU_DEP_2)
	v_lshrrev_b64 v[0:1], 21, v[0:1]
	v_cmp_gt_i32_e32 vcc_lo, 32, v2
	v_min_i32_e32 v3, 31, v2
	v_cmp_eq_u32_e64 s13, 0, v2
	s_delay_alu instid0(VALU_DEP_2) | instskip(SKIP_1) | instid1(VALU_DEP_2)
	v_dual_cndmask_b32 v1, 0, v1, vcc_lo :: v_dual_lshlrev_b32 v3, 2, v3
	v_cndmask_b32_e32 v0, 3, v0, vcc_lo
	v_and_b32_e32 v3, 0xfc, v3
	s_delay_alu instid0(VALU_DEP_2) | instskip(NEXT) | instid1(VALU_DEP_2)
	v_cmp_eq_u64_e32 vcc_lo, 0, v[0:1]
	v_and_or_b32 v0, v0, 3, v3
	s_and_b32 s13, s13, vcc_lo
	s_delay_alu instid0(VALU_DEP_1) | instid1(SALU_CYCLE_1)
	v_cndmask_b32_e64 v0, v0, 0, s13
	s_delay_alu instid0(VALU_DEP_1)
	v_or_b32_e32 v116, v0, v4
.LBB6_1754:                             ;   in Loop: Header=BB6_136 Depth=3
	s_or_b32 exec_lo, exec_lo, s76
                                        ; implicit-def: $vgpr4
.LBB6_1755:                             ;   in Loop: Header=BB6_136 Depth=3
	s_and_not1_saveexec_b32 s13, s75
; %bb.1756:                             ;   in Loop: Header=BB6_136 Depth=3
	v_or_b32_e32 v116, 0x7b, v4
; %bb.1757:                             ;   in Loop: Header=BB6_136 Depth=3
	s_or_b32 exec_lo, exec_lo, s13
                                        ; implicit-def: $vgpr2
                                        ; implicit-def: $vgpr0_vgpr1
                                        ; implicit-def: $vgpr3
.LBB6_1758:                             ;   in Loop: Header=BB6_136 Depth=3
	s_and_not1_saveexec_b32 s13, s74
	s_cbranch_execz .LBB6_1764
; %bb.1759:                             ;   in Loop: Header=BB6_136 Depth=3
	s_mov_b32 s74, exec_lo
                                        ; implicit-def: $vgpr116
	v_cmpx_ne_u64_e32 0, v[0:1]
	s_xor_b32 s74, exec_lo, s74
; %bb.1760:                             ;   in Loop: Header=BB6_136 Depth=3
	v_or_b32_e32 v116, 0x7f, v3
                                        ; implicit-def: $vgpr2
; %bb.1761:                             ;   in Loop: Header=BB6_136 Depth=3
	s_and_not1_saveexec_b32 s74, s74
; %bb.1762:                             ;   in Loop: Header=BB6_136 Depth=3
	v_cmp_lt_i32_e32 vcc_lo, -1, v2
	v_mov_b32_e32 v0, 0x7c
	s_delay_alu instid0(VALU_DEP_1)
	v_cndmask_b32_e32 v116, 0xfc, v0, vcc_lo
; %bb.1763:                             ;   in Loop: Header=BB6_136 Depth=3
	s_or_b32 exec_lo, exec_lo, s74
.LBB6_1764:                             ;   in Loop: Header=BB6_136 Depth=3
	s_delay_alu instid0(SALU_CYCLE_1) | instskip(SKIP_2) | instid1(VALU_DEP_1)
	s_or_b32 exec_lo, exec_lo, s13
	v_dual_mov_b32 v1, 0 :: v_dual_lshrrev_b32 v0, 16, v9
	s_mov_b32 s74, exec_lo
	v_and_b32_e32 v2, 0xff, v0
	s_delay_alu instid0(VALU_DEP_1)
	v_cmpx_ne_u16_e32 0, v2
	s_cbranch_execz .LBB6_1774
; %bb.1765:                             ;   in Loop: Header=BB6_136 Depth=3
	v_bfrev_b32_e32 v1, 1
	s_mov_b32 s75, exec_lo
	v_cmpx_ne_u16_e32 0x80, v2
	s_cbranch_execz .LBB6_1773
; %bb.1766:                             ;   in Loop: Header=BB6_136 Depth=3
	v_and_b32_e32 v1, 0x7c0000, v9
	v_bfe_u32 v2, v9, 16, 2
	s_delay_alu instid0(VALU_DEP_2) | instskip(SKIP_1) | instid1(SALU_CYCLE_1)
	v_cmp_ne_u32_e32 vcc_lo, 0x7c0000, v1
                                        ; implicit-def: $vgpr1
	s_and_saveexec_b32 s13, vcc_lo
	s_xor_b32 s13, exec_lo, s13
	s_cbranch_execz .LBB6_1770
; %bb.1767:                             ;   in Loop: Header=BB6_136 Depth=3
	v_bfe_u32 v1, v9, 18, 5
	s_mov_b32 s76, exec_lo
	s_delay_alu instid0(VALU_DEP_1)
	v_cmpx_eq_u32_e32 0, v1
; %bb.1768:                             ;   in Loop: Header=BB6_136 Depth=3
	v_clz_i32_u32_e32 v1, v2
	s_delay_alu instid0(VALU_DEP_1) | instskip(NEXT) | instid1(VALU_DEP_1)
	v_min_u32_e32 v1, 32, v1
	v_subrev_nc_u32_e32 v2, 29, v1
	s_delay_alu instid0(VALU_DEP_1) | instskip(NEXT) | instid1(VALU_DEP_1)
	v_lshlrev_b64_e32 v[2:3], v2, v[0:1]
	v_dual_sub_nc_u32 v1, 30, v1 :: v_dual_bitop2_b32 v2, 3, v2 bitop3:0x40
; %bb.1769:                             ;   in Loop: Header=BB6_136 Depth=3
	s_or_b32 exec_lo, exec_lo, s76
	v_lshlrev_b32_e32 v0, 24, v0
	s_delay_alu instid0(VALU_DEP_1) | instskip(NEXT) | instid1(VALU_DEP_1)
	v_and_b32_e32 v0, 0x80000000, v0
	v_lshl_add_u32 v0, v1, 23, v0
	s_delay_alu instid0(VALU_DEP_1) | instskip(NEXT) | instid1(VALU_DEP_1)
	v_lshl_or_b32 v0, v2, 21, v0
                                        ; implicit-def: $vgpr2
	v_add_nc_u32_e32 v1, 0x38000000, v0
                                        ; implicit-def: $vgpr0
.LBB6_1770:                             ;   in Loop: Header=BB6_136 Depth=3
	s_and_not1_saveexec_b32 s76, s13
; %bb.1771:                             ;   in Loop: Header=BB6_136 Depth=3
	v_bfe_i32 v0, v0, 0, 8
	v_cmp_eq_u32_e32 vcc_lo, 0, v2
	s_delay_alu instid0(VALU_DEP_2) | instskip(SKIP_1) | instid1(VALU_DEP_1)
	v_cmp_lt_i16_e64 s13, -1, v0
	v_mov_b32_e32 v0, 0x7f800000
	v_cndmask_b32_e64 v0, 0xff800000, v0, s13
	s_delay_alu instid0(VALU_DEP_1)
	v_cndmask_b32_e32 v1, 0x7f800001, v0, vcc_lo
; %bb.1772:                             ;   in Loop: Header=BB6_136 Depth=3
	s_or_b32 exec_lo, exec_lo, s76
.LBB6_1773:                             ;   in Loop: Header=BB6_136 Depth=3
	s_delay_alu instid0(SALU_CYCLE_1)
	s_or_b32 exec_lo, exec_lo, s75
.LBB6_1774:                             ;   in Loop: Header=BB6_136 Depth=3
	s_delay_alu instid0(SALU_CYCLE_1) | instskip(NEXT) | instid1(VALU_DEP_1)
	s_or_b32 exec_lo, exec_lo, s74
	v_dual_mul_f32 v2, s73, v1 :: v_dual_mov_b32 v5, v113
	v_mov_b32_e32 v1, v113
                                        ; implicit-def: $vgpr117
	s_mov_b32 s13, exec_lo
	s_delay_alu instid0(VALU_DEP_2) | instskip(SKIP_2) | instid1(VALU_DEP_3)
	v_and_b32_e32 v4, 0x7f800000, v2
	v_and_b32_e32 v0, 0x7fffff, v2
	v_lshrrev_b32_e32 v3, 24, v2
	v_cmpx_ne_u64_e32 0x7f800000, v[4:5]
	s_xor_b32 s74, exec_lo, s13
	s_cbranch_execz .LBB6_1788
; %bb.1775:                             ;   in Loop: Header=BB6_136 Depth=3
	v_and_b32_e32 v4, 0x7fffffff, v2
	v_mov_b32_e32 v5, v113
                                        ; implicit-def: $vgpr117
	s_delay_alu instid0(VALU_DEP_1) | instskip(SKIP_2) | instid1(SALU_CYCLE_1)
	v_cmp_gt_u64_e32 vcc_lo, 0x47600001, v[4:5]
	v_and_b32_e32 v4, 0x80, v3
	s_and_saveexec_b32 s13, vcc_lo
	s_xor_b32 s75, exec_lo, s13
	s_cbranch_execz .LBB6_1785
; %bb.1776:                             ;   in Loop: Header=BB6_136 Depth=3
	v_mov_b32_e32 v117, 0
	s_mov_b32 s76, exec_lo
	v_cmpx_ne_u32_e32 0, v2
	s_cbranch_execz .LBB6_1784
; %bb.1777:                             ;   in Loop: Header=BB6_136 Depth=3
	v_bfe_u32 v5, v2, 23, 8
	v_or_b32_e32 v3, 0x800000, v0
	s_delay_alu instid0(VALU_DEP_2) | instskip(SKIP_2) | instid1(VALU_DEP_2)
	v_cmp_gt_u32_e64 s13, 0x72, v5
	v_sub_nc_u32_e32 v2, 0x71, v5
	v_cmp_eq_u32_e32 vcc_lo, 0, v5
	v_dual_cndmask_b32 v2, 0, v2, s13 :: v_dual_cndmask_b32 v0, v3, v0, vcc_lo
	s_delay_alu instid0(VALU_DEP_1) | instskip(NEXT) | instid1(VALU_DEP_1)
	v_cndmask_b32_e64 v7, v2, 0x70, vcc_lo
	v_dual_add_nc_u32 v2, 21, v7 :: v_dual_add_nc_u32 v14, 20, v7
	s_delay_alu instid0(VALU_DEP_1) | instskip(NEXT) | instid1(VALU_DEP_2)
	v_lshlrev_b64_e64 v[2:3], v2, -1
	v_lshlrev_b64_e64 v[14:15], v14, 1
	s_delay_alu instid0(VALU_DEP_2) | instskip(SKIP_1) | instid1(VALU_DEP_4)
	v_bfi_b32 v2, v2, 0, v0
	v_lshrrev_b64 v[0:1], v7, v[0:1]
	v_bfi_b32 v3, v3, 0, 0
	s_delay_alu instid0(VALU_DEP_1) | instskip(NEXT) | instid1(VALU_DEP_3)
	v_cmp_eq_u64_e64 s13, v[2:3], v[14:15]
	v_mov_b64_e32 v[2:3], v[0:1]
	s_and_saveexec_b32 s77, s13
; %bb.1778:                             ;   in Loop: Header=BB6_136 Depth=3
	v_bfe_u32 v2, v0, 21, 1
	v_mov_b32_e32 v3, v113
	s_delay_alu instid0(VALU_DEP_1) | instskip(NEXT) | instid1(VALU_DEP_1)
	v_add_nc_u64_e32 v[2:3], v[0:1], v[2:3]
	v_add_nc_u64_e32 v[2:3], -1, v[2:3]
; %bb.1779:                             ;   in Loop: Header=BB6_136 Depth=3
	s_or_b32 exec_lo, exec_lo, s77
	v_add_nc_u32_e32 v1, 0xffffff81, v5
	v_lshrrev_b32_e32 v3, 23, v0
	s_mov_b32 s13, exec_lo
	s_delay_alu instid0(VALU_DEP_2) | instskip(NEXT) | instid1(VALU_DEP_1)
	v_cndmask_b32_e64 v1, v1, 0xffffff82, vcc_lo
	v_add3_u32 v5, v7, v1, v3
	v_and_b32_e32 v1, 0x1fffff, v2
                                        ; implicit-def: $vgpr2
	s_delay_alu instid0(VALU_DEP_1) | instskip(SKIP_1) | instid1(VALU_DEP_2)
	v_dual_add_nc_u32 v3, 14, v5 :: v_dual_add_nc_u32 v0, v1, v0
	v_mov_b32_e32 v1, v113
	v_cmpx_ne_u32_e32 0, v3
	s_xor_b32 s13, exec_lo, s13
; %bb.1780:                             ;   in Loop: Header=BB6_136 Depth=3
	s_delay_alu instid0(VALU_DEP_2) | instskip(SKIP_1) | instid1(VALU_DEP_1)
	v_cmp_lt_u64_e32 vcc_lo, 0xffffff, v[0:1]
	v_add_nc_u32_e32 v2, 15, v5
	v_cndmask_b32_e32 v2, v3, v2, vcc_lo
	v_cndmask_b32_e64 v3, 0, 1, vcc_lo
	s_delay_alu instid0(VALU_DEP_1)
	v_lshrrev_b64 v[0:1], v3, v[0:1]
; %bb.1781:                             ;   in Loop: Header=BB6_136 Depth=3
	s_and_not1_saveexec_b32 s13, s13
; %bb.1782:                             ;   in Loop: Header=BB6_136 Depth=3
	s_delay_alu instid0(VALU_DEP_1)
	v_bfe_u32 v2, v0, 23, 1
; %bb.1783:                             ;   in Loop: Header=BB6_136 Depth=3
	s_or_b32 exec_lo, exec_lo, s13
	s_delay_alu instid0(VALU_DEP_2) | instskip(NEXT) | instid1(VALU_DEP_2)
	v_lshrrev_b64 v[0:1], 21, v[0:1]
	v_cmp_gt_i32_e32 vcc_lo, 32, v2
	v_min_i32_e32 v3, 31, v2
	v_cmp_eq_u32_e64 s13, 0, v2
	s_delay_alu instid0(VALU_DEP_2) | instskip(SKIP_1) | instid1(VALU_DEP_2)
	v_dual_cndmask_b32 v1, 0, v1, vcc_lo :: v_dual_lshlrev_b32 v3, 2, v3
	v_cndmask_b32_e32 v0, 3, v0, vcc_lo
	v_and_b32_e32 v3, 0xfc, v3
	s_delay_alu instid0(VALU_DEP_2) | instskip(NEXT) | instid1(VALU_DEP_2)
	v_cmp_eq_u64_e32 vcc_lo, 0, v[0:1]
	v_and_or_b32 v0, v0, 3, v3
	s_and_b32 s13, s13, vcc_lo
	s_delay_alu instid0(VALU_DEP_1) | instid1(SALU_CYCLE_1)
	v_cndmask_b32_e64 v0, v0, 0, s13
	s_delay_alu instid0(VALU_DEP_1)
	v_or_b32_e32 v117, v0, v4
.LBB6_1784:                             ;   in Loop: Header=BB6_136 Depth=3
	s_or_b32 exec_lo, exec_lo, s76
                                        ; implicit-def: $vgpr4
.LBB6_1785:                             ;   in Loop: Header=BB6_136 Depth=3
	s_and_not1_saveexec_b32 s13, s75
; %bb.1786:                             ;   in Loop: Header=BB6_136 Depth=3
	v_or_b32_e32 v117, 0x7b, v4
; %bb.1787:                             ;   in Loop: Header=BB6_136 Depth=3
	s_or_b32 exec_lo, exec_lo, s13
                                        ; implicit-def: $vgpr2
                                        ; implicit-def: $vgpr0_vgpr1
                                        ; implicit-def: $vgpr3
.LBB6_1788:                             ;   in Loop: Header=BB6_136 Depth=3
	s_and_not1_saveexec_b32 s13, s74
	s_cbranch_execz .LBB6_1794
; %bb.1789:                             ;   in Loop: Header=BB6_136 Depth=3
	s_mov_b32 s74, exec_lo
                                        ; implicit-def: $vgpr117
	v_cmpx_ne_u64_e32 0, v[0:1]
	s_xor_b32 s74, exec_lo, s74
; %bb.1790:                             ;   in Loop: Header=BB6_136 Depth=3
	v_or_b32_e32 v117, 0x7f, v3
                                        ; implicit-def: $vgpr2
; %bb.1791:                             ;   in Loop: Header=BB6_136 Depth=3
	s_and_not1_saveexec_b32 s74, s74
; %bb.1792:                             ;   in Loop: Header=BB6_136 Depth=3
	v_cmp_lt_i32_e32 vcc_lo, -1, v2
	v_mov_b32_e32 v0, 0x7c
	s_delay_alu instid0(VALU_DEP_1)
	v_cndmask_b32_e32 v117, 0xfc, v0, vcc_lo
; %bb.1793:                             ;   in Loop: Header=BB6_136 Depth=3
	s_or_b32 exec_lo, exec_lo, s74
.LBB6_1794:                             ;   in Loop: Header=BB6_136 Depth=3
	s_delay_alu instid0(SALU_CYCLE_1)
	s_or_b32 exec_lo, exec_lo, s13
	v_mov_b32_e32 v1, 0
	s_mov_b32 s74, exec_lo
	v_cmpx_lt_u64_e64 s[22:23], v[8:9]
	s_cbranch_execz .LBB6_1804
; %bb.1795:                             ;   in Loop: Header=BB6_136 Depth=3
	v_lshrrev_b32_e32 v0, 24, v9
	v_bfrev_b32_e32 v1, 1
	s_mov_b32 s75, exec_lo
	s_delay_alu instid0(VALU_DEP_2)
	v_cmpx_ne_u32_e32 0x80, v0
	s_cbranch_execz .LBB6_1803
; %bb.1796:                             ;   in Loop: Header=BB6_136 Depth=3
	v_and_b32_e32 v1, 0x7c000000, v9
	v_bfe_u32 v2, v9, 24, 2
	s_delay_alu instid0(VALU_DEP_2) | instskip(SKIP_1) | instid1(SALU_CYCLE_1)
	v_cmp_ne_u32_e32 vcc_lo, 0x7c000000, v1
                                        ; implicit-def: $vgpr1
	s_and_saveexec_b32 s13, vcc_lo
	s_xor_b32 s13, exec_lo, s13
	s_cbranch_execz .LBB6_1800
; %bb.1797:                             ;   in Loop: Header=BB6_136 Depth=3
	v_bfe_u32 v1, v9, 26, 5
	s_mov_b32 s76, exec_lo
	s_delay_alu instid0(VALU_DEP_1)
	v_cmpx_eq_u32_e32 0, v1
; %bb.1798:                             ;   in Loop: Header=BB6_136 Depth=3
	v_clz_i32_u32_e32 v1, v2
	s_delay_alu instid0(VALU_DEP_1) | instskip(NEXT) | instid1(VALU_DEP_1)
	v_min_u32_e32 v2, 32, v1
	v_subrev_nc_u32_e32 v1, 29, v2
	s_delay_alu instid0(VALU_DEP_1) | instskip(NEXT) | instid1(VALU_DEP_1)
	v_lshlrev_b64_e32 v[0:1], v1, v[0:1]
	v_dual_sub_nc_u32 v1, 30, v2 :: v_dual_bitop2_b32 v2, 3, v0 bitop3:0x40
; %bb.1799:                             ;   in Loop: Header=BB6_136 Depth=3
	s_or_b32 exec_lo, exec_lo, s76
	v_and_b32_e32 v0, 0x80000000, v9
	s_delay_alu instid0(VALU_DEP_1) | instskip(NEXT) | instid1(VALU_DEP_1)
	v_lshl_add_u32 v0, v1, 23, v0
	v_lshl_or_b32 v0, v2, 21, v0
                                        ; implicit-def: $vgpr2
	s_delay_alu instid0(VALU_DEP_1)
	v_add_nc_u32_e32 v1, 0x38000000, v0
.LBB6_1800:                             ;   in Loop: Header=BB6_136 Depth=3
	s_and_not1_saveexec_b32 s76, s13
; %bb.1801:                             ;   in Loop: Header=BB6_136 Depth=3
	v_cmp_lt_i64_e64 s13, -1, v[8:9]
	v_mov_b32_e32 v0, 0x7f800000
	v_cmp_eq_u32_e32 vcc_lo, 0, v2
	s_delay_alu instid0(VALU_DEP_2) | instskip(NEXT) | instid1(VALU_DEP_1)
	v_cndmask_b32_e64 v0, 0xff800000, v0, s13
	v_cndmask_b32_e32 v1, 0x7f800001, v0, vcc_lo
; %bb.1802:                             ;   in Loop: Header=BB6_136 Depth=3
	s_or_b32 exec_lo, exec_lo, s76
.LBB6_1803:                             ;   in Loop: Header=BB6_136 Depth=3
	s_delay_alu instid0(SALU_CYCLE_1)
	s_or_b32 exec_lo, exec_lo, s75
.LBB6_1804:                             ;   in Loop: Header=BB6_136 Depth=3
	s_delay_alu instid0(SALU_CYCLE_1) | instskip(NEXT) | instid1(VALU_DEP_1)
	s_or_b32 exec_lo, exec_lo, s74
	v_dual_mul_f32 v2, s73, v1 :: v_dual_mov_b32 v5, v113
	v_mov_b32_e32 v1, v113
                                        ; implicit-def: $vgpr118
	s_mov_b32 s13, exec_lo
	s_delay_alu instid0(VALU_DEP_2) | instskip(SKIP_2) | instid1(VALU_DEP_3)
	v_and_b32_e32 v4, 0x7f800000, v2
	v_and_b32_e32 v0, 0x7fffff, v2
	v_lshrrev_b32_e32 v3, 24, v2
	v_cmpx_ne_u64_e32 0x7f800000, v[4:5]
	s_xor_b32 s74, exec_lo, s13
	s_cbranch_execz .LBB6_1818
; %bb.1805:                             ;   in Loop: Header=BB6_136 Depth=3
	v_and_b32_e32 v4, 0x7fffffff, v2
	v_mov_b32_e32 v5, v113
                                        ; implicit-def: $vgpr118
	s_delay_alu instid0(VALU_DEP_1) | instskip(SKIP_2) | instid1(SALU_CYCLE_1)
	v_cmp_gt_u64_e32 vcc_lo, 0x47600001, v[4:5]
	v_and_b32_e32 v4, 0x80, v3
	s_and_saveexec_b32 s13, vcc_lo
	s_xor_b32 s75, exec_lo, s13
	s_cbranch_execz .LBB6_1815
; %bb.1806:                             ;   in Loop: Header=BB6_136 Depth=3
	v_mov_b32_e32 v118, 0
	s_mov_b32 s76, exec_lo
	v_cmpx_ne_u32_e32 0, v2
	s_cbranch_execz .LBB6_1814
; %bb.1807:                             ;   in Loop: Header=BB6_136 Depth=3
	v_bfe_u32 v5, v2, 23, 8
	v_or_b32_e32 v3, 0x800000, v0
	s_delay_alu instid0(VALU_DEP_2) | instskip(SKIP_2) | instid1(VALU_DEP_2)
	v_cmp_gt_u32_e64 s13, 0x72, v5
	v_sub_nc_u32_e32 v2, 0x71, v5
	v_cmp_eq_u32_e32 vcc_lo, 0, v5
	v_dual_cndmask_b32 v2, 0, v2, s13 :: v_dual_cndmask_b32 v0, v3, v0, vcc_lo
	s_delay_alu instid0(VALU_DEP_1) | instskip(NEXT) | instid1(VALU_DEP_1)
	v_cndmask_b32_e64 v7, v2, 0x70, vcc_lo
	v_dual_add_nc_u32 v2, 21, v7 :: v_dual_add_nc_u32 v8, 20, v7
	s_delay_alu instid0(VALU_DEP_1) | instskip(NEXT) | instid1(VALU_DEP_2)
	v_lshlrev_b64_e64 v[2:3], v2, -1
	v_lshlrev_b64_e64 v[8:9], v8, 1
	s_delay_alu instid0(VALU_DEP_2) | instskip(SKIP_1) | instid1(VALU_DEP_4)
	v_bfi_b32 v2, v2, 0, v0
	v_lshrrev_b64 v[0:1], v7, v[0:1]
	v_bfi_b32 v3, v3, 0, 0
	s_delay_alu instid0(VALU_DEP_1) | instskip(NEXT) | instid1(VALU_DEP_3)
	v_cmp_eq_u64_e64 s13, v[2:3], v[8:9]
	v_mov_b64_e32 v[2:3], v[0:1]
	s_and_saveexec_b32 s77, s13
; %bb.1808:                             ;   in Loop: Header=BB6_136 Depth=3
	v_bfe_u32 v2, v0, 21, 1
	v_mov_b32_e32 v3, v113
	s_delay_alu instid0(VALU_DEP_1) | instskip(NEXT) | instid1(VALU_DEP_1)
	v_add_nc_u64_e32 v[2:3], v[0:1], v[2:3]
	v_add_nc_u64_e32 v[2:3], -1, v[2:3]
; %bb.1809:                             ;   in Loop: Header=BB6_136 Depth=3
	s_or_b32 exec_lo, exec_lo, s77
	v_add_nc_u32_e32 v1, 0xffffff81, v5
	v_lshrrev_b32_e32 v3, 23, v0
	s_mov_b32 s13, exec_lo
	s_delay_alu instid0(VALU_DEP_2) | instskip(NEXT) | instid1(VALU_DEP_1)
	v_cndmask_b32_e64 v1, v1, 0xffffff82, vcc_lo
	v_add3_u32 v5, v7, v1, v3
	v_and_b32_e32 v1, 0x1fffff, v2
                                        ; implicit-def: $vgpr2
	s_delay_alu instid0(VALU_DEP_1) | instskip(SKIP_1) | instid1(VALU_DEP_2)
	v_dual_add_nc_u32 v3, 14, v5 :: v_dual_add_nc_u32 v0, v1, v0
	v_mov_b32_e32 v1, v113
	v_cmpx_ne_u32_e32 0, v3
	s_xor_b32 s13, exec_lo, s13
; %bb.1810:                             ;   in Loop: Header=BB6_136 Depth=3
	s_delay_alu instid0(VALU_DEP_2) | instskip(SKIP_1) | instid1(VALU_DEP_1)
	v_cmp_lt_u64_e32 vcc_lo, 0xffffff, v[0:1]
	v_add_nc_u32_e32 v2, 15, v5
	v_cndmask_b32_e32 v2, v3, v2, vcc_lo
	v_cndmask_b32_e64 v3, 0, 1, vcc_lo
	s_delay_alu instid0(VALU_DEP_1)
	v_lshrrev_b64 v[0:1], v3, v[0:1]
; %bb.1811:                             ;   in Loop: Header=BB6_136 Depth=3
	s_and_not1_saveexec_b32 s13, s13
; %bb.1812:                             ;   in Loop: Header=BB6_136 Depth=3
	s_delay_alu instid0(VALU_DEP_1)
	v_bfe_u32 v2, v0, 23, 1
; %bb.1813:                             ;   in Loop: Header=BB6_136 Depth=3
	s_or_b32 exec_lo, exec_lo, s13
	s_delay_alu instid0(VALU_DEP_2) | instskip(NEXT) | instid1(VALU_DEP_2)
	v_lshrrev_b64 v[0:1], 21, v[0:1]
	v_cmp_gt_i32_e32 vcc_lo, 32, v2
	v_min_i32_e32 v3, 31, v2
	v_cmp_eq_u32_e64 s13, 0, v2
	s_delay_alu instid0(VALU_DEP_2) | instskip(SKIP_1) | instid1(VALU_DEP_2)
	v_dual_cndmask_b32 v1, 0, v1, vcc_lo :: v_dual_lshlrev_b32 v3, 2, v3
	v_cndmask_b32_e32 v0, 3, v0, vcc_lo
	v_and_b32_e32 v3, 0xfc, v3
	s_delay_alu instid0(VALU_DEP_2) | instskip(NEXT) | instid1(VALU_DEP_2)
	v_cmp_eq_u64_e32 vcc_lo, 0, v[0:1]
	v_and_or_b32 v0, v0, 3, v3
	s_and_b32 s13, s13, vcc_lo
	s_delay_alu instid0(VALU_DEP_1) | instid1(SALU_CYCLE_1)
	v_cndmask_b32_e64 v0, v0, 0, s13
	s_delay_alu instid0(VALU_DEP_1)
	v_or_b32_e32 v118, v0, v4
.LBB6_1814:                             ;   in Loop: Header=BB6_136 Depth=3
	s_or_b32 exec_lo, exec_lo, s76
                                        ; implicit-def: $vgpr4
.LBB6_1815:                             ;   in Loop: Header=BB6_136 Depth=3
	s_and_not1_saveexec_b32 s13, s75
; %bb.1816:                             ;   in Loop: Header=BB6_136 Depth=3
	v_or_b32_e32 v118, 0x7b, v4
; %bb.1817:                             ;   in Loop: Header=BB6_136 Depth=3
	s_or_b32 exec_lo, exec_lo, s13
                                        ; implicit-def: $vgpr2
                                        ; implicit-def: $vgpr0_vgpr1
                                        ; implicit-def: $vgpr3
.LBB6_1818:                             ;   in Loop: Header=BB6_136 Depth=3
	s_and_not1_saveexec_b32 s13, s74
	s_cbranch_execz .LBB6_1824
; %bb.1819:                             ;   in Loop: Header=BB6_136 Depth=3
	s_mov_b32 s74, exec_lo
                                        ; implicit-def: $vgpr118
	v_cmpx_ne_u64_e32 0, v[0:1]
	s_xor_b32 s74, exec_lo, s74
; %bb.1820:                             ;   in Loop: Header=BB6_136 Depth=3
	v_or_b32_e32 v118, 0x7f, v3
                                        ; implicit-def: $vgpr2
; %bb.1821:                             ;   in Loop: Header=BB6_136 Depth=3
	s_and_not1_saveexec_b32 s74, s74
; %bb.1822:                             ;   in Loop: Header=BB6_136 Depth=3
	v_cmp_lt_i32_e32 vcc_lo, -1, v2
	v_mov_b32_e32 v0, 0x7c
	s_delay_alu instid0(VALU_DEP_1)
	v_cndmask_b32_e32 v118, 0xfc, v0, vcc_lo
; %bb.1823:                             ;   in Loop: Header=BB6_136 Depth=3
	s_or_b32 exec_lo, exec_lo, s74
.LBB6_1824:                             ;   in Loop: Header=BB6_136 Depth=3
	s_delay_alu instid0(SALU_CYCLE_1) | instskip(SKIP_1) | instid1(VALU_DEP_1)
	s_or_b32 exec_lo, exec_lo, s13
	v_and_b32_e32 v0, 0xff, v10
	v_cmp_ne_u16_e32 vcc_lo, 0, v0
	v_mov_b32_e32 v0, 0
	s_and_saveexec_b32 s74, vcc_lo
	s_cbranch_execz .LBB6_1834
; %bb.1825:                             ;   in Loop: Header=BB6_136 Depth=3
	v_bfe_i32 v2, v10, 0, 8
	v_bfrev_b32_e32 v0, 1
	s_mov_b32 s75, exec_lo
	s_delay_alu instid0(VALU_DEP_2)
	v_cmpx_ne_u16_e32 0xff80, v2
	s_cbranch_execz .LBB6_1833
; %bb.1826:                             ;   in Loop: Header=BB6_136 Depth=3
	v_and_b32_e32 v0, 0x7c, v10
	v_and_b32_e32 v1, 3, v10
	s_delay_alu instid0(VALU_DEP_2) | instskip(SKIP_1) | instid1(SALU_CYCLE_1)
	v_cmp_ne_u32_e32 vcc_lo, 0x7c, v0
                                        ; implicit-def: $vgpr0
	s_and_saveexec_b32 s13, vcc_lo
	s_xor_b32 s13, exec_lo, s13
	s_cbranch_execz .LBB6_1830
; %bb.1827:                             ;   in Loop: Header=BB6_136 Depth=3
	v_bfe_u32 v0, v10, 2, 5
	s_mov_b32 s76, exec_lo
	s_delay_alu instid0(VALU_DEP_1)
	v_cmpx_eq_u32_e32 0, v0
; %bb.1828:                             ;   in Loop: Header=BB6_136 Depth=3
	v_clz_i32_u32_e32 v0, v1
	s_delay_alu instid0(VALU_DEP_1) | instskip(NEXT) | instid1(VALU_DEP_1)
	v_min_u32_e32 v0, 32, v0
	v_subrev_nc_u32_e32 v1, 29, v0
	s_delay_alu instid0(VALU_DEP_1) | instskip(NEXT) | instid1(VALU_DEP_1)
	v_lshlrev_b64_e32 v[2:3], v1, v[10:11]
	v_dual_sub_nc_u32 v0, 30, v0 :: v_dual_bitop2_b32 v1, 3, v2 bitop3:0x40
; %bb.1829:                             ;   in Loop: Header=BB6_136 Depth=3
	s_or_b32 exec_lo, exec_lo, s76
	v_lshlrev_b32_e32 v2, 24, v10
	s_delay_alu instid0(VALU_DEP_1) | instskip(NEXT) | instid1(VALU_DEP_1)
	v_and_b32_e32 v2, 0x80000000, v2
	v_lshl_add_u32 v0, v0, 23, v2
                                        ; implicit-def: $vgpr2
	s_delay_alu instid0(VALU_DEP_1) | instskip(NEXT) | instid1(VALU_DEP_1)
	v_lshl_or_b32 v0, v1, 21, v0
                                        ; implicit-def: $vgpr1
	v_add_nc_u32_e32 v0, 0x38000000, v0
.LBB6_1830:                             ;   in Loop: Header=BB6_136 Depth=3
	s_and_not1_saveexec_b32 s76, s13
; %bb.1831:                             ;   in Loop: Header=BB6_136 Depth=3
	v_cmp_lt_i16_e64 s13, -1, v2
	v_mov_b32_e32 v0, 0x7f800000
	v_cmp_eq_u32_e32 vcc_lo, 0, v1
	s_delay_alu instid0(VALU_DEP_2) | instskip(NEXT) | instid1(VALU_DEP_1)
	v_cndmask_b32_e64 v0, 0xff800000, v0, s13
	v_cndmask_b32_e32 v0, 0x7f800001, v0, vcc_lo
; %bb.1832:                             ;   in Loop: Header=BB6_136 Depth=3
	s_or_b32 exec_lo, exec_lo, s76
.LBB6_1833:                             ;   in Loop: Header=BB6_136 Depth=3
	s_delay_alu instid0(SALU_CYCLE_1)
	s_or_b32 exec_lo, exec_lo, s75
.LBB6_1834:                             ;   in Loop: Header=BB6_136 Depth=3
	s_delay_alu instid0(SALU_CYCLE_1) | instskip(NEXT) | instid1(VALU_DEP_1)
	s_or_b32 exec_lo, exec_lo, s74
	v_dual_mul_f32 v2, s73, v0 :: v_dual_mov_b32 v5, v113
	v_mov_b32_e32 v1, v113
                                        ; implicit-def: $vgpr119
	s_mov_b32 s13, exec_lo
	s_delay_alu instid0(VALU_DEP_2) | instskip(SKIP_2) | instid1(VALU_DEP_3)
	v_and_b32_e32 v4, 0x7f800000, v2
	v_and_b32_e32 v0, 0x7fffff, v2
	v_lshrrev_b32_e32 v3, 24, v2
	v_cmpx_ne_u64_e32 0x7f800000, v[4:5]
	s_xor_b32 s74, exec_lo, s13
	s_cbranch_execz .LBB6_1848
; %bb.1835:                             ;   in Loop: Header=BB6_136 Depth=3
	v_and_b32_e32 v4, 0x7fffffff, v2
	v_mov_b32_e32 v5, v113
                                        ; implicit-def: $vgpr119
	s_delay_alu instid0(VALU_DEP_1) | instskip(SKIP_2) | instid1(SALU_CYCLE_1)
	v_cmp_gt_u64_e32 vcc_lo, 0x47600001, v[4:5]
	v_and_b32_e32 v4, 0x80, v3
	s_and_saveexec_b32 s13, vcc_lo
	s_xor_b32 s75, exec_lo, s13
	s_cbranch_execz .LBB6_1845
; %bb.1836:                             ;   in Loop: Header=BB6_136 Depth=3
	v_mov_b32_e32 v119, 0
	s_mov_b32 s76, exec_lo
	v_cmpx_ne_u32_e32 0, v2
	s_cbranch_execz .LBB6_1844
; %bb.1837:                             ;   in Loop: Header=BB6_136 Depth=3
	v_bfe_u32 v5, v2, 23, 8
	v_or_b32_e32 v3, 0x800000, v0
	s_delay_alu instid0(VALU_DEP_2) | instskip(SKIP_2) | instid1(VALU_DEP_2)
	v_cmp_gt_u32_e64 s13, 0x72, v5
	v_sub_nc_u32_e32 v2, 0x71, v5
	v_cmp_eq_u32_e32 vcc_lo, 0, v5
	v_dual_cndmask_b32 v2, 0, v2, s13 :: v_dual_cndmask_b32 v0, v3, v0, vcc_lo
	s_delay_alu instid0(VALU_DEP_1) | instskip(NEXT) | instid1(VALU_DEP_1)
	v_cndmask_b32_e64 v7, v2, 0x70, vcc_lo
	v_dual_add_nc_u32 v2, 21, v7 :: v_dual_add_nc_u32 v8, 20, v7
	s_delay_alu instid0(VALU_DEP_1) | instskip(NEXT) | instid1(VALU_DEP_2)
	v_lshlrev_b64_e64 v[2:3], v2, -1
	v_lshlrev_b64_e64 v[8:9], v8, 1
	s_delay_alu instid0(VALU_DEP_2) | instskip(SKIP_1) | instid1(VALU_DEP_4)
	v_bfi_b32 v2, v2, 0, v0
	v_lshrrev_b64 v[0:1], v7, v[0:1]
	v_bfi_b32 v3, v3, 0, 0
	s_delay_alu instid0(VALU_DEP_1) | instskip(NEXT) | instid1(VALU_DEP_3)
	v_cmp_eq_u64_e64 s13, v[2:3], v[8:9]
	v_mov_b64_e32 v[2:3], v[0:1]
	s_and_saveexec_b32 s77, s13
; %bb.1838:                             ;   in Loop: Header=BB6_136 Depth=3
	v_bfe_u32 v2, v0, 21, 1
	v_mov_b32_e32 v3, v113
	s_delay_alu instid0(VALU_DEP_1) | instskip(NEXT) | instid1(VALU_DEP_1)
	v_add_nc_u64_e32 v[2:3], v[0:1], v[2:3]
	v_add_nc_u64_e32 v[2:3], -1, v[2:3]
; %bb.1839:                             ;   in Loop: Header=BB6_136 Depth=3
	s_or_b32 exec_lo, exec_lo, s77
	v_add_nc_u32_e32 v1, 0xffffff81, v5
	v_lshrrev_b32_e32 v3, 23, v0
	s_mov_b32 s13, exec_lo
	s_delay_alu instid0(VALU_DEP_2) | instskip(NEXT) | instid1(VALU_DEP_1)
	v_cndmask_b32_e64 v1, v1, 0xffffff82, vcc_lo
	v_add3_u32 v5, v7, v1, v3
	v_and_b32_e32 v1, 0x1fffff, v2
                                        ; implicit-def: $vgpr2
	s_delay_alu instid0(VALU_DEP_1) | instskip(SKIP_1) | instid1(VALU_DEP_2)
	v_dual_add_nc_u32 v3, 14, v5 :: v_dual_add_nc_u32 v0, v1, v0
	v_mov_b32_e32 v1, v113
	v_cmpx_ne_u32_e32 0, v3
	s_xor_b32 s13, exec_lo, s13
; %bb.1840:                             ;   in Loop: Header=BB6_136 Depth=3
	s_delay_alu instid0(VALU_DEP_2) | instskip(SKIP_1) | instid1(VALU_DEP_1)
	v_cmp_lt_u64_e32 vcc_lo, 0xffffff, v[0:1]
	v_add_nc_u32_e32 v2, 15, v5
	v_cndmask_b32_e32 v2, v3, v2, vcc_lo
	v_cndmask_b32_e64 v3, 0, 1, vcc_lo
	s_delay_alu instid0(VALU_DEP_1)
	v_lshrrev_b64 v[0:1], v3, v[0:1]
; %bb.1841:                             ;   in Loop: Header=BB6_136 Depth=3
	s_and_not1_saveexec_b32 s13, s13
; %bb.1842:                             ;   in Loop: Header=BB6_136 Depth=3
	s_delay_alu instid0(VALU_DEP_1)
	v_bfe_u32 v2, v0, 23, 1
; %bb.1843:                             ;   in Loop: Header=BB6_136 Depth=3
	s_or_b32 exec_lo, exec_lo, s13
	s_delay_alu instid0(VALU_DEP_2) | instskip(NEXT) | instid1(VALU_DEP_2)
	v_lshrrev_b64 v[0:1], 21, v[0:1]
	v_cmp_gt_i32_e32 vcc_lo, 32, v2
	v_min_i32_e32 v3, 31, v2
	v_cmp_eq_u32_e64 s13, 0, v2
	s_delay_alu instid0(VALU_DEP_2) | instskip(SKIP_1) | instid1(VALU_DEP_2)
	v_dual_cndmask_b32 v1, 0, v1, vcc_lo :: v_dual_lshlrev_b32 v3, 2, v3
	v_cndmask_b32_e32 v0, 3, v0, vcc_lo
	v_and_b32_e32 v3, 0xfc, v3
	s_delay_alu instid0(VALU_DEP_2) | instskip(NEXT) | instid1(VALU_DEP_2)
	v_cmp_eq_u64_e32 vcc_lo, 0, v[0:1]
	v_and_or_b32 v0, v0, 3, v3
	s_and_b32 s13, s13, vcc_lo
	s_delay_alu instid0(VALU_DEP_1) | instid1(SALU_CYCLE_1)
	v_cndmask_b32_e64 v0, v0, 0, s13
	s_delay_alu instid0(VALU_DEP_1)
	v_or_b32_e32 v119, v0, v4
.LBB6_1844:                             ;   in Loop: Header=BB6_136 Depth=3
	s_or_b32 exec_lo, exec_lo, s76
                                        ; implicit-def: $vgpr4
.LBB6_1845:                             ;   in Loop: Header=BB6_136 Depth=3
	s_and_not1_saveexec_b32 s13, s75
; %bb.1846:                             ;   in Loop: Header=BB6_136 Depth=3
	v_or_b32_e32 v119, 0x7b, v4
; %bb.1847:                             ;   in Loop: Header=BB6_136 Depth=3
	s_or_b32 exec_lo, exec_lo, s13
                                        ; implicit-def: $vgpr2
                                        ; implicit-def: $vgpr0_vgpr1
                                        ; implicit-def: $vgpr3
.LBB6_1848:                             ;   in Loop: Header=BB6_136 Depth=3
	s_and_not1_saveexec_b32 s13, s74
	s_cbranch_execz .LBB6_1854
; %bb.1849:                             ;   in Loop: Header=BB6_136 Depth=3
	s_mov_b32 s74, exec_lo
                                        ; implicit-def: $vgpr119
	v_cmpx_ne_u64_e32 0, v[0:1]
	s_xor_b32 s74, exec_lo, s74
; %bb.1850:                             ;   in Loop: Header=BB6_136 Depth=3
	v_or_b32_e32 v119, 0x7f, v3
                                        ; implicit-def: $vgpr2
; %bb.1851:                             ;   in Loop: Header=BB6_136 Depth=3
	s_and_not1_saveexec_b32 s74, s74
; %bb.1852:                             ;   in Loop: Header=BB6_136 Depth=3
	v_cmp_lt_i32_e32 vcc_lo, -1, v2
	v_mov_b32_e32 v0, 0x7c
	s_delay_alu instid0(VALU_DEP_1)
	v_cndmask_b32_e32 v119, 0xfc, v0, vcc_lo
; %bb.1853:                             ;   in Loop: Header=BB6_136 Depth=3
	s_or_b32 exec_lo, exec_lo, s74
.LBB6_1854:                             ;   in Loop: Header=BB6_136 Depth=3
	s_delay_alu instid0(SALU_CYCLE_1) | instskip(SKIP_3) | instid1(VALU_DEP_2)
	s_or_b32 exec_lo, exec_lo, s13
	v_lshrrev_b16 v0, 8, v10
	v_mov_b32_e32 v1, 0
	s_mov_b32 s74, exec_lo
	v_cmpx_ne_u16_e32 0, v0
	s_cbranch_execz .LBB6_1864
; %bb.1855:                             ;   in Loop: Header=BB6_136 Depth=3
	v_bfrev_b32_e32 v1, 1
	s_mov_b32 s75, exec_lo
	v_cmpx_ne_u16_e32 0x80, v0
	s_cbranch_execz .LBB6_1863
; %bb.1856:                             ;   in Loop: Header=BB6_136 Depth=3
	v_and_b32_e32 v3, 0xffff, v0
	s_delay_alu instid0(VALU_DEP_1) | instskip(SKIP_1) | instid1(VALU_DEP_2)
	v_and_b32_e32 v1, 0x7c, v3
	v_and_b32_e32 v2, 3, v3
	v_cmp_ne_u32_e32 vcc_lo, 0x7c, v1
                                        ; implicit-def: $vgpr1
	s_and_saveexec_b32 s13, vcc_lo
	s_delay_alu instid0(SALU_CYCLE_1)
	s_xor_b32 s13, exec_lo, s13
	s_cbranch_execz .LBB6_1860
; %bb.1857:                             ;   in Loop: Header=BB6_136 Depth=3
	v_bfe_u32 v1, v3, 2, 5
	s_mov_b32 s76, exec_lo
	s_delay_alu instid0(VALU_DEP_1)
	v_cmpx_eq_u32_e32 0, v1
; %bb.1858:                             ;   in Loop: Header=BB6_136 Depth=3
	v_clz_i32_u32_e32 v1, v2
	s_delay_alu instid0(VALU_DEP_1) | instskip(SKIP_1) | instid1(VALU_DEP_2)
	v_min_u32_e32 v2, 32, v1
	v_mov_b32_e32 v1, v113
	v_subrev_nc_u32_e32 v3, 29, v2
	s_delay_alu instid0(VALU_DEP_1) | instskip(NEXT) | instid1(VALU_DEP_1)
	v_lshlrev_b64_e32 v[0:1], v3, v[0:1]
	v_dual_sub_nc_u32 v1, 30, v2 :: v_dual_bitop2_b32 v2, 3, v0 bitop3:0x40
; %bb.1859:                             ;   in Loop: Header=BB6_136 Depth=3
	s_or_b32 exec_lo, exec_lo, s76
	v_lshlrev_b32_e32 v0, 16, v10
	s_delay_alu instid0(VALU_DEP_1) | instskip(NEXT) | instid1(VALU_DEP_1)
	v_and_b32_e32 v0, 0x80000000, v0
	v_lshl_add_u32 v0, v1, 23, v0
	s_delay_alu instid0(VALU_DEP_1) | instskip(NEXT) | instid1(VALU_DEP_1)
	v_lshl_or_b32 v0, v2, 21, v0
                                        ; implicit-def: $vgpr2
	v_add_nc_u32_e32 v1, 0x38000000, v0
.LBB6_1860:                             ;   in Loop: Header=BB6_136 Depth=3
	s_and_not1_saveexec_b32 s76, s13
; %bb.1861:                             ;   in Loop: Header=BB6_136 Depth=3
	v_cmp_lt_i16_e64 s13, -1, v10
	v_mov_b32_e32 v0, 0x7f800000
	v_cmp_eq_u32_e32 vcc_lo, 0, v2
	s_delay_alu instid0(VALU_DEP_2) | instskip(NEXT) | instid1(VALU_DEP_1)
	v_cndmask_b32_e64 v0, 0xff800000, v0, s13
	v_cndmask_b32_e32 v1, 0x7f800001, v0, vcc_lo
; %bb.1862:                             ;   in Loop: Header=BB6_136 Depth=3
	s_or_b32 exec_lo, exec_lo, s76
.LBB6_1863:                             ;   in Loop: Header=BB6_136 Depth=3
	s_delay_alu instid0(SALU_CYCLE_1)
	s_or_b32 exec_lo, exec_lo, s75
.LBB6_1864:                             ;   in Loop: Header=BB6_136 Depth=3
	s_delay_alu instid0(SALU_CYCLE_1) | instskip(NEXT) | instid1(VALU_DEP_1)
	s_or_b32 exec_lo, exec_lo, s74
	v_dual_mul_f32 v2, s73, v1 :: v_dual_mov_b32 v5, v113
	v_mov_b32_e32 v1, v113
                                        ; implicit-def: $vgpr40
	s_mov_b32 s13, exec_lo
	s_delay_alu instid0(VALU_DEP_2) | instskip(SKIP_2) | instid1(VALU_DEP_3)
	v_and_b32_e32 v4, 0x7f800000, v2
	v_and_b32_e32 v0, 0x7fffff, v2
	v_lshrrev_b32_e32 v3, 24, v2
	v_cmpx_ne_u64_e32 0x7f800000, v[4:5]
	s_xor_b32 s74, exec_lo, s13
	s_cbranch_execz .LBB6_1878
; %bb.1865:                             ;   in Loop: Header=BB6_136 Depth=3
	v_and_b32_e32 v4, 0x7fffffff, v2
	v_mov_b32_e32 v5, v113
                                        ; implicit-def: $vgpr40
	s_delay_alu instid0(VALU_DEP_1) | instskip(SKIP_2) | instid1(SALU_CYCLE_1)
	v_cmp_gt_u64_e32 vcc_lo, 0x47600001, v[4:5]
	v_and_b32_e32 v4, 0x80, v3
	s_and_saveexec_b32 s13, vcc_lo
	s_xor_b32 s75, exec_lo, s13
	s_cbranch_execz .LBB6_1875
; %bb.1866:                             ;   in Loop: Header=BB6_136 Depth=3
	v_mov_b32_e32 v40, 0
	s_mov_b32 s76, exec_lo
	v_cmpx_ne_u32_e32 0, v2
	s_cbranch_execz .LBB6_1874
; %bb.1867:                             ;   in Loop: Header=BB6_136 Depth=3
	v_bfe_u32 v5, v2, 23, 8
	v_or_b32_e32 v3, 0x800000, v0
	s_delay_alu instid0(VALU_DEP_2) | instskip(SKIP_2) | instid1(VALU_DEP_2)
	v_cmp_gt_u32_e64 s13, 0x72, v5
	v_sub_nc_u32_e32 v2, 0x71, v5
	v_cmp_eq_u32_e32 vcc_lo, 0, v5
	v_dual_cndmask_b32 v2, 0, v2, s13 :: v_dual_cndmask_b32 v0, v3, v0, vcc_lo
	s_delay_alu instid0(VALU_DEP_1) | instskip(NEXT) | instid1(VALU_DEP_1)
	v_cndmask_b32_e64 v7, v2, 0x70, vcc_lo
	v_dual_add_nc_u32 v2, 21, v7 :: v_dual_add_nc_u32 v8, 20, v7
	s_delay_alu instid0(VALU_DEP_1) | instskip(NEXT) | instid1(VALU_DEP_2)
	v_lshlrev_b64_e64 v[2:3], v2, -1
	v_lshlrev_b64_e64 v[8:9], v8, 1
	s_delay_alu instid0(VALU_DEP_2) | instskip(SKIP_1) | instid1(VALU_DEP_4)
	v_bfi_b32 v2, v2, 0, v0
	v_lshrrev_b64 v[0:1], v7, v[0:1]
	v_bfi_b32 v3, v3, 0, 0
	s_delay_alu instid0(VALU_DEP_1) | instskip(NEXT) | instid1(VALU_DEP_3)
	v_cmp_eq_u64_e64 s13, v[2:3], v[8:9]
	v_mov_b64_e32 v[2:3], v[0:1]
	s_and_saveexec_b32 s77, s13
; %bb.1868:                             ;   in Loop: Header=BB6_136 Depth=3
	v_bfe_u32 v2, v0, 21, 1
	v_mov_b32_e32 v3, v113
	s_delay_alu instid0(VALU_DEP_1) | instskip(NEXT) | instid1(VALU_DEP_1)
	v_add_nc_u64_e32 v[2:3], v[0:1], v[2:3]
	v_add_nc_u64_e32 v[2:3], -1, v[2:3]
; %bb.1869:                             ;   in Loop: Header=BB6_136 Depth=3
	s_or_b32 exec_lo, exec_lo, s77
	v_add_nc_u32_e32 v1, 0xffffff81, v5
	v_lshrrev_b32_e32 v3, 23, v0
	s_mov_b32 s13, exec_lo
	s_delay_alu instid0(VALU_DEP_2) | instskip(NEXT) | instid1(VALU_DEP_1)
	v_cndmask_b32_e64 v1, v1, 0xffffff82, vcc_lo
	v_add3_u32 v5, v7, v1, v3
	v_and_b32_e32 v1, 0x1fffff, v2
                                        ; implicit-def: $vgpr2
	s_delay_alu instid0(VALU_DEP_1) | instskip(SKIP_1) | instid1(VALU_DEP_2)
	v_dual_add_nc_u32 v3, 14, v5 :: v_dual_add_nc_u32 v0, v1, v0
	v_mov_b32_e32 v1, v113
	v_cmpx_ne_u32_e32 0, v3
	s_xor_b32 s13, exec_lo, s13
; %bb.1870:                             ;   in Loop: Header=BB6_136 Depth=3
	s_delay_alu instid0(VALU_DEP_2) | instskip(SKIP_1) | instid1(VALU_DEP_1)
	v_cmp_lt_u64_e32 vcc_lo, 0xffffff, v[0:1]
	v_add_nc_u32_e32 v2, 15, v5
	v_cndmask_b32_e32 v2, v3, v2, vcc_lo
	v_cndmask_b32_e64 v3, 0, 1, vcc_lo
	s_delay_alu instid0(VALU_DEP_1)
	v_lshrrev_b64 v[0:1], v3, v[0:1]
; %bb.1871:                             ;   in Loop: Header=BB6_136 Depth=3
	s_and_not1_saveexec_b32 s13, s13
; %bb.1872:                             ;   in Loop: Header=BB6_136 Depth=3
	s_delay_alu instid0(VALU_DEP_1)
	v_bfe_u32 v2, v0, 23, 1
; %bb.1873:                             ;   in Loop: Header=BB6_136 Depth=3
	s_or_b32 exec_lo, exec_lo, s13
	s_delay_alu instid0(VALU_DEP_2) | instskip(NEXT) | instid1(VALU_DEP_2)
	v_lshrrev_b64 v[0:1], 21, v[0:1]
	v_cmp_gt_i32_e32 vcc_lo, 32, v2
	v_min_i32_e32 v3, 31, v2
	v_cmp_eq_u32_e64 s13, 0, v2
	s_delay_alu instid0(VALU_DEP_2) | instskip(SKIP_1) | instid1(VALU_DEP_2)
	v_dual_cndmask_b32 v1, 0, v1, vcc_lo :: v_dual_lshlrev_b32 v3, 2, v3
	v_cndmask_b32_e32 v0, 3, v0, vcc_lo
	v_and_b32_e32 v3, 0xfc, v3
	s_delay_alu instid0(VALU_DEP_2) | instskip(NEXT) | instid1(VALU_DEP_2)
	v_cmp_eq_u64_e32 vcc_lo, 0, v[0:1]
	v_and_or_b32 v0, v0, 3, v3
	s_and_b32 s13, s13, vcc_lo
	s_delay_alu instid0(VALU_DEP_1) | instid1(SALU_CYCLE_1)
	v_cndmask_b32_e64 v0, v0, 0, s13
	s_delay_alu instid0(VALU_DEP_1)
	v_or_b32_e32 v40, v0, v4
.LBB6_1874:                             ;   in Loop: Header=BB6_136 Depth=3
	s_or_b32 exec_lo, exec_lo, s76
                                        ; implicit-def: $vgpr4
.LBB6_1875:                             ;   in Loop: Header=BB6_136 Depth=3
	s_and_not1_saveexec_b32 s13, s75
; %bb.1876:                             ;   in Loop: Header=BB6_136 Depth=3
	v_or_b32_e32 v40, 0x7b, v4
; %bb.1877:                             ;   in Loop: Header=BB6_136 Depth=3
	s_or_b32 exec_lo, exec_lo, s13
                                        ; implicit-def: $vgpr2
                                        ; implicit-def: $vgpr0_vgpr1
                                        ; implicit-def: $vgpr3
.LBB6_1878:                             ;   in Loop: Header=BB6_136 Depth=3
	s_and_not1_saveexec_b32 s13, s74
	s_cbranch_execz .LBB6_1884
; %bb.1879:                             ;   in Loop: Header=BB6_136 Depth=3
	s_mov_b32 s74, exec_lo
                                        ; implicit-def: $vgpr40
	v_cmpx_ne_u64_e32 0, v[0:1]
	s_xor_b32 s74, exec_lo, s74
; %bb.1880:                             ;   in Loop: Header=BB6_136 Depth=3
	v_or_b32_e32 v40, 0x7f, v3
                                        ; implicit-def: $vgpr2
; %bb.1881:                             ;   in Loop: Header=BB6_136 Depth=3
	s_and_not1_saveexec_b32 s74, s74
; %bb.1882:                             ;   in Loop: Header=BB6_136 Depth=3
	v_cmp_lt_i32_e32 vcc_lo, -1, v2
	v_mov_b32_e32 v0, 0x7c
	s_delay_alu instid0(VALU_DEP_1)
	v_cndmask_b32_e32 v40, 0xfc, v0, vcc_lo
; %bb.1883:                             ;   in Loop: Header=BB6_136 Depth=3
	s_or_b32 exec_lo, exec_lo, s74
.LBB6_1884:                             ;   in Loop: Header=BB6_136 Depth=3
	s_delay_alu instid0(SALU_CYCLE_1) | instskip(SKIP_2) | instid1(VALU_DEP_1)
	s_or_b32 exec_lo, exec_lo, s13
	v_dual_mov_b32 v1, 0 :: v_dual_lshrrev_b32 v0, 16, v10
	s_mov_b32 s74, exec_lo
	v_and_b32_e32 v2, 0xff, v0
	s_delay_alu instid0(VALU_DEP_1)
	v_cmpx_ne_u16_e32 0, v2
	s_cbranch_execz .LBB6_1894
; %bb.1885:                             ;   in Loop: Header=BB6_136 Depth=3
	v_bfrev_b32_e32 v1, 1
	s_mov_b32 s75, exec_lo
	v_cmpx_ne_u16_e32 0x80, v2
	s_cbranch_execz .LBB6_1893
; %bb.1886:                             ;   in Loop: Header=BB6_136 Depth=3
	v_and_b32_e32 v1, 0x7c0000, v10
	v_bfe_u32 v2, v10, 16, 2
	s_delay_alu instid0(VALU_DEP_2) | instskip(SKIP_1) | instid1(SALU_CYCLE_1)
	v_cmp_ne_u32_e32 vcc_lo, 0x7c0000, v1
                                        ; implicit-def: $vgpr1
	s_and_saveexec_b32 s13, vcc_lo
	s_xor_b32 s13, exec_lo, s13
	s_cbranch_execz .LBB6_1890
; %bb.1887:                             ;   in Loop: Header=BB6_136 Depth=3
	v_bfe_u32 v1, v10, 18, 5
	s_mov_b32 s76, exec_lo
	s_delay_alu instid0(VALU_DEP_1)
	v_cmpx_eq_u32_e32 0, v1
; %bb.1888:                             ;   in Loop: Header=BB6_136 Depth=3
	v_clz_i32_u32_e32 v1, v2
	s_delay_alu instid0(VALU_DEP_1) | instskip(NEXT) | instid1(VALU_DEP_1)
	v_min_u32_e32 v1, 32, v1
	v_subrev_nc_u32_e32 v2, 29, v1
	s_delay_alu instid0(VALU_DEP_1) | instskip(NEXT) | instid1(VALU_DEP_1)
	v_lshlrev_b64_e32 v[2:3], v2, v[0:1]
	v_dual_sub_nc_u32 v1, 30, v1 :: v_dual_bitop2_b32 v2, 3, v2 bitop3:0x40
; %bb.1889:                             ;   in Loop: Header=BB6_136 Depth=3
	s_or_b32 exec_lo, exec_lo, s76
	v_lshlrev_b32_e32 v0, 24, v0
	s_delay_alu instid0(VALU_DEP_1) | instskip(NEXT) | instid1(VALU_DEP_1)
	v_and_b32_e32 v0, 0x80000000, v0
	v_lshl_add_u32 v0, v1, 23, v0
	s_delay_alu instid0(VALU_DEP_1) | instskip(NEXT) | instid1(VALU_DEP_1)
	v_lshl_or_b32 v0, v2, 21, v0
                                        ; implicit-def: $vgpr2
	v_add_nc_u32_e32 v1, 0x38000000, v0
                                        ; implicit-def: $vgpr0
.LBB6_1890:                             ;   in Loop: Header=BB6_136 Depth=3
	s_and_not1_saveexec_b32 s76, s13
; %bb.1891:                             ;   in Loop: Header=BB6_136 Depth=3
	v_bfe_i32 v0, v0, 0, 8
	v_cmp_eq_u32_e32 vcc_lo, 0, v2
	s_delay_alu instid0(VALU_DEP_2) | instskip(SKIP_1) | instid1(VALU_DEP_1)
	v_cmp_lt_i16_e64 s13, -1, v0
	v_mov_b32_e32 v0, 0x7f800000
	v_cndmask_b32_e64 v0, 0xff800000, v0, s13
	s_delay_alu instid0(VALU_DEP_1)
	v_cndmask_b32_e32 v1, 0x7f800001, v0, vcc_lo
; %bb.1892:                             ;   in Loop: Header=BB6_136 Depth=3
	s_or_b32 exec_lo, exec_lo, s76
.LBB6_1893:                             ;   in Loop: Header=BB6_136 Depth=3
	s_delay_alu instid0(SALU_CYCLE_1)
	s_or_b32 exec_lo, exec_lo, s75
.LBB6_1894:                             ;   in Loop: Header=BB6_136 Depth=3
	s_delay_alu instid0(SALU_CYCLE_1) | instskip(NEXT) | instid1(VALU_DEP_1)
	s_or_b32 exec_lo, exec_lo, s74
	v_dual_mul_f32 v2, s73, v1 :: v_dual_mov_b32 v5, v113
	v_mov_b32_e32 v1, v113
                                        ; implicit-def: $vgpr41
	s_mov_b32 s13, exec_lo
	s_delay_alu instid0(VALU_DEP_2) | instskip(SKIP_2) | instid1(VALU_DEP_3)
	v_and_b32_e32 v4, 0x7f800000, v2
	v_and_b32_e32 v0, 0x7fffff, v2
	v_lshrrev_b32_e32 v3, 24, v2
	v_cmpx_ne_u64_e32 0x7f800000, v[4:5]
	s_xor_b32 s74, exec_lo, s13
	s_cbranch_execz .LBB6_1908
; %bb.1895:                             ;   in Loop: Header=BB6_136 Depth=3
	v_and_b32_e32 v4, 0x7fffffff, v2
	v_mov_b32_e32 v5, v113
                                        ; implicit-def: $vgpr41
	s_delay_alu instid0(VALU_DEP_1) | instskip(SKIP_2) | instid1(SALU_CYCLE_1)
	v_cmp_gt_u64_e32 vcc_lo, 0x47600001, v[4:5]
	v_and_b32_e32 v4, 0x80, v3
	s_and_saveexec_b32 s13, vcc_lo
	s_xor_b32 s75, exec_lo, s13
	s_cbranch_execz .LBB6_1905
; %bb.1896:                             ;   in Loop: Header=BB6_136 Depth=3
	v_mov_b32_e32 v41, 0
	s_mov_b32 s76, exec_lo
	v_cmpx_ne_u32_e32 0, v2
	s_cbranch_execz .LBB6_1904
; %bb.1897:                             ;   in Loop: Header=BB6_136 Depth=3
	v_bfe_u32 v5, v2, 23, 8
	v_or_b32_e32 v3, 0x800000, v0
	s_delay_alu instid0(VALU_DEP_2) | instskip(SKIP_2) | instid1(VALU_DEP_2)
	v_cmp_gt_u32_e64 s13, 0x72, v5
	v_sub_nc_u32_e32 v2, 0x71, v5
	v_cmp_eq_u32_e32 vcc_lo, 0, v5
	v_dual_cndmask_b32 v2, 0, v2, s13 :: v_dual_cndmask_b32 v0, v3, v0, vcc_lo
	s_delay_alu instid0(VALU_DEP_1) | instskip(NEXT) | instid1(VALU_DEP_1)
	v_cndmask_b32_e64 v7, v2, 0x70, vcc_lo
	v_dual_add_nc_u32 v2, 21, v7 :: v_dual_add_nc_u32 v8, 20, v7
	s_delay_alu instid0(VALU_DEP_1) | instskip(NEXT) | instid1(VALU_DEP_2)
	v_lshlrev_b64_e64 v[2:3], v2, -1
	v_lshlrev_b64_e64 v[8:9], v8, 1
	s_delay_alu instid0(VALU_DEP_2) | instskip(SKIP_1) | instid1(VALU_DEP_4)
	v_bfi_b32 v2, v2, 0, v0
	v_lshrrev_b64 v[0:1], v7, v[0:1]
	v_bfi_b32 v3, v3, 0, 0
	s_delay_alu instid0(VALU_DEP_1) | instskip(NEXT) | instid1(VALU_DEP_3)
	v_cmp_eq_u64_e64 s13, v[2:3], v[8:9]
	v_mov_b64_e32 v[2:3], v[0:1]
	s_and_saveexec_b32 s77, s13
; %bb.1898:                             ;   in Loop: Header=BB6_136 Depth=3
	v_bfe_u32 v2, v0, 21, 1
	v_mov_b32_e32 v3, v113
	s_delay_alu instid0(VALU_DEP_1) | instskip(NEXT) | instid1(VALU_DEP_1)
	v_add_nc_u64_e32 v[2:3], v[0:1], v[2:3]
	v_add_nc_u64_e32 v[2:3], -1, v[2:3]
; %bb.1899:                             ;   in Loop: Header=BB6_136 Depth=3
	s_or_b32 exec_lo, exec_lo, s77
	v_add_nc_u32_e32 v1, 0xffffff81, v5
	v_lshrrev_b32_e32 v3, 23, v0
	s_mov_b32 s13, exec_lo
	s_delay_alu instid0(VALU_DEP_2) | instskip(NEXT) | instid1(VALU_DEP_1)
	v_cndmask_b32_e64 v1, v1, 0xffffff82, vcc_lo
	v_add3_u32 v5, v7, v1, v3
	v_and_b32_e32 v1, 0x1fffff, v2
                                        ; implicit-def: $vgpr2
	s_delay_alu instid0(VALU_DEP_1) | instskip(SKIP_1) | instid1(VALU_DEP_2)
	v_dual_add_nc_u32 v3, 14, v5 :: v_dual_add_nc_u32 v0, v1, v0
	v_mov_b32_e32 v1, v113
	v_cmpx_ne_u32_e32 0, v3
	s_xor_b32 s13, exec_lo, s13
; %bb.1900:                             ;   in Loop: Header=BB6_136 Depth=3
	s_delay_alu instid0(VALU_DEP_2) | instskip(SKIP_1) | instid1(VALU_DEP_1)
	v_cmp_lt_u64_e32 vcc_lo, 0xffffff, v[0:1]
	v_add_nc_u32_e32 v2, 15, v5
	v_cndmask_b32_e32 v2, v3, v2, vcc_lo
	v_cndmask_b32_e64 v3, 0, 1, vcc_lo
	s_delay_alu instid0(VALU_DEP_1)
	v_lshrrev_b64 v[0:1], v3, v[0:1]
; %bb.1901:                             ;   in Loop: Header=BB6_136 Depth=3
	s_and_not1_saveexec_b32 s13, s13
; %bb.1902:                             ;   in Loop: Header=BB6_136 Depth=3
	s_delay_alu instid0(VALU_DEP_1)
	v_bfe_u32 v2, v0, 23, 1
; %bb.1903:                             ;   in Loop: Header=BB6_136 Depth=3
	s_or_b32 exec_lo, exec_lo, s13
	s_delay_alu instid0(VALU_DEP_2) | instskip(NEXT) | instid1(VALU_DEP_2)
	v_lshrrev_b64 v[0:1], 21, v[0:1]
	v_cmp_gt_i32_e32 vcc_lo, 32, v2
	v_min_i32_e32 v3, 31, v2
	v_cmp_eq_u32_e64 s13, 0, v2
	s_delay_alu instid0(VALU_DEP_2) | instskip(SKIP_1) | instid1(VALU_DEP_2)
	v_dual_cndmask_b32 v1, 0, v1, vcc_lo :: v_dual_lshlrev_b32 v3, 2, v3
	v_cndmask_b32_e32 v0, 3, v0, vcc_lo
	v_and_b32_e32 v3, 0xfc, v3
	s_delay_alu instid0(VALU_DEP_2) | instskip(NEXT) | instid1(VALU_DEP_2)
	v_cmp_eq_u64_e32 vcc_lo, 0, v[0:1]
	v_and_or_b32 v0, v0, 3, v3
	s_and_b32 s13, s13, vcc_lo
	s_delay_alu instid0(VALU_DEP_1) | instid1(SALU_CYCLE_1)
	v_cndmask_b32_e64 v0, v0, 0, s13
	s_delay_alu instid0(VALU_DEP_1)
	v_or_b32_e32 v41, v0, v4
.LBB6_1904:                             ;   in Loop: Header=BB6_136 Depth=3
	s_or_b32 exec_lo, exec_lo, s76
                                        ; implicit-def: $vgpr4
.LBB6_1905:                             ;   in Loop: Header=BB6_136 Depth=3
	s_and_not1_saveexec_b32 s13, s75
; %bb.1906:                             ;   in Loop: Header=BB6_136 Depth=3
	v_or_b32_e32 v41, 0x7b, v4
; %bb.1907:                             ;   in Loop: Header=BB6_136 Depth=3
	s_or_b32 exec_lo, exec_lo, s13
                                        ; implicit-def: $vgpr2
                                        ; implicit-def: $vgpr0_vgpr1
                                        ; implicit-def: $vgpr3
.LBB6_1908:                             ;   in Loop: Header=BB6_136 Depth=3
	s_and_not1_saveexec_b32 s13, s74
	s_cbranch_execz .LBB6_1914
; %bb.1909:                             ;   in Loop: Header=BB6_136 Depth=3
	s_mov_b32 s74, exec_lo
                                        ; implicit-def: $vgpr41
	v_cmpx_ne_u64_e32 0, v[0:1]
	s_xor_b32 s74, exec_lo, s74
; %bb.1910:                             ;   in Loop: Header=BB6_136 Depth=3
	v_or_b32_e32 v41, 0x7f, v3
                                        ; implicit-def: $vgpr2
; %bb.1911:                             ;   in Loop: Header=BB6_136 Depth=3
	s_and_not1_saveexec_b32 s74, s74
; %bb.1912:                             ;   in Loop: Header=BB6_136 Depth=3
	v_cmp_lt_i32_e32 vcc_lo, -1, v2
	v_mov_b32_e32 v0, 0x7c
	s_delay_alu instid0(VALU_DEP_1)
	v_cndmask_b32_e32 v41, 0xfc, v0, vcc_lo
; %bb.1913:                             ;   in Loop: Header=BB6_136 Depth=3
	s_or_b32 exec_lo, exec_lo, s74
.LBB6_1914:                             ;   in Loop: Header=BB6_136 Depth=3
	s_delay_alu instid0(SALU_CYCLE_1)
	s_or_b32 exec_lo, exec_lo, s13
	v_mov_b32_e32 v1, 0
	s_mov_b32 s74, exec_lo
	v_cmpx_lt_u32_e32 0xffffff, v10
	s_cbranch_execz .LBB6_1924
; %bb.1915:                             ;   in Loop: Header=BB6_136 Depth=3
	v_lshrrev_b32_e32 v0, 24, v10
	v_bfrev_b32_e32 v1, 1
	s_mov_b32 s75, exec_lo
	s_delay_alu instid0(VALU_DEP_2)
	v_cmpx_ne_u32_e32 0x80, v0
	s_cbranch_execz .LBB6_1923
; %bb.1916:                             ;   in Loop: Header=BB6_136 Depth=3
	v_and_b32_e32 v1, 0x7c000000, v10
	v_bfe_u32 v2, v10, 24, 2
	s_delay_alu instid0(VALU_DEP_2) | instskip(SKIP_1) | instid1(SALU_CYCLE_1)
	v_cmp_ne_u32_e32 vcc_lo, 0x7c000000, v1
                                        ; implicit-def: $vgpr1
	s_and_saveexec_b32 s13, vcc_lo
	s_xor_b32 s13, exec_lo, s13
	s_cbranch_execz .LBB6_1920
; %bb.1917:                             ;   in Loop: Header=BB6_136 Depth=3
	v_bfe_u32 v1, v10, 26, 5
	s_mov_b32 s76, exec_lo
	s_delay_alu instid0(VALU_DEP_1)
	v_cmpx_eq_u32_e32 0, v1
; %bb.1918:                             ;   in Loop: Header=BB6_136 Depth=3
	v_clz_i32_u32_e32 v1, v2
	s_delay_alu instid0(VALU_DEP_1) | instskip(NEXT) | instid1(VALU_DEP_1)
	v_min_u32_e32 v2, 32, v1
	v_subrev_nc_u32_e32 v1, 29, v2
	s_delay_alu instid0(VALU_DEP_1) | instskip(NEXT) | instid1(VALU_DEP_1)
	v_lshlrev_b64_e32 v[0:1], v1, v[0:1]
	v_dual_sub_nc_u32 v1, 30, v2 :: v_dual_bitop2_b32 v2, 3, v0 bitop3:0x40
; %bb.1919:                             ;   in Loop: Header=BB6_136 Depth=3
	s_or_b32 exec_lo, exec_lo, s76
	v_and_b32_e32 v0, 0x80000000, v10
	s_delay_alu instid0(VALU_DEP_1) | instskip(NEXT) | instid1(VALU_DEP_1)
	v_lshl_add_u32 v0, v1, 23, v0
	v_lshl_or_b32 v0, v2, 21, v0
                                        ; implicit-def: $vgpr2
	s_delay_alu instid0(VALU_DEP_1)
	v_add_nc_u32_e32 v1, 0x38000000, v0
.LBB6_1920:                             ;   in Loop: Header=BB6_136 Depth=3
	s_and_not1_saveexec_b32 s76, s13
; %bb.1921:                             ;   in Loop: Header=BB6_136 Depth=3
	v_cmp_lt_i32_e64 s13, -1, v10
	v_mov_b32_e32 v0, 0x7f800000
	v_cmp_eq_u32_e32 vcc_lo, 0, v2
	s_delay_alu instid0(VALU_DEP_2) | instskip(NEXT) | instid1(VALU_DEP_1)
	v_cndmask_b32_e64 v0, 0xff800000, v0, s13
	v_cndmask_b32_e32 v1, 0x7f800001, v0, vcc_lo
; %bb.1922:                             ;   in Loop: Header=BB6_136 Depth=3
	s_or_b32 exec_lo, exec_lo, s76
.LBB6_1923:                             ;   in Loop: Header=BB6_136 Depth=3
	s_delay_alu instid0(SALU_CYCLE_1)
	s_or_b32 exec_lo, exec_lo, s75
.LBB6_1924:                             ;   in Loop: Header=BB6_136 Depth=3
	s_delay_alu instid0(SALU_CYCLE_1) | instskip(NEXT) | instid1(VALU_DEP_1)
	s_or_b32 exec_lo, exec_lo, s74
	v_dual_mul_f32 v2, s73, v1 :: v_dual_mov_b32 v5, v113
	v_mov_b32_e32 v1, v113
                                        ; implicit-def: $vgpr43
	s_mov_b32 s13, exec_lo
	s_delay_alu instid0(VALU_DEP_2) | instskip(SKIP_2) | instid1(VALU_DEP_3)
	v_and_b32_e32 v4, 0x7f800000, v2
	v_and_b32_e32 v0, 0x7fffff, v2
	v_lshrrev_b32_e32 v3, 24, v2
	v_cmpx_ne_u64_e32 0x7f800000, v[4:5]
	s_xor_b32 s74, exec_lo, s13
	s_cbranch_execz .LBB6_1938
; %bb.1925:                             ;   in Loop: Header=BB6_136 Depth=3
	v_and_b32_e32 v4, 0x7fffffff, v2
	v_mov_b32_e32 v5, v113
                                        ; implicit-def: $vgpr43
	s_delay_alu instid0(VALU_DEP_1) | instskip(SKIP_2) | instid1(SALU_CYCLE_1)
	v_cmp_gt_u64_e32 vcc_lo, 0x47600001, v[4:5]
	v_and_b32_e32 v4, 0x80, v3
	s_and_saveexec_b32 s13, vcc_lo
	s_xor_b32 s75, exec_lo, s13
	s_cbranch_execz .LBB6_1935
; %bb.1926:                             ;   in Loop: Header=BB6_136 Depth=3
	v_mov_b32_e32 v43, 0
	s_mov_b32 s76, exec_lo
	v_cmpx_ne_u32_e32 0, v2
	s_cbranch_execz .LBB6_1934
; %bb.1927:                             ;   in Loop: Header=BB6_136 Depth=3
	v_bfe_u32 v5, v2, 23, 8
	v_or_b32_e32 v3, 0x800000, v0
	s_delay_alu instid0(VALU_DEP_2) | instskip(SKIP_2) | instid1(VALU_DEP_2)
	v_cmp_gt_u32_e64 s13, 0x72, v5
	v_sub_nc_u32_e32 v2, 0x71, v5
	v_cmp_eq_u32_e32 vcc_lo, 0, v5
	v_dual_cndmask_b32 v2, 0, v2, s13 :: v_dual_cndmask_b32 v0, v3, v0, vcc_lo
	s_delay_alu instid0(VALU_DEP_1) | instskip(NEXT) | instid1(VALU_DEP_1)
	v_cndmask_b32_e64 v7, v2, 0x70, vcc_lo
	v_dual_add_nc_u32 v2, 21, v7 :: v_dual_add_nc_u32 v8, 20, v7
	s_delay_alu instid0(VALU_DEP_1) | instskip(NEXT) | instid1(VALU_DEP_2)
	v_lshlrev_b64_e64 v[2:3], v2, -1
	v_lshlrev_b64_e64 v[8:9], v8, 1
	s_delay_alu instid0(VALU_DEP_2) | instskip(SKIP_1) | instid1(VALU_DEP_4)
	v_bfi_b32 v2, v2, 0, v0
	v_lshrrev_b64 v[0:1], v7, v[0:1]
	v_bfi_b32 v3, v3, 0, 0
	s_delay_alu instid0(VALU_DEP_1) | instskip(NEXT) | instid1(VALU_DEP_3)
	v_cmp_eq_u64_e64 s13, v[2:3], v[8:9]
	v_mov_b64_e32 v[2:3], v[0:1]
	s_and_saveexec_b32 s77, s13
; %bb.1928:                             ;   in Loop: Header=BB6_136 Depth=3
	v_bfe_u32 v2, v0, 21, 1
	v_mov_b32_e32 v3, v113
	s_delay_alu instid0(VALU_DEP_1) | instskip(NEXT) | instid1(VALU_DEP_1)
	v_add_nc_u64_e32 v[2:3], v[0:1], v[2:3]
	v_add_nc_u64_e32 v[2:3], -1, v[2:3]
; %bb.1929:                             ;   in Loop: Header=BB6_136 Depth=3
	s_or_b32 exec_lo, exec_lo, s77
	v_add_nc_u32_e32 v1, 0xffffff81, v5
	v_lshrrev_b32_e32 v3, 23, v0
	s_mov_b32 s13, exec_lo
	s_delay_alu instid0(VALU_DEP_2) | instskip(NEXT) | instid1(VALU_DEP_1)
	v_cndmask_b32_e64 v1, v1, 0xffffff82, vcc_lo
	v_add3_u32 v5, v7, v1, v3
	v_and_b32_e32 v1, 0x1fffff, v2
                                        ; implicit-def: $vgpr2
	s_delay_alu instid0(VALU_DEP_1) | instskip(SKIP_1) | instid1(VALU_DEP_2)
	v_dual_add_nc_u32 v3, 14, v5 :: v_dual_add_nc_u32 v0, v1, v0
	v_mov_b32_e32 v1, v113
	v_cmpx_ne_u32_e32 0, v3
	s_xor_b32 s13, exec_lo, s13
; %bb.1930:                             ;   in Loop: Header=BB6_136 Depth=3
	s_delay_alu instid0(VALU_DEP_2) | instskip(SKIP_1) | instid1(VALU_DEP_1)
	v_cmp_lt_u64_e32 vcc_lo, 0xffffff, v[0:1]
	v_add_nc_u32_e32 v2, 15, v5
	v_cndmask_b32_e32 v2, v3, v2, vcc_lo
	v_cndmask_b32_e64 v3, 0, 1, vcc_lo
	s_delay_alu instid0(VALU_DEP_1)
	v_lshrrev_b64 v[0:1], v3, v[0:1]
; %bb.1931:                             ;   in Loop: Header=BB6_136 Depth=3
	s_and_not1_saveexec_b32 s13, s13
; %bb.1932:                             ;   in Loop: Header=BB6_136 Depth=3
	s_delay_alu instid0(VALU_DEP_1)
	v_bfe_u32 v2, v0, 23, 1
; %bb.1933:                             ;   in Loop: Header=BB6_136 Depth=3
	s_or_b32 exec_lo, exec_lo, s13
	s_delay_alu instid0(VALU_DEP_2) | instskip(NEXT) | instid1(VALU_DEP_2)
	v_lshrrev_b64 v[0:1], 21, v[0:1]
	v_cmp_gt_i32_e32 vcc_lo, 32, v2
	v_min_i32_e32 v3, 31, v2
	v_cmp_eq_u32_e64 s13, 0, v2
	s_delay_alu instid0(VALU_DEP_2) | instskip(SKIP_1) | instid1(VALU_DEP_2)
	v_dual_cndmask_b32 v1, 0, v1, vcc_lo :: v_dual_lshlrev_b32 v3, 2, v3
	v_cndmask_b32_e32 v0, 3, v0, vcc_lo
	v_and_b32_e32 v3, 0xfc, v3
	s_delay_alu instid0(VALU_DEP_2) | instskip(NEXT) | instid1(VALU_DEP_2)
	v_cmp_eq_u64_e32 vcc_lo, 0, v[0:1]
	v_and_or_b32 v0, v0, 3, v3
	s_and_b32 s13, s13, vcc_lo
	s_delay_alu instid0(VALU_DEP_1) | instid1(SALU_CYCLE_1)
	v_cndmask_b32_e64 v0, v0, 0, s13
	s_delay_alu instid0(VALU_DEP_1)
	v_or_b32_e32 v43, v0, v4
.LBB6_1934:                             ;   in Loop: Header=BB6_136 Depth=3
	s_or_b32 exec_lo, exec_lo, s76
                                        ; implicit-def: $vgpr4
.LBB6_1935:                             ;   in Loop: Header=BB6_136 Depth=3
	s_and_not1_saveexec_b32 s13, s75
; %bb.1936:                             ;   in Loop: Header=BB6_136 Depth=3
	v_or_b32_e32 v43, 0x7b, v4
; %bb.1937:                             ;   in Loop: Header=BB6_136 Depth=3
	s_or_b32 exec_lo, exec_lo, s13
                                        ; implicit-def: $vgpr2
                                        ; implicit-def: $vgpr0_vgpr1
                                        ; implicit-def: $vgpr3
.LBB6_1938:                             ;   in Loop: Header=BB6_136 Depth=3
	s_and_not1_saveexec_b32 s13, s74
	s_cbranch_execz .LBB6_1944
; %bb.1939:                             ;   in Loop: Header=BB6_136 Depth=3
	s_mov_b32 s74, exec_lo
                                        ; implicit-def: $vgpr43
	v_cmpx_ne_u64_e32 0, v[0:1]
	s_xor_b32 s74, exec_lo, s74
; %bb.1940:                             ;   in Loop: Header=BB6_136 Depth=3
	v_or_b32_e32 v43, 0x7f, v3
                                        ; implicit-def: $vgpr2
; %bb.1941:                             ;   in Loop: Header=BB6_136 Depth=3
	s_and_not1_saveexec_b32 s74, s74
; %bb.1942:                             ;   in Loop: Header=BB6_136 Depth=3
	v_cmp_lt_i32_e32 vcc_lo, -1, v2
	v_mov_b32_e32 v0, 0x7c
	s_delay_alu instid0(VALU_DEP_1)
	v_cndmask_b32_e32 v43, 0xfc, v0, vcc_lo
; %bb.1943:                             ;   in Loop: Header=BB6_136 Depth=3
	s_or_b32 exec_lo, exec_lo, s74
.LBB6_1944:                             ;   in Loop: Header=BB6_136 Depth=3
	s_delay_alu instid0(SALU_CYCLE_1) | instskip(SKIP_4) | instid1(VALU_DEP_3)
	s_or_b32 exec_lo, exec_lo, s13
	v_and_b32_e32 v3, 0xff, v11
	v_dual_mov_b32 v0, v11 :: v_dual_mov_b32 v1, v113
	v_mov_b32_e32 v2, 0
	s_mov_b32 s74, exec_lo
	v_cmpx_ne_u16_e32 0, v3
	s_cbranch_execz .LBB6_1954
; %bb.1945:                             ;   in Loop: Header=BB6_136 Depth=3
	v_bfrev_b32_e32 v2, 1
	s_mov_b32 s75, exec_lo
	v_cmpx_ne_u16_e32 0x80, v3
	s_cbranch_execz .LBB6_1953
; %bb.1946:                             ;   in Loop: Header=BB6_136 Depth=3
	v_and_b32_e32 v2, 0x7c, v11
	v_and_b32_e32 v3, 3, v11
	s_delay_alu instid0(VALU_DEP_2) | instskip(SKIP_1) | instid1(SALU_CYCLE_1)
	v_cmp_ne_u32_e32 vcc_lo, 0x7c, v2
                                        ; implicit-def: $vgpr2
	s_and_saveexec_b32 s13, vcc_lo
	s_xor_b32 s13, exec_lo, s13
	s_cbranch_execz .LBB6_1950
; %bb.1947:                             ;   in Loop: Header=BB6_136 Depth=3
	v_bfe_u32 v2, v11, 2, 5
	s_mov_b32 s76, exec_lo
	s_delay_alu instid0(VALU_DEP_1)
	v_cmpx_eq_u32_e32 0, v2
; %bb.1948:                             ;   in Loop: Header=BB6_136 Depth=3
	v_clz_i32_u32_e32 v2, v3
	s_delay_alu instid0(VALU_DEP_1) | instskip(NEXT) | instid1(VALU_DEP_1)
	v_min_u32_e32 v2, 32, v2
	v_subrev_nc_u32_e32 v3, 29, v2
	s_delay_alu instid0(VALU_DEP_1) | instskip(NEXT) | instid1(VALU_DEP_1)
	v_lshlrev_b64_e32 v[4:5], v3, v[0:1]
	v_dual_sub_nc_u32 v2, 30, v2 :: v_dual_bitop2_b32 v3, 3, v4 bitop3:0x40
; %bb.1949:                             ;   in Loop: Header=BB6_136 Depth=3
	s_or_b32 exec_lo, exec_lo, s76
	v_lshlrev_b32_e32 v1, 24, v11
	s_delay_alu instid0(VALU_DEP_1) | instskip(NEXT) | instid1(VALU_DEP_1)
	v_and_b32_e32 v1, 0x80000000, v1
	v_lshl_add_u32 v1, v2, 23, v1
	s_delay_alu instid0(VALU_DEP_1) | instskip(NEXT) | instid1(VALU_DEP_1)
	v_lshl_or_b32 v1, v3, 21, v1
                                        ; implicit-def: $vgpr3
	v_add_nc_u32_e32 v2, 0x38000000, v1
.LBB6_1950:                             ;   in Loop: Header=BB6_136 Depth=3
	s_and_not1_saveexec_b32 s76, s13
; %bb.1951:                             ;   in Loop: Header=BB6_136 Depth=3
	v_bfe_i32 v1, v11, 0, 8
	v_cmp_eq_u32_e32 vcc_lo, 0, v3
	s_delay_alu instid0(VALU_DEP_2) | instskip(SKIP_1) | instid1(VALU_DEP_1)
	v_cmp_lt_i16_e64 s13, -1, v1
	v_mov_b32_e32 v1, 0x7f800000
	v_cndmask_b32_e64 v1, 0xff800000, v1, s13
	s_delay_alu instid0(VALU_DEP_1)
	v_cndmask_b32_e32 v2, 0x7f800001, v1, vcc_lo
; %bb.1952:                             ;   in Loop: Header=BB6_136 Depth=3
	s_or_b32 exec_lo, exec_lo, s76
.LBB6_1953:                             ;   in Loop: Header=BB6_136 Depth=3
	s_delay_alu instid0(SALU_CYCLE_1)
	s_or_b32 exec_lo, exec_lo, s75
.LBB6_1954:                             ;   in Loop: Header=BB6_136 Depth=3
	s_delay_alu instid0(SALU_CYCLE_1) | instskip(NEXT) | instid1(VALU_DEP_1)
	s_or_b32 exec_lo, exec_lo, s74
	v_dual_mul_f32 v4, s73, v2 :: v_dual_mov_b32 v9, v113
	v_mov_b32_e32 v3, v113
                                        ; implicit-def: $vgpr45
	s_mov_b32 s13, exec_lo
	s_delay_alu instid0(VALU_DEP_2) | instskip(SKIP_2) | instid1(VALU_DEP_3)
	v_and_b32_e32 v8, 0x7f800000, v4
	v_and_b32_e32 v2, 0x7fffff, v4
	v_lshrrev_b32_e32 v1, 24, v4
	v_cmpx_ne_u64_e32 0x7f800000, v[8:9]
	s_xor_b32 s74, exec_lo, s13
	s_cbranch_execz .LBB6_1968
; %bb.1955:                             ;   in Loop: Header=BB6_136 Depth=3
	v_and_b32_e32 v8, 0x7fffffff, v4
	v_mov_b32_e32 v9, v113
	v_and_b32_e32 v1, 0x80, v1
                                        ; implicit-def: $vgpr45
	s_mov_b32 s13, exec_lo
	s_delay_alu instid0(VALU_DEP_2)
	v_cmpx_gt_u64_e32 0x47600001, v[8:9]
	s_xor_b32 s75, exec_lo, s13
	s_cbranch_execz .LBB6_1965
; %bb.1956:                             ;   in Loop: Header=BB6_136 Depth=3
	v_mov_b32_e32 v45, 0
	s_mov_b32 s76, exec_lo
	v_cmpx_ne_u32_e32 0, v4
	s_cbranch_execz .LBB6_1964
; %bb.1957:                             ;   in Loop: Header=BB6_136 Depth=3
	v_bfe_u32 v7, v4, 23, 8
	v_or_b32_e32 v5, 0x800000, v2
	s_delay_alu instid0(VALU_DEP_2) | instskip(SKIP_2) | instid1(VALU_DEP_2)
	v_cmp_gt_u32_e64 s13, 0x72, v7
	v_sub_nc_u32_e32 v4, 0x71, v7
	v_cmp_eq_u32_e32 vcc_lo, 0, v7
	v_dual_cndmask_b32 v4, 0, v4, s13 :: v_dual_cndmask_b32 v2, v5, v2, vcc_lo
	s_delay_alu instid0(VALU_DEP_1) | instskip(NEXT) | instid1(VALU_DEP_1)
	v_cndmask_b32_e64 v8, v4, 0x70, vcc_lo
	v_dual_add_nc_u32 v4, 21, v8 :: v_dual_add_nc_u32 v9, 20, v8
	s_delay_alu instid0(VALU_DEP_1) | instskip(NEXT) | instid1(VALU_DEP_2)
	v_lshlrev_b64_e64 v[4:5], v4, -1
	v_lshlrev_b64_e64 v[14:15], v9, 1
	s_delay_alu instid0(VALU_DEP_2) | instskip(SKIP_1) | instid1(VALU_DEP_4)
	v_bfi_b32 v4, v4, 0, v2
	v_lshrrev_b64 v[2:3], v8, v[2:3]
	v_bfi_b32 v5, v5, 0, 0
	s_delay_alu instid0(VALU_DEP_1) | instskip(NEXT) | instid1(VALU_DEP_3)
	v_cmp_eq_u64_e64 s13, v[4:5], v[14:15]
	v_mov_b64_e32 v[4:5], v[2:3]
	s_and_saveexec_b32 s77, s13
; %bb.1958:                             ;   in Loop: Header=BB6_136 Depth=3
	v_bfe_u32 v4, v2, 21, 1
	v_mov_b32_e32 v5, v113
	s_delay_alu instid0(VALU_DEP_1) | instskip(NEXT) | instid1(VALU_DEP_1)
	v_add_nc_u64_e32 v[4:5], v[2:3], v[4:5]
	v_add_nc_u64_e32 v[4:5], -1, v[4:5]
; %bb.1959:                             ;   in Loop: Header=BB6_136 Depth=3
	s_or_b32 exec_lo, exec_lo, s77
	v_add_nc_u32_e32 v3, 0xffffff81, v7
	v_lshrrev_b32_e32 v5, 23, v2
	s_mov_b32 s13, exec_lo
	s_delay_alu instid0(VALU_DEP_2) | instskip(NEXT) | instid1(VALU_DEP_1)
	v_cndmask_b32_e64 v3, v3, 0xffffff82, vcc_lo
	v_add3_u32 v7, v8, v3, v5
	v_and_b32_e32 v3, 0x1fffff, v4
                                        ; implicit-def: $vgpr4
	s_delay_alu instid0(VALU_DEP_1) | instskip(SKIP_1) | instid1(VALU_DEP_2)
	v_dual_add_nc_u32 v5, 14, v7 :: v_dual_add_nc_u32 v2, v3, v2
	v_mov_b32_e32 v3, v113
	v_cmpx_ne_u32_e32 0, v5
	s_xor_b32 s13, exec_lo, s13
; %bb.1960:                             ;   in Loop: Header=BB6_136 Depth=3
	s_delay_alu instid0(VALU_DEP_2) | instskip(SKIP_1) | instid1(VALU_DEP_1)
	v_cmp_lt_u64_e32 vcc_lo, 0xffffff, v[2:3]
	v_add_nc_u32_e32 v4, 15, v7
	v_cndmask_b32_e32 v4, v5, v4, vcc_lo
	v_cndmask_b32_e64 v5, 0, 1, vcc_lo
	s_delay_alu instid0(VALU_DEP_1)
	v_lshrrev_b64 v[2:3], v5, v[2:3]
; %bb.1961:                             ;   in Loop: Header=BB6_136 Depth=3
	s_and_not1_saveexec_b32 s13, s13
; %bb.1962:                             ;   in Loop: Header=BB6_136 Depth=3
	s_delay_alu instid0(VALU_DEP_1)
	v_bfe_u32 v4, v2, 23, 1
; %bb.1963:                             ;   in Loop: Header=BB6_136 Depth=3
	s_or_b32 exec_lo, exec_lo, s13
	s_delay_alu instid0(VALU_DEP_2) | instskip(NEXT) | instid1(VALU_DEP_2)
	v_lshrrev_b64 v[2:3], 21, v[2:3]
	v_cmp_gt_i32_e32 vcc_lo, 32, v4
	v_min_i32_e32 v5, 31, v4
	v_cmp_eq_u32_e64 s13, 0, v4
	s_delay_alu instid0(VALU_DEP_2) | instskip(SKIP_1) | instid1(VALU_DEP_2)
	v_dual_cndmask_b32 v3, 0, v3, vcc_lo :: v_dual_lshlrev_b32 v5, 2, v5
	v_cndmask_b32_e32 v2, 3, v2, vcc_lo
	v_and_b32_e32 v5, 0xfc, v5
	s_delay_alu instid0(VALU_DEP_2) | instskip(NEXT) | instid1(VALU_DEP_2)
	v_cmp_eq_u64_e32 vcc_lo, 0, v[2:3]
	v_and_or_b32 v2, v2, 3, v5
	s_and_b32 s13, s13, vcc_lo
	s_delay_alu instid0(VALU_DEP_1) | instid1(SALU_CYCLE_1)
	v_cndmask_b32_e64 v2, v2, 0, s13
	s_delay_alu instid0(VALU_DEP_1)
	v_or_b32_e32 v45, v2, v1
.LBB6_1964:                             ;   in Loop: Header=BB6_136 Depth=3
	s_or_b32 exec_lo, exec_lo, s76
                                        ; implicit-def: $vgpr1
.LBB6_1965:                             ;   in Loop: Header=BB6_136 Depth=3
	s_and_not1_saveexec_b32 s13, s75
; %bb.1966:                             ;   in Loop: Header=BB6_136 Depth=3
	v_or_b32_e32 v45, 0x7b, v1
; %bb.1967:                             ;   in Loop: Header=BB6_136 Depth=3
	s_or_b32 exec_lo, exec_lo, s13
                                        ; implicit-def: $vgpr4
                                        ; implicit-def: $vgpr2_vgpr3
                                        ; implicit-def: $vgpr1
.LBB6_1968:                             ;   in Loop: Header=BB6_136 Depth=3
	s_and_not1_saveexec_b32 s13, s74
	s_cbranch_execz .LBB6_1974
; %bb.1969:                             ;   in Loop: Header=BB6_136 Depth=3
	s_mov_b32 s74, exec_lo
                                        ; implicit-def: $vgpr45
	v_cmpx_ne_u64_e32 0, v[2:3]
	s_xor_b32 s74, exec_lo, s74
; %bb.1970:                             ;   in Loop: Header=BB6_136 Depth=3
	v_or_b32_e32 v45, 0x7f, v1
                                        ; implicit-def: $vgpr4
; %bb.1971:                             ;   in Loop: Header=BB6_136 Depth=3
	s_and_not1_saveexec_b32 s74, s74
; %bb.1972:                             ;   in Loop: Header=BB6_136 Depth=3
	v_cmp_lt_i32_e32 vcc_lo, -1, v4
	v_mov_b32_e32 v1, 0x7c
	s_delay_alu instid0(VALU_DEP_1)
	v_cndmask_b32_e32 v45, 0xfc, v1, vcc_lo
; %bb.1973:                             ;   in Loop: Header=BB6_136 Depth=3
	s_or_b32 exec_lo, exec_lo, s74
.LBB6_1974:                             ;   in Loop: Header=BB6_136 Depth=3
	s_delay_alu instid0(SALU_CYCLE_1) | instskip(SKIP_3) | instid1(VALU_DEP_2)
	s_or_b32 exec_lo, exec_lo, s13
	v_lshrrev_b16 v2, 8, v0
	v_mov_b32_e32 v3, 0
	s_mov_b32 s74, exec_lo
	v_cmpx_ne_u16_e32 0, v2
	s_cbranch_execz .LBB6_1984
; %bb.1975:                             ;   in Loop: Header=BB6_136 Depth=3
	v_bfrev_b32_e32 v3, 1
	s_mov_b32 s75, exec_lo
	v_cmpx_ne_u16_e32 0x80, v2
	s_cbranch_execz .LBB6_1983
; %bb.1976:                             ;   in Loop: Header=BB6_136 Depth=3
	v_and_b32_e32 v1, 0xffff, v2
	s_delay_alu instid0(VALU_DEP_1) | instskip(SKIP_1) | instid1(VALU_DEP_2)
	v_and_b32_e32 v3, 0x7c, v1
	v_and_b32_e32 v4, 3, v1
	v_cmp_ne_u32_e32 vcc_lo, 0x7c, v3
                                        ; implicit-def: $vgpr3
	s_and_saveexec_b32 s13, vcc_lo
	s_delay_alu instid0(SALU_CYCLE_1)
	s_xor_b32 s13, exec_lo, s13
	s_cbranch_execz .LBB6_1980
; %bb.1977:                             ;   in Loop: Header=BB6_136 Depth=3
	v_bfe_u32 v1, v1, 2, 5
	s_mov_b32 s76, exec_lo
	s_delay_alu instid0(VALU_DEP_1)
	v_cmpx_eq_u32_e32 0, v1
	s_cbranch_execz .LBB6_1979
; %bb.1978:                             ;   in Loop: Header=BB6_136 Depth=3
	v_clz_i32_u32_e32 v1, v4
	s_delay_alu instid0(VALU_DEP_1) | instskip(SKIP_1) | instid1(VALU_DEP_2)
	v_min_u32_e32 v1, 32, v1
	v_mov_b32_e32 v3, v113
	v_subrev_nc_u32_e32 v4, 29, v1
	v_sub_nc_u32_e32 v1, 30, v1
	s_delay_alu instid0(VALU_DEP_2) | instskip(NEXT) | instid1(VALU_DEP_1)
	v_lshlrev_b64_e32 v[2:3], v4, v[2:3]
	v_and_b32_e32 v4, 3, v2
.LBB6_1979:                             ;   in Loop: Header=BB6_136 Depth=3
	s_or_b32 exec_lo, exec_lo, s76
	v_lshlrev_b32_e32 v0, 16, v0
	s_delay_alu instid0(VALU_DEP_1) | instskip(NEXT) | instid1(VALU_DEP_1)
	v_and_b32_e32 v0, 0x80000000, v0
	v_lshl_add_u32 v0, v1, 23, v0
	s_delay_alu instid0(VALU_DEP_1) | instskip(NEXT) | instid1(VALU_DEP_1)
	v_lshl_or_b32 v0, v4, 21, v0
                                        ; implicit-def: $vgpr4
	v_add_nc_u32_e32 v3, 0x38000000, v0
                                        ; implicit-def: $vgpr0_vgpr1
.LBB6_1980:                             ;   in Loop: Header=BB6_136 Depth=3
	s_and_not1_saveexec_b32 s76, s13
; %bb.1981:                             ;   in Loop: Header=BB6_136 Depth=3
	v_cmp_lt_i16_e64 s13, -1, v0
	v_mov_b32_e32 v0, 0x7f800000
	v_cmp_eq_u32_e32 vcc_lo, 0, v4
	s_delay_alu instid0(VALU_DEP_2) | instskip(NEXT) | instid1(VALU_DEP_1)
	v_cndmask_b32_e64 v0, 0xff800000, v0, s13
	v_cndmask_b32_e32 v3, 0x7f800001, v0, vcc_lo
; %bb.1982:                             ;   in Loop: Header=BB6_136 Depth=3
	s_or_b32 exec_lo, exec_lo, s76
.LBB6_1983:                             ;   in Loop: Header=BB6_136 Depth=3
	s_delay_alu instid0(SALU_CYCLE_1)
	s_or_b32 exec_lo, exec_lo, s75
.LBB6_1984:                             ;   in Loop: Header=BB6_136 Depth=3
	s_delay_alu instid0(SALU_CYCLE_1) | instskip(NEXT) | instid1(VALU_DEP_1)
	s_or_b32 exec_lo, exec_lo, s74
	v_dual_mul_f32 v2, s73, v3 :: v_dual_mov_b32 v5, v113
	v_mov_b32_e32 v1, v113
                                        ; implicit-def: $vgpr72
	s_mov_b32 s13, exec_lo
	s_delay_alu instid0(VALU_DEP_2) | instskip(SKIP_2) | instid1(VALU_DEP_3)
	v_and_b32_e32 v4, 0x7f800000, v2
	v_and_b32_e32 v0, 0x7fffff, v2
	v_lshrrev_b32_e32 v3, 24, v2
	v_cmpx_ne_u64_e32 0x7f800000, v[4:5]
	s_xor_b32 s74, exec_lo, s13
	s_cbranch_execz .LBB6_1998
; %bb.1985:                             ;   in Loop: Header=BB6_136 Depth=3
	v_and_b32_e32 v4, 0x7fffffff, v2
	v_mov_b32_e32 v5, v113
                                        ; implicit-def: $vgpr72
	s_delay_alu instid0(VALU_DEP_1) | instskip(SKIP_2) | instid1(SALU_CYCLE_1)
	v_cmp_gt_u64_e32 vcc_lo, 0x47600001, v[4:5]
	v_and_b32_e32 v4, 0x80, v3
	s_and_saveexec_b32 s13, vcc_lo
	s_xor_b32 s75, exec_lo, s13
	s_cbranch_execz .LBB6_1995
; %bb.1986:                             ;   in Loop: Header=BB6_136 Depth=3
	v_mov_b32_e32 v72, 0
	s_mov_b32 s76, exec_lo
	v_cmpx_ne_u32_e32 0, v2
	s_cbranch_execz .LBB6_1994
; %bb.1987:                             ;   in Loop: Header=BB6_136 Depth=3
	v_bfe_u32 v5, v2, 23, 8
	v_or_b32_e32 v3, 0x800000, v0
	s_delay_alu instid0(VALU_DEP_2) | instskip(SKIP_2) | instid1(VALU_DEP_2)
	v_cmp_gt_u32_e64 s13, 0x72, v5
	v_sub_nc_u32_e32 v2, 0x71, v5
	v_cmp_eq_u32_e32 vcc_lo, 0, v5
	v_dual_cndmask_b32 v2, 0, v2, s13 :: v_dual_cndmask_b32 v0, v3, v0, vcc_lo
	s_delay_alu instid0(VALU_DEP_1) | instskip(NEXT) | instid1(VALU_DEP_1)
	v_cndmask_b32_e64 v7, v2, 0x70, vcc_lo
	v_dual_add_nc_u32 v2, 21, v7 :: v_dual_add_nc_u32 v8, 20, v7
	s_delay_alu instid0(VALU_DEP_1) | instskip(NEXT) | instid1(VALU_DEP_2)
	v_lshlrev_b64_e64 v[2:3], v2, -1
	v_lshlrev_b64_e64 v[8:9], v8, 1
	s_delay_alu instid0(VALU_DEP_2) | instskip(SKIP_1) | instid1(VALU_DEP_4)
	v_bfi_b32 v2, v2, 0, v0
	v_lshrrev_b64 v[0:1], v7, v[0:1]
	v_bfi_b32 v3, v3, 0, 0
	s_delay_alu instid0(VALU_DEP_1) | instskip(NEXT) | instid1(VALU_DEP_3)
	v_cmp_eq_u64_e64 s13, v[2:3], v[8:9]
	v_mov_b64_e32 v[2:3], v[0:1]
	s_and_saveexec_b32 s77, s13
; %bb.1988:                             ;   in Loop: Header=BB6_136 Depth=3
	v_bfe_u32 v2, v0, 21, 1
	v_mov_b32_e32 v3, v113
	s_delay_alu instid0(VALU_DEP_1) | instskip(NEXT) | instid1(VALU_DEP_1)
	v_add_nc_u64_e32 v[2:3], v[0:1], v[2:3]
	v_add_nc_u64_e32 v[2:3], -1, v[2:3]
; %bb.1989:                             ;   in Loop: Header=BB6_136 Depth=3
	s_or_b32 exec_lo, exec_lo, s77
	v_add_nc_u32_e32 v1, 0xffffff81, v5
	v_lshrrev_b32_e32 v3, 23, v0
	s_mov_b32 s13, exec_lo
	s_delay_alu instid0(VALU_DEP_2) | instskip(NEXT) | instid1(VALU_DEP_1)
	v_cndmask_b32_e64 v1, v1, 0xffffff82, vcc_lo
	v_add3_u32 v5, v7, v1, v3
	v_and_b32_e32 v1, 0x1fffff, v2
                                        ; implicit-def: $vgpr2
	s_delay_alu instid0(VALU_DEP_1) | instskip(SKIP_1) | instid1(VALU_DEP_2)
	v_dual_add_nc_u32 v3, 14, v5 :: v_dual_add_nc_u32 v0, v1, v0
	v_mov_b32_e32 v1, v113
	v_cmpx_ne_u32_e32 0, v3
	s_xor_b32 s13, exec_lo, s13
; %bb.1990:                             ;   in Loop: Header=BB6_136 Depth=3
	s_delay_alu instid0(VALU_DEP_2) | instskip(SKIP_1) | instid1(VALU_DEP_1)
	v_cmp_lt_u64_e32 vcc_lo, 0xffffff, v[0:1]
	v_add_nc_u32_e32 v2, 15, v5
	v_cndmask_b32_e32 v2, v3, v2, vcc_lo
	v_cndmask_b32_e64 v3, 0, 1, vcc_lo
	s_delay_alu instid0(VALU_DEP_1)
	v_lshrrev_b64 v[0:1], v3, v[0:1]
; %bb.1991:                             ;   in Loop: Header=BB6_136 Depth=3
	s_and_not1_saveexec_b32 s13, s13
; %bb.1992:                             ;   in Loop: Header=BB6_136 Depth=3
	s_delay_alu instid0(VALU_DEP_1)
	v_bfe_u32 v2, v0, 23, 1
; %bb.1993:                             ;   in Loop: Header=BB6_136 Depth=3
	s_or_b32 exec_lo, exec_lo, s13
	s_delay_alu instid0(VALU_DEP_2) | instskip(NEXT) | instid1(VALU_DEP_2)
	v_lshrrev_b64 v[0:1], 21, v[0:1]
	v_cmp_gt_i32_e32 vcc_lo, 32, v2
	v_min_i32_e32 v3, 31, v2
	v_cmp_eq_u32_e64 s13, 0, v2
	s_delay_alu instid0(VALU_DEP_2) | instskip(SKIP_1) | instid1(VALU_DEP_2)
	v_dual_cndmask_b32 v1, 0, v1, vcc_lo :: v_dual_lshlrev_b32 v3, 2, v3
	v_cndmask_b32_e32 v0, 3, v0, vcc_lo
	v_and_b32_e32 v3, 0xfc, v3
	s_delay_alu instid0(VALU_DEP_2) | instskip(NEXT) | instid1(VALU_DEP_2)
	v_cmp_eq_u64_e32 vcc_lo, 0, v[0:1]
	v_and_or_b32 v0, v0, 3, v3
	s_and_b32 s13, s13, vcc_lo
	s_delay_alu instid0(VALU_DEP_1) | instid1(SALU_CYCLE_1)
	v_cndmask_b32_e64 v0, v0, 0, s13
	s_delay_alu instid0(VALU_DEP_1)
	v_or_b32_e32 v72, v0, v4
.LBB6_1994:                             ;   in Loop: Header=BB6_136 Depth=3
	s_or_b32 exec_lo, exec_lo, s76
                                        ; implicit-def: $vgpr4
.LBB6_1995:                             ;   in Loop: Header=BB6_136 Depth=3
	s_and_not1_saveexec_b32 s13, s75
; %bb.1996:                             ;   in Loop: Header=BB6_136 Depth=3
	v_or_b32_e32 v72, 0x7b, v4
; %bb.1997:                             ;   in Loop: Header=BB6_136 Depth=3
	s_or_b32 exec_lo, exec_lo, s13
                                        ; implicit-def: $vgpr2
                                        ; implicit-def: $vgpr0_vgpr1
                                        ; implicit-def: $vgpr3
.LBB6_1998:                             ;   in Loop: Header=BB6_136 Depth=3
	s_and_not1_saveexec_b32 s13, s74
	s_cbranch_execz .LBB6_2004
; %bb.1999:                             ;   in Loop: Header=BB6_136 Depth=3
	s_mov_b32 s74, exec_lo
                                        ; implicit-def: $vgpr72
	v_cmpx_ne_u64_e32 0, v[0:1]
	s_xor_b32 s74, exec_lo, s74
; %bb.2000:                             ;   in Loop: Header=BB6_136 Depth=3
	v_or_b32_e32 v72, 0x7f, v3
                                        ; implicit-def: $vgpr2
; %bb.2001:                             ;   in Loop: Header=BB6_136 Depth=3
	s_and_not1_saveexec_b32 s74, s74
; %bb.2002:                             ;   in Loop: Header=BB6_136 Depth=3
	v_cmp_lt_i32_e32 vcc_lo, -1, v2
	v_mov_b32_e32 v0, 0x7c
	s_delay_alu instid0(VALU_DEP_1)
	v_cndmask_b32_e32 v72, 0xfc, v0, vcc_lo
; %bb.2003:                             ;   in Loop: Header=BB6_136 Depth=3
	s_or_b32 exec_lo, exec_lo, s74
.LBB6_2004:                             ;   in Loop: Header=BB6_136 Depth=3
	s_delay_alu instid0(SALU_CYCLE_1) | instskip(SKIP_2) | instid1(VALU_DEP_1)
	s_or_b32 exec_lo, exec_lo, s13
	v_dual_mov_b32 v1, 0 :: v_dual_lshrrev_b32 v0, 16, v11
	s_mov_b32 s74, exec_lo
	v_and_b32_e32 v2, 0xff, v0
	s_delay_alu instid0(VALU_DEP_1)
	v_cmpx_ne_u16_e32 0, v2
	s_cbranch_execz .LBB6_2014
; %bb.2005:                             ;   in Loop: Header=BB6_136 Depth=3
	v_bfrev_b32_e32 v1, 1
	s_mov_b32 s75, exec_lo
	v_cmpx_ne_u16_e32 0x80, v2
	s_cbranch_execz .LBB6_2013
; %bb.2006:                             ;   in Loop: Header=BB6_136 Depth=3
	v_and_b32_e32 v1, 0x7c0000, v11
	v_bfe_u32 v2, v11, 16, 2
	s_delay_alu instid0(VALU_DEP_2) | instskip(SKIP_1) | instid1(SALU_CYCLE_1)
	v_cmp_ne_u32_e32 vcc_lo, 0x7c0000, v1
                                        ; implicit-def: $vgpr1
	s_and_saveexec_b32 s13, vcc_lo
	s_xor_b32 s13, exec_lo, s13
	s_cbranch_execz .LBB6_2010
; %bb.2007:                             ;   in Loop: Header=BB6_136 Depth=3
	v_bfe_u32 v1, v11, 18, 5
	s_mov_b32 s76, exec_lo
	s_delay_alu instid0(VALU_DEP_1)
	v_cmpx_eq_u32_e32 0, v1
; %bb.2008:                             ;   in Loop: Header=BB6_136 Depth=3
	v_clz_i32_u32_e32 v1, v2
	s_delay_alu instid0(VALU_DEP_1) | instskip(NEXT) | instid1(VALU_DEP_1)
	v_min_u32_e32 v1, 32, v1
	v_subrev_nc_u32_e32 v2, 29, v1
	s_delay_alu instid0(VALU_DEP_1) | instskip(NEXT) | instid1(VALU_DEP_1)
	v_lshlrev_b64_e32 v[2:3], v2, v[0:1]
	v_dual_sub_nc_u32 v1, 30, v1 :: v_dual_bitop2_b32 v2, 3, v2 bitop3:0x40
; %bb.2009:                             ;   in Loop: Header=BB6_136 Depth=3
	s_or_b32 exec_lo, exec_lo, s76
	v_lshlrev_b32_e32 v0, 24, v0
	s_delay_alu instid0(VALU_DEP_1) | instskip(NEXT) | instid1(VALU_DEP_1)
	v_and_b32_e32 v0, 0x80000000, v0
	v_lshl_add_u32 v0, v1, 23, v0
	s_delay_alu instid0(VALU_DEP_1) | instskip(NEXT) | instid1(VALU_DEP_1)
	v_lshl_or_b32 v0, v2, 21, v0
                                        ; implicit-def: $vgpr2
	v_add_nc_u32_e32 v1, 0x38000000, v0
                                        ; implicit-def: $vgpr0
.LBB6_2010:                             ;   in Loop: Header=BB6_136 Depth=3
	s_and_not1_saveexec_b32 s76, s13
; %bb.2011:                             ;   in Loop: Header=BB6_136 Depth=3
	v_bfe_i32 v0, v0, 0, 8
	v_cmp_eq_u32_e32 vcc_lo, 0, v2
	s_delay_alu instid0(VALU_DEP_2) | instskip(SKIP_1) | instid1(VALU_DEP_1)
	v_cmp_lt_i16_e64 s13, -1, v0
	v_mov_b32_e32 v0, 0x7f800000
	v_cndmask_b32_e64 v0, 0xff800000, v0, s13
	s_delay_alu instid0(VALU_DEP_1)
	v_cndmask_b32_e32 v1, 0x7f800001, v0, vcc_lo
; %bb.2012:                             ;   in Loop: Header=BB6_136 Depth=3
	s_or_b32 exec_lo, exec_lo, s76
.LBB6_2013:                             ;   in Loop: Header=BB6_136 Depth=3
	s_delay_alu instid0(SALU_CYCLE_1)
	s_or_b32 exec_lo, exec_lo, s75
.LBB6_2014:                             ;   in Loop: Header=BB6_136 Depth=3
	s_delay_alu instid0(SALU_CYCLE_1) | instskip(NEXT) | instid1(VALU_DEP_1)
	s_or_b32 exec_lo, exec_lo, s74
	v_dual_mul_f32 v2, s73, v1 :: v_dual_mov_b32 v5, v113
	v_mov_b32_e32 v1, v113
                                        ; implicit-def: $vgpr73
	s_mov_b32 s13, exec_lo
	s_delay_alu instid0(VALU_DEP_2) | instskip(SKIP_2) | instid1(VALU_DEP_3)
	v_and_b32_e32 v4, 0x7f800000, v2
	v_and_b32_e32 v0, 0x7fffff, v2
	v_lshrrev_b32_e32 v3, 24, v2
	v_cmpx_ne_u64_e32 0x7f800000, v[4:5]
	s_xor_b32 s74, exec_lo, s13
	s_cbranch_execz .LBB6_2028
; %bb.2015:                             ;   in Loop: Header=BB6_136 Depth=3
	v_and_b32_e32 v4, 0x7fffffff, v2
	v_mov_b32_e32 v5, v113
                                        ; implicit-def: $vgpr73
	s_delay_alu instid0(VALU_DEP_1) | instskip(SKIP_2) | instid1(SALU_CYCLE_1)
	v_cmp_gt_u64_e32 vcc_lo, 0x47600001, v[4:5]
	v_and_b32_e32 v4, 0x80, v3
	s_and_saveexec_b32 s13, vcc_lo
	s_xor_b32 s75, exec_lo, s13
	s_cbranch_execz .LBB6_2025
; %bb.2016:                             ;   in Loop: Header=BB6_136 Depth=3
	v_mov_b32_e32 v73, 0
	s_mov_b32 s76, exec_lo
	v_cmpx_ne_u32_e32 0, v2
	s_cbranch_execz .LBB6_2024
; %bb.2017:                             ;   in Loop: Header=BB6_136 Depth=3
	v_bfe_u32 v5, v2, 23, 8
	v_or_b32_e32 v3, 0x800000, v0
	s_delay_alu instid0(VALU_DEP_2) | instskip(SKIP_2) | instid1(VALU_DEP_2)
	v_cmp_gt_u32_e64 s13, 0x72, v5
	v_sub_nc_u32_e32 v2, 0x71, v5
	v_cmp_eq_u32_e32 vcc_lo, 0, v5
	v_dual_cndmask_b32 v2, 0, v2, s13 :: v_dual_cndmask_b32 v0, v3, v0, vcc_lo
	s_delay_alu instid0(VALU_DEP_1) | instskip(NEXT) | instid1(VALU_DEP_1)
	v_cndmask_b32_e64 v7, v2, 0x70, vcc_lo
	v_dual_add_nc_u32 v2, 21, v7 :: v_dual_add_nc_u32 v8, 20, v7
	s_delay_alu instid0(VALU_DEP_1) | instskip(NEXT) | instid1(VALU_DEP_2)
	v_lshlrev_b64_e64 v[2:3], v2, -1
	v_lshlrev_b64_e64 v[8:9], v8, 1
	s_delay_alu instid0(VALU_DEP_2) | instskip(SKIP_1) | instid1(VALU_DEP_4)
	v_bfi_b32 v2, v2, 0, v0
	v_lshrrev_b64 v[0:1], v7, v[0:1]
	v_bfi_b32 v3, v3, 0, 0
	s_delay_alu instid0(VALU_DEP_1) | instskip(NEXT) | instid1(VALU_DEP_3)
	v_cmp_eq_u64_e64 s13, v[2:3], v[8:9]
	v_mov_b64_e32 v[2:3], v[0:1]
	s_and_saveexec_b32 s77, s13
; %bb.2018:                             ;   in Loop: Header=BB6_136 Depth=3
	v_bfe_u32 v2, v0, 21, 1
	v_mov_b32_e32 v3, v113
	s_delay_alu instid0(VALU_DEP_1) | instskip(NEXT) | instid1(VALU_DEP_1)
	v_add_nc_u64_e32 v[2:3], v[0:1], v[2:3]
	v_add_nc_u64_e32 v[2:3], -1, v[2:3]
; %bb.2019:                             ;   in Loop: Header=BB6_136 Depth=3
	s_or_b32 exec_lo, exec_lo, s77
	v_add_nc_u32_e32 v1, 0xffffff81, v5
	v_lshrrev_b32_e32 v3, 23, v0
	s_mov_b32 s13, exec_lo
	s_delay_alu instid0(VALU_DEP_2) | instskip(NEXT) | instid1(VALU_DEP_1)
	v_cndmask_b32_e64 v1, v1, 0xffffff82, vcc_lo
	v_add3_u32 v5, v7, v1, v3
	v_and_b32_e32 v1, 0x1fffff, v2
                                        ; implicit-def: $vgpr2
	s_delay_alu instid0(VALU_DEP_1) | instskip(SKIP_1) | instid1(VALU_DEP_2)
	v_dual_add_nc_u32 v3, 14, v5 :: v_dual_add_nc_u32 v0, v1, v0
	v_mov_b32_e32 v1, v113
	v_cmpx_ne_u32_e32 0, v3
	s_xor_b32 s13, exec_lo, s13
; %bb.2020:                             ;   in Loop: Header=BB6_136 Depth=3
	s_delay_alu instid0(VALU_DEP_2) | instskip(SKIP_1) | instid1(VALU_DEP_1)
	v_cmp_lt_u64_e32 vcc_lo, 0xffffff, v[0:1]
	v_add_nc_u32_e32 v2, 15, v5
	v_cndmask_b32_e32 v2, v3, v2, vcc_lo
	v_cndmask_b32_e64 v3, 0, 1, vcc_lo
	s_delay_alu instid0(VALU_DEP_1)
	v_lshrrev_b64 v[0:1], v3, v[0:1]
; %bb.2021:                             ;   in Loop: Header=BB6_136 Depth=3
	s_and_not1_saveexec_b32 s13, s13
; %bb.2022:                             ;   in Loop: Header=BB6_136 Depth=3
	s_delay_alu instid0(VALU_DEP_1)
	v_bfe_u32 v2, v0, 23, 1
; %bb.2023:                             ;   in Loop: Header=BB6_136 Depth=3
	s_or_b32 exec_lo, exec_lo, s13
	s_delay_alu instid0(VALU_DEP_2) | instskip(NEXT) | instid1(VALU_DEP_2)
	v_lshrrev_b64 v[0:1], 21, v[0:1]
	v_cmp_gt_i32_e32 vcc_lo, 32, v2
	v_min_i32_e32 v3, 31, v2
	v_cmp_eq_u32_e64 s13, 0, v2
	s_delay_alu instid0(VALU_DEP_2) | instskip(SKIP_1) | instid1(VALU_DEP_2)
	v_dual_cndmask_b32 v1, 0, v1, vcc_lo :: v_dual_lshlrev_b32 v3, 2, v3
	v_cndmask_b32_e32 v0, 3, v0, vcc_lo
	v_and_b32_e32 v3, 0xfc, v3
	s_delay_alu instid0(VALU_DEP_2) | instskip(NEXT) | instid1(VALU_DEP_2)
	v_cmp_eq_u64_e32 vcc_lo, 0, v[0:1]
	v_and_or_b32 v0, v0, 3, v3
	s_and_b32 s13, s13, vcc_lo
	s_delay_alu instid0(VALU_DEP_1) | instid1(SALU_CYCLE_1)
	v_cndmask_b32_e64 v0, v0, 0, s13
	s_delay_alu instid0(VALU_DEP_1)
	v_or_b32_e32 v73, v0, v4
.LBB6_2024:                             ;   in Loop: Header=BB6_136 Depth=3
	s_or_b32 exec_lo, exec_lo, s76
                                        ; implicit-def: $vgpr4
.LBB6_2025:                             ;   in Loop: Header=BB6_136 Depth=3
	s_and_not1_saveexec_b32 s13, s75
; %bb.2026:                             ;   in Loop: Header=BB6_136 Depth=3
	v_or_b32_e32 v73, 0x7b, v4
; %bb.2027:                             ;   in Loop: Header=BB6_136 Depth=3
	s_or_b32 exec_lo, exec_lo, s13
                                        ; implicit-def: $vgpr2
                                        ; implicit-def: $vgpr0_vgpr1
                                        ; implicit-def: $vgpr3
.LBB6_2028:                             ;   in Loop: Header=BB6_136 Depth=3
	s_and_not1_saveexec_b32 s13, s74
	s_cbranch_execz .LBB6_2034
; %bb.2029:                             ;   in Loop: Header=BB6_136 Depth=3
	s_mov_b32 s74, exec_lo
                                        ; implicit-def: $vgpr73
	v_cmpx_ne_u64_e32 0, v[0:1]
	s_xor_b32 s74, exec_lo, s74
; %bb.2030:                             ;   in Loop: Header=BB6_136 Depth=3
	v_or_b32_e32 v73, 0x7f, v3
                                        ; implicit-def: $vgpr2
; %bb.2031:                             ;   in Loop: Header=BB6_136 Depth=3
	s_and_not1_saveexec_b32 s74, s74
; %bb.2032:                             ;   in Loop: Header=BB6_136 Depth=3
	v_cmp_lt_i32_e32 vcc_lo, -1, v2
	v_mov_b32_e32 v0, 0x7c
	s_delay_alu instid0(VALU_DEP_1)
	v_cndmask_b32_e32 v73, 0xfc, v0, vcc_lo
; %bb.2033:                             ;   in Loop: Header=BB6_136 Depth=3
	s_or_b32 exec_lo, exec_lo, s74
.LBB6_2034:                             ;   in Loop: Header=BB6_136 Depth=3
	s_delay_alu instid0(SALU_CYCLE_1)
	s_or_b32 exec_lo, exec_lo, s13
	v_mov_b32_e32 v1, 0
	s_mov_b32 s74, exec_lo
	v_cmpx_lt_u64_e64 s[22:23], v[10:11]
	s_cbranch_execz .LBB6_2044
; %bb.2035:                             ;   in Loop: Header=BB6_136 Depth=3
	v_lshrrev_b32_e32 v0, 24, v11
	v_bfrev_b32_e32 v1, 1
	s_mov_b32 s75, exec_lo
	s_delay_alu instid0(VALU_DEP_2)
	v_cmpx_ne_u32_e32 0x80, v0
	s_cbranch_execz .LBB6_2043
; %bb.2036:                             ;   in Loop: Header=BB6_136 Depth=3
	v_and_b32_e32 v1, 0x7c000000, v11
	v_bfe_u32 v2, v11, 24, 2
	s_delay_alu instid0(VALU_DEP_2) | instskip(SKIP_1) | instid1(SALU_CYCLE_1)
	v_cmp_ne_u32_e32 vcc_lo, 0x7c000000, v1
                                        ; implicit-def: $vgpr1
	s_and_saveexec_b32 s13, vcc_lo
	s_xor_b32 s13, exec_lo, s13
	s_cbranch_execz .LBB6_2040
; %bb.2037:                             ;   in Loop: Header=BB6_136 Depth=3
	v_bfe_u32 v1, v11, 26, 5
	s_mov_b32 s76, exec_lo
	s_delay_alu instid0(VALU_DEP_1)
	v_cmpx_eq_u32_e32 0, v1
; %bb.2038:                             ;   in Loop: Header=BB6_136 Depth=3
	v_clz_i32_u32_e32 v1, v2
	s_delay_alu instid0(VALU_DEP_1) | instskip(NEXT) | instid1(VALU_DEP_1)
	v_min_u32_e32 v2, 32, v1
	v_subrev_nc_u32_e32 v1, 29, v2
	s_delay_alu instid0(VALU_DEP_1) | instskip(NEXT) | instid1(VALU_DEP_1)
	v_lshlrev_b64_e32 v[0:1], v1, v[0:1]
	v_dual_sub_nc_u32 v1, 30, v2 :: v_dual_bitop2_b32 v2, 3, v0 bitop3:0x40
; %bb.2039:                             ;   in Loop: Header=BB6_136 Depth=3
	s_or_b32 exec_lo, exec_lo, s76
	v_and_b32_e32 v0, 0x80000000, v11
                                        ; implicit-def: $vgpr10_vgpr11
	s_delay_alu instid0(VALU_DEP_1) | instskip(NEXT) | instid1(VALU_DEP_1)
	v_lshl_add_u32 v0, v1, 23, v0
	v_lshl_or_b32 v0, v2, 21, v0
                                        ; implicit-def: $vgpr2
	s_delay_alu instid0(VALU_DEP_1)
	v_add_nc_u32_e32 v1, 0x38000000, v0
.LBB6_2040:                             ;   in Loop: Header=BB6_136 Depth=3
	s_and_not1_saveexec_b32 s76, s13
; %bb.2041:                             ;   in Loop: Header=BB6_136 Depth=3
	v_cmp_lt_i64_e64 s13, -1, v[10:11]
	v_mov_b32_e32 v0, 0x7f800000
	v_cmp_eq_u32_e32 vcc_lo, 0, v2
	s_delay_alu instid0(VALU_DEP_2) | instskip(NEXT) | instid1(VALU_DEP_1)
	v_cndmask_b32_e64 v0, 0xff800000, v0, s13
	v_cndmask_b32_e32 v1, 0x7f800001, v0, vcc_lo
; %bb.2042:                             ;   in Loop: Header=BB6_136 Depth=3
	s_or_b32 exec_lo, exec_lo, s76
.LBB6_2043:                             ;   in Loop: Header=BB6_136 Depth=3
	s_delay_alu instid0(SALU_CYCLE_1)
	s_or_b32 exec_lo, exec_lo, s75
.LBB6_2044:                             ;   in Loop: Header=BB6_136 Depth=3
	s_delay_alu instid0(SALU_CYCLE_1) | instskip(NEXT) | instid1(VALU_DEP_1)
	s_or_b32 exec_lo, exec_lo, s74
	v_dual_mul_f32 v2, s73, v1 :: v_dual_mov_b32 v5, v113
	v_mov_b32_e32 v1, v113
                                        ; implicit-def: $vgpr74
	s_mov_b32 s13, exec_lo
	s_delay_alu instid0(VALU_DEP_2) | instskip(SKIP_2) | instid1(VALU_DEP_3)
	v_and_b32_e32 v4, 0x7f800000, v2
	v_and_b32_e32 v0, 0x7fffff, v2
	v_lshrrev_b32_e32 v3, 24, v2
	v_cmpx_ne_u64_e32 0x7f800000, v[4:5]
	s_xor_b32 s74, exec_lo, s13
	s_cbranch_execz .LBB6_2058
; %bb.2045:                             ;   in Loop: Header=BB6_136 Depth=3
	v_and_b32_e32 v4, 0x7fffffff, v2
	v_mov_b32_e32 v5, v113
                                        ; implicit-def: $vgpr74
	s_delay_alu instid0(VALU_DEP_1) | instskip(SKIP_2) | instid1(SALU_CYCLE_1)
	v_cmp_gt_u64_e32 vcc_lo, 0x47600001, v[4:5]
	v_and_b32_e32 v4, 0x80, v3
	s_and_saveexec_b32 s13, vcc_lo
	s_xor_b32 s75, exec_lo, s13
	s_cbranch_execz .LBB6_2055
; %bb.2046:                             ;   in Loop: Header=BB6_136 Depth=3
	v_mov_b32_e32 v74, 0
	s_mov_b32 s76, exec_lo
	v_cmpx_ne_u32_e32 0, v2
	s_cbranch_execz .LBB6_2054
; %bb.2047:                             ;   in Loop: Header=BB6_136 Depth=3
	v_bfe_u32 v5, v2, 23, 8
	v_or_b32_e32 v3, 0x800000, v0
	s_delay_alu instid0(VALU_DEP_2) | instskip(SKIP_2) | instid1(VALU_DEP_2)
	v_cmp_gt_u32_e64 s13, 0x72, v5
	v_sub_nc_u32_e32 v2, 0x71, v5
	v_cmp_eq_u32_e32 vcc_lo, 0, v5
	v_dual_cndmask_b32 v2, 0, v2, s13 :: v_dual_cndmask_b32 v0, v3, v0, vcc_lo
	s_delay_alu instid0(VALU_DEP_1) | instskip(NEXT) | instid1(VALU_DEP_1)
	v_cndmask_b32_e64 v7, v2, 0x70, vcc_lo
	v_dual_add_nc_u32 v2, 21, v7 :: v_dual_add_nc_u32 v8, 20, v7
	s_delay_alu instid0(VALU_DEP_1) | instskip(NEXT) | instid1(VALU_DEP_2)
	v_lshlrev_b64_e64 v[2:3], v2, -1
	v_lshlrev_b64_e64 v[8:9], v8, 1
	s_delay_alu instid0(VALU_DEP_2) | instskip(SKIP_1) | instid1(VALU_DEP_4)
	v_bfi_b32 v2, v2, 0, v0
	v_lshrrev_b64 v[0:1], v7, v[0:1]
	v_bfi_b32 v3, v3, 0, 0
	s_delay_alu instid0(VALU_DEP_1) | instskip(NEXT) | instid1(VALU_DEP_3)
	v_cmp_eq_u64_e64 s13, v[2:3], v[8:9]
	v_mov_b64_e32 v[2:3], v[0:1]
	s_and_saveexec_b32 s77, s13
; %bb.2048:                             ;   in Loop: Header=BB6_136 Depth=3
	v_bfe_u32 v2, v0, 21, 1
	v_mov_b32_e32 v3, v113
	s_delay_alu instid0(VALU_DEP_1) | instskip(NEXT) | instid1(VALU_DEP_1)
	v_add_nc_u64_e32 v[2:3], v[0:1], v[2:3]
	v_add_nc_u64_e32 v[2:3], -1, v[2:3]
; %bb.2049:                             ;   in Loop: Header=BB6_136 Depth=3
	s_or_b32 exec_lo, exec_lo, s77
	v_add_nc_u32_e32 v1, 0xffffff81, v5
	v_lshrrev_b32_e32 v3, 23, v0
	s_mov_b32 s13, exec_lo
	s_delay_alu instid0(VALU_DEP_2) | instskip(NEXT) | instid1(VALU_DEP_1)
	v_cndmask_b32_e64 v1, v1, 0xffffff82, vcc_lo
	v_add3_u32 v5, v7, v1, v3
	v_and_b32_e32 v1, 0x1fffff, v2
                                        ; implicit-def: $vgpr2
	s_delay_alu instid0(VALU_DEP_1) | instskip(SKIP_1) | instid1(VALU_DEP_2)
	v_dual_add_nc_u32 v3, 14, v5 :: v_dual_add_nc_u32 v0, v1, v0
	v_mov_b32_e32 v1, v113
	v_cmpx_ne_u32_e32 0, v3
	s_xor_b32 s13, exec_lo, s13
; %bb.2050:                             ;   in Loop: Header=BB6_136 Depth=3
	s_delay_alu instid0(VALU_DEP_2) | instskip(SKIP_1) | instid1(VALU_DEP_1)
	v_cmp_lt_u64_e32 vcc_lo, 0xffffff, v[0:1]
	v_add_nc_u32_e32 v2, 15, v5
	v_cndmask_b32_e32 v2, v3, v2, vcc_lo
	v_cndmask_b32_e64 v3, 0, 1, vcc_lo
	s_delay_alu instid0(VALU_DEP_1)
	v_lshrrev_b64 v[0:1], v3, v[0:1]
; %bb.2051:                             ;   in Loop: Header=BB6_136 Depth=3
	s_and_not1_saveexec_b32 s13, s13
; %bb.2052:                             ;   in Loop: Header=BB6_136 Depth=3
	s_delay_alu instid0(VALU_DEP_1)
	v_bfe_u32 v2, v0, 23, 1
; %bb.2053:                             ;   in Loop: Header=BB6_136 Depth=3
	s_or_b32 exec_lo, exec_lo, s13
	s_delay_alu instid0(VALU_DEP_2) | instskip(NEXT) | instid1(VALU_DEP_2)
	v_lshrrev_b64 v[0:1], 21, v[0:1]
	v_cmp_gt_i32_e32 vcc_lo, 32, v2
	v_min_i32_e32 v3, 31, v2
	v_cmp_eq_u32_e64 s13, 0, v2
	s_delay_alu instid0(VALU_DEP_2) | instskip(SKIP_1) | instid1(VALU_DEP_2)
	v_dual_cndmask_b32 v1, 0, v1, vcc_lo :: v_dual_lshlrev_b32 v3, 2, v3
	v_cndmask_b32_e32 v0, 3, v0, vcc_lo
	v_and_b32_e32 v3, 0xfc, v3
	s_delay_alu instid0(VALU_DEP_2) | instskip(NEXT) | instid1(VALU_DEP_2)
	v_cmp_eq_u64_e32 vcc_lo, 0, v[0:1]
	v_and_or_b32 v0, v0, 3, v3
	s_and_b32 s13, s13, vcc_lo
	s_delay_alu instid0(VALU_DEP_1) | instid1(SALU_CYCLE_1)
	v_cndmask_b32_e64 v0, v0, 0, s13
	s_delay_alu instid0(VALU_DEP_1)
	v_or_b32_e32 v74, v0, v4
.LBB6_2054:                             ;   in Loop: Header=BB6_136 Depth=3
	s_or_b32 exec_lo, exec_lo, s76
                                        ; implicit-def: $vgpr4
.LBB6_2055:                             ;   in Loop: Header=BB6_136 Depth=3
	s_and_not1_saveexec_b32 s13, s75
; %bb.2056:                             ;   in Loop: Header=BB6_136 Depth=3
	v_or_b32_e32 v74, 0x7b, v4
; %bb.2057:                             ;   in Loop: Header=BB6_136 Depth=3
	s_or_b32 exec_lo, exec_lo, s13
                                        ; implicit-def: $vgpr2
                                        ; implicit-def: $vgpr0_vgpr1
                                        ; implicit-def: $vgpr3
.LBB6_2058:                             ;   in Loop: Header=BB6_136 Depth=3
	s_and_not1_saveexec_b32 s13, s74
	s_cbranch_execz .LBB6_2064
; %bb.2059:                             ;   in Loop: Header=BB6_136 Depth=3
	s_mov_b32 s74, exec_lo
                                        ; implicit-def: $vgpr74
	v_cmpx_ne_u64_e32 0, v[0:1]
	s_xor_b32 s74, exec_lo, s74
; %bb.2060:                             ;   in Loop: Header=BB6_136 Depth=3
	v_or_b32_e32 v74, 0x7f, v3
                                        ; implicit-def: $vgpr2
; %bb.2061:                             ;   in Loop: Header=BB6_136 Depth=3
	s_and_not1_saveexec_b32 s74, s74
; %bb.2062:                             ;   in Loop: Header=BB6_136 Depth=3
	v_cmp_lt_i32_e32 vcc_lo, -1, v2
	v_mov_b32_e32 v0, 0x7c
	s_delay_alu instid0(VALU_DEP_1)
	v_cndmask_b32_e32 v74, 0xfc, v0, vcc_lo
; %bb.2063:                             ;   in Loop: Header=BB6_136 Depth=3
	s_or_b32 exec_lo, exec_lo, s74
.LBB6_2064:                             ;   in Loop: Header=BB6_136 Depth=3
	s_delay_alu instid0(SALU_CYCLE_1) | instskip(SKIP_3) | instid1(VALU_DEP_1)
	s_or_b32 exec_lo, exec_lo, s13
	global_load_b128 v[8:11], v[12:13], off offset:2048 th:TH_LOAD_NT
	s_wait_loadcnt 0x0
	v_and_b32_e32 v0, 0xff, v8
	v_cmp_ne_u16_e32 vcc_lo, 0, v0
	v_mov_b32_e32 v0, 0
	s_wait_xcnt 0x0
	s_and_saveexec_b32 s74, vcc_lo
	s_cbranch_execz .LBB6_2074
; %bb.2065:                             ;   in Loop: Header=BB6_136 Depth=3
	v_bfe_i32 v2, v8, 0, 8
	v_bfrev_b32_e32 v0, 1
	s_mov_b32 s75, exec_lo
	s_delay_alu instid0(VALU_DEP_2)
	v_cmpx_ne_u16_e32 0xff80, v2
	s_cbranch_execz .LBB6_2073
; %bb.2066:                             ;   in Loop: Header=BB6_136 Depth=3
	v_and_b32_e32 v0, 0x7c, v8
	v_and_b32_e32 v1, 3, v8
	s_delay_alu instid0(VALU_DEP_2) | instskip(SKIP_1) | instid1(SALU_CYCLE_1)
	v_cmp_ne_u32_e32 vcc_lo, 0x7c, v0
                                        ; implicit-def: $vgpr0
	s_and_saveexec_b32 s13, vcc_lo
	s_xor_b32 s13, exec_lo, s13
	s_cbranch_execz .LBB6_2070
; %bb.2067:                             ;   in Loop: Header=BB6_136 Depth=3
	v_bfe_u32 v0, v8, 2, 5
	s_mov_b32 s76, exec_lo
	s_delay_alu instid0(VALU_DEP_1)
	v_cmpx_eq_u32_e32 0, v0
; %bb.2068:                             ;   in Loop: Header=BB6_136 Depth=3
	v_clz_i32_u32_e32 v0, v1
	s_delay_alu instid0(VALU_DEP_1) | instskip(NEXT) | instid1(VALU_DEP_1)
	v_min_u32_e32 v0, 32, v0
	v_subrev_nc_u32_e32 v1, 29, v0
	s_delay_alu instid0(VALU_DEP_1) | instskip(NEXT) | instid1(VALU_DEP_1)
	v_lshlrev_b64_e32 v[2:3], v1, v[8:9]
	v_dual_sub_nc_u32 v0, 30, v0 :: v_dual_bitop2_b32 v1, 3, v2 bitop3:0x40
; %bb.2069:                             ;   in Loop: Header=BB6_136 Depth=3
	s_or_b32 exec_lo, exec_lo, s76
	v_lshlrev_b32_e32 v2, 24, v8
	s_delay_alu instid0(VALU_DEP_1) | instskip(NEXT) | instid1(VALU_DEP_1)
	v_and_b32_e32 v2, 0x80000000, v2
	v_lshl_add_u32 v0, v0, 23, v2
                                        ; implicit-def: $vgpr2
	s_delay_alu instid0(VALU_DEP_1) | instskip(NEXT) | instid1(VALU_DEP_1)
	v_lshl_or_b32 v0, v1, 21, v0
                                        ; implicit-def: $vgpr1
	v_add_nc_u32_e32 v0, 0x38000000, v0
.LBB6_2070:                             ;   in Loop: Header=BB6_136 Depth=3
	s_and_not1_saveexec_b32 s76, s13
; %bb.2071:                             ;   in Loop: Header=BB6_136 Depth=3
	v_cmp_lt_i16_e64 s13, -1, v2
	v_mov_b32_e32 v0, 0x7f800000
	v_cmp_eq_u32_e32 vcc_lo, 0, v1
	s_delay_alu instid0(VALU_DEP_2) | instskip(NEXT) | instid1(VALU_DEP_1)
	v_cndmask_b32_e64 v0, 0xff800000, v0, s13
	v_cndmask_b32_e32 v0, 0x7f800001, v0, vcc_lo
; %bb.2072:                             ;   in Loop: Header=BB6_136 Depth=3
	s_or_b32 exec_lo, exec_lo, s76
.LBB6_2073:                             ;   in Loop: Header=BB6_136 Depth=3
	s_delay_alu instid0(SALU_CYCLE_1)
	s_or_b32 exec_lo, exec_lo, s75
.LBB6_2074:                             ;   in Loop: Header=BB6_136 Depth=3
	s_delay_alu instid0(SALU_CYCLE_1) | instskip(NEXT) | instid1(VALU_DEP_1)
	s_or_b32 exec_lo, exec_lo, s74
	v_dual_mul_f32 v2, s73, v0 :: v_dual_mov_b32 v5, v113
	v_mov_b32_e32 v1, v113
                                        ; implicit-def: $vgpr15
	s_mov_b32 s13, exec_lo
	s_delay_alu instid0(VALU_DEP_2) | instskip(SKIP_2) | instid1(VALU_DEP_3)
	v_and_b32_e32 v4, 0x7f800000, v2
	v_and_b32_e32 v0, 0x7fffff, v2
	v_lshrrev_b32_e32 v3, 24, v2
	v_cmpx_ne_u64_e32 0x7f800000, v[4:5]
	s_xor_b32 s74, exec_lo, s13
	s_cbranch_execz .LBB6_2088
; %bb.2075:                             ;   in Loop: Header=BB6_136 Depth=3
	v_and_b32_e32 v4, 0x7fffffff, v2
	v_mov_b32_e32 v5, v113
                                        ; implicit-def: $vgpr15
	s_delay_alu instid0(VALU_DEP_1) | instskip(SKIP_2) | instid1(SALU_CYCLE_1)
	v_cmp_gt_u64_e32 vcc_lo, 0x47600001, v[4:5]
	v_and_b32_e32 v4, 0x80, v3
	s_and_saveexec_b32 s13, vcc_lo
	s_xor_b32 s75, exec_lo, s13
	s_cbranch_execz .LBB6_2085
; %bb.2076:                             ;   in Loop: Header=BB6_136 Depth=3
	v_mov_b32_e32 v15, 0
	s_mov_b32 s76, exec_lo
	v_cmpx_ne_u32_e32 0, v2
	s_cbranch_execz .LBB6_2084
; %bb.2077:                             ;   in Loop: Header=BB6_136 Depth=3
	v_bfe_u32 v5, v2, 23, 8
	v_or_b32_e32 v3, 0x800000, v0
	s_delay_alu instid0(VALU_DEP_2) | instskip(SKIP_2) | instid1(VALU_DEP_2)
	v_cmp_gt_u32_e64 s13, 0x72, v5
	v_sub_nc_u32_e32 v2, 0x71, v5
	v_cmp_eq_u32_e32 vcc_lo, 0, v5
	v_dual_cndmask_b32 v2, 0, v2, s13 :: v_dual_cndmask_b32 v0, v3, v0, vcc_lo
	s_delay_alu instid0(VALU_DEP_1) | instskip(NEXT) | instid1(VALU_DEP_1)
	v_cndmask_b32_e64 v7, v2, 0x70, vcc_lo
	v_dual_add_nc_u32 v2, 21, v7 :: v_dual_add_nc_u32 v14, 20, v7
	s_delay_alu instid0(VALU_DEP_1) | instskip(NEXT) | instid1(VALU_DEP_2)
	v_lshlrev_b64_e64 v[2:3], v2, -1
	v_lshlrev_b64_e64 v[14:15], v14, 1
	s_delay_alu instid0(VALU_DEP_2) | instskip(SKIP_1) | instid1(VALU_DEP_4)
	v_bfi_b32 v2, v2, 0, v0
	v_lshrrev_b64 v[0:1], v7, v[0:1]
	v_bfi_b32 v3, v3, 0, 0
	s_delay_alu instid0(VALU_DEP_1) | instskip(NEXT) | instid1(VALU_DEP_3)
	v_cmp_eq_u64_e64 s13, v[2:3], v[14:15]
	v_mov_b64_e32 v[2:3], v[0:1]
	s_and_saveexec_b32 s77, s13
; %bb.2078:                             ;   in Loop: Header=BB6_136 Depth=3
	v_bfe_u32 v2, v0, 21, 1
	v_mov_b32_e32 v3, v113
	s_delay_alu instid0(VALU_DEP_1) | instskip(NEXT) | instid1(VALU_DEP_1)
	v_add_nc_u64_e32 v[2:3], v[0:1], v[2:3]
	v_add_nc_u64_e32 v[2:3], -1, v[2:3]
; %bb.2079:                             ;   in Loop: Header=BB6_136 Depth=3
	s_or_b32 exec_lo, exec_lo, s77
	v_add_nc_u32_e32 v1, 0xffffff81, v5
	v_lshrrev_b32_e32 v3, 23, v0
	s_mov_b32 s13, exec_lo
	s_delay_alu instid0(VALU_DEP_2) | instskip(NEXT) | instid1(VALU_DEP_1)
	v_cndmask_b32_e64 v1, v1, 0xffffff82, vcc_lo
	v_add3_u32 v5, v7, v1, v3
	v_and_b32_e32 v1, 0x1fffff, v2
                                        ; implicit-def: $vgpr2
	s_delay_alu instid0(VALU_DEP_1) | instskip(SKIP_1) | instid1(VALU_DEP_2)
	v_dual_add_nc_u32 v3, 14, v5 :: v_dual_add_nc_u32 v0, v1, v0
	v_mov_b32_e32 v1, v113
	v_cmpx_ne_u32_e32 0, v3
	s_xor_b32 s13, exec_lo, s13
; %bb.2080:                             ;   in Loop: Header=BB6_136 Depth=3
	s_delay_alu instid0(VALU_DEP_2) | instskip(SKIP_1) | instid1(VALU_DEP_1)
	v_cmp_lt_u64_e32 vcc_lo, 0xffffff, v[0:1]
	v_add_nc_u32_e32 v2, 15, v5
	v_cndmask_b32_e32 v2, v3, v2, vcc_lo
	v_cndmask_b32_e64 v3, 0, 1, vcc_lo
	s_delay_alu instid0(VALU_DEP_1)
	v_lshrrev_b64 v[0:1], v3, v[0:1]
; %bb.2081:                             ;   in Loop: Header=BB6_136 Depth=3
	s_and_not1_saveexec_b32 s13, s13
; %bb.2082:                             ;   in Loop: Header=BB6_136 Depth=3
	s_delay_alu instid0(VALU_DEP_1)
	v_bfe_u32 v2, v0, 23, 1
; %bb.2083:                             ;   in Loop: Header=BB6_136 Depth=3
	s_or_b32 exec_lo, exec_lo, s13
	s_delay_alu instid0(VALU_DEP_2) | instskip(NEXT) | instid1(VALU_DEP_2)
	v_lshrrev_b64 v[0:1], 21, v[0:1]
	v_cmp_gt_i32_e32 vcc_lo, 32, v2
	v_min_i32_e32 v3, 31, v2
	v_cmp_eq_u32_e64 s13, 0, v2
	s_delay_alu instid0(VALU_DEP_2) | instskip(SKIP_1) | instid1(VALU_DEP_2)
	v_dual_cndmask_b32 v1, 0, v1, vcc_lo :: v_dual_lshlrev_b32 v3, 2, v3
	v_cndmask_b32_e32 v0, 3, v0, vcc_lo
	v_and_b32_e32 v3, 0xfc, v3
	s_delay_alu instid0(VALU_DEP_2) | instskip(NEXT) | instid1(VALU_DEP_2)
	v_cmp_eq_u64_e32 vcc_lo, 0, v[0:1]
	v_and_or_b32 v0, v0, 3, v3
	s_and_b32 s13, s13, vcc_lo
	s_delay_alu instid0(VALU_DEP_1) | instid1(SALU_CYCLE_1)
	v_cndmask_b32_e64 v0, v0, 0, s13
	s_delay_alu instid0(VALU_DEP_1)
	v_or_b32_e32 v15, v0, v4
.LBB6_2084:                             ;   in Loop: Header=BB6_136 Depth=3
	s_or_b32 exec_lo, exec_lo, s76
                                        ; implicit-def: $vgpr4
.LBB6_2085:                             ;   in Loop: Header=BB6_136 Depth=3
	s_and_not1_saveexec_b32 s13, s75
; %bb.2086:                             ;   in Loop: Header=BB6_136 Depth=3
	v_or_b32_e32 v15, 0x7b, v4
; %bb.2087:                             ;   in Loop: Header=BB6_136 Depth=3
	s_or_b32 exec_lo, exec_lo, s13
                                        ; implicit-def: $vgpr2
                                        ; implicit-def: $vgpr0_vgpr1
                                        ; implicit-def: $vgpr3
.LBB6_2088:                             ;   in Loop: Header=BB6_136 Depth=3
	s_and_not1_saveexec_b32 s13, s74
	s_cbranch_execz .LBB6_2094
; %bb.2089:                             ;   in Loop: Header=BB6_136 Depth=3
	s_mov_b32 s74, exec_lo
                                        ; implicit-def: $vgpr15
	v_cmpx_ne_u64_e32 0, v[0:1]
	s_xor_b32 s74, exec_lo, s74
; %bb.2090:                             ;   in Loop: Header=BB6_136 Depth=3
	v_or_b32_e32 v15, 0x7f, v3
                                        ; implicit-def: $vgpr2
; %bb.2091:                             ;   in Loop: Header=BB6_136 Depth=3
	s_and_not1_saveexec_b32 s74, s74
; %bb.2092:                             ;   in Loop: Header=BB6_136 Depth=3
	v_cmp_lt_i32_e32 vcc_lo, -1, v2
	v_mov_b32_e32 v0, 0x7c
	s_delay_alu instid0(VALU_DEP_1)
	v_cndmask_b32_e32 v15, 0xfc, v0, vcc_lo
; %bb.2093:                             ;   in Loop: Header=BB6_136 Depth=3
	s_or_b32 exec_lo, exec_lo, s74
.LBB6_2094:                             ;   in Loop: Header=BB6_136 Depth=3
	s_delay_alu instid0(SALU_CYCLE_1) | instskip(SKIP_3) | instid1(VALU_DEP_2)
	s_or_b32 exec_lo, exec_lo, s13
	v_lshrrev_b16 v0, 8, v8
	v_mov_b32_e32 v1, 0
	s_mov_b32 s74, exec_lo
	v_cmpx_ne_u16_e32 0, v0
	s_cbranch_execz .LBB6_2104
; %bb.2095:                             ;   in Loop: Header=BB6_136 Depth=3
	v_bfrev_b32_e32 v1, 1
	s_mov_b32 s75, exec_lo
	v_cmpx_ne_u16_e32 0x80, v0
	s_cbranch_execz .LBB6_2103
; %bb.2096:                             ;   in Loop: Header=BB6_136 Depth=3
	v_and_b32_e32 v3, 0xffff, v0
	s_delay_alu instid0(VALU_DEP_1) | instskip(SKIP_1) | instid1(VALU_DEP_2)
	v_and_b32_e32 v1, 0x7c, v3
	v_and_b32_e32 v2, 3, v3
	v_cmp_ne_u32_e32 vcc_lo, 0x7c, v1
                                        ; implicit-def: $vgpr1
	s_and_saveexec_b32 s13, vcc_lo
	s_delay_alu instid0(SALU_CYCLE_1)
	s_xor_b32 s13, exec_lo, s13
	s_cbranch_execz .LBB6_2100
; %bb.2097:                             ;   in Loop: Header=BB6_136 Depth=3
	v_bfe_u32 v1, v3, 2, 5
	s_mov_b32 s76, exec_lo
	s_delay_alu instid0(VALU_DEP_1)
	v_cmpx_eq_u32_e32 0, v1
; %bb.2098:                             ;   in Loop: Header=BB6_136 Depth=3
	v_clz_i32_u32_e32 v1, v2
	s_delay_alu instid0(VALU_DEP_1) | instskip(SKIP_1) | instid1(VALU_DEP_2)
	v_min_u32_e32 v2, 32, v1
	v_mov_b32_e32 v1, v113
	v_subrev_nc_u32_e32 v3, 29, v2
	s_delay_alu instid0(VALU_DEP_1) | instskip(NEXT) | instid1(VALU_DEP_1)
	v_lshlrev_b64_e32 v[0:1], v3, v[0:1]
	v_dual_sub_nc_u32 v1, 30, v2 :: v_dual_bitop2_b32 v2, 3, v0 bitop3:0x40
; %bb.2099:                             ;   in Loop: Header=BB6_136 Depth=3
	s_or_b32 exec_lo, exec_lo, s76
	v_lshlrev_b32_e32 v0, 16, v8
	s_delay_alu instid0(VALU_DEP_1) | instskip(NEXT) | instid1(VALU_DEP_1)
	v_and_b32_e32 v0, 0x80000000, v0
	v_lshl_add_u32 v0, v1, 23, v0
	s_delay_alu instid0(VALU_DEP_1) | instskip(NEXT) | instid1(VALU_DEP_1)
	v_lshl_or_b32 v0, v2, 21, v0
                                        ; implicit-def: $vgpr2
	v_add_nc_u32_e32 v1, 0x38000000, v0
.LBB6_2100:                             ;   in Loop: Header=BB6_136 Depth=3
	s_and_not1_saveexec_b32 s76, s13
; %bb.2101:                             ;   in Loop: Header=BB6_136 Depth=3
	v_cmp_lt_i16_e64 s13, -1, v8
	v_mov_b32_e32 v0, 0x7f800000
	v_cmp_eq_u32_e32 vcc_lo, 0, v2
	s_delay_alu instid0(VALU_DEP_2) | instskip(NEXT) | instid1(VALU_DEP_1)
	v_cndmask_b32_e64 v0, 0xff800000, v0, s13
	v_cndmask_b32_e32 v1, 0x7f800001, v0, vcc_lo
; %bb.2102:                             ;   in Loop: Header=BB6_136 Depth=3
	s_or_b32 exec_lo, exec_lo, s76
.LBB6_2103:                             ;   in Loop: Header=BB6_136 Depth=3
	s_delay_alu instid0(SALU_CYCLE_1)
	s_or_b32 exec_lo, exec_lo, s75
.LBB6_2104:                             ;   in Loop: Header=BB6_136 Depth=3
	s_delay_alu instid0(SALU_CYCLE_1) | instskip(NEXT) | instid1(VALU_DEP_1)
	s_or_b32 exec_lo, exec_lo, s74
	v_dual_mul_f32 v2, s73, v1 :: v_dual_mov_b32 v5, v113
	v_mov_b32_e32 v1, v113
                                        ; implicit-def: $vgpr16
	s_mov_b32 s13, exec_lo
	s_delay_alu instid0(VALU_DEP_2) | instskip(SKIP_2) | instid1(VALU_DEP_3)
	v_and_b32_e32 v4, 0x7f800000, v2
	v_and_b32_e32 v0, 0x7fffff, v2
	v_lshrrev_b32_e32 v3, 24, v2
	v_cmpx_ne_u64_e32 0x7f800000, v[4:5]
	s_xor_b32 s74, exec_lo, s13
	s_cbranch_execz .LBB6_2118
; %bb.2105:                             ;   in Loop: Header=BB6_136 Depth=3
	v_and_b32_e32 v4, 0x7fffffff, v2
	v_mov_b32_e32 v5, v113
                                        ; implicit-def: $vgpr16
	s_delay_alu instid0(VALU_DEP_1) | instskip(SKIP_2) | instid1(SALU_CYCLE_1)
	v_cmp_gt_u64_e32 vcc_lo, 0x47600001, v[4:5]
	v_and_b32_e32 v4, 0x80, v3
	s_and_saveexec_b32 s13, vcc_lo
	s_xor_b32 s75, exec_lo, s13
	s_cbranch_execz .LBB6_2115
; %bb.2106:                             ;   in Loop: Header=BB6_136 Depth=3
	v_mov_b32_e32 v16, 0
	s_mov_b32 s76, exec_lo
	v_cmpx_ne_u32_e32 0, v2
	s_cbranch_execz .LBB6_2114
; %bb.2107:                             ;   in Loop: Header=BB6_136 Depth=3
	v_bfe_u32 v5, v2, 23, 8
	v_or_b32_e32 v3, 0x800000, v0
	s_delay_alu instid0(VALU_DEP_2) | instskip(SKIP_2) | instid1(VALU_DEP_2)
	v_cmp_gt_u32_e64 s13, 0x72, v5
	v_sub_nc_u32_e32 v2, 0x71, v5
	v_cmp_eq_u32_e32 vcc_lo, 0, v5
	v_dual_cndmask_b32 v2, 0, v2, s13 :: v_dual_cndmask_b32 v0, v3, v0, vcc_lo
	s_delay_alu instid0(VALU_DEP_1) | instskip(NEXT) | instid1(VALU_DEP_1)
	v_cndmask_b32_e64 v7, v2, 0x70, vcc_lo
	v_dual_add_nc_u32 v2, 21, v7 :: v_dual_add_nc_u32 v14, 20, v7
	s_delay_alu instid0(VALU_DEP_1) | instskip(NEXT) | instid1(VALU_DEP_2)
	v_lshlrev_b64_e64 v[2:3], v2, -1
	v_lshlrev_b64_e64 v[16:17], v14, 1
	s_delay_alu instid0(VALU_DEP_2) | instskip(SKIP_1) | instid1(VALU_DEP_4)
	v_bfi_b32 v2, v2, 0, v0
	v_lshrrev_b64 v[0:1], v7, v[0:1]
	v_bfi_b32 v3, v3, 0, 0
	s_delay_alu instid0(VALU_DEP_1) | instskip(NEXT) | instid1(VALU_DEP_3)
	v_cmp_eq_u64_e64 s13, v[2:3], v[16:17]
	v_mov_b64_e32 v[2:3], v[0:1]
	s_and_saveexec_b32 s77, s13
; %bb.2108:                             ;   in Loop: Header=BB6_136 Depth=3
	v_bfe_u32 v2, v0, 21, 1
	v_mov_b32_e32 v3, v113
	s_delay_alu instid0(VALU_DEP_1) | instskip(NEXT) | instid1(VALU_DEP_1)
	v_add_nc_u64_e32 v[2:3], v[0:1], v[2:3]
	v_add_nc_u64_e32 v[2:3], -1, v[2:3]
; %bb.2109:                             ;   in Loop: Header=BB6_136 Depth=3
	s_or_b32 exec_lo, exec_lo, s77
	v_add_nc_u32_e32 v1, 0xffffff81, v5
	v_lshrrev_b32_e32 v3, 23, v0
	s_mov_b32 s13, exec_lo
	s_delay_alu instid0(VALU_DEP_2) | instskip(NEXT) | instid1(VALU_DEP_1)
	v_cndmask_b32_e64 v1, v1, 0xffffff82, vcc_lo
	v_add3_u32 v5, v7, v1, v3
	v_and_b32_e32 v1, 0x1fffff, v2
                                        ; implicit-def: $vgpr2
	s_delay_alu instid0(VALU_DEP_1) | instskip(SKIP_1) | instid1(VALU_DEP_2)
	v_dual_add_nc_u32 v3, 14, v5 :: v_dual_add_nc_u32 v0, v1, v0
	v_mov_b32_e32 v1, v113
	v_cmpx_ne_u32_e32 0, v3
	s_xor_b32 s13, exec_lo, s13
; %bb.2110:                             ;   in Loop: Header=BB6_136 Depth=3
	s_delay_alu instid0(VALU_DEP_2) | instskip(SKIP_1) | instid1(VALU_DEP_1)
	v_cmp_lt_u64_e32 vcc_lo, 0xffffff, v[0:1]
	v_add_nc_u32_e32 v2, 15, v5
	v_cndmask_b32_e32 v2, v3, v2, vcc_lo
	v_cndmask_b32_e64 v3, 0, 1, vcc_lo
	s_delay_alu instid0(VALU_DEP_1)
	v_lshrrev_b64 v[0:1], v3, v[0:1]
; %bb.2111:                             ;   in Loop: Header=BB6_136 Depth=3
	s_and_not1_saveexec_b32 s13, s13
; %bb.2112:                             ;   in Loop: Header=BB6_136 Depth=3
	s_delay_alu instid0(VALU_DEP_1)
	v_bfe_u32 v2, v0, 23, 1
; %bb.2113:                             ;   in Loop: Header=BB6_136 Depth=3
	s_or_b32 exec_lo, exec_lo, s13
	s_delay_alu instid0(VALU_DEP_2) | instskip(NEXT) | instid1(VALU_DEP_2)
	v_lshrrev_b64 v[0:1], 21, v[0:1]
	v_cmp_gt_i32_e32 vcc_lo, 32, v2
	v_min_i32_e32 v3, 31, v2
	v_cmp_eq_u32_e64 s13, 0, v2
	s_delay_alu instid0(VALU_DEP_2) | instskip(SKIP_1) | instid1(VALU_DEP_2)
	v_dual_cndmask_b32 v1, 0, v1, vcc_lo :: v_dual_lshlrev_b32 v3, 2, v3
	v_cndmask_b32_e32 v0, 3, v0, vcc_lo
	v_and_b32_e32 v3, 0xfc, v3
	s_delay_alu instid0(VALU_DEP_2) | instskip(NEXT) | instid1(VALU_DEP_2)
	v_cmp_eq_u64_e32 vcc_lo, 0, v[0:1]
	v_and_or_b32 v0, v0, 3, v3
	s_and_b32 s13, s13, vcc_lo
	s_delay_alu instid0(VALU_DEP_1) | instid1(SALU_CYCLE_1)
	v_cndmask_b32_e64 v0, v0, 0, s13
	s_delay_alu instid0(VALU_DEP_1)
	v_or_b32_e32 v16, v0, v4
.LBB6_2114:                             ;   in Loop: Header=BB6_136 Depth=3
	s_or_b32 exec_lo, exec_lo, s76
                                        ; implicit-def: $vgpr4
.LBB6_2115:                             ;   in Loop: Header=BB6_136 Depth=3
	s_and_not1_saveexec_b32 s13, s75
; %bb.2116:                             ;   in Loop: Header=BB6_136 Depth=3
	v_or_b32_e32 v16, 0x7b, v4
; %bb.2117:                             ;   in Loop: Header=BB6_136 Depth=3
	s_or_b32 exec_lo, exec_lo, s13
                                        ; implicit-def: $vgpr2
                                        ; implicit-def: $vgpr0_vgpr1
                                        ; implicit-def: $vgpr3
.LBB6_2118:                             ;   in Loop: Header=BB6_136 Depth=3
	s_and_not1_saveexec_b32 s13, s74
	s_cbranch_execz .LBB6_2124
; %bb.2119:                             ;   in Loop: Header=BB6_136 Depth=3
	s_mov_b32 s74, exec_lo
                                        ; implicit-def: $vgpr16
	v_cmpx_ne_u64_e32 0, v[0:1]
	s_xor_b32 s74, exec_lo, s74
; %bb.2120:                             ;   in Loop: Header=BB6_136 Depth=3
	v_or_b32_e32 v16, 0x7f, v3
                                        ; implicit-def: $vgpr2
; %bb.2121:                             ;   in Loop: Header=BB6_136 Depth=3
	s_and_not1_saveexec_b32 s74, s74
; %bb.2122:                             ;   in Loop: Header=BB6_136 Depth=3
	v_cmp_lt_i32_e32 vcc_lo, -1, v2
	v_mov_b32_e32 v0, 0x7c
	s_delay_alu instid0(VALU_DEP_1)
	v_cndmask_b32_e32 v16, 0xfc, v0, vcc_lo
; %bb.2123:                             ;   in Loop: Header=BB6_136 Depth=3
	s_or_b32 exec_lo, exec_lo, s74
.LBB6_2124:                             ;   in Loop: Header=BB6_136 Depth=3
	s_delay_alu instid0(SALU_CYCLE_1) | instskip(SKIP_2) | instid1(VALU_DEP_1)
	s_or_b32 exec_lo, exec_lo, s13
	v_dual_mov_b32 v1, 0 :: v_dual_lshrrev_b32 v0, 16, v8
	s_mov_b32 s74, exec_lo
	v_and_b32_e32 v2, 0xff, v0
	s_delay_alu instid0(VALU_DEP_1)
	v_cmpx_ne_u16_e32 0, v2
	s_cbranch_execz .LBB6_2134
; %bb.2125:                             ;   in Loop: Header=BB6_136 Depth=3
	v_bfrev_b32_e32 v1, 1
	s_mov_b32 s75, exec_lo
	v_cmpx_ne_u16_e32 0x80, v2
	s_cbranch_execz .LBB6_2133
; %bb.2126:                             ;   in Loop: Header=BB6_136 Depth=3
	v_and_b32_e32 v1, 0x7c0000, v8
	v_bfe_u32 v2, v8, 16, 2
	s_delay_alu instid0(VALU_DEP_2) | instskip(SKIP_1) | instid1(SALU_CYCLE_1)
	v_cmp_ne_u32_e32 vcc_lo, 0x7c0000, v1
                                        ; implicit-def: $vgpr1
	s_and_saveexec_b32 s13, vcc_lo
	s_xor_b32 s13, exec_lo, s13
	s_cbranch_execz .LBB6_2130
; %bb.2127:                             ;   in Loop: Header=BB6_136 Depth=3
	v_bfe_u32 v1, v8, 18, 5
	s_mov_b32 s76, exec_lo
	s_delay_alu instid0(VALU_DEP_1)
	v_cmpx_eq_u32_e32 0, v1
; %bb.2128:                             ;   in Loop: Header=BB6_136 Depth=3
	v_clz_i32_u32_e32 v1, v2
	s_delay_alu instid0(VALU_DEP_1) | instskip(NEXT) | instid1(VALU_DEP_1)
	v_min_u32_e32 v1, 32, v1
	v_subrev_nc_u32_e32 v2, 29, v1
	s_delay_alu instid0(VALU_DEP_1) | instskip(NEXT) | instid1(VALU_DEP_1)
	v_lshlrev_b64_e32 v[2:3], v2, v[0:1]
	v_dual_sub_nc_u32 v1, 30, v1 :: v_dual_bitop2_b32 v2, 3, v2 bitop3:0x40
; %bb.2129:                             ;   in Loop: Header=BB6_136 Depth=3
	s_or_b32 exec_lo, exec_lo, s76
	v_lshlrev_b32_e32 v0, 24, v0
	s_delay_alu instid0(VALU_DEP_1) | instskip(NEXT) | instid1(VALU_DEP_1)
	v_and_b32_e32 v0, 0x80000000, v0
	v_lshl_add_u32 v0, v1, 23, v0
	s_delay_alu instid0(VALU_DEP_1) | instskip(NEXT) | instid1(VALU_DEP_1)
	v_lshl_or_b32 v0, v2, 21, v0
                                        ; implicit-def: $vgpr2
	v_add_nc_u32_e32 v1, 0x38000000, v0
                                        ; implicit-def: $vgpr0
.LBB6_2130:                             ;   in Loop: Header=BB6_136 Depth=3
	s_and_not1_saveexec_b32 s76, s13
; %bb.2131:                             ;   in Loop: Header=BB6_136 Depth=3
	v_bfe_i32 v0, v0, 0, 8
	v_cmp_eq_u32_e32 vcc_lo, 0, v2
	s_delay_alu instid0(VALU_DEP_2) | instskip(SKIP_1) | instid1(VALU_DEP_1)
	v_cmp_lt_i16_e64 s13, -1, v0
	v_mov_b32_e32 v0, 0x7f800000
	v_cndmask_b32_e64 v0, 0xff800000, v0, s13
	s_delay_alu instid0(VALU_DEP_1)
	v_cndmask_b32_e32 v1, 0x7f800001, v0, vcc_lo
; %bb.2132:                             ;   in Loop: Header=BB6_136 Depth=3
	s_or_b32 exec_lo, exec_lo, s76
.LBB6_2133:                             ;   in Loop: Header=BB6_136 Depth=3
	s_delay_alu instid0(SALU_CYCLE_1)
	s_or_b32 exec_lo, exec_lo, s75
.LBB6_2134:                             ;   in Loop: Header=BB6_136 Depth=3
	s_delay_alu instid0(SALU_CYCLE_1) | instskip(NEXT) | instid1(VALU_DEP_1)
	s_or_b32 exec_lo, exec_lo, s74
	v_dual_mul_f32 v2, s73, v1 :: v_dual_mov_b32 v5, v113
	v_mov_b32_e32 v1, v113
                                        ; implicit-def: $vgpr17
	s_mov_b32 s13, exec_lo
	s_delay_alu instid0(VALU_DEP_2) | instskip(SKIP_2) | instid1(VALU_DEP_3)
	v_and_b32_e32 v4, 0x7f800000, v2
	v_and_b32_e32 v0, 0x7fffff, v2
	v_lshrrev_b32_e32 v3, 24, v2
	v_cmpx_ne_u64_e32 0x7f800000, v[4:5]
	s_xor_b32 s74, exec_lo, s13
	s_cbranch_execz .LBB6_2148
; %bb.2135:                             ;   in Loop: Header=BB6_136 Depth=3
	v_and_b32_e32 v4, 0x7fffffff, v2
	v_mov_b32_e32 v5, v113
                                        ; implicit-def: $vgpr17
	s_delay_alu instid0(VALU_DEP_1) | instskip(SKIP_2) | instid1(SALU_CYCLE_1)
	v_cmp_gt_u64_e32 vcc_lo, 0x47600001, v[4:5]
	v_and_b32_e32 v4, 0x80, v3
	s_and_saveexec_b32 s13, vcc_lo
	s_xor_b32 s75, exec_lo, s13
	s_cbranch_execz .LBB6_2145
; %bb.2136:                             ;   in Loop: Header=BB6_136 Depth=3
	v_mov_b32_e32 v17, 0
	s_mov_b32 s76, exec_lo
	v_cmpx_ne_u32_e32 0, v2
	s_cbranch_execz .LBB6_2144
; %bb.2137:                             ;   in Loop: Header=BB6_136 Depth=3
	v_bfe_u32 v5, v2, 23, 8
	v_or_b32_e32 v3, 0x800000, v0
	s_delay_alu instid0(VALU_DEP_2) | instskip(SKIP_2) | instid1(VALU_DEP_2)
	v_cmp_gt_u32_e64 s13, 0x72, v5
	v_sub_nc_u32_e32 v2, 0x71, v5
	v_cmp_eq_u32_e32 vcc_lo, 0, v5
	v_dual_cndmask_b32 v2, 0, v2, s13 :: v_dual_cndmask_b32 v0, v3, v0, vcc_lo
	s_delay_alu instid0(VALU_DEP_1) | instskip(NEXT) | instid1(VALU_DEP_1)
	v_cndmask_b32_e64 v7, v2, 0x70, vcc_lo
	v_dual_add_nc_u32 v2, 21, v7 :: v_dual_add_nc_u32 v14, 20, v7
	s_delay_alu instid0(VALU_DEP_1) | instskip(NEXT) | instid1(VALU_DEP_2)
	v_lshlrev_b64_e64 v[2:3], v2, -1
	v_lshlrev_b64_e64 v[18:19], v14, 1
	s_delay_alu instid0(VALU_DEP_2) | instskip(SKIP_1) | instid1(VALU_DEP_4)
	v_bfi_b32 v2, v2, 0, v0
	v_lshrrev_b64 v[0:1], v7, v[0:1]
	v_bfi_b32 v3, v3, 0, 0
	s_delay_alu instid0(VALU_DEP_1) | instskip(NEXT) | instid1(VALU_DEP_3)
	v_cmp_eq_u64_e64 s13, v[2:3], v[18:19]
	v_mov_b64_e32 v[2:3], v[0:1]
	s_and_saveexec_b32 s77, s13
; %bb.2138:                             ;   in Loop: Header=BB6_136 Depth=3
	v_bfe_u32 v2, v0, 21, 1
	v_mov_b32_e32 v3, v113
	s_delay_alu instid0(VALU_DEP_1) | instskip(NEXT) | instid1(VALU_DEP_1)
	v_add_nc_u64_e32 v[2:3], v[0:1], v[2:3]
	v_add_nc_u64_e32 v[2:3], -1, v[2:3]
; %bb.2139:                             ;   in Loop: Header=BB6_136 Depth=3
	s_or_b32 exec_lo, exec_lo, s77
	v_add_nc_u32_e32 v1, 0xffffff81, v5
	v_lshrrev_b32_e32 v3, 23, v0
	s_mov_b32 s13, exec_lo
	s_delay_alu instid0(VALU_DEP_2) | instskip(NEXT) | instid1(VALU_DEP_1)
	v_cndmask_b32_e64 v1, v1, 0xffffff82, vcc_lo
	v_add3_u32 v5, v7, v1, v3
	v_and_b32_e32 v1, 0x1fffff, v2
                                        ; implicit-def: $vgpr2
	s_delay_alu instid0(VALU_DEP_1) | instskip(SKIP_1) | instid1(VALU_DEP_2)
	v_dual_add_nc_u32 v3, 14, v5 :: v_dual_add_nc_u32 v0, v1, v0
	v_mov_b32_e32 v1, v113
	v_cmpx_ne_u32_e32 0, v3
	s_xor_b32 s13, exec_lo, s13
; %bb.2140:                             ;   in Loop: Header=BB6_136 Depth=3
	s_delay_alu instid0(VALU_DEP_2) | instskip(SKIP_1) | instid1(VALU_DEP_1)
	v_cmp_lt_u64_e32 vcc_lo, 0xffffff, v[0:1]
	v_add_nc_u32_e32 v2, 15, v5
	v_cndmask_b32_e32 v2, v3, v2, vcc_lo
	v_cndmask_b32_e64 v3, 0, 1, vcc_lo
	s_delay_alu instid0(VALU_DEP_1)
	v_lshrrev_b64 v[0:1], v3, v[0:1]
; %bb.2141:                             ;   in Loop: Header=BB6_136 Depth=3
	s_and_not1_saveexec_b32 s13, s13
; %bb.2142:                             ;   in Loop: Header=BB6_136 Depth=3
	s_delay_alu instid0(VALU_DEP_1)
	v_bfe_u32 v2, v0, 23, 1
; %bb.2143:                             ;   in Loop: Header=BB6_136 Depth=3
	s_or_b32 exec_lo, exec_lo, s13
	s_delay_alu instid0(VALU_DEP_2) | instskip(NEXT) | instid1(VALU_DEP_2)
	v_lshrrev_b64 v[0:1], 21, v[0:1]
	v_cmp_gt_i32_e32 vcc_lo, 32, v2
	v_min_i32_e32 v3, 31, v2
	v_cmp_eq_u32_e64 s13, 0, v2
	s_delay_alu instid0(VALU_DEP_2) | instskip(SKIP_1) | instid1(VALU_DEP_2)
	v_dual_cndmask_b32 v1, 0, v1, vcc_lo :: v_dual_lshlrev_b32 v3, 2, v3
	v_cndmask_b32_e32 v0, 3, v0, vcc_lo
	v_and_b32_e32 v3, 0xfc, v3
	s_delay_alu instid0(VALU_DEP_2) | instskip(NEXT) | instid1(VALU_DEP_2)
	v_cmp_eq_u64_e32 vcc_lo, 0, v[0:1]
	v_and_or_b32 v0, v0, 3, v3
	s_and_b32 s13, s13, vcc_lo
	s_delay_alu instid0(VALU_DEP_1) | instid1(SALU_CYCLE_1)
	v_cndmask_b32_e64 v0, v0, 0, s13
	s_delay_alu instid0(VALU_DEP_1)
	v_or_b32_e32 v17, v0, v4
.LBB6_2144:                             ;   in Loop: Header=BB6_136 Depth=3
	s_or_b32 exec_lo, exec_lo, s76
                                        ; implicit-def: $vgpr4
.LBB6_2145:                             ;   in Loop: Header=BB6_136 Depth=3
	s_and_not1_saveexec_b32 s13, s75
; %bb.2146:                             ;   in Loop: Header=BB6_136 Depth=3
	v_or_b32_e32 v17, 0x7b, v4
; %bb.2147:                             ;   in Loop: Header=BB6_136 Depth=3
	s_or_b32 exec_lo, exec_lo, s13
                                        ; implicit-def: $vgpr2
                                        ; implicit-def: $vgpr0_vgpr1
                                        ; implicit-def: $vgpr3
.LBB6_2148:                             ;   in Loop: Header=BB6_136 Depth=3
	s_and_not1_saveexec_b32 s13, s74
	s_cbranch_execz .LBB6_2154
; %bb.2149:                             ;   in Loop: Header=BB6_136 Depth=3
	s_mov_b32 s74, exec_lo
                                        ; implicit-def: $vgpr17
	v_cmpx_ne_u64_e32 0, v[0:1]
	s_xor_b32 s74, exec_lo, s74
; %bb.2150:                             ;   in Loop: Header=BB6_136 Depth=3
	v_or_b32_e32 v17, 0x7f, v3
                                        ; implicit-def: $vgpr2
; %bb.2151:                             ;   in Loop: Header=BB6_136 Depth=3
	s_and_not1_saveexec_b32 s74, s74
; %bb.2152:                             ;   in Loop: Header=BB6_136 Depth=3
	v_cmp_lt_i32_e32 vcc_lo, -1, v2
	v_mov_b32_e32 v0, 0x7c
	s_delay_alu instid0(VALU_DEP_1)
	v_cndmask_b32_e32 v17, 0xfc, v0, vcc_lo
; %bb.2153:                             ;   in Loop: Header=BB6_136 Depth=3
	s_or_b32 exec_lo, exec_lo, s74
.LBB6_2154:                             ;   in Loop: Header=BB6_136 Depth=3
	s_delay_alu instid0(SALU_CYCLE_1)
	s_or_b32 exec_lo, exec_lo, s13
	v_mov_b32_e32 v1, 0
	s_mov_b32 s74, exec_lo
	v_cmpx_lt_u32_e32 0xffffff, v8
	s_cbranch_execz .LBB6_2164
; %bb.2155:                             ;   in Loop: Header=BB6_136 Depth=3
	v_lshrrev_b32_e32 v0, 24, v8
	v_bfrev_b32_e32 v1, 1
	s_mov_b32 s75, exec_lo
	s_delay_alu instid0(VALU_DEP_2)
	v_cmpx_ne_u32_e32 0x80, v0
	s_cbranch_execz .LBB6_2163
; %bb.2156:                             ;   in Loop: Header=BB6_136 Depth=3
	v_and_b32_e32 v1, 0x7c000000, v8
	v_bfe_u32 v2, v8, 24, 2
	s_delay_alu instid0(VALU_DEP_2) | instskip(SKIP_1) | instid1(SALU_CYCLE_1)
	v_cmp_ne_u32_e32 vcc_lo, 0x7c000000, v1
                                        ; implicit-def: $vgpr1
	s_and_saveexec_b32 s13, vcc_lo
	s_xor_b32 s13, exec_lo, s13
	s_cbranch_execz .LBB6_2160
; %bb.2157:                             ;   in Loop: Header=BB6_136 Depth=3
	v_bfe_u32 v1, v8, 26, 5
	s_mov_b32 s76, exec_lo
	s_delay_alu instid0(VALU_DEP_1)
	v_cmpx_eq_u32_e32 0, v1
; %bb.2158:                             ;   in Loop: Header=BB6_136 Depth=3
	v_clz_i32_u32_e32 v1, v2
	s_delay_alu instid0(VALU_DEP_1) | instskip(NEXT) | instid1(VALU_DEP_1)
	v_min_u32_e32 v2, 32, v1
	v_subrev_nc_u32_e32 v1, 29, v2
	s_delay_alu instid0(VALU_DEP_1) | instskip(NEXT) | instid1(VALU_DEP_1)
	v_lshlrev_b64_e32 v[0:1], v1, v[0:1]
	v_dual_sub_nc_u32 v1, 30, v2 :: v_dual_bitop2_b32 v2, 3, v0 bitop3:0x40
; %bb.2159:                             ;   in Loop: Header=BB6_136 Depth=3
	s_or_b32 exec_lo, exec_lo, s76
	v_and_b32_e32 v0, 0x80000000, v8
	s_delay_alu instid0(VALU_DEP_1) | instskip(NEXT) | instid1(VALU_DEP_1)
	v_lshl_add_u32 v0, v1, 23, v0
	v_lshl_or_b32 v0, v2, 21, v0
                                        ; implicit-def: $vgpr2
	s_delay_alu instid0(VALU_DEP_1)
	v_add_nc_u32_e32 v1, 0x38000000, v0
.LBB6_2160:                             ;   in Loop: Header=BB6_136 Depth=3
	s_and_not1_saveexec_b32 s76, s13
; %bb.2161:                             ;   in Loop: Header=BB6_136 Depth=3
	v_cmp_lt_i32_e64 s13, -1, v8
	v_mov_b32_e32 v0, 0x7f800000
	v_cmp_eq_u32_e32 vcc_lo, 0, v2
	s_delay_alu instid0(VALU_DEP_2) | instskip(NEXT) | instid1(VALU_DEP_1)
	v_cndmask_b32_e64 v0, 0xff800000, v0, s13
	v_cndmask_b32_e32 v1, 0x7f800001, v0, vcc_lo
; %bb.2162:                             ;   in Loop: Header=BB6_136 Depth=3
	s_or_b32 exec_lo, exec_lo, s76
.LBB6_2163:                             ;   in Loop: Header=BB6_136 Depth=3
	s_delay_alu instid0(SALU_CYCLE_1)
	s_or_b32 exec_lo, exec_lo, s75
.LBB6_2164:                             ;   in Loop: Header=BB6_136 Depth=3
	s_delay_alu instid0(SALU_CYCLE_1) | instskip(NEXT) | instid1(VALU_DEP_1)
	s_or_b32 exec_lo, exec_lo, s74
	v_dual_mul_f32 v2, s73, v1 :: v_dual_mov_b32 v5, v113
	v_mov_b32_e32 v1, v113
                                        ; implicit-def: $vgpr18
	s_mov_b32 s13, exec_lo
	s_delay_alu instid0(VALU_DEP_2) | instskip(SKIP_2) | instid1(VALU_DEP_3)
	v_and_b32_e32 v4, 0x7f800000, v2
	v_and_b32_e32 v0, 0x7fffff, v2
	v_lshrrev_b32_e32 v3, 24, v2
	v_cmpx_ne_u64_e32 0x7f800000, v[4:5]
	s_xor_b32 s74, exec_lo, s13
	s_cbranch_execz .LBB6_2178
; %bb.2165:                             ;   in Loop: Header=BB6_136 Depth=3
	v_and_b32_e32 v4, 0x7fffffff, v2
	v_mov_b32_e32 v5, v113
                                        ; implicit-def: $vgpr18
	s_delay_alu instid0(VALU_DEP_1) | instskip(SKIP_2) | instid1(SALU_CYCLE_1)
	v_cmp_gt_u64_e32 vcc_lo, 0x47600001, v[4:5]
	v_and_b32_e32 v4, 0x80, v3
	s_and_saveexec_b32 s13, vcc_lo
	s_xor_b32 s75, exec_lo, s13
	s_cbranch_execz .LBB6_2175
; %bb.2166:                             ;   in Loop: Header=BB6_136 Depth=3
	v_mov_b32_e32 v18, 0
	s_mov_b32 s76, exec_lo
	v_cmpx_ne_u32_e32 0, v2
	s_cbranch_execz .LBB6_2174
; %bb.2167:                             ;   in Loop: Header=BB6_136 Depth=3
	v_bfe_u32 v5, v2, 23, 8
	v_or_b32_e32 v3, 0x800000, v0
	s_delay_alu instid0(VALU_DEP_2) | instskip(SKIP_2) | instid1(VALU_DEP_2)
	v_cmp_gt_u32_e64 s13, 0x72, v5
	v_sub_nc_u32_e32 v2, 0x71, v5
	v_cmp_eq_u32_e32 vcc_lo, 0, v5
	v_dual_cndmask_b32 v2, 0, v2, s13 :: v_dual_cndmask_b32 v0, v3, v0, vcc_lo
	s_delay_alu instid0(VALU_DEP_1) | instskip(NEXT) | instid1(VALU_DEP_1)
	v_cndmask_b32_e64 v7, v2, 0x70, vcc_lo
	v_dual_add_nc_u32 v2, 21, v7 :: v_dual_add_nc_u32 v14, 20, v7
	s_delay_alu instid0(VALU_DEP_1) | instskip(NEXT) | instid1(VALU_DEP_2)
	v_lshlrev_b64_e64 v[2:3], v2, -1
	v_lshlrev_b64_e64 v[18:19], v14, 1
	s_delay_alu instid0(VALU_DEP_2) | instskip(SKIP_1) | instid1(VALU_DEP_4)
	v_bfi_b32 v2, v2, 0, v0
	v_lshrrev_b64 v[0:1], v7, v[0:1]
	v_bfi_b32 v3, v3, 0, 0
	s_delay_alu instid0(VALU_DEP_1) | instskip(NEXT) | instid1(VALU_DEP_3)
	v_cmp_eq_u64_e64 s13, v[2:3], v[18:19]
	v_mov_b64_e32 v[2:3], v[0:1]
	s_and_saveexec_b32 s77, s13
; %bb.2168:                             ;   in Loop: Header=BB6_136 Depth=3
	v_bfe_u32 v2, v0, 21, 1
	v_mov_b32_e32 v3, v113
	s_delay_alu instid0(VALU_DEP_1) | instskip(NEXT) | instid1(VALU_DEP_1)
	v_add_nc_u64_e32 v[2:3], v[0:1], v[2:3]
	v_add_nc_u64_e32 v[2:3], -1, v[2:3]
; %bb.2169:                             ;   in Loop: Header=BB6_136 Depth=3
	s_or_b32 exec_lo, exec_lo, s77
	v_add_nc_u32_e32 v1, 0xffffff81, v5
	v_lshrrev_b32_e32 v3, 23, v0
	s_mov_b32 s13, exec_lo
	s_delay_alu instid0(VALU_DEP_2) | instskip(NEXT) | instid1(VALU_DEP_1)
	v_cndmask_b32_e64 v1, v1, 0xffffff82, vcc_lo
	v_add3_u32 v5, v7, v1, v3
	v_and_b32_e32 v1, 0x1fffff, v2
                                        ; implicit-def: $vgpr2
	s_delay_alu instid0(VALU_DEP_1) | instskip(SKIP_1) | instid1(VALU_DEP_2)
	v_dual_add_nc_u32 v3, 14, v5 :: v_dual_add_nc_u32 v0, v1, v0
	v_mov_b32_e32 v1, v113
	v_cmpx_ne_u32_e32 0, v3
	s_xor_b32 s13, exec_lo, s13
; %bb.2170:                             ;   in Loop: Header=BB6_136 Depth=3
	s_delay_alu instid0(VALU_DEP_2) | instskip(SKIP_1) | instid1(VALU_DEP_1)
	v_cmp_lt_u64_e32 vcc_lo, 0xffffff, v[0:1]
	v_add_nc_u32_e32 v2, 15, v5
	v_cndmask_b32_e32 v2, v3, v2, vcc_lo
	v_cndmask_b32_e64 v3, 0, 1, vcc_lo
	s_delay_alu instid0(VALU_DEP_1)
	v_lshrrev_b64 v[0:1], v3, v[0:1]
; %bb.2171:                             ;   in Loop: Header=BB6_136 Depth=3
	s_and_not1_saveexec_b32 s13, s13
; %bb.2172:                             ;   in Loop: Header=BB6_136 Depth=3
	s_delay_alu instid0(VALU_DEP_1)
	v_bfe_u32 v2, v0, 23, 1
; %bb.2173:                             ;   in Loop: Header=BB6_136 Depth=3
	s_or_b32 exec_lo, exec_lo, s13
	s_delay_alu instid0(VALU_DEP_2) | instskip(NEXT) | instid1(VALU_DEP_2)
	v_lshrrev_b64 v[0:1], 21, v[0:1]
	v_cmp_gt_i32_e32 vcc_lo, 32, v2
	v_min_i32_e32 v3, 31, v2
	v_cmp_eq_u32_e64 s13, 0, v2
	s_delay_alu instid0(VALU_DEP_2) | instskip(SKIP_1) | instid1(VALU_DEP_2)
	v_dual_cndmask_b32 v1, 0, v1, vcc_lo :: v_dual_lshlrev_b32 v3, 2, v3
	v_cndmask_b32_e32 v0, 3, v0, vcc_lo
	v_and_b32_e32 v3, 0xfc, v3
	s_delay_alu instid0(VALU_DEP_2) | instskip(NEXT) | instid1(VALU_DEP_2)
	v_cmp_eq_u64_e32 vcc_lo, 0, v[0:1]
	v_and_or_b32 v0, v0, 3, v3
	s_and_b32 s13, s13, vcc_lo
	s_delay_alu instid0(VALU_DEP_1) | instid1(SALU_CYCLE_1)
	v_cndmask_b32_e64 v0, v0, 0, s13
	s_delay_alu instid0(VALU_DEP_1)
	v_or_b32_e32 v18, v0, v4
.LBB6_2174:                             ;   in Loop: Header=BB6_136 Depth=3
	s_or_b32 exec_lo, exec_lo, s76
                                        ; implicit-def: $vgpr4
.LBB6_2175:                             ;   in Loop: Header=BB6_136 Depth=3
	s_and_not1_saveexec_b32 s13, s75
; %bb.2176:                             ;   in Loop: Header=BB6_136 Depth=3
	v_or_b32_e32 v18, 0x7b, v4
; %bb.2177:                             ;   in Loop: Header=BB6_136 Depth=3
	s_or_b32 exec_lo, exec_lo, s13
                                        ; implicit-def: $vgpr2
                                        ; implicit-def: $vgpr0_vgpr1
                                        ; implicit-def: $vgpr3
.LBB6_2178:                             ;   in Loop: Header=BB6_136 Depth=3
	s_and_not1_saveexec_b32 s13, s74
	s_cbranch_execz .LBB6_2184
; %bb.2179:                             ;   in Loop: Header=BB6_136 Depth=3
	s_mov_b32 s74, exec_lo
                                        ; implicit-def: $vgpr18
	v_cmpx_ne_u64_e32 0, v[0:1]
	s_xor_b32 s74, exec_lo, s74
; %bb.2180:                             ;   in Loop: Header=BB6_136 Depth=3
	v_or_b32_e32 v18, 0x7f, v3
                                        ; implicit-def: $vgpr2
; %bb.2181:                             ;   in Loop: Header=BB6_136 Depth=3
	s_and_not1_saveexec_b32 s74, s74
; %bb.2182:                             ;   in Loop: Header=BB6_136 Depth=3
	v_cmp_lt_i32_e32 vcc_lo, -1, v2
	v_mov_b32_e32 v0, 0x7c
	s_delay_alu instid0(VALU_DEP_1)
	v_cndmask_b32_e32 v18, 0xfc, v0, vcc_lo
; %bb.2183:                             ;   in Loop: Header=BB6_136 Depth=3
	s_or_b32 exec_lo, exec_lo, s74
.LBB6_2184:                             ;   in Loop: Header=BB6_136 Depth=3
	s_delay_alu instid0(SALU_CYCLE_1) | instskip(SKIP_4) | instid1(VALU_DEP_3)
	s_or_b32 exec_lo, exec_lo, s13
	v_and_b32_e32 v3, 0xff, v9
	v_dual_mov_b32 v0, v9 :: v_dual_mov_b32 v1, v113
	v_mov_b32_e32 v2, 0
	s_mov_b32 s74, exec_lo
	v_cmpx_ne_u16_e32 0, v3
	s_cbranch_execz .LBB6_2194
; %bb.2185:                             ;   in Loop: Header=BB6_136 Depth=3
	v_bfrev_b32_e32 v2, 1
	s_mov_b32 s75, exec_lo
	v_cmpx_ne_u16_e32 0x80, v3
	s_cbranch_execz .LBB6_2193
; %bb.2186:                             ;   in Loop: Header=BB6_136 Depth=3
	v_and_b32_e32 v2, 0x7c, v9
	v_and_b32_e32 v3, 3, v9
	s_delay_alu instid0(VALU_DEP_2) | instskip(SKIP_1) | instid1(SALU_CYCLE_1)
	v_cmp_ne_u32_e32 vcc_lo, 0x7c, v2
                                        ; implicit-def: $vgpr2
	s_and_saveexec_b32 s13, vcc_lo
	s_xor_b32 s13, exec_lo, s13
	s_cbranch_execz .LBB6_2190
; %bb.2187:                             ;   in Loop: Header=BB6_136 Depth=3
	v_bfe_u32 v2, v9, 2, 5
	s_mov_b32 s76, exec_lo
	s_delay_alu instid0(VALU_DEP_1)
	v_cmpx_eq_u32_e32 0, v2
; %bb.2188:                             ;   in Loop: Header=BB6_136 Depth=3
	v_clz_i32_u32_e32 v2, v3
	s_delay_alu instid0(VALU_DEP_1) | instskip(NEXT) | instid1(VALU_DEP_1)
	v_min_u32_e32 v2, 32, v2
	v_subrev_nc_u32_e32 v3, 29, v2
	s_delay_alu instid0(VALU_DEP_1) | instskip(NEXT) | instid1(VALU_DEP_1)
	v_lshlrev_b64_e32 v[4:5], v3, v[0:1]
	v_dual_sub_nc_u32 v2, 30, v2 :: v_dual_bitop2_b32 v3, 3, v4 bitop3:0x40
; %bb.2189:                             ;   in Loop: Header=BB6_136 Depth=3
	s_or_b32 exec_lo, exec_lo, s76
	v_lshlrev_b32_e32 v1, 24, v9
	s_delay_alu instid0(VALU_DEP_1) | instskip(NEXT) | instid1(VALU_DEP_1)
	v_and_b32_e32 v1, 0x80000000, v1
	v_lshl_add_u32 v1, v2, 23, v1
	s_delay_alu instid0(VALU_DEP_1) | instskip(NEXT) | instid1(VALU_DEP_1)
	v_lshl_or_b32 v1, v3, 21, v1
                                        ; implicit-def: $vgpr3
	v_add_nc_u32_e32 v2, 0x38000000, v1
.LBB6_2190:                             ;   in Loop: Header=BB6_136 Depth=3
	s_and_not1_saveexec_b32 s76, s13
; %bb.2191:                             ;   in Loop: Header=BB6_136 Depth=3
	v_bfe_i32 v1, v9, 0, 8
	v_cmp_eq_u32_e32 vcc_lo, 0, v3
	s_delay_alu instid0(VALU_DEP_2) | instskip(SKIP_1) | instid1(VALU_DEP_1)
	v_cmp_lt_i16_e64 s13, -1, v1
	v_mov_b32_e32 v1, 0x7f800000
	v_cndmask_b32_e64 v1, 0xff800000, v1, s13
	s_delay_alu instid0(VALU_DEP_1)
	v_cndmask_b32_e32 v2, 0x7f800001, v1, vcc_lo
; %bb.2192:                             ;   in Loop: Header=BB6_136 Depth=3
	s_or_b32 exec_lo, exec_lo, s76
.LBB6_2193:                             ;   in Loop: Header=BB6_136 Depth=3
	s_delay_alu instid0(SALU_CYCLE_1)
	s_or_b32 exec_lo, exec_lo, s75
.LBB6_2194:                             ;   in Loop: Header=BB6_136 Depth=3
	s_delay_alu instid0(SALU_CYCLE_1) | instskip(NEXT) | instid1(VALU_DEP_1)
	s_or_b32 exec_lo, exec_lo, s74
	v_dual_mul_f32 v4, s73, v2 :: v_dual_mov_b32 v25, v113
	v_mov_b32_e32 v3, v113
                                        ; implicit-def: $vgpr19
	s_mov_b32 s13, exec_lo
	s_delay_alu instid0(VALU_DEP_2) | instskip(SKIP_2) | instid1(VALU_DEP_3)
	v_and_b32_e32 v24, 0x7f800000, v4
	v_and_b32_e32 v2, 0x7fffff, v4
	v_lshrrev_b32_e32 v1, 24, v4
	v_cmpx_ne_u64_e32 0x7f800000, v[24:25]
	s_xor_b32 s74, exec_lo, s13
	s_cbranch_execz .LBB6_2208
; %bb.2195:                             ;   in Loop: Header=BB6_136 Depth=3
	v_and_b32_e32 v24, 0x7fffffff, v4
	v_mov_b32_e32 v25, v113
	v_and_b32_e32 v1, 0x80, v1
                                        ; implicit-def: $vgpr19
	s_mov_b32 s13, exec_lo
	s_delay_alu instid0(VALU_DEP_2)
	v_cmpx_gt_u64_e32 0x47600001, v[24:25]
	s_xor_b32 s75, exec_lo, s13
	s_cbranch_execz .LBB6_2205
; %bb.2196:                             ;   in Loop: Header=BB6_136 Depth=3
	v_mov_b32_e32 v19, 0
	s_mov_b32 s76, exec_lo
	v_cmpx_ne_u32_e32 0, v4
	s_cbranch_execz .LBB6_2204
; %bb.2197:                             ;   in Loop: Header=BB6_136 Depth=3
	v_bfe_u32 v7, v4, 23, 8
	v_or_b32_e32 v5, 0x800000, v2
	s_delay_alu instid0(VALU_DEP_2) | instskip(SKIP_2) | instid1(VALU_DEP_2)
	v_cmp_gt_u32_e64 s13, 0x72, v7
	v_sub_nc_u32_e32 v4, 0x71, v7
	v_cmp_eq_u32_e32 vcc_lo, 0, v7
	v_dual_cndmask_b32 v4, 0, v4, s13 :: v_dual_cndmask_b32 v2, v5, v2, vcc_lo
	s_delay_alu instid0(VALU_DEP_1) | instskip(NEXT) | instid1(VALU_DEP_1)
	v_cndmask_b32_e64 v14, v4, 0x70, vcc_lo
	v_dual_add_nc_u32 v4, 21, v14 :: v_dual_add_nc_u32 v19, 20, v14
	s_delay_alu instid0(VALU_DEP_1) | instskip(NEXT) | instid1(VALU_DEP_2)
	v_lshlrev_b64_e64 v[4:5], v4, -1
	v_lshlrev_b64_e64 v[24:25], v19, 1
	s_delay_alu instid0(VALU_DEP_2) | instskip(SKIP_1) | instid1(VALU_DEP_4)
	v_bfi_b32 v4, v4, 0, v2
	v_lshrrev_b64 v[2:3], v14, v[2:3]
	v_bfi_b32 v5, v5, 0, 0
	s_delay_alu instid0(VALU_DEP_1) | instskip(NEXT) | instid1(VALU_DEP_3)
	v_cmp_eq_u64_e64 s13, v[4:5], v[24:25]
	v_mov_b64_e32 v[4:5], v[2:3]
	s_and_saveexec_b32 s77, s13
; %bb.2198:                             ;   in Loop: Header=BB6_136 Depth=3
	v_bfe_u32 v4, v2, 21, 1
	v_mov_b32_e32 v5, v113
	s_delay_alu instid0(VALU_DEP_1) | instskip(NEXT) | instid1(VALU_DEP_1)
	v_add_nc_u64_e32 v[4:5], v[2:3], v[4:5]
	v_add_nc_u64_e32 v[4:5], -1, v[4:5]
; %bb.2199:                             ;   in Loop: Header=BB6_136 Depth=3
	s_or_b32 exec_lo, exec_lo, s77
	v_add_nc_u32_e32 v3, 0xffffff81, v7
	v_lshrrev_b32_e32 v5, 23, v2
	s_mov_b32 s13, exec_lo
	s_delay_alu instid0(VALU_DEP_2) | instskip(NEXT) | instid1(VALU_DEP_1)
	v_cndmask_b32_e64 v3, v3, 0xffffff82, vcc_lo
	v_add3_u32 v7, v14, v3, v5
	v_and_b32_e32 v3, 0x1fffff, v4
                                        ; implicit-def: $vgpr4
	s_delay_alu instid0(VALU_DEP_1) | instskip(SKIP_1) | instid1(VALU_DEP_2)
	v_dual_add_nc_u32 v5, 14, v7 :: v_dual_add_nc_u32 v2, v3, v2
	v_mov_b32_e32 v3, v113
	v_cmpx_ne_u32_e32 0, v5
	s_xor_b32 s13, exec_lo, s13
; %bb.2200:                             ;   in Loop: Header=BB6_136 Depth=3
	s_delay_alu instid0(VALU_DEP_2) | instskip(SKIP_1) | instid1(VALU_DEP_1)
	v_cmp_lt_u64_e32 vcc_lo, 0xffffff, v[2:3]
	v_add_nc_u32_e32 v4, 15, v7
	v_cndmask_b32_e32 v4, v5, v4, vcc_lo
	v_cndmask_b32_e64 v5, 0, 1, vcc_lo
	s_delay_alu instid0(VALU_DEP_1)
	v_lshrrev_b64 v[2:3], v5, v[2:3]
; %bb.2201:                             ;   in Loop: Header=BB6_136 Depth=3
	s_and_not1_saveexec_b32 s13, s13
; %bb.2202:                             ;   in Loop: Header=BB6_136 Depth=3
	s_delay_alu instid0(VALU_DEP_1)
	v_bfe_u32 v4, v2, 23, 1
; %bb.2203:                             ;   in Loop: Header=BB6_136 Depth=3
	s_or_b32 exec_lo, exec_lo, s13
	s_delay_alu instid0(VALU_DEP_2) | instskip(NEXT) | instid1(VALU_DEP_2)
	v_lshrrev_b64 v[2:3], 21, v[2:3]
	v_cmp_gt_i32_e32 vcc_lo, 32, v4
	v_min_i32_e32 v5, 31, v4
	v_cmp_eq_u32_e64 s13, 0, v4
	s_delay_alu instid0(VALU_DEP_2) | instskip(SKIP_1) | instid1(VALU_DEP_2)
	v_dual_cndmask_b32 v3, 0, v3, vcc_lo :: v_dual_lshlrev_b32 v5, 2, v5
	v_cndmask_b32_e32 v2, 3, v2, vcc_lo
	v_and_b32_e32 v5, 0xfc, v5
	s_delay_alu instid0(VALU_DEP_2) | instskip(NEXT) | instid1(VALU_DEP_2)
	v_cmp_eq_u64_e32 vcc_lo, 0, v[2:3]
	v_and_or_b32 v2, v2, 3, v5
	s_and_b32 s13, s13, vcc_lo
	s_delay_alu instid0(VALU_DEP_1) | instid1(SALU_CYCLE_1)
	v_cndmask_b32_e64 v2, v2, 0, s13
	s_delay_alu instid0(VALU_DEP_1)
	v_or_b32_e32 v19, v2, v1
.LBB6_2204:                             ;   in Loop: Header=BB6_136 Depth=3
	s_or_b32 exec_lo, exec_lo, s76
                                        ; implicit-def: $vgpr1
.LBB6_2205:                             ;   in Loop: Header=BB6_136 Depth=3
	s_and_not1_saveexec_b32 s13, s75
; %bb.2206:                             ;   in Loop: Header=BB6_136 Depth=3
	v_or_b32_e32 v19, 0x7b, v1
; %bb.2207:                             ;   in Loop: Header=BB6_136 Depth=3
	s_or_b32 exec_lo, exec_lo, s13
                                        ; implicit-def: $vgpr4
                                        ; implicit-def: $vgpr2_vgpr3
                                        ; implicit-def: $vgpr1
.LBB6_2208:                             ;   in Loop: Header=BB6_136 Depth=3
	s_and_not1_saveexec_b32 s13, s74
	s_cbranch_execz .LBB6_2214
; %bb.2209:                             ;   in Loop: Header=BB6_136 Depth=3
	s_mov_b32 s74, exec_lo
                                        ; implicit-def: $vgpr19
	v_cmpx_ne_u64_e32 0, v[2:3]
	s_xor_b32 s74, exec_lo, s74
; %bb.2210:                             ;   in Loop: Header=BB6_136 Depth=3
	v_or_b32_e32 v19, 0x7f, v1
                                        ; implicit-def: $vgpr4
; %bb.2211:                             ;   in Loop: Header=BB6_136 Depth=3
	s_and_not1_saveexec_b32 s74, s74
; %bb.2212:                             ;   in Loop: Header=BB6_136 Depth=3
	v_cmp_lt_i32_e32 vcc_lo, -1, v4
	v_mov_b32_e32 v1, 0x7c
	s_delay_alu instid0(VALU_DEP_1)
	v_cndmask_b32_e32 v19, 0xfc, v1, vcc_lo
; %bb.2213:                             ;   in Loop: Header=BB6_136 Depth=3
	s_or_b32 exec_lo, exec_lo, s74
.LBB6_2214:                             ;   in Loop: Header=BB6_136 Depth=3
	s_delay_alu instid0(SALU_CYCLE_1) | instskip(SKIP_3) | instid1(VALU_DEP_2)
	s_or_b32 exec_lo, exec_lo, s13
	v_lshrrev_b16 v2, 8, v0
	v_mov_b32_e32 v3, 0
	s_mov_b32 s74, exec_lo
	v_cmpx_ne_u16_e32 0, v2
	s_cbranch_execz .LBB6_2224
; %bb.2215:                             ;   in Loop: Header=BB6_136 Depth=3
	v_bfrev_b32_e32 v3, 1
	s_mov_b32 s75, exec_lo
	v_cmpx_ne_u16_e32 0x80, v2
	s_cbranch_execz .LBB6_2223
; %bb.2216:                             ;   in Loop: Header=BB6_136 Depth=3
	v_and_b32_e32 v1, 0xffff, v2
	s_delay_alu instid0(VALU_DEP_1) | instskip(SKIP_1) | instid1(VALU_DEP_2)
	v_and_b32_e32 v3, 0x7c, v1
	v_and_b32_e32 v4, 3, v1
	v_cmp_ne_u32_e32 vcc_lo, 0x7c, v3
                                        ; implicit-def: $vgpr3
	s_and_saveexec_b32 s13, vcc_lo
	s_delay_alu instid0(SALU_CYCLE_1)
	s_xor_b32 s13, exec_lo, s13
	s_cbranch_execz .LBB6_2220
; %bb.2217:                             ;   in Loop: Header=BB6_136 Depth=3
	v_bfe_u32 v1, v1, 2, 5
	s_mov_b32 s76, exec_lo
	s_delay_alu instid0(VALU_DEP_1)
	v_cmpx_eq_u32_e32 0, v1
	s_cbranch_execz .LBB6_2219
; %bb.2218:                             ;   in Loop: Header=BB6_136 Depth=3
	v_clz_i32_u32_e32 v1, v4
	s_delay_alu instid0(VALU_DEP_1) | instskip(SKIP_1) | instid1(VALU_DEP_2)
	v_min_u32_e32 v1, 32, v1
	v_mov_b32_e32 v3, v113
	v_subrev_nc_u32_e32 v4, 29, v1
	v_sub_nc_u32_e32 v1, 30, v1
	s_delay_alu instid0(VALU_DEP_2) | instskip(NEXT) | instid1(VALU_DEP_1)
	v_lshlrev_b64_e32 v[2:3], v4, v[2:3]
	v_and_b32_e32 v4, 3, v2
.LBB6_2219:                             ;   in Loop: Header=BB6_136 Depth=3
	s_or_b32 exec_lo, exec_lo, s76
	v_lshlrev_b32_e32 v0, 16, v0
	s_delay_alu instid0(VALU_DEP_1) | instskip(NEXT) | instid1(VALU_DEP_1)
	v_and_b32_e32 v0, 0x80000000, v0
	v_lshl_add_u32 v0, v1, 23, v0
	s_delay_alu instid0(VALU_DEP_1) | instskip(NEXT) | instid1(VALU_DEP_1)
	v_lshl_or_b32 v0, v4, 21, v0
                                        ; implicit-def: $vgpr4
	v_add_nc_u32_e32 v3, 0x38000000, v0
                                        ; implicit-def: $vgpr0_vgpr1
.LBB6_2220:                             ;   in Loop: Header=BB6_136 Depth=3
	s_and_not1_saveexec_b32 s76, s13
; %bb.2221:                             ;   in Loop: Header=BB6_136 Depth=3
	v_cmp_lt_i16_e64 s13, -1, v0
	v_mov_b32_e32 v0, 0x7f800000
	v_cmp_eq_u32_e32 vcc_lo, 0, v4
	s_delay_alu instid0(VALU_DEP_2) | instskip(NEXT) | instid1(VALU_DEP_1)
	v_cndmask_b32_e64 v0, 0xff800000, v0, s13
	v_cndmask_b32_e32 v3, 0x7f800001, v0, vcc_lo
; %bb.2222:                             ;   in Loop: Header=BB6_136 Depth=3
	s_or_b32 exec_lo, exec_lo, s76
.LBB6_2223:                             ;   in Loop: Header=BB6_136 Depth=3
	s_delay_alu instid0(SALU_CYCLE_1)
	s_or_b32 exec_lo, exec_lo, s75
.LBB6_2224:                             ;   in Loop: Header=BB6_136 Depth=3
	s_delay_alu instid0(SALU_CYCLE_1) | instskip(NEXT) | instid1(VALU_DEP_1)
	s_or_b32 exec_lo, exec_lo, s74
	v_dual_mul_f32 v2, s73, v3 :: v_dual_mov_b32 v5, v113
	v_mov_b32_e32 v1, v113
                                        ; implicit-def: $vgpr75
	s_mov_b32 s13, exec_lo
	s_delay_alu instid0(VALU_DEP_2) | instskip(SKIP_2) | instid1(VALU_DEP_3)
	v_and_b32_e32 v4, 0x7f800000, v2
	v_and_b32_e32 v0, 0x7fffff, v2
	v_lshrrev_b32_e32 v3, 24, v2
	v_cmpx_ne_u64_e32 0x7f800000, v[4:5]
	s_xor_b32 s74, exec_lo, s13
	s_cbranch_execz .LBB6_2238
; %bb.2225:                             ;   in Loop: Header=BB6_136 Depth=3
	v_and_b32_e32 v4, 0x7fffffff, v2
	v_mov_b32_e32 v5, v113
                                        ; implicit-def: $vgpr75
	s_delay_alu instid0(VALU_DEP_1) | instskip(SKIP_2) | instid1(SALU_CYCLE_1)
	v_cmp_gt_u64_e32 vcc_lo, 0x47600001, v[4:5]
	v_and_b32_e32 v4, 0x80, v3
	s_and_saveexec_b32 s13, vcc_lo
	s_xor_b32 s75, exec_lo, s13
	s_cbranch_execz .LBB6_2235
; %bb.2226:                             ;   in Loop: Header=BB6_136 Depth=3
	v_mov_b32_e32 v75, 0
	s_mov_b32 s76, exec_lo
	v_cmpx_ne_u32_e32 0, v2
	s_cbranch_execz .LBB6_2234
; %bb.2227:                             ;   in Loop: Header=BB6_136 Depth=3
	v_bfe_u32 v5, v2, 23, 8
	v_or_b32_e32 v3, 0x800000, v0
	s_delay_alu instid0(VALU_DEP_2) | instskip(SKIP_2) | instid1(VALU_DEP_2)
	v_cmp_gt_u32_e64 s13, 0x72, v5
	v_sub_nc_u32_e32 v2, 0x71, v5
	v_cmp_eq_u32_e32 vcc_lo, 0, v5
	v_dual_cndmask_b32 v2, 0, v2, s13 :: v_dual_cndmask_b32 v0, v3, v0, vcc_lo
	s_delay_alu instid0(VALU_DEP_1) | instskip(NEXT) | instid1(VALU_DEP_1)
	v_cndmask_b32_e64 v7, v2, 0x70, vcc_lo
	v_dual_add_nc_u32 v2, 21, v7 :: v_dual_add_nc_u32 v14, 20, v7
	s_delay_alu instid0(VALU_DEP_1) | instskip(NEXT) | instid1(VALU_DEP_2)
	v_lshlrev_b64_e64 v[2:3], v2, -1
	v_lshlrev_b64_e64 v[24:25], v14, 1
	s_delay_alu instid0(VALU_DEP_2) | instskip(SKIP_1) | instid1(VALU_DEP_4)
	v_bfi_b32 v2, v2, 0, v0
	v_lshrrev_b64 v[0:1], v7, v[0:1]
	v_bfi_b32 v3, v3, 0, 0
	s_delay_alu instid0(VALU_DEP_1) | instskip(NEXT) | instid1(VALU_DEP_3)
	v_cmp_eq_u64_e64 s13, v[2:3], v[24:25]
	v_mov_b64_e32 v[2:3], v[0:1]
	s_and_saveexec_b32 s77, s13
; %bb.2228:                             ;   in Loop: Header=BB6_136 Depth=3
	v_bfe_u32 v2, v0, 21, 1
	v_mov_b32_e32 v3, v113
	s_delay_alu instid0(VALU_DEP_1) | instskip(NEXT) | instid1(VALU_DEP_1)
	v_add_nc_u64_e32 v[2:3], v[0:1], v[2:3]
	v_add_nc_u64_e32 v[2:3], -1, v[2:3]
; %bb.2229:                             ;   in Loop: Header=BB6_136 Depth=3
	s_or_b32 exec_lo, exec_lo, s77
	v_add_nc_u32_e32 v1, 0xffffff81, v5
	v_lshrrev_b32_e32 v3, 23, v0
	s_mov_b32 s13, exec_lo
	s_delay_alu instid0(VALU_DEP_2) | instskip(NEXT) | instid1(VALU_DEP_1)
	v_cndmask_b32_e64 v1, v1, 0xffffff82, vcc_lo
	v_add3_u32 v5, v7, v1, v3
	v_and_b32_e32 v1, 0x1fffff, v2
                                        ; implicit-def: $vgpr2
	s_delay_alu instid0(VALU_DEP_1) | instskip(SKIP_1) | instid1(VALU_DEP_2)
	v_dual_add_nc_u32 v3, 14, v5 :: v_dual_add_nc_u32 v0, v1, v0
	v_mov_b32_e32 v1, v113
	v_cmpx_ne_u32_e32 0, v3
	s_xor_b32 s13, exec_lo, s13
; %bb.2230:                             ;   in Loop: Header=BB6_136 Depth=3
	s_delay_alu instid0(VALU_DEP_2) | instskip(SKIP_1) | instid1(VALU_DEP_1)
	v_cmp_lt_u64_e32 vcc_lo, 0xffffff, v[0:1]
	v_add_nc_u32_e32 v2, 15, v5
	v_cndmask_b32_e32 v2, v3, v2, vcc_lo
	v_cndmask_b32_e64 v3, 0, 1, vcc_lo
	s_delay_alu instid0(VALU_DEP_1)
	v_lshrrev_b64 v[0:1], v3, v[0:1]
; %bb.2231:                             ;   in Loop: Header=BB6_136 Depth=3
	s_and_not1_saveexec_b32 s13, s13
; %bb.2232:                             ;   in Loop: Header=BB6_136 Depth=3
	s_delay_alu instid0(VALU_DEP_1)
	v_bfe_u32 v2, v0, 23, 1
; %bb.2233:                             ;   in Loop: Header=BB6_136 Depth=3
	s_or_b32 exec_lo, exec_lo, s13
	s_delay_alu instid0(VALU_DEP_2) | instskip(NEXT) | instid1(VALU_DEP_2)
	v_lshrrev_b64 v[0:1], 21, v[0:1]
	v_cmp_gt_i32_e32 vcc_lo, 32, v2
	v_min_i32_e32 v3, 31, v2
	v_cmp_eq_u32_e64 s13, 0, v2
	s_delay_alu instid0(VALU_DEP_2) | instskip(SKIP_1) | instid1(VALU_DEP_2)
	v_dual_cndmask_b32 v1, 0, v1, vcc_lo :: v_dual_lshlrev_b32 v3, 2, v3
	v_cndmask_b32_e32 v0, 3, v0, vcc_lo
	v_and_b32_e32 v3, 0xfc, v3
	s_delay_alu instid0(VALU_DEP_2) | instskip(NEXT) | instid1(VALU_DEP_2)
	v_cmp_eq_u64_e32 vcc_lo, 0, v[0:1]
	v_and_or_b32 v0, v0, 3, v3
	s_and_b32 s13, s13, vcc_lo
	s_delay_alu instid0(VALU_DEP_1) | instid1(SALU_CYCLE_1)
	v_cndmask_b32_e64 v0, v0, 0, s13
	s_delay_alu instid0(VALU_DEP_1)
	v_or_b32_e32 v75, v0, v4
.LBB6_2234:                             ;   in Loop: Header=BB6_136 Depth=3
	s_or_b32 exec_lo, exec_lo, s76
                                        ; implicit-def: $vgpr4
.LBB6_2235:                             ;   in Loop: Header=BB6_136 Depth=3
	s_and_not1_saveexec_b32 s13, s75
; %bb.2236:                             ;   in Loop: Header=BB6_136 Depth=3
	v_or_b32_e32 v75, 0x7b, v4
; %bb.2237:                             ;   in Loop: Header=BB6_136 Depth=3
	s_or_b32 exec_lo, exec_lo, s13
                                        ; implicit-def: $vgpr2
                                        ; implicit-def: $vgpr0_vgpr1
                                        ; implicit-def: $vgpr3
.LBB6_2238:                             ;   in Loop: Header=BB6_136 Depth=3
	s_and_not1_saveexec_b32 s13, s74
	s_cbranch_execz .LBB6_2244
; %bb.2239:                             ;   in Loop: Header=BB6_136 Depth=3
	s_mov_b32 s74, exec_lo
                                        ; implicit-def: $vgpr75
	v_cmpx_ne_u64_e32 0, v[0:1]
	s_xor_b32 s74, exec_lo, s74
; %bb.2240:                             ;   in Loop: Header=BB6_136 Depth=3
	v_or_b32_e32 v75, 0x7f, v3
                                        ; implicit-def: $vgpr2
; %bb.2241:                             ;   in Loop: Header=BB6_136 Depth=3
	s_and_not1_saveexec_b32 s74, s74
; %bb.2242:                             ;   in Loop: Header=BB6_136 Depth=3
	v_cmp_lt_i32_e32 vcc_lo, -1, v2
	v_mov_b32_e32 v0, 0x7c
	s_delay_alu instid0(VALU_DEP_1)
	v_cndmask_b32_e32 v75, 0xfc, v0, vcc_lo
; %bb.2243:                             ;   in Loop: Header=BB6_136 Depth=3
	s_or_b32 exec_lo, exec_lo, s74
.LBB6_2244:                             ;   in Loop: Header=BB6_136 Depth=3
	s_delay_alu instid0(SALU_CYCLE_1) | instskip(SKIP_2) | instid1(VALU_DEP_1)
	s_or_b32 exec_lo, exec_lo, s13
	v_dual_mov_b32 v1, 0 :: v_dual_lshrrev_b32 v0, 16, v9
	s_mov_b32 s74, exec_lo
	v_and_b32_e32 v2, 0xff, v0
	s_delay_alu instid0(VALU_DEP_1)
	v_cmpx_ne_u16_e32 0, v2
	s_cbranch_execz .LBB6_2254
; %bb.2245:                             ;   in Loop: Header=BB6_136 Depth=3
	v_bfrev_b32_e32 v1, 1
	s_mov_b32 s75, exec_lo
	v_cmpx_ne_u16_e32 0x80, v2
	s_cbranch_execz .LBB6_2253
; %bb.2246:                             ;   in Loop: Header=BB6_136 Depth=3
	v_and_b32_e32 v1, 0x7c0000, v9
	v_bfe_u32 v2, v9, 16, 2
	s_delay_alu instid0(VALU_DEP_2) | instskip(SKIP_1) | instid1(SALU_CYCLE_1)
	v_cmp_ne_u32_e32 vcc_lo, 0x7c0000, v1
                                        ; implicit-def: $vgpr1
	s_and_saveexec_b32 s13, vcc_lo
	s_xor_b32 s13, exec_lo, s13
	s_cbranch_execz .LBB6_2250
; %bb.2247:                             ;   in Loop: Header=BB6_136 Depth=3
	v_bfe_u32 v1, v9, 18, 5
	s_mov_b32 s76, exec_lo
	s_delay_alu instid0(VALU_DEP_1)
	v_cmpx_eq_u32_e32 0, v1
; %bb.2248:                             ;   in Loop: Header=BB6_136 Depth=3
	v_clz_i32_u32_e32 v1, v2
	s_delay_alu instid0(VALU_DEP_1) | instskip(NEXT) | instid1(VALU_DEP_1)
	v_min_u32_e32 v1, 32, v1
	v_subrev_nc_u32_e32 v2, 29, v1
	s_delay_alu instid0(VALU_DEP_1) | instskip(NEXT) | instid1(VALU_DEP_1)
	v_lshlrev_b64_e32 v[2:3], v2, v[0:1]
	v_dual_sub_nc_u32 v1, 30, v1 :: v_dual_bitop2_b32 v2, 3, v2 bitop3:0x40
; %bb.2249:                             ;   in Loop: Header=BB6_136 Depth=3
	s_or_b32 exec_lo, exec_lo, s76
	v_lshlrev_b32_e32 v0, 24, v0
	s_delay_alu instid0(VALU_DEP_1) | instskip(NEXT) | instid1(VALU_DEP_1)
	v_and_b32_e32 v0, 0x80000000, v0
	v_lshl_add_u32 v0, v1, 23, v0
	s_delay_alu instid0(VALU_DEP_1) | instskip(NEXT) | instid1(VALU_DEP_1)
	v_lshl_or_b32 v0, v2, 21, v0
                                        ; implicit-def: $vgpr2
	v_add_nc_u32_e32 v1, 0x38000000, v0
                                        ; implicit-def: $vgpr0
.LBB6_2250:                             ;   in Loop: Header=BB6_136 Depth=3
	s_and_not1_saveexec_b32 s76, s13
; %bb.2251:                             ;   in Loop: Header=BB6_136 Depth=3
	v_bfe_i32 v0, v0, 0, 8
	v_cmp_eq_u32_e32 vcc_lo, 0, v2
	s_delay_alu instid0(VALU_DEP_2) | instskip(SKIP_1) | instid1(VALU_DEP_1)
	v_cmp_lt_i16_e64 s13, -1, v0
	v_mov_b32_e32 v0, 0x7f800000
	v_cndmask_b32_e64 v0, 0xff800000, v0, s13
	s_delay_alu instid0(VALU_DEP_1)
	v_cndmask_b32_e32 v1, 0x7f800001, v0, vcc_lo
; %bb.2252:                             ;   in Loop: Header=BB6_136 Depth=3
	s_or_b32 exec_lo, exec_lo, s76
.LBB6_2253:                             ;   in Loop: Header=BB6_136 Depth=3
	s_delay_alu instid0(SALU_CYCLE_1)
	s_or_b32 exec_lo, exec_lo, s75
.LBB6_2254:                             ;   in Loop: Header=BB6_136 Depth=3
	s_delay_alu instid0(SALU_CYCLE_1) | instskip(NEXT) | instid1(VALU_DEP_1)
	s_or_b32 exec_lo, exec_lo, s74
	v_dual_mul_f32 v2, s73, v1 :: v_dual_mov_b32 v5, v113
	v_mov_b32_e32 v1, v113
                                        ; implicit-def: $vgpr76
	s_mov_b32 s13, exec_lo
	s_delay_alu instid0(VALU_DEP_2) | instskip(SKIP_2) | instid1(VALU_DEP_3)
	v_and_b32_e32 v4, 0x7f800000, v2
	v_and_b32_e32 v0, 0x7fffff, v2
	v_lshrrev_b32_e32 v3, 24, v2
	v_cmpx_ne_u64_e32 0x7f800000, v[4:5]
	s_xor_b32 s74, exec_lo, s13
	s_cbranch_execz .LBB6_2268
; %bb.2255:                             ;   in Loop: Header=BB6_136 Depth=3
	v_and_b32_e32 v4, 0x7fffffff, v2
	v_mov_b32_e32 v5, v113
                                        ; implicit-def: $vgpr76
	s_delay_alu instid0(VALU_DEP_1) | instskip(SKIP_2) | instid1(SALU_CYCLE_1)
	v_cmp_gt_u64_e32 vcc_lo, 0x47600001, v[4:5]
	v_and_b32_e32 v4, 0x80, v3
	s_and_saveexec_b32 s13, vcc_lo
	s_xor_b32 s75, exec_lo, s13
	s_cbranch_execz .LBB6_2265
; %bb.2256:                             ;   in Loop: Header=BB6_136 Depth=3
	v_mov_b32_e32 v76, 0
	s_mov_b32 s76, exec_lo
	v_cmpx_ne_u32_e32 0, v2
	s_cbranch_execz .LBB6_2264
; %bb.2257:                             ;   in Loop: Header=BB6_136 Depth=3
	v_bfe_u32 v5, v2, 23, 8
	v_or_b32_e32 v3, 0x800000, v0
	s_delay_alu instid0(VALU_DEP_2) | instskip(SKIP_2) | instid1(VALU_DEP_2)
	v_cmp_gt_u32_e64 s13, 0x72, v5
	v_sub_nc_u32_e32 v2, 0x71, v5
	v_cmp_eq_u32_e32 vcc_lo, 0, v5
	v_dual_cndmask_b32 v2, 0, v2, s13 :: v_dual_cndmask_b32 v0, v3, v0, vcc_lo
	s_delay_alu instid0(VALU_DEP_1) | instskip(NEXT) | instid1(VALU_DEP_1)
	v_cndmask_b32_e64 v7, v2, 0x70, vcc_lo
	v_dual_add_nc_u32 v2, 21, v7 :: v_dual_add_nc_u32 v14, 20, v7
	s_delay_alu instid0(VALU_DEP_1) | instskip(NEXT) | instid1(VALU_DEP_2)
	v_lshlrev_b64_e64 v[2:3], v2, -1
	v_lshlrev_b64_e64 v[24:25], v14, 1
	s_delay_alu instid0(VALU_DEP_2) | instskip(SKIP_1) | instid1(VALU_DEP_4)
	v_bfi_b32 v2, v2, 0, v0
	v_lshrrev_b64 v[0:1], v7, v[0:1]
	v_bfi_b32 v3, v3, 0, 0
	s_delay_alu instid0(VALU_DEP_1) | instskip(NEXT) | instid1(VALU_DEP_3)
	v_cmp_eq_u64_e64 s13, v[2:3], v[24:25]
	v_mov_b64_e32 v[2:3], v[0:1]
	s_and_saveexec_b32 s77, s13
; %bb.2258:                             ;   in Loop: Header=BB6_136 Depth=3
	v_bfe_u32 v2, v0, 21, 1
	v_mov_b32_e32 v3, v113
	s_delay_alu instid0(VALU_DEP_1) | instskip(NEXT) | instid1(VALU_DEP_1)
	v_add_nc_u64_e32 v[2:3], v[0:1], v[2:3]
	v_add_nc_u64_e32 v[2:3], -1, v[2:3]
; %bb.2259:                             ;   in Loop: Header=BB6_136 Depth=3
	s_or_b32 exec_lo, exec_lo, s77
	v_add_nc_u32_e32 v1, 0xffffff81, v5
	v_lshrrev_b32_e32 v3, 23, v0
	s_mov_b32 s13, exec_lo
	s_delay_alu instid0(VALU_DEP_2) | instskip(NEXT) | instid1(VALU_DEP_1)
	v_cndmask_b32_e64 v1, v1, 0xffffff82, vcc_lo
	v_add3_u32 v5, v7, v1, v3
	v_and_b32_e32 v1, 0x1fffff, v2
                                        ; implicit-def: $vgpr2
	s_delay_alu instid0(VALU_DEP_1) | instskip(SKIP_1) | instid1(VALU_DEP_2)
	v_dual_add_nc_u32 v3, 14, v5 :: v_dual_add_nc_u32 v0, v1, v0
	v_mov_b32_e32 v1, v113
	v_cmpx_ne_u32_e32 0, v3
	s_xor_b32 s13, exec_lo, s13
; %bb.2260:                             ;   in Loop: Header=BB6_136 Depth=3
	s_delay_alu instid0(VALU_DEP_2) | instskip(SKIP_1) | instid1(VALU_DEP_1)
	v_cmp_lt_u64_e32 vcc_lo, 0xffffff, v[0:1]
	v_add_nc_u32_e32 v2, 15, v5
	v_cndmask_b32_e32 v2, v3, v2, vcc_lo
	v_cndmask_b32_e64 v3, 0, 1, vcc_lo
	s_delay_alu instid0(VALU_DEP_1)
	v_lshrrev_b64 v[0:1], v3, v[0:1]
; %bb.2261:                             ;   in Loop: Header=BB6_136 Depth=3
	s_and_not1_saveexec_b32 s13, s13
; %bb.2262:                             ;   in Loop: Header=BB6_136 Depth=3
	s_delay_alu instid0(VALU_DEP_1)
	v_bfe_u32 v2, v0, 23, 1
; %bb.2263:                             ;   in Loop: Header=BB6_136 Depth=3
	s_or_b32 exec_lo, exec_lo, s13
	s_delay_alu instid0(VALU_DEP_2) | instskip(NEXT) | instid1(VALU_DEP_2)
	v_lshrrev_b64 v[0:1], 21, v[0:1]
	v_cmp_gt_i32_e32 vcc_lo, 32, v2
	v_min_i32_e32 v3, 31, v2
	v_cmp_eq_u32_e64 s13, 0, v2
	s_delay_alu instid0(VALU_DEP_2) | instskip(SKIP_1) | instid1(VALU_DEP_2)
	v_dual_cndmask_b32 v1, 0, v1, vcc_lo :: v_dual_lshlrev_b32 v3, 2, v3
	v_cndmask_b32_e32 v0, 3, v0, vcc_lo
	v_and_b32_e32 v3, 0xfc, v3
	s_delay_alu instid0(VALU_DEP_2) | instskip(NEXT) | instid1(VALU_DEP_2)
	v_cmp_eq_u64_e32 vcc_lo, 0, v[0:1]
	v_and_or_b32 v0, v0, 3, v3
	s_and_b32 s13, s13, vcc_lo
	s_delay_alu instid0(VALU_DEP_1) | instid1(SALU_CYCLE_1)
	v_cndmask_b32_e64 v0, v0, 0, s13
	s_delay_alu instid0(VALU_DEP_1)
	v_or_b32_e32 v76, v0, v4
.LBB6_2264:                             ;   in Loop: Header=BB6_136 Depth=3
	s_or_b32 exec_lo, exec_lo, s76
                                        ; implicit-def: $vgpr4
.LBB6_2265:                             ;   in Loop: Header=BB6_136 Depth=3
	s_and_not1_saveexec_b32 s13, s75
; %bb.2266:                             ;   in Loop: Header=BB6_136 Depth=3
	v_or_b32_e32 v76, 0x7b, v4
; %bb.2267:                             ;   in Loop: Header=BB6_136 Depth=3
	s_or_b32 exec_lo, exec_lo, s13
                                        ; implicit-def: $vgpr2
                                        ; implicit-def: $vgpr0_vgpr1
                                        ; implicit-def: $vgpr3
.LBB6_2268:                             ;   in Loop: Header=BB6_136 Depth=3
	s_and_not1_saveexec_b32 s13, s74
	s_cbranch_execz .LBB6_2274
; %bb.2269:                             ;   in Loop: Header=BB6_136 Depth=3
	s_mov_b32 s74, exec_lo
                                        ; implicit-def: $vgpr76
	v_cmpx_ne_u64_e32 0, v[0:1]
	s_xor_b32 s74, exec_lo, s74
; %bb.2270:                             ;   in Loop: Header=BB6_136 Depth=3
	v_or_b32_e32 v76, 0x7f, v3
                                        ; implicit-def: $vgpr2
; %bb.2271:                             ;   in Loop: Header=BB6_136 Depth=3
	s_and_not1_saveexec_b32 s74, s74
; %bb.2272:                             ;   in Loop: Header=BB6_136 Depth=3
	v_cmp_lt_i32_e32 vcc_lo, -1, v2
	v_mov_b32_e32 v0, 0x7c
	s_delay_alu instid0(VALU_DEP_1)
	v_cndmask_b32_e32 v76, 0xfc, v0, vcc_lo
; %bb.2273:                             ;   in Loop: Header=BB6_136 Depth=3
	s_or_b32 exec_lo, exec_lo, s74
.LBB6_2274:                             ;   in Loop: Header=BB6_136 Depth=3
	s_delay_alu instid0(SALU_CYCLE_1)
	s_or_b32 exec_lo, exec_lo, s13
	v_mov_b32_e32 v1, 0
	s_mov_b32 s74, exec_lo
	v_cmpx_lt_u64_e64 s[22:23], v[8:9]
	s_cbranch_execz .LBB6_2284
; %bb.2275:                             ;   in Loop: Header=BB6_136 Depth=3
	v_lshrrev_b32_e32 v0, 24, v9
	v_bfrev_b32_e32 v1, 1
	s_mov_b32 s75, exec_lo
	s_delay_alu instid0(VALU_DEP_2)
	v_cmpx_ne_u32_e32 0x80, v0
	s_cbranch_execz .LBB6_2283
; %bb.2276:                             ;   in Loop: Header=BB6_136 Depth=3
	v_and_b32_e32 v1, 0x7c000000, v9
	v_bfe_u32 v2, v9, 24, 2
	s_delay_alu instid0(VALU_DEP_2) | instskip(SKIP_1) | instid1(SALU_CYCLE_1)
	v_cmp_ne_u32_e32 vcc_lo, 0x7c000000, v1
                                        ; implicit-def: $vgpr1
	s_and_saveexec_b32 s13, vcc_lo
	s_xor_b32 s13, exec_lo, s13
	s_cbranch_execz .LBB6_2280
; %bb.2277:                             ;   in Loop: Header=BB6_136 Depth=3
	v_bfe_u32 v1, v9, 26, 5
	s_mov_b32 s76, exec_lo
	s_delay_alu instid0(VALU_DEP_1)
	v_cmpx_eq_u32_e32 0, v1
; %bb.2278:                             ;   in Loop: Header=BB6_136 Depth=3
	v_clz_i32_u32_e32 v1, v2
	s_delay_alu instid0(VALU_DEP_1) | instskip(NEXT) | instid1(VALU_DEP_1)
	v_min_u32_e32 v2, 32, v1
	v_subrev_nc_u32_e32 v1, 29, v2
	s_delay_alu instid0(VALU_DEP_1) | instskip(NEXT) | instid1(VALU_DEP_1)
	v_lshlrev_b64_e32 v[0:1], v1, v[0:1]
	v_dual_sub_nc_u32 v1, 30, v2 :: v_dual_bitop2_b32 v2, 3, v0 bitop3:0x40
; %bb.2279:                             ;   in Loop: Header=BB6_136 Depth=3
	s_or_b32 exec_lo, exec_lo, s76
	v_and_b32_e32 v0, 0x80000000, v9
	s_delay_alu instid0(VALU_DEP_1) | instskip(NEXT) | instid1(VALU_DEP_1)
	v_lshl_add_u32 v0, v1, 23, v0
	v_lshl_or_b32 v0, v2, 21, v0
                                        ; implicit-def: $vgpr2
	s_delay_alu instid0(VALU_DEP_1)
	v_add_nc_u32_e32 v1, 0x38000000, v0
.LBB6_2280:                             ;   in Loop: Header=BB6_136 Depth=3
	s_and_not1_saveexec_b32 s76, s13
; %bb.2281:                             ;   in Loop: Header=BB6_136 Depth=3
	v_cmp_lt_i64_e64 s13, -1, v[8:9]
	v_mov_b32_e32 v0, 0x7f800000
	v_cmp_eq_u32_e32 vcc_lo, 0, v2
	s_delay_alu instid0(VALU_DEP_2) | instskip(NEXT) | instid1(VALU_DEP_1)
	v_cndmask_b32_e64 v0, 0xff800000, v0, s13
	v_cndmask_b32_e32 v1, 0x7f800001, v0, vcc_lo
; %bb.2282:                             ;   in Loop: Header=BB6_136 Depth=3
	s_or_b32 exec_lo, exec_lo, s76
.LBB6_2283:                             ;   in Loop: Header=BB6_136 Depth=3
	s_delay_alu instid0(SALU_CYCLE_1)
	s_or_b32 exec_lo, exec_lo, s75
.LBB6_2284:                             ;   in Loop: Header=BB6_136 Depth=3
	s_delay_alu instid0(SALU_CYCLE_1) | instskip(NEXT) | instid1(VALU_DEP_1)
	s_or_b32 exec_lo, exec_lo, s74
	v_dual_mul_f32 v2, s73, v1 :: v_dual_mov_b32 v5, v113
	v_mov_b32_e32 v1, v113
                                        ; implicit-def: $vgpr77
	s_mov_b32 s13, exec_lo
	s_delay_alu instid0(VALU_DEP_2) | instskip(SKIP_2) | instid1(VALU_DEP_3)
	v_and_b32_e32 v4, 0x7f800000, v2
	v_and_b32_e32 v0, 0x7fffff, v2
	v_lshrrev_b32_e32 v3, 24, v2
	v_cmpx_ne_u64_e32 0x7f800000, v[4:5]
	s_xor_b32 s74, exec_lo, s13
	s_cbranch_execz .LBB6_2298
; %bb.2285:                             ;   in Loop: Header=BB6_136 Depth=3
	v_and_b32_e32 v4, 0x7fffffff, v2
	v_mov_b32_e32 v5, v113
                                        ; implicit-def: $vgpr77
	s_delay_alu instid0(VALU_DEP_1) | instskip(SKIP_2) | instid1(SALU_CYCLE_1)
	v_cmp_gt_u64_e32 vcc_lo, 0x47600001, v[4:5]
	v_and_b32_e32 v4, 0x80, v3
	s_and_saveexec_b32 s13, vcc_lo
	s_xor_b32 s75, exec_lo, s13
	s_cbranch_execz .LBB6_2295
; %bb.2286:                             ;   in Loop: Header=BB6_136 Depth=3
	v_mov_b32_e32 v77, 0
	s_mov_b32 s76, exec_lo
	v_cmpx_ne_u32_e32 0, v2
	s_cbranch_execz .LBB6_2294
; %bb.2287:                             ;   in Loop: Header=BB6_136 Depth=3
	v_bfe_u32 v5, v2, 23, 8
	v_or_b32_e32 v3, 0x800000, v0
	s_delay_alu instid0(VALU_DEP_2) | instskip(SKIP_2) | instid1(VALU_DEP_2)
	v_cmp_gt_u32_e64 s13, 0x72, v5
	v_sub_nc_u32_e32 v2, 0x71, v5
	v_cmp_eq_u32_e32 vcc_lo, 0, v5
	v_dual_cndmask_b32 v2, 0, v2, s13 :: v_dual_cndmask_b32 v0, v3, v0, vcc_lo
	s_delay_alu instid0(VALU_DEP_1) | instskip(NEXT) | instid1(VALU_DEP_1)
	v_cndmask_b32_e64 v7, v2, 0x70, vcc_lo
	v_dual_add_nc_u32 v2, 21, v7 :: v_dual_add_nc_u32 v8, 20, v7
	s_delay_alu instid0(VALU_DEP_1) | instskip(NEXT) | instid1(VALU_DEP_2)
	v_lshlrev_b64_e64 v[2:3], v2, -1
	v_lshlrev_b64_e64 v[8:9], v8, 1
	s_delay_alu instid0(VALU_DEP_2) | instskip(SKIP_1) | instid1(VALU_DEP_4)
	v_bfi_b32 v2, v2, 0, v0
	v_lshrrev_b64 v[0:1], v7, v[0:1]
	v_bfi_b32 v3, v3, 0, 0
	s_delay_alu instid0(VALU_DEP_1) | instskip(NEXT) | instid1(VALU_DEP_3)
	v_cmp_eq_u64_e64 s13, v[2:3], v[8:9]
	v_mov_b64_e32 v[2:3], v[0:1]
	s_and_saveexec_b32 s77, s13
; %bb.2288:                             ;   in Loop: Header=BB6_136 Depth=3
	v_bfe_u32 v2, v0, 21, 1
	v_mov_b32_e32 v3, v113
	s_delay_alu instid0(VALU_DEP_1) | instskip(NEXT) | instid1(VALU_DEP_1)
	v_add_nc_u64_e32 v[2:3], v[0:1], v[2:3]
	v_add_nc_u64_e32 v[2:3], -1, v[2:3]
; %bb.2289:                             ;   in Loop: Header=BB6_136 Depth=3
	s_or_b32 exec_lo, exec_lo, s77
	v_add_nc_u32_e32 v1, 0xffffff81, v5
	v_lshrrev_b32_e32 v3, 23, v0
	s_mov_b32 s13, exec_lo
	s_delay_alu instid0(VALU_DEP_2) | instskip(NEXT) | instid1(VALU_DEP_1)
	v_cndmask_b32_e64 v1, v1, 0xffffff82, vcc_lo
	v_add3_u32 v5, v7, v1, v3
	v_and_b32_e32 v1, 0x1fffff, v2
                                        ; implicit-def: $vgpr2
	s_delay_alu instid0(VALU_DEP_1) | instskip(SKIP_1) | instid1(VALU_DEP_2)
	v_dual_add_nc_u32 v3, 14, v5 :: v_dual_add_nc_u32 v0, v1, v0
	v_mov_b32_e32 v1, v113
	v_cmpx_ne_u32_e32 0, v3
	s_xor_b32 s13, exec_lo, s13
; %bb.2290:                             ;   in Loop: Header=BB6_136 Depth=3
	s_delay_alu instid0(VALU_DEP_2) | instskip(SKIP_1) | instid1(VALU_DEP_1)
	v_cmp_lt_u64_e32 vcc_lo, 0xffffff, v[0:1]
	v_add_nc_u32_e32 v2, 15, v5
	v_cndmask_b32_e32 v2, v3, v2, vcc_lo
	v_cndmask_b32_e64 v3, 0, 1, vcc_lo
	s_delay_alu instid0(VALU_DEP_1)
	v_lshrrev_b64 v[0:1], v3, v[0:1]
; %bb.2291:                             ;   in Loop: Header=BB6_136 Depth=3
	s_and_not1_saveexec_b32 s13, s13
; %bb.2292:                             ;   in Loop: Header=BB6_136 Depth=3
	s_delay_alu instid0(VALU_DEP_1)
	v_bfe_u32 v2, v0, 23, 1
; %bb.2293:                             ;   in Loop: Header=BB6_136 Depth=3
	s_or_b32 exec_lo, exec_lo, s13
	s_delay_alu instid0(VALU_DEP_2) | instskip(NEXT) | instid1(VALU_DEP_2)
	v_lshrrev_b64 v[0:1], 21, v[0:1]
	v_cmp_gt_i32_e32 vcc_lo, 32, v2
	v_min_i32_e32 v3, 31, v2
	v_cmp_eq_u32_e64 s13, 0, v2
	s_delay_alu instid0(VALU_DEP_2) | instskip(SKIP_1) | instid1(VALU_DEP_2)
	v_dual_cndmask_b32 v1, 0, v1, vcc_lo :: v_dual_lshlrev_b32 v3, 2, v3
	v_cndmask_b32_e32 v0, 3, v0, vcc_lo
	v_and_b32_e32 v3, 0xfc, v3
	s_delay_alu instid0(VALU_DEP_2) | instskip(NEXT) | instid1(VALU_DEP_2)
	v_cmp_eq_u64_e32 vcc_lo, 0, v[0:1]
	v_and_or_b32 v0, v0, 3, v3
	s_and_b32 s13, s13, vcc_lo
	s_delay_alu instid0(VALU_DEP_1) | instid1(SALU_CYCLE_1)
	v_cndmask_b32_e64 v0, v0, 0, s13
	s_delay_alu instid0(VALU_DEP_1)
	v_or_b32_e32 v77, v0, v4
.LBB6_2294:                             ;   in Loop: Header=BB6_136 Depth=3
	s_or_b32 exec_lo, exec_lo, s76
                                        ; implicit-def: $vgpr4
.LBB6_2295:                             ;   in Loop: Header=BB6_136 Depth=3
	s_and_not1_saveexec_b32 s13, s75
; %bb.2296:                             ;   in Loop: Header=BB6_136 Depth=3
	v_or_b32_e32 v77, 0x7b, v4
; %bb.2297:                             ;   in Loop: Header=BB6_136 Depth=3
	s_or_b32 exec_lo, exec_lo, s13
                                        ; implicit-def: $vgpr2
                                        ; implicit-def: $vgpr0_vgpr1
                                        ; implicit-def: $vgpr3
.LBB6_2298:                             ;   in Loop: Header=BB6_136 Depth=3
	s_and_not1_saveexec_b32 s13, s74
	s_cbranch_execz .LBB6_2304
; %bb.2299:                             ;   in Loop: Header=BB6_136 Depth=3
	s_mov_b32 s74, exec_lo
                                        ; implicit-def: $vgpr77
	v_cmpx_ne_u64_e32 0, v[0:1]
	s_xor_b32 s74, exec_lo, s74
; %bb.2300:                             ;   in Loop: Header=BB6_136 Depth=3
	v_or_b32_e32 v77, 0x7f, v3
                                        ; implicit-def: $vgpr2
; %bb.2301:                             ;   in Loop: Header=BB6_136 Depth=3
	s_and_not1_saveexec_b32 s74, s74
; %bb.2302:                             ;   in Loop: Header=BB6_136 Depth=3
	v_cmp_lt_i32_e32 vcc_lo, -1, v2
	v_mov_b32_e32 v0, 0x7c
	s_delay_alu instid0(VALU_DEP_1)
	v_cndmask_b32_e32 v77, 0xfc, v0, vcc_lo
; %bb.2303:                             ;   in Loop: Header=BB6_136 Depth=3
	s_or_b32 exec_lo, exec_lo, s74
.LBB6_2304:                             ;   in Loop: Header=BB6_136 Depth=3
	s_delay_alu instid0(SALU_CYCLE_1) | instskip(SKIP_1) | instid1(VALU_DEP_1)
	s_or_b32 exec_lo, exec_lo, s13
	v_and_b32_e32 v0, 0xff, v10
	v_cmp_ne_u16_e32 vcc_lo, 0, v0
	v_mov_b32_e32 v0, 0
	s_and_saveexec_b32 s74, vcc_lo
	s_cbranch_execz .LBB6_2314
; %bb.2305:                             ;   in Loop: Header=BB6_136 Depth=3
	v_bfe_i32 v2, v10, 0, 8
	v_bfrev_b32_e32 v0, 1
	s_mov_b32 s75, exec_lo
	s_delay_alu instid0(VALU_DEP_2)
	v_cmpx_ne_u16_e32 0xff80, v2
	s_cbranch_execz .LBB6_2313
; %bb.2306:                             ;   in Loop: Header=BB6_136 Depth=3
	v_and_b32_e32 v0, 0x7c, v10
	v_and_b32_e32 v1, 3, v10
	s_delay_alu instid0(VALU_DEP_2) | instskip(SKIP_1) | instid1(SALU_CYCLE_1)
	v_cmp_ne_u32_e32 vcc_lo, 0x7c, v0
                                        ; implicit-def: $vgpr0
	s_and_saveexec_b32 s13, vcc_lo
	s_xor_b32 s13, exec_lo, s13
	s_cbranch_execz .LBB6_2310
; %bb.2307:                             ;   in Loop: Header=BB6_136 Depth=3
	v_bfe_u32 v0, v10, 2, 5
	s_mov_b32 s76, exec_lo
	s_delay_alu instid0(VALU_DEP_1)
	v_cmpx_eq_u32_e32 0, v0
; %bb.2308:                             ;   in Loop: Header=BB6_136 Depth=3
	v_clz_i32_u32_e32 v0, v1
	s_delay_alu instid0(VALU_DEP_1) | instskip(NEXT) | instid1(VALU_DEP_1)
	v_min_u32_e32 v0, 32, v0
	v_subrev_nc_u32_e32 v1, 29, v0
	s_delay_alu instid0(VALU_DEP_1) | instskip(NEXT) | instid1(VALU_DEP_1)
	v_lshlrev_b64_e32 v[2:3], v1, v[10:11]
	v_dual_sub_nc_u32 v0, 30, v0 :: v_dual_bitop2_b32 v1, 3, v2 bitop3:0x40
; %bb.2309:                             ;   in Loop: Header=BB6_136 Depth=3
	s_or_b32 exec_lo, exec_lo, s76
	v_lshlrev_b32_e32 v2, 24, v10
	s_delay_alu instid0(VALU_DEP_1) | instskip(NEXT) | instid1(VALU_DEP_1)
	v_and_b32_e32 v2, 0x80000000, v2
	v_lshl_add_u32 v0, v0, 23, v2
                                        ; implicit-def: $vgpr2
	s_delay_alu instid0(VALU_DEP_1) | instskip(NEXT) | instid1(VALU_DEP_1)
	v_lshl_or_b32 v0, v1, 21, v0
                                        ; implicit-def: $vgpr1
	v_add_nc_u32_e32 v0, 0x38000000, v0
.LBB6_2310:                             ;   in Loop: Header=BB6_136 Depth=3
	s_and_not1_saveexec_b32 s76, s13
; %bb.2311:                             ;   in Loop: Header=BB6_136 Depth=3
	v_cmp_lt_i16_e64 s13, -1, v2
	v_mov_b32_e32 v0, 0x7f800000
	v_cmp_eq_u32_e32 vcc_lo, 0, v1
	s_delay_alu instid0(VALU_DEP_2) | instskip(NEXT) | instid1(VALU_DEP_1)
	v_cndmask_b32_e64 v0, 0xff800000, v0, s13
	v_cndmask_b32_e32 v0, 0x7f800001, v0, vcc_lo
; %bb.2312:                             ;   in Loop: Header=BB6_136 Depth=3
	s_or_b32 exec_lo, exec_lo, s76
.LBB6_2313:                             ;   in Loop: Header=BB6_136 Depth=3
	s_delay_alu instid0(SALU_CYCLE_1)
	s_or_b32 exec_lo, exec_lo, s75
.LBB6_2314:                             ;   in Loop: Header=BB6_136 Depth=3
	s_delay_alu instid0(SALU_CYCLE_1) | instskip(NEXT) | instid1(VALU_DEP_1)
	s_or_b32 exec_lo, exec_lo, s74
	v_dual_mul_f32 v2, s73, v0 :: v_dual_mov_b32 v5, v113
	v_mov_b32_e32 v1, v113
                                        ; implicit-def: $vgpr78
	s_mov_b32 s13, exec_lo
	s_delay_alu instid0(VALU_DEP_2) | instskip(SKIP_2) | instid1(VALU_DEP_3)
	v_and_b32_e32 v4, 0x7f800000, v2
	v_and_b32_e32 v0, 0x7fffff, v2
	v_lshrrev_b32_e32 v3, 24, v2
	v_cmpx_ne_u64_e32 0x7f800000, v[4:5]
	s_xor_b32 s74, exec_lo, s13
	s_cbranch_execz .LBB6_2328
; %bb.2315:                             ;   in Loop: Header=BB6_136 Depth=3
	v_and_b32_e32 v4, 0x7fffffff, v2
	v_mov_b32_e32 v5, v113
                                        ; implicit-def: $vgpr78
	s_delay_alu instid0(VALU_DEP_1) | instskip(SKIP_2) | instid1(SALU_CYCLE_1)
	v_cmp_gt_u64_e32 vcc_lo, 0x47600001, v[4:5]
	v_and_b32_e32 v4, 0x80, v3
	s_and_saveexec_b32 s13, vcc_lo
	s_xor_b32 s75, exec_lo, s13
	s_cbranch_execz .LBB6_2325
; %bb.2316:                             ;   in Loop: Header=BB6_136 Depth=3
	v_mov_b32_e32 v78, 0
	s_mov_b32 s76, exec_lo
	v_cmpx_ne_u32_e32 0, v2
	s_cbranch_execz .LBB6_2324
; %bb.2317:                             ;   in Loop: Header=BB6_136 Depth=3
	v_bfe_u32 v5, v2, 23, 8
	v_or_b32_e32 v3, 0x800000, v0
	s_delay_alu instid0(VALU_DEP_2) | instskip(SKIP_2) | instid1(VALU_DEP_2)
	v_cmp_gt_u32_e64 s13, 0x72, v5
	v_sub_nc_u32_e32 v2, 0x71, v5
	v_cmp_eq_u32_e32 vcc_lo, 0, v5
	v_dual_cndmask_b32 v2, 0, v2, s13 :: v_dual_cndmask_b32 v0, v3, v0, vcc_lo
	s_delay_alu instid0(VALU_DEP_1) | instskip(NEXT) | instid1(VALU_DEP_1)
	v_cndmask_b32_e64 v7, v2, 0x70, vcc_lo
	v_dual_add_nc_u32 v2, 21, v7 :: v_dual_add_nc_u32 v8, 20, v7
	s_delay_alu instid0(VALU_DEP_1) | instskip(NEXT) | instid1(VALU_DEP_2)
	v_lshlrev_b64_e64 v[2:3], v2, -1
	v_lshlrev_b64_e64 v[8:9], v8, 1
	s_delay_alu instid0(VALU_DEP_2) | instskip(SKIP_1) | instid1(VALU_DEP_4)
	v_bfi_b32 v2, v2, 0, v0
	v_lshrrev_b64 v[0:1], v7, v[0:1]
	v_bfi_b32 v3, v3, 0, 0
	s_delay_alu instid0(VALU_DEP_1) | instskip(NEXT) | instid1(VALU_DEP_3)
	v_cmp_eq_u64_e64 s13, v[2:3], v[8:9]
	v_mov_b64_e32 v[2:3], v[0:1]
	s_and_saveexec_b32 s77, s13
; %bb.2318:                             ;   in Loop: Header=BB6_136 Depth=3
	v_bfe_u32 v2, v0, 21, 1
	v_mov_b32_e32 v3, v113
	s_delay_alu instid0(VALU_DEP_1) | instskip(NEXT) | instid1(VALU_DEP_1)
	v_add_nc_u64_e32 v[2:3], v[0:1], v[2:3]
	v_add_nc_u64_e32 v[2:3], -1, v[2:3]
; %bb.2319:                             ;   in Loop: Header=BB6_136 Depth=3
	s_or_b32 exec_lo, exec_lo, s77
	v_add_nc_u32_e32 v1, 0xffffff81, v5
	v_lshrrev_b32_e32 v3, 23, v0
	s_mov_b32 s13, exec_lo
	s_delay_alu instid0(VALU_DEP_2) | instskip(NEXT) | instid1(VALU_DEP_1)
	v_cndmask_b32_e64 v1, v1, 0xffffff82, vcc_lo
	v_add3_u32 v5, v7, v1, v3
	v_and_b32_e32 v1, 0x1fffff, v2
                                        ; implicit-def: $vgpr2
	s_delay_alu instid0(VALU_DEP_1) | instskip(SKIP_1) | instid1(VALU_DEP_2)
	v_dual_add_nc_u32 v3, 14, v5 :: v_dual_add_nc_u32 v0, v1, v0
	v_mov_b32_e32 v1, v113
	v_cmpx_ne_u32_e32 0, v3
	s_xor_b32 s13, exec_lo, s13
; %bb.2320:                             ;   in Loop: Header=BB6_136 Depth=3
	s_delay_alu instid0(VALU_DEP_2) | instskip(SKIP_1) | instid1(VALU_DEP_1)
	v_cmp_lt_u64_e32 vcc_lo, 0xffffff, v[0:1]
	v_add_nc_u32_e32 v2, 15, v5
	v_cndmask_b32_e32 v2, v3, v2, vcc_lo
	v_cndmask_b32_e64 v3, 0, 1, vcc_lo
	s_delay_alu instid0(VALU_DEP_1)
	v_lshrrev_b64 v[0:1], v3, v[0:1]
; %bb.2321:                             ;   in Loop: Header=BB6_136 Depth=3
	s_and_not1_saveexec_b32 s13, s13
; %bb.2322:                             ;   in Loop: Header=BB6_136 Depth=3
	s_delay_alu instid0(VALU_DEP_1)
	v_bfe_u32 v2, v0, 23, 1
; %bb.2323:                             ;   in Loop: Header=BB6_136 Depth=3
	s_or_b32 exec_lo, exec_lo, s13
	s_delay_alu instid0(VALU_DEP_2) | instskip(NEXT) | instid1(VALU_DEP_2)
	v_lshrrev_b64 v[0:1], 21, v[0:1]
	v_cmp_gt_i32_e32 vcc_lo, 32, v2
	v_min_i32_e32 v3, 31, v2
	v_cmp_eq_u32_e64 s13, 0, v2
	s_delay_alu instid0(VALU_DEP_2) | instskip(SKIP_1) | instid1(VALU_DEP_2)
	v_dual_cndmask_b32 v1, 0, v1, vcc_lo :: v_dual_lshlrev_b32 v3, 2, v3
	v_cndmask_b32_e32 v0, 3, v0, vcc_lo
	v_and_b32_e32 v3, 0xfc, v3
	s_delay_alu instid0(VALU_DEP_2) | instskip(NEXT) | instid1(VALU_DEP_2)
	v_cmp_eq_u64_e32 vcc_lo, 0, v[0:1]
	v_and_or_b32 v0, v0, 3, v3
	s_and_b32 s13, s13, vcc_lo
	s_delay_alu instid0(VALU_DEP_1) | instid1(SALU_CYCLE_1)
	v_cndmask_b32_e64 v0, v0, 0, s13
	s_delay_alu instid0(VALU_DEP_1)
	v_or_b32_e32 v78, v0, v4
.LBB6_2324:                             ;   in Loop: Header=BB6_136 Depth=3
	s_or_b32 exec_lo, exec_lo, s76
                                        ; implicit-def: $vgpr4
.LBB6_2325:                             ;   in Loop: Header=BB6_136 Depth=3
	s_and_not1_saveexec_b32 s13, s75
; %bb.2326:                             ;   in Loop: Header=BB6_136 Depth=3
	v_or_b32_e32 v78, 0x7b, v4
; %bb.2327:                             ;   in Loop: Header=BB6_136 Depth=3
	s_or_b32 exec_lo, exec_lo, s13
                                        ; implicit-def: $vgpr2
                                        ; implicit-def: $vgpr0_vgpr1
                                        ; implicit-def: $vgpr3
.LBB6_2328:                             ;   in Loop: Header=BB6_136 Depth=3
	s_and_not1_saveexec_b32 s13, s74
	s_cbranch_execz .LBB6_2334
; %bb.2329:                             ;   in Loop: Header=BB6_136 Depth=3
	s_mov_b32 s74, exec_lo
                                        ; implicit-def: $vgpr78
	v_cmpx_ne_u64_e32 0, v[0:1]
	s_xor_b32 s74, exec_lo, s74
; %bb.2330:                             ;   in Loop: Header=BB6_136 Depth=3
	v_or_b32_e32 v78, 0x7f, v3
                                        ; implicit-def: $vgpr2
; %bb.2331:                             ;   in Loop: Header=BB6_136 Depth=3
	s_and_not1_saveexec_b32 s74, s74
; %bb.2332:                             ;   in Loop: Header=BB6_136 Depth=3
	v_cmp_lt_i32_e32 vcc_lo, -1, v2
	v_mov_b32_e32 v0, 0x7c
	s_delay_alu instid0(VALU_DEP_1)
	v_cndmask_b32_e32 v78, 0xfc, v0, vcc_lo
; %bb.2333:                             ;   in Loop: Header=BB6_136 Depth=3
	s_or_b32 exec_lo, exec_lo, s74
.LBB6_2334:                             ;   in Loop: Header=BB6_136 Depth=3
	s_delay_alu instid0(SALU_CYCLE_1) | instskip(SKIP_3) | instid1(VALU_DEP_2)
	s_or_b32 exec_lo, exec_lo, s13
	v_lshrrev_b16 v0, 8, v10
	v_mov_b32_e32 v1, 0
	s_mov_b32 s74, exec_lo
	v_cmpx_ne_u16_e32 0, v0
	s_cbranch_execz .LBB6_2344
; %bb.2335:                             ;   in Loop: Header=BB6_136 Depth=3
	v_bfrev_b32_e32 v1, 1
	s_mov_b32 s75, exec_lo
	v_cmpx_ne_u16_e32 0x80, v0
	s_cbranch_execz .LBB6_2343
; %bb.2336:                             ;   in Loop: Header=BB6_136 Depth=3
	v_and_b32_e32 v3, 0xffff, v0
	s_delay_alu instid0(VALU_DEP_1) | instskip(SKIP_1) | instid1(VALU_DEP_2)
	v_and_b32_e32 v1, 0x7c, v3
	v_and_b32_e32 v2, 3, v3
	v_cmp_ne_u32_e32 vcc_lo, 0x7c, v1
                                        ; implicit-def: $vgpr1
	s_and_saveexec_b32 s13, vcc_lo
	s_delay_alu instid0(SALU_CYCLE_1)
	s_xor_b32 s13, exec_lo, s13
	s_cbranch_execz .LBB6_2340
; %bb.2337:                             ;   in Loop: Header=BB6_136 Depth=3
	v_bfe_u32 v1, v3, 2, 5
	s_mov_b32 s76, exec_lo
	s_delay_alu instid0(VALU_DEP_1)
	v_cmpx_eq_u32_e32 0, v1
; %bb.2338:                             ;   in Loop: Header=BB6_136 Depth=3
	v_clz_i32_u32_e32 v1, v2
	s_delay_alu instid0(VALU_DEP_1) | instskip(SKIP_1) | instid1(VALU_DEP_2)
	v_min_u32_e32 v2, 32, v1
	v_mov_b32_e32 v1, v113
	v_subrev_nc_u32_e32 v3, 29, v2
	s_delay_alu instid0(VALU_DEP_1) | instskip(NEXT) | instid1(VALU_DEP_1)
	v_lshlrev_b64_e32 v[0:1], v3, v[0:1]
	v_dual_sub_nc_u32 v1, 30, v2 :: v_dual_bitop2_b32 v2, 3, v0 bitop3:0x40
; %bb.2339:                             ;   in Loop: Header=BB6_136 Depth=3
	s_or_b32 exec_lo, exec_lo, s76
	v_lshlrev_b32_e32 v0, 16, v10
	s_delay_alu instid0(VALU_DEP_1) | instskip(NEXT) | instid1(VALU_DEP_1)
	v_and_b32_e32 v0, 0x80000000, v0
	v_lshl_add_u32 v0, v1, 23, v0
	s_delay_alu instid0(VALU_DEP_1) | instskip(NEXT) | instid1(VALU_DEP_1)
	v_lshl_or_b32 v0, v2, 21, v0
                                        ; implicit-def: $vgpr2
	v_add_nc_u32_e32 v1, 0x38000000, v0
.LBB6_2340:                             ;   in Loop: Header=BB6_136 Depth=3
	s_and_not1_saveexec_b32 s76, s13
; %bb.2341:                             ;   in Loop: Header=BB6_136 Depth=3
	v_cmp_lt_i16_e64 s13, -1, v10
	v_mov_b32_e32 v0, 0x7f800000
	v_cmp_eq_u32_e32 vcc_lo, 0, v2
	s_delay_alu instid0(VALU_DEP_2) | instskip(NEXT) | instid1(VALU_DEP_1)
	v_cndmask_b32_e64 v0, 0xff800000, v0, s13
	v_cndmask_b32_e32 v1, 0x7f800001, v0, vcc_lo
; %bb.2342:                             ;   in Loop: Header=BB6_136 Depth=3
	s_or_b32 exec_lo, exec_lo, s76
.LBB6_2343:                             ;   in Loop: Header=BB6_136 Depth=3
	s_delay_alu instid0(SALU_CYCLE_1)
	s_or_b32 exec_lo, exec_lo, s75
.LBB6_2344:                             ;   in Loop: Header=BB6_136 Depth=3
	s_delay_alu instid0(SALU_CYCLE_1) | instskip(NEXT) | instid1(VALU_DEP_1)
	s_or_b32 exec_lo, exec_lo, s74
	v_dual_mul_f32 v2, s73, v1 :: v_dual_mov_b32 v5, v113
	v_mov_b32_e32 v1, v113
                                        ; implicit-def: $vgpr79
	s_mov_b32 s13, exec_lo
	s_delay_alu instid0(VALU_DEP_2) | instskip(SKIP_2) | instid1(VALU_DEP_3)
	v_and_b32_e32 v4, 0x7f800000, v2
	v_and_b32_e32 v0, 0x7fffff, v2
	v_lshrrev_b32_e32 v3, 24, v2
	v_cmpx_ne_u64_e32 0x7f800000, v[4:5]
	s_xor_b32 s74, exec_lo, s13
	s_cbranch_execz .LBB6_2358
; %bb.2345:                             ;   in Loop: Header=BB6_136 Depth=3
	v_and_b32_e32 v4, 0x7fffffff, v2
	v_mov_b32_e32 v5, v113
                                        ; implicit-def: $vgpr79
	s_delay_alu instid0(VALU_DEP_1) | instskip(SKIP_2) | instid1(SALU_CYCLE_1)
	v_cmp_gt_u64_e32 vcc_lo, 0x47600001, v[4:5]
	v_and_b32_e32 v4, 0x80, v3
	s_and_saveexec_b32 s13, vcc_lo
	s_xor_b32 s75, exec_lo, s13
	s_cbranch_execz .LBB6_2355
; %bb.2346:                             ;   in Loop: Header=BB6_136 Depth=3
	v_mov_b32_e32 v79, 0
	s_mov_b32 s76, exec_lo
	v_cmpx_ne_u32_e32 0, v2
	s_cbranch_execz .LBB6_2354
; %bb.2347:                             ;   in Loop: Header=BB6_136 Depth=3
	v_bfe_u32 v5, v2, 23, 8
	v_or_b32_e32 v3, 0x800000, v0
	s_delay_alu instid0(VALU_DEP_2) | instskip(SKIP_2) | instid1(VALU_DEP_2)
	v_cmp_gt_u32_e64 s13, 0x72, v5
	v_sub_nc_u32_e32 v2, 0x71, v5
	v_cmp_eq_u32_e32 vcc_lo, 0, v5
	v_dual_cndmask_b32 v2, 0, v2, s13 :: v_dual_cndmask_b32 v0, v3, v0, vcc_lo
	s_delay_alu instid0(VALU_DEP_1) | instskip(NEXT) | instid1(VALU_DEP_1)
	v_cndmask_b32_e64 v7, v2, 0x70, vcc_lo
	v_dual_add_nc_u32 v2, 21, v7 :: v_dual_add_nc_u32 v8, 20, v7
	s_delay_alu instid0(VALU_DEP_1) | instskip(NEXT) | instid1(VALU_DEP_2)
	v_lshlrev_b64_e64 v[2:3], v2, -1
	v_lshlrev_b64_e64 v[8:9], v8, 1
	s_delay_alu instid0(VALU_DEP_2) | instskip(SKIP_1) | instid1(VALU_DEP_4)
	v_bfi_b32 v2, v2, 0, v0
	v_lshrrev_b64 v[0:1], v7, v[0:1]
	v_bfi_b32 v3, v3, 0, 0
	s_delay_alu instid0(VALU_DEP_1) | instskip(NEXT) | instid1(VALU_DEP_3)
	v_cmp_eq_u64_e64 s13, v[2:3], v[8:9]
	v_mov_b64_e32 v[2:3], v[0:1]
	s_and_saveexec_b32 s77, s13
; %bb.2348:                             ;   in Loop: Header=BB6_136 Depth=3
	v_bfe_u32 v2, v0, 21, 1
	v_mov_b32_e32 v3, v113
	s_delay_alu instid0(VALU_DEP_1) | instskip(NEXT) | instid1(VALU_DEP_1)
	v_add_nc_u64_e32 v[2:3], v[0:1], v[2:3]
	v_add_nc_u64_e32 v[2:3], -1, v[2:3]
; %bb.2349:                             ;   in Loop: Header=BB6_136 Depth=3
	s_or_b32 exec_lo, exec_lo, s77
	v_add_nc_u32_e32 v1, 0xffffff81, v5
	v_lshrrev_b32_e32 v3, 23, v0
	s_mov_b32 s13, exec_lo
	s_delay_alu instid0(VALU_DEP_2) | instskip(NEXT) | instid1(VALU_DEP_1)
	v_cndmask_b32_e64 v1, v1, 0xffffff82, vcc_lo
	v_add3_u32 v5, v7, v1, v3
	v_and_b32_e32 v1, 0x1fffff, v2
                                        ; implicit-def: $vgpr2
	s_delay_alu instid0(VALU_DEP_1) | instskip(SKIP_1) | instid1(VALU_DEP_2)
	v_dual_add_nc_u32 v3, 14, v5 :: v_dual_add_nc_u32 v0, v1, v0
	v_mov_b32_e32 v1, v113
	v_cmpx_ne_u32_e32 0, v3
	s_xor_b32 s13, exec_lo, s13
; %bb.2350:                             ;   in Loop: Header=BB6_136 Depth=3
	s_delay_alu instid0(VALU_DEP_2) | instskip(SKIP_1) | instid1(VALU_DEP_1)
	v_cmp_lt_u64_e32 vcc_lo, 0xffffff, v[0:1]
	v_add_nc_u32_e32 v2, 15, v5
	v_cndmask_b32_e32 v2, v3, v2, vcc_lo
	v_cndmask_b32_e64 v3, 0, 1, vcc_lo
	s_delay_alu instid0(VALU_DEP_1)
	v_lshrrev_b64 v[0:1], v3, v[0:1]
; %bb.2351:                             ;   in Loop: Header=BB6_136 Depth=3
	s_and_not1_saveexec_b32 s13, s13
; %bb.2352:                             ;   in Loop: Header=BB6_136 Depth=3
	s_delay_alu instid0(VALU_DEP_1)
	v_bfe_u32 v2, v0, 23, 1
; %bb.2353:                             ;   in Loop: Header=BB6_136 Depth=3
	s_or_b32 exec_lo, exec_lo, s13
	s_delay_alu instid0(VALU_DEP_2) | instskip(NEXT) | instid1(VALU_DEP_2)
	v_lshrrev_b64 v[0:1], 21, v[0:1]
	v_cmp_gt_i32_e32 vcc_lo, 32, v2
	v_min_i32_e32 v3, 31, v2
	v_cmp_eq_u32_e64 s13, 0, v2
	s_delay_alu instid0(VALU_DEP_2) | instskip(SKIP_1) | instid1(VALU_DEP_2)
	v_dual_cndmask_b32 v1, 0, v1, vcc_lo :: v_dual_lshlrev_b32 v3, 2, v3
	v_cndmask_b32_e32 v0, 3, v0, vcc_lo
	v_and_b32_e32 v3, 0xfc, v3
	s_delay_alu instid0(VALU_DEP_2) | instskip(NEXT) | instid1(VALU_DEP_2)
	v_cmp_eq_u64_e32 vcc_lo, 0, v[0:1]
	v_and_or_b32 v0, v0, 3, v3
	s_and_b32 s13, s13, vcc_lo
	s_delay_alu instid0(VALU_DEP_1) | instid1(SALU_CYCLE_1)
	v_cndmask_b32_e64 v0, v0, 0, s13
	s_delay_alu instid0(VALU_DEP_1)
	v_or_b32_e32 v79, v0, v4
.LBB6_2354:                             ;   in Loop: Header=BB6_136 Depth=3
	s_or_b32 exec_lo, exec_lo, s76
                                        ; implicit-def: $vgpr4
.LBB6_2355:                             ;   in Loop: Header=BB6_136 Depth=3
	s_and_not1_saveexec_b32 s13, s75
; %bb.2356:                             ;   in Loop: Header=BB6_136 Depth=3
	v_or_b32_e32 v79, 0x7b, v4
; %bb.2357:                             ;   in Loop: Header=BB6_136 Depth=3
	s_or_b32 exec_lo, exec_lo, s13
                                        ; implicit-def: $vgpr2
                                        ; implicit-def: $vgpr0_vgpr1
                                        ; implicit-def: $vgpr3
.LBB6_2358:                             ;   in Loop: Header=BB6_136 Depth=3
	s_and_not1_saveexec_b32 s13, s74
	s_cbranch_execz .LBB6_2364
; %bb.2359:                             ;   in Loop: Header=BB6_136 Depth=3
	s_mov_b32 s74, exec_lo
                                        ; implicit-def: $vgpr79
	v_cmpx_ne_u64_e32 0, v[0:1]
	s_xor_b32 s74, exec_lo, s74
; %bb.2360:                             ;   in Loop: Header=BB6_136 Depth=3
	v_or_b32_e32 v79, 0x7f, v3
                                        ; implicit-def: $vgpr2
; %bb.2361:                             ;   in Loop: Header=BB6_136 Depth=3
	s_and_not1_saveexec_b32 s74, s74
; %bb.2362:                             ;   in Loop: Header=BB6_136 Depth=3
	v_cmp_lt_i32_e32 vcc_lo, -1, v2
	v_mov_b32_e32 v0, 0x7c
	s_delay_alu instid0(VALU_DEP_1)
	v_cndmask_b32_e32 v79, 0xfc, v0, vcc_lo
; %bb.2363:                             ;   in Loop: Header=BB6_136 Depth=3
	s_or_b32 exec_lo, exec_lo, s74
.LBB6_2364:                             ;   in Loop: Header=BB6_136 Depth=3
	s_delay_alu instid0(SALU_CYCLE_1) | instskip(SKIP_2) | instid1(VALU_DEP_1)
	s_or_b32 exec_lo, exec_lo, s13
	v_dual_mov_b32 v1, 0 :: v_dual_lshrrev_b32 v0, 16, v10
	s_mov_b32 s74, exec_lo
	v_and_b32_e32 v2, 0xff, v0
	s_delay_alu instid0(VALU_DEP_1)
	v_cmpx_ne_u16_e32 0, v2
	s_cbranch_execz .LBB6_2374
; %bb.2365:                             ;   in Loop: Header=BB6_136 Depth=3
	v_bfrev_b32_e32 v1, 1
	s_mov_b32 s75, exec_lo
	v_cmpx_ne_u16_e32 0x80, v2
	s_cbranch_execz .LBB6_2373
; %bb.2366:                             ;   in Loop: Header=BB6_136 Depth=3
	v_and_b32_e32 v1, 0x7c0000, v10
	v_bfe_u32 v2, v10, 16, 2
	s_delay_alu instid0(VALU_DEP_2) | instskip(SKIP_1) | instid1(SALU_CYCLE_1)
	v_cmp_ne_u32_e32 vcc_lo, 0x7c0000, v1
                                        ; implicit-def: $vgpr1
	s_and_saveexec_b32 s13, vcc_lo
	s_xor_b32 s13, exec_lo, s13
	s_cbranch_execz .LBB6_2370
; %bb.2367:                             ;   in Loop: Header=BB6_136 Depth=3
	v_bfe_u32 v1, v10, 18, 5
	s_mov_b32 s76, exec_lo
	s_delay_alu instid0(VALU_DEP_1)
	v_cmpx_eq_u32_e32 0, v1
; %bb.2368:                             ;   in Loop: Header=BB6_136 Depth=3
	v_clz_i32_u32_e32 v1, v2
	s_delay_alu instid0(VALU_DEP_1) | instskip(NEXT) | instid1(VALU_DEP_1)
	v_min_u32_e32 v1, 32, v1
	v_subrev_nc_u32_e32 v2, 29, v1
	s_delay_alu instid0(VALU_DEP_1) | instskip(NEXT) | instid1(VALU_DEP_1)
	v_lshlrev_b64_e32 v[2:3], v2, v[0:1]
	v_dual_sub_nc_u32 v1, 30, v1 :: v_dual_bitop2_b32 v2, 3, v2 bitop3:0x40
; %bb.2369:                             ;   in Loop: Header=BB6_136 Depth=3
	s_or_b32 exec_lo, exec_lo, s76
	v_lshlrev_b32_e32 v0, 24, v0
	s_delay_alu instid0(VALU_DEP_1) | instskip(NEXT) | instid1(VALU_DEP_1)
	v_and_b32_e32 v0, 0x80000000, v0
	v_lshl_add_u32 v0, v1, 23, v0
	s_delay_alu instid0(VALU_DEP_1) | instskip(NEXT) | instid1(VALU_DEP_1)
	v_lshl_or_b32 v0, v2, 21, v0
                                        ; implicit-def: $vgpr2
	v_add_nc_u32_e32 v1, 0x38000000, v0
                                        ; implicit-def: $vgpr0
.LBB6_2370:                             ;   in Loop: Header=BB6_136 Depth=3
	s_and_not1_saveexec_b32 s76, s13
; %bb.2371:                             ;   in Loop: Header=BB6_136 Depth=3
	v_bfe_i32 v0, v0, 0, 8
	v_cmp_eq_u32_e32 vcc_lo, 0, v2
	s_delay_alu instid0(VALU_DEP_2) | instskip(SKIP_1) | instid1(VALU_DEP_1)
	v_cmp_lt_i16_e64 s13, -1, v0
	v_mov_b32_e32 v0, 0x7f800000
	v_cndmask_b32_e64 v0, 0xff800000, v0, s13
	s_delay_alu instid0(VALU_DEP_1)
	v_cndmask_b32_e32 v1, 0x7f800001, v0, vcc_lo
; %bb.2372:                             ;   in Loop: Header=BB6_136 Depth=3
	s_or_b32 exec_lo, exec_lo, s76
.LBB6_2373:                             ;   in Loop: Header=BB6_136 Depth=3
	s_delay_alu instid0(SALU_CYCLE_1)
	s_or_b32 exec_lo, exec_lo, s75
.LBB6_2374:                             ;   in Loop: Header=BB6_136 Depth=3
	s_delay_alu instid0(SALU_CYCLE_1) | instskip(NEXT) | instid1(VALU_DEP_1)
	s_or_b32 exec_lo, exec_lo, s74
	v_dual_mul_f32 v2, s73, v1 :: v_dual_mov_b32 v5, v113
	v_mov_b32_e32 v1, v113
                                        ; implicit-def: $vgpr88
	s_mov_b32 s13, exec_lo
	s_delay_alu instid0(VALU_DEP_2) | instskip(SKIP_2) | instid1(VALU_DEP_3)
	v_and_b32_e32 v4, 0x7f800000, v2
	v_and_b32_e32 v0, 0x7fffff, v2
	v_lshrrev_b32_e32 v3, 24, v2
	v_cmpx_ne_u64_e32 0x7f800000, v[4:5]
	s_xor_b32 s74, exec_lo, s13
	s_cbranch_execz .LBB6_2388
; %bb.2375:                             ;   in Loop: Header=BB6_136 Depth=3
	v_and_b32_e32 v4, 0x7fffffff, v2
	v_mov_b32_e32 v5, v113
                                        ; implicit-def: $vgpr88
	s_delay_alu instid0(VALU_DEP_1) | instskip(SKIP_2) | instid1(SALU_CYCLE_1)
	v_cmp_gt_u64_e32 vcc_lo, 0x47600001, v[4:5]
	v_and_b32_e32 v4, 0x80, v3
	s_and_saveexec_b32 s13, vcc_lo
	s_xor_b32 s75, exec_lo, s13
	s_cbranch_execz .LBB6_2385
; %bb.2376:                             ;   in Loop: Header=BB6_136 Depth=3
	v_mov_b32_e32 v88, 0
	s_mov_b32 s76, exec_lo
	v_cmpx_ne_u32_e32 0, v2
	s_cbranch_execz .LBB6_2384
; %bb.2377:                             ;   in Loop: Header=BB6_136 Depth=3
	v_bfe_u32 v5, v2, 23, 8
	v_or_b32_e32 v3, 0x800000, v0
	s_delay_alu instid0(VALU_DEP_2) | instskip(SKIP_2) | instid1(VALU_DEP_2)
	v_cmp_gt_u32_e64 s13, 0x72, v5
	v_sub_nc_u32_e32 v2, 0x71, v5
	v_cmp_eq_u32_e32 vcc_lo, 0, v5
	v_dual_cndmask_b32 v2, 0, v2, s13 :: v_dual_cndmask_b32 v0, v3, v0, vcc_lo
	s_delay_alu instid0(VALU_DEP_1) | instskip(NEXT) | instid1(VALU_DEP_1)
	v_cndmask_b32_e64 v7, v2, 0x70, vcc_lo
	v_dual_add_nc_u32 v2, 21, v7 :: v_dual_add_nc_u32 v8, 20, v7
	s_delay_alu instid0(VALU_DEP_1) | instskip(NEXT) | instid1(VALU_DEP_2)
	v_lshlrev_b64_e64 v[2:3], v2, -1
	v_lshlrev_b64_e64 v[8:9], v8, 1
	s_delay_alu instid0(VALU_DEP_2) | instskip(SKIP_1) | instid1(VALU_DEP_4)
	v_bfi_b32 v2, v2, 0, v0
	v_lshrrev_b64 v[0:1], v7, v[0:1]
	v_bfi_b32 v3, v3, 0, 0
	s_delay_alu instid0(VALU_DEP_1) | instskip(NEXT) | instid1(VALU_DEP_3)
	v_cmp_eq_u64_e64 s13, v[2:3], v[8:9]
	v_mov_b64_e32 v[2:3], v[0:1]
	s_and_saveexec_b32 s77, s13
; %bb.2378:                             ;   in Loop: Header=BB6_136 Depth=3
	v_bfe_u32 v2, v0, 21, 1
	v_mov_b32_e32 v3, v113
	s_delay_alu instid0(VALU_DEP_1) | instskip(NEXT) | instid1(VALU_DEP_1)
	v_add_nc_u64_e32 v[2:3], v[0:1], v[2:3]
	v_add_nc_u64_e32 v[2:3], -1, v[2:3]
; %bb.2379:                             ;   in Loop: Header=BB6_136 Depth=3
	s_or_b32 exec_lo, exec_lo, s77
	v_add_nc_u32_e32 v1, 0xffffff81, v5
	v_lshrrev_b32_e32 v3, 23, v0
	s_mov_b32 s13, exec_lo
	s_delay_alu instid0(VALU_DEP_2) | instskip(NEXT) | instid1(VALU_DEP_1)
	v_cndmask_b32_e64 v1, v1, 0xffffff82, vcc_lo
	v_add3_u32 v5, v7, v1, v3
	v_and_b32_e32 v1, 0x1fffff, v2
                                        ; implicit-def: $vgpr2
	s_delay_alu instid0(VALU_DEP_1) | instskip(SKIP_1) | instid1(VALU_DEP_2)
	v_dual_add_nc_u32 v3, 14, v5 :: v_dual_add_nc_u32 v0, v1, v0
	v_mov_b32_e32 v1, v113
	v_cmpx_ne_u32_e32 0, v3
	s_xor_b32 s13, exec_lo, s13
; %bb.2380:                             ;   in Loop: Header=BB6_136 Depth=3
	s_delay_alu instid0(VALU_DEP_2) | instskip(SKIP_1) | instid1(VALU_DEP_1)
	v_cmp_lt_u64_e32 vcc_lo, 0xffffff, v[0:1]
	v_add_nc_u32_e32 v2, 15, v5
	v_cndmask_b32_e32 v2, v3, v2, vcc_lo
	v_cndmask_b32_e64 v3, 0, 1, vcc_lo
	s_delay_alu instid0(VALU_DEP_1)
	v_lshrrev_b64 v[0:1], v3, v[0:1]
; %bb.2381:                             ;   in Loop: Header=BB6_136 Depth=3
	s_and_not1_saveexec_b32 s13, s13
; %bb.2382:                             ;   in Loop: Header=BB6_136 Depth=3
	s_delay_alu instid0(VALU_DEP_1)
	v_bfe_u32 v2, v0, 23, 1
; %bb.2383:                             ;   in Loop: Header=BB6_136 Depth=3
	s_or_b32 exec_lo, exec_lo, s13
	s_delay_alu instid0(VALU_DEP_2) | instskip(NEXT) | instid1(VALU_DEP_2)
	v_lshrrev_b64 v[0:1], 21, v[0:1]
	v_cmp_gt_i32_e32 vcc_lo, 32, v2
	v_min_i32_e32 v3, 31, v2
	v_cmp_eq_u32_e64 s13, 0, v2
	s_delay_alu instid0(VALU_DEP_2) | instskip(SKIP_1) | instid1(VALU_DEP_2)
	v_dual_cndmask_b32 v1, 0, v1, vcc_lo :: v_dual_lshlrev_b32 v3, 2, v3
	v_cndmask_b32_e32 v0, 3, v0, vcc_lo
	v_and_b32_e32 v3, 0xfc, v3
	s_delay_alu instid0(VALU_DEP_2) | instskip(NEXT) | instid1(VALU_DEP_2)
	v_cmp_eq_u64_e32 vcc_lo, 0, v[0:1]
	v_and_or_b32 v0, v0, 3, v3
	s_and_b32 s13, s13, vcc_lo
	s_delay_alu instid0(VALU_DEP_1) | instid1(SALU_CYCLE_1)
	v_cndmask_b32_e64 v0, v0, 0, s13
	s_delay_alu instid0(VALU_DEP_1)
	v_or_b32_e32 v88, v0, v4
.LBB6_2384:                             ;   in Loop: Header=BB6_136 Depth=3
	s_or_b32 exec_lo, exec_lo, s76
                                        ; implicit-def: $vgpr4
.LBB6_2385:                             ;   in Loop: Header=BB6_136 Depth=3
	s_and_not1_saveexec_b32 s13, s75
; %bb.2386:                             ;   in Loop: Header=BB6_136 Depth=3
	v_or_b32_e32 v88, 0x7b, v4
; %bb.2387:                             ;   in Loop: Header=BB6_136 Depth=3
	s_or_b32 exec_lo, exec_lo, s13
                                        ; implicit-def: $vgpr2
                                        ; implicit-def: $vgpr0_vgpr1
                                        ; implicit-def: $vgpr3
.LBB6_2388:                             ;   in Loop: Header=BB6_136 Depth=3
	s_and_not1_saveexec_b32 s13, s74
	s_cbranch_execz .LBB6_2394
; %bb.2389:                             ;   in Loop: Header=BB6_136 Depth=3
	s_mov_b32 s74, exec_lo
                                        ; implicit-def: $vgpr88
	v_cmpx_ne_u64_e32 0, v[0:1]
	s_xor_b32 s74, exec_lo, s74
; %bb.2390:                             ;   in Loop: Header=BB6_136 Depth=3
	v_or_b32_e32 v88, 0x7f, v3
                                        ; implicit-def: $vgpr2
; %bb.2391:                             ;   in Loop: Header=BB6_136 Depth=3
	s_and_not1_saveexec_b32 s74, s74
; %bb.2392:                             ;   in Loop: Header=BB6_136 Depth=3
	v_cmp_lt_i32_e32 vcc_lo, -1, v2
	v_mov_b32_e32 v0, 0x7c
	s_delay_alu instid0(VALU_DEP_1)
	v_cndmask_b32_e32 v88, 0xfc, v0, vcc_lo
; %bb.2393:                             ;   in Loop: Header=BB6_136 Depth=3
	s_or_b32 exec_lo, exec_lo, s74
.LBB6_2394:                             ;   in Loop: Header=BB6_136 Depth=3
	s_delay_alu instid0(SALU_CYCLE_1)
	s_or_b32 exec_lo, exec_lo, s13
	v_mov_b32_e32 v1, 0
	s_mov_b32 s74, exec_lo
	v_cmpx_lt_u32_e32 0xffffff, v10
	s_cbranch_execz .LBB6_2404
; %bb.2395:                             ;   in Loop: Header=BB6_136 Depth=3
	v_lshrrev_b32_e32 v0, 24, v10
	v_bfrev_b32_e32 v1, 1
	s_mov_b32 s75, exec_lo
	s_delay_alu instid0(VALU_DEP_2)
	v_cmpx_ne_u32_e32 0x80, v0
	s_cbranch_execz .LBB6_2403
; %bb.2396:                             ;   in Loop: Header=BB6_136 Depth=3
	v_and_b32_e32 v1, 0x7c000000, v10
	v_bfe_u32 v2, v10, 24, 2
	s_delay_alu instid0(VALU_DEP_2) | instskip(SKIP_1) | instid1(SALU_CYCLE_1)
	v_cmp_ne_u32_e32 vcc_lo, 0x7c000000, v1
                                        ; implicit-def: $vgpr1
	s_and_saveexec_b32 s13, vcc_lo
	s_xor_b32 s13, exec_lo, s13
	s_cbranch_execz .LBB6_2400
; %bb.2397:                             ;   in Loop: Header=BB6_136 Depth=3
	v_bfe_u32 v1, v10, 26, 5
	s_mov_b32 s76, exec_lo
	s_delay_alu instid0(VALU_DEP_1)
	v_cmpx_eq_u32_e32 0, v1
; %bb.2398:                             ;   in Loop: Header=BB6_136 Depth=3
	v_clz_i32_u32_e32 v1, v2
	s_delay_alu instid0(VALU_DEP_1) | instskip(NEXT) | instid1(VALU_DEP_1)
	v_min_u32_e32 v2, 32, v1
	v_subrev_nc_u32_e32 v1, 29, v2
	s_delay_alu instid0(VALU_DEP_1) | instskip(NEXT) | instid1(VALU_DEP_1)
	v_lshlrev_b64_e32 v[0:1], v1, v[0:1]
	v_dual_sub_nc_u32 v1, 30, v2 :: v_dual_bitop2_b32 v2, 3, v0 bitop3:0x40
; %bb.2399:                             ;   in Loop: Header=BB6_136 Depth=3
	s_or_b32 exec_lo, exec_lo, s76
	v_and_b32_e32 v0, 0x80000000, v10
	s_delay_alu instid0(VALU_DEP_1) | instskip(NEXT) | instid1(VALU_DEP_1)
	v_lshl_add_u32 v0, v1, 23, v0
	v_lshl_or_b32 v0, v2, 21, v0
                                        ; implicit-def: $vgpr2
	s_delay_alu instid0(VALU_DEP_1)
	v_add_nc_u32_e32 v1, 0x38000000, v0
.LBB6_2400:                             ;   in Loop: Header=BB6_136 Depth=3
	s_and_not1_saveexec_b32 s76, s13
; %bb.2401:                             ;   in Loop: Header=BB6_136 Depth=3
	v_cmp_lt_i32_e64 s13, -1, v10
	v_mov_b32_e32 v0, 0x7f800000
	v_cmp_eq_u32_e32 vcc_lo, 0, v2
	s_delay_alu instid0(VALU_DEP_2) | instskip(NEXT) | instid1(VALU_DEP_1)
	v_cndmask_b32_e64 v0, 0xff800000, v0, s13
	v_cndmask_b32_e32 v1, 0x7f800001, v0, vcc_lo
; %bb.2402:                             ;   in Loop: Header=BB6_136 Depth=3
	s_or_b32 exec_lo, exec_lo, s76
.LBB6_2403:                             ;   in Loop: Header=BB6_136 Depth=3
	s_delay_alu instid0(SALU_CYCLE_1)
	s_or_b32 exec_lo, exec_lo, s75
.LBB6_2404:                             ;   in Loop: Header=BB6_136 Depth=3
	s_delay_alu instid0(SALU_CYCLE_1) | instskip(NEXT) | instid1(VALU_DEP_1)
	s_or_b32 exec_lo, exec_lo, s74
	v_dual_mul_f32 v2, s73, v1 :: v_dual_mov_b32 v5, v113
	v_mov_b32_e32 v1, v113
                                        ; implicit-def: $vgpr89
	s_mov_b32 s13, exec_lo
	s_delay_alu instid0(VALU_DEP_2) | instskip(SKIP_2) | instid1(VALU_DEP_3)
	v_and_b32_e32 v4, 0x7f800000, v2
	v_and_b32_e32 v0, 0x7fffff, v2
	v_lshrrev_b32_e32 v3, 24, v2
	v_cmpx_ne_u64_e32 0x7f800000, v[4:5]
	s_xor_b32 s74, exec_lo, s13
	s_cbranch_execz .LBB6_2418
; %bb.2405:                             ;   in Loop: Header=BB6_136 Depth=3
	v_and_b32_e32 v4, 0x7fffffff, v2
	v_mov_b32_e32 v5, v113
                                        ; implicit-def: $vgpr89
	s_delay_alu instid0(VALU_DEP_1) | instskip(SKIP_2) | instid1(SALU_CYCLE_1)
	v_cmp_gt_u64_e32 vcc_lo, 0x47600001, v[4:5]
	v_and_b32_e32 v4, 0x80, v3
	s_and_saveexec_b32 s13, vcc_lo
	s_xor_b32 s75, exec_lo, s13
	s_cbranch_execz .LBB6_2415
; %bb.2406:                             ;   in Loop: Header=BB6_136 Depth=3
	v_mov_b32_e32 v89, 0
	s_mov_b32 s76, exec_lo
	v_cmpx_ne_u32_e32 0, v2
	s_cbranch_execz .LBB6_2414
; %bb.2407:                             ;   in Loop: Header=BB6_136 Depth=3
	v_bfe_u32 v5, v2, 23, 8
	v_or_b32_e32 v3, 0x800000, v0
	s_delay_alu instid0(VALU_DEP_2) | instskip(SKIP_2) | instid1(VALU_DEP_2)
	v_cmp_gt_u32_e64 s13, 0x72, v5
	v_sub_nc_u32_e32 v2, 0x71, v5
	v_cmp_eq_u32_e32 vcc_lo, 0, v5
	v_dual_cndmask_b32 v2, 0, v2, s13 :: v_dual_cndmask_b32 v0, v3, v0, vcc_lo
	s_delay_alu instid0(VALU_DEP_1) | instskip(NEXT) | instid1(VALU_DEP_1)
	v_cndmask_b32_e64 v7, v2, 0x70, vcc_lo
	v_dual_add_nc_u32 v2, 21, v7 :: v_dual_add_nc_u32 v8, 20, v7
	s_delay_alu instid0(VALU_DEP_1) | instskip(NEXT) | instid1(VALU_DEP_2)
	v_lshlrev_b64_e64 v[2:3], v2, -1
	v_lshlrev_b64_e64 v[8:9], v8, 1
	s_delay_alu instid0(VALU_DEP_2) | instskip(SKIP_1) | instid1(VALU_DEP_4)
	v_bfi_b32 v2, v2, 0, v0
	v_lshrrev_b64 v[0:1], v7, v[0:1]
	v_bfi_b32 v3, v3, 0, 0
	s_delay_alu instid0(VALU_DEP_1) | instskip(NEXT) | instid1(VALU_DEP_3)
	v_cmp_eq_u64_e64 s13, v[2:3], v[8:9]
	v_mov_b64_e32 v[2:3], v[0:1]
	s_and_saveexec_b32 s77, s13
; %bb.2408:                             ;   in Loop: Header=BB6_136 Depth=3
	v_bfe_u32 v2, v0, 21, 1
	v_mov_b32_e32 v3, v113
	s_delay_alu instid0(VALU_DEP_1) | instskip(NEXT) | instid1(VALU_DEP_1)
	v_add_nc_u64_e32 v[2:3], v[0:1], v[2:3]
	v_add_nc_u64_e32 v[2:3], -1, v[2:3]
; %bb.2409:                             ;   in Loop: Header=BB6_136 Depth=3
	s_or_b32 exec_lo, exec_lo, s77
	v_add_nc_u32_e32 v1, 0xffffff81, v5
	v_lshrrev_b32_e32 v3, 23, v0
	s_mov_b32 s13, exec_lo
	s_delay_alu instid0(VALU_DEP_2) | instskip(NEXT) | instid1(VALU_DEP_1)
	v_cndmask_b32_e64 v1, v1, 0xffffff82, vcc_lo
	v_add3_u32 v5, v7, v1, v3
	v_and_b32_e32 v1, 0x1fffff, v2
                                        ; implicit-def: $vgpr2
	s_delay_alu instid0(VALU_DEP_1) | instskip(SKIP_1) | instid1(VALU_DEP_2)
	v_dual_add_nc_u32 v3, 14, v5 :: v_dual_add_nc_u32 v0, v1, v0
	v_mov_b32_e32 v1, v113
	v_cmpx_ne_u32_e32 0, v3
	s_xor_b32 s13, exec_lo, s13
; %bb.2410:                             ;   in Loop: Header=BB6_136 Depth=3
	s_delay_alu instid0(VALU_DEP_2) | instskip(SKIP_1) | instid1(VALU_DEP_1)
	v_cmp_lt_u64_e32 vcc_lo, 0xffffff, v[0:1]
	v_add_nc_u32_e32 v2, 15, v5
	v_cndmask_b32_e32 v2, v3, v2, vcc_lo
	v_cndmask_b32_e64 v3, 0, 1, vcc_lo
	s_delay_alu instid0(VALU_DEP_1)
	v_lshrrev_b64 v[0:1], v3, v[0:1]
; %bb.2411:                             ;   in Loop: Header=BB6_136 Depth=3
	s_and_not1_saveexec_b32 s13, s13
; %bb.2412:                             ;   in Loop: Header=BB6_136 Depth=3
	s_delay_alu instid0(VALU_DEP_1)
	v_bfe_u32 v2, v0, 23, 1
; %bb.2413:                             ;   in Loop: Header=BB6_136 Depth=3
	s_or_b32 exec_lo, exec_lo, s13
	s_delay_alu instid0(VALU_DEP_2) | instskip(NEXT) | instid1(VALU_DEP_2)
	v_lshrrev_b64 v[0:1], 21, v[0:1]
	v_cmp_gt_i32_e32 vcc_lo, 32, v2
	v_min_i32_e32 v3, 31, v2
	v_cmp_eq_u32_e64 s13, 0, v2
	s_delay_alu instid0(VALU_DEP_2) | instskip(SKIP_1) | instid1(VALU_DEP_2)
	v_dual_cndmask_b32 v1, 0, v1, vcc_lo :: v_dual_lshlrev_b32 v3, 2, v3
	v_cndmask_b32_e32 v0, 3, v0, vcc_lo
	v_and_b32_e32 v3, 0xfc, v3
	s_delay_alu instid0(VALU_DEP_2) | instskip(NEXT) | instid1(VALU_DEP_2)
	v_cmp_eq_u64_e32 vcc_lo, 0, v[0:1]
	v_and_or_b32 v0, v0, 3, v3
	s_and_b32 s13, s13, vcc_lo
	s_delay_alu instid0(VALU_DEP_1) | instid1(SALU_CYCLE_1)
	v_cndmask_b32_e64 v0, v0, 0, s13
	s_delay_alu instid0(VALU_DEP_1)
	v_or_b32_e32 v89, v0, v4
.LBB6_2414:                             ;   in Loop: Header=BB6_136 Depth=3
	s_or_b32 exec_lo, exec_lo, s76
                                        ; implicit-def: $vgpr4
.LBB6_2415:                             ;   in Loop: Header=BB6_136 Depth=3
	s_and_not1_saveexec_b32 s13, s75
; %bb.2416:                             ;   in Loop: Header=BB6_136 Depth=3
	v_or_b32_e32 v89, 0x7b, v4
; %bb.2417:                             ;   in Loop: Header=BB6_136 Depth=3
	s_or_b32 exec_lo, exec_lo, s13
                                        ; implicit-def: $vgpr2
                                        ; implicit-def: $vgpr0_vgpr1
                                        ; implicit-def: $vgpr3
.LBB6_2418:                             ;   in Loop: Header=BB6_136 Depth=3
	s_and_not1_saveexec_b32 s13, s74
	s_cbranch_execz .LBB6_2424
; %bb.2419:                             ;   in Loop: Header=BB6_136 Depth=3
	s_mov_b32 s74, exec_lo
                                        ; implicit-def: $vgpr89
	v_cmpx_ne_u64_e32 0, v[0:1]
	s_xor_b32 s74, exec_lo, s74
; %bb.2420:                             ;   in Loop: Header=BB6_136 Depth=3
	v_or_b32_e32 v89, 0x7f, v3
                                        ; implicit-def: $vgpr2
; %bb.2421:                             ;   in Loop: Header=BB6_136 Depth=3
	s_and_not1_saveexec_b32 s74, s74
; %bb.2422:                             ;   in Loop: Header=BB6_136 Depth=3
	v_cmp_lt_i32_e32 vcc_lo, -1, v2
	v_mov_b32_e32 v0, 0x7c
	s_delay_alu instid0(VALU_DEP_1)
	v_cndmask_b32_e32 v89, 0xfc, v0, vcc_lo
; %bb.2423:                             ;   in Loop: Header=BB6_136 Depth=3
	s_or_b32 exec_lo, exec_lo, s74
.LBB6_2424:                             ;   in Loop: Header=BB6_136 Depth=3
	s_delay_alu instid0(SALU_CYCLE_1) | instskip(SKIP_4) | instid1(VALU_DEP_3)
	s_or_b32 exec_lo, exec_lo, s13
	v_and_b32_e32 v3, 0xff, v11
	v_dual_mov_b32 v0, v11 :: v_dual_mov_b32 v1, v113
	v_mov_b32_e32 v2, 0
	s_mov_b32 s74, exec_lo
	v_cmpx_ne_u16_e32 0, v3
	s_cbranch_execz .LBB6_2434
; %bb.2425:                             ;   in Loop: Header=BB6_136 Depth=3
	v_bfrev_b32_e32 v2, 1
	s_mov_b32 s75, exec_lo
	v_cmpx_ne_u16_e32 0x80, v3
	s_cbranch_execz .LBB6_2433
; %bb.2426:                             ;   in Loop: Header=BB6_136 Depth=3
	v_and_b32_e32 v2, 0x7c, v11
	v_and_b32_e32 v3, 3, v11
	s_delay_alu instid0(VALU_DEP_2) | instskip(SKIP_1) | instid1(SALU_CYCLE_1)
	v_cmp_ne_u32_e32 vcc_lo, 0x7c, v2
                                        ; implicit-def: $vgpr2
	s_and_saveexec_b32 s13, vcc_lo
	s_xor_b32 s13, exec_lo, s13
	s_cbranch_execz .LBB6_2430
; %bb.2427:                             ;   in Loop: Header=BB6_136 Depth=3
	v_bfe_u32 v2, v11, 2, 5
	s_mov_b32 s76, exec_lo
	s_delay_alu instid0(VALU_DEP_1)
	v_cmpx_eq_u32_e32 0, v2
; %bb.2428:                             ;   in Loop: Header=BB6_136 Depth=3
	v_clz_i32_u32_e32 v2, v3
	s_delay_alu instid0(VALU_DEP_1) | instskip(NEXT) | instid1(VALU_DEP_1)
	v_min_u32_e32 v2, 32, v2
	v_subrev_nc_u32_e32 v3, 29, v2
	s_delay_alu instid0(VALU_DEP_1) | instskip(NEXT) | instid1(VALU_DEP_1)
	v_lshlrev_b64_e32 v[4:5], v3, v[0:1]
	v_dual_sub_nc_u32 v2, 30, v2 :: v_dual_bitop2_b32 v3, 3, v4 bitop3:0x40
; %bb.2429:                             ;   in Loop: Header=BB6_136 Depth=3
	s_or_b32 exec_lo, exec_lo, s76
	v_lshlrev_b32_e32 v1, 24, v11
	s_delay_alu instid0(VALU_DEP_1) | instskip(NEXT) | instid1(VALU_DEP_1)
	v_and_b32_e32 v1, 0x80000000, v1
	v_lshl_add_u32 v1, v2, 23, v1
	s_delay_alu instid0(VALU_DEP_1) | instskip(NEXT) | instid1(VALU_DEP_1)
	v_lshl_or_b32 v1, v3, 21, v1
                                        ; implicit-def: $vgpr3
	v_add_nc_u32_e32 v2, 0x38000000, v1
.LBB6_2430:                             ;   in Loop: Header=BB6_136 Depth=3
	s_and_not1_saveexec_b32 s76, s13
; %bb.2431:                             ;   in Loop: Header=BB6_136 Depth=3
	v_bfe_i32 v1, v11, 0, 8
	v_cmp_eq_u32_e32 vcc_lo, 0, v3
	s_delay_alu instid0(VALU_DEP_2) | instskip(SKIP_1) | instid1(VALU_DEP_1)
	v_cmp_lt_i16_e64 s13, -1, v1
	v_mov_b32_e32 v1, 0x7f800000
	v_cndmask_b32_e64 v1, 0xff800000, v1, s13
	s_delay_alu instid0(VALU_DEP_1)
	v_cndmask_b32_e32 v2, 0x7f800001, v1, vcc_lo
; %bb.2432:                             ;   in Loop: Header=BB6_136 Depth=3
	s_or_b32 exec_lo, exec_lo, s76
.LBB6_2433:                             ;   in Loop: Header=BB6_136 Depth=3
	s_delay_alu instid0(SALU_CYCLE_1)
	s_or_b32 exec_lo, exec_lo, s75
.LBB6_2434:                             ;   in Loop: Header=BB6_136 Depth=3
	s_delay_alu instid0(SALU_CYCLE_1) | instskip(NEXT) | instid1(VALU_DEP_1)
	s_or_b32 exec_lo, exec_lo, s74
	v_dual_mul_f32 v4, s73, v2 :: v_dual_mov_b32 v9, v113
	v_mov_b32_e32 v3, v113
                                        ; implicit-def: $vgpr90
	s_mov_b32 s13, exec_lo
	s_delay_alu instid0(VALU_DEP_2) | instskip(SKIP_2) | instid1(VALU_DEP_3)
	v_and_b32_e32 v8, 0x7f800000, v4
	v_and_b32_e32 v2, 0x7fffff, v4
	v_lshrrev_b32_e32 v1, 24, v4
	v_cmpx_ne_u64_e32 0x7f800000, v[8:9]
	s_xor_b32 s74, exec_lo, s13
	s_cbranch_execz .LBB6_2448
; %bb.2435:                             ;   in Loop: Header=BB6_136 Depth=3
	v_and_b32_e32 v8, 0x7fffffff, v4
	v_mov_b32_e32 v9, v113
	v_and_b32_e32 v1, 0x80, v1
                                        ; implicit-def: $vgpr90
	s_mov_b32 s13, exec_lo
	s_delay_alu instid0(VALU_DEP_2)
	v_cmpx_gt_u64_e32 0x47600001, v[8:9]
	s_xor_b32 s75, exec_lo, s13
	s_cbranch_execz .LBB6_2445
; %bb.2436:                             ;   in Loop: Header=BB6_136 Depth=3
	v_mov_b32_e32 v90, 0
	s_mov_b32 s76, exec_lo
	v_cmpx_ne_u32_e32 0, v4
	s_cbranch_execz .LBB6_2444
; %bb.2437:                             ;   in Loop: Header=BB6_136 Depth=3
	v_bfe_u32 v7, v4, 23, 8
	v_or_b32_e32 v5, 0x800000, v2
	s_delay_alu instid0(VALU_DEP_2) | instskip(SKIP_2) | instid1(VALU_DEP_2)
	v_cmp_gt_u32_e64 s13, 0x72, v7
	v_sub_nc_u32_e32 v4, 0x71, v7
	v_cmp_eq_u32_e32 vcc_lo, 0, v7
	v_dual_cndmask_b32 v4, 0, v4, s13 :: v_dual_cndmask_b32 v2, v5, v2, vcc_lo
	s_delay_alu instid0(VALU_DEP_1) | instskip(NEXT) | instid1(VALU_DEP_1)
	v_cndmask_b32_e64 v8, v4, 0x70, vcc_lo
	v_dual_add_nc_u32 v4, 21, v8 :: v_dual_add_nc_u32 v9, 20, v8
	s_delay_alu instid0(VALU_DEP_1) | instskip(NEXT) | instid1(VALU_DEP_2)
	v_lshlrev_b64_e64 v[4:5], v4, -1
	v_lshlrev_b64_e64 v[24:25], v9, 1
	s_delay_alu instid0(VALU_DEP_2) | instskip(SKIP_1) | instid1(VALU_DEP_4)
	v_bfi_b32 v4, v4, 0, v2
	v_lshrrev_b64 v[2:3], v8, v[2:3]
	v_bfi_b32 v5, v5, 0, 0
	s_delay_alu instid0(VALU_DEP_1) | instskip(NEXT) | instid1(VALU_DEP_3)
	v_cmp_eq_u64_e64 s13, v[4:5], v[24:25]
	v_mov_b64_e32 v[4:5], v[2:3]
	s_and_saveexec_b32 s77, s13
; %bb.2438:                             ;   in Loop: Header=BB6_136 Depth=3
	v_bfe_u32 v4, v2, 21, 1
	v_mov_b32_e32 v5, v113
	s_delay_alu instid0(VALU_DEP_1) | instskip(NEXT) | instid1(VALU_DEP_1)
	v_add_nc_u64_e32 v[4:5], v[2:3], v[4:5]
	v_add_nc_u64_e32 v[4:5], -1, v[4:5]
; %bb.2439:                             ;   in Loop: Header=BB6_136 Depth=3
	s_or_b32 exec_lo, exec_lo, s77
	v_add_nc_u32_e32 v3, 0xffffff81, v7
	v_lshrrev_b32_e32 v5, 23, v2
	s_mov_b32 s13, exec_lo
	s_delay_alu instid0(VALU_DEP_2) | instskip(NEXT) | instid1(VALU_DEP_1)
	v_cndmask_b32_e64 v3, v3, 0xffffff82, vcc_lo
	v_add3_u32 v7, v8, v3, v5
	v_and_b32_e32 v3, 0x1fffff, v4
                                        ; implicit-def: $vgpr4
	s_delay_alu instid0(VALU_DEP_1) | instskip(SKIP_1) | instid1(VALU_DEP_2)
	v_dual_add_nc_u32 v5, 14, v7 :: v_dual_add_nc_u32 v2, v3, v2
	v_mov_b32_e32 v3, v113
	v_cmpx_ne_u32_e32 0, v5
	s_xor_b32 s13, exec_lo, s13
; %bb.2440:                             ;   in Loop: Header=BB6_136 Depth=3
	s_delay_alu instid0(VALU_DEP_2) | instskip(SKIP_1) | instid1(VALU_DEP_1)
	v_cmp_lt_u64_e32 vcc_lo, 0xffffff, v[2:3]
	v_add_nc_u32_e32 v4, 15, v7
	v_cndmask_b32_e32 v4, v5, v4, vcc_lo
	v_cndmask_b32_e64 v5, 0, 1, vcc_lo
	s_delay_alu instid0(VALU_DEP_1)
	v_lshrrev_b64 v[2:3], v5, v[2:3]
; %bb.2441:                             ;   in Loop: Header=BB6_136 Depth=3
	s_and_not1_saveexec_b32 s13, s13
; %bb.2442:                             ;   in Loop: Header=BB6_136 Depth=3
	s_delay_alu instid0(VALU_DEP_1)
	v_bfe_u32 v4, v2, 23, 1
; %bb.2443:                             ;   in Loop: Header=BB6_136 Depth=3
	s_or_b32 exec_lo, exec_lo, s13
	s_delay_alu instid0(VALU_DEP_2) | instskip(NEXT) | instid1(VALU_DEP_2)
	v_lshrrev_b64 v[2:3], 21, v[2:3]
	v_cmp_gt_i32_e32 vcc_lo, 32, v4
	v_min_i32_e32 v5, 31, v4
	v_cmp_eq_u32_e64 s13, 0, v4
	s_delay_alu instid0(VALU_DEP_2) | instskip(SKIP_1) | instid1(VALU_DEP_2)
	v_dual_cndmask_b32 v3, 0, v3, vcc_lo :: v_dual_lshlrev_b32 v5, 2, v5
	v_cndmask_b32_e32 v2, 3, v2, vcc_lo
	v_and_b32_e32 v5, 0xfc, v5
	s_delay_alu instid0(VALU_DEP_2) | instskip(NEXT) | instid1(VALU_DEP_2)
	v_cmp_eq_u64_e32 vcc_lo, 0, v[2:3]
	v_and_or_b32 v2, v2, 3, v5
	s_and_b32 s13, s13, vcc_lo
	s_delay_alu instid0(VALU_DEP_1) | instid1(SALU_CYCLE_1)
	v_cndmask_b32_e64 v2, v2, 0, s13
	s_delay_alu instid0(VALU_DEP_1)
	v_or_b32_e32 v90, v2, v1
.LBB6_2444:                             ;   in Loop: Header=BB6_136 Depth=3
	s_or_b32 exec_lo, exec_lo, s76
                                        ; implicit-def: $vgpr1
.LBB6_2445:                             ;   in Loop: Header=BB6_136 Depth=3
	s_and_not1_saveexec_b32 s13, s75
; %bb.2446:                             ;   in Loop: Header=BB6_136 Depth=3
	v_or_b32_e32 v90, 0x7b, v1
; %bb.2447:                             ;   in Loop: Header=BB6_136 Depth=3
	s_or_b32 exec_lo, exec_lo, s13
                                        ; implicit-def: $vgpr4
                                        ; implicit-def: $vgpr2_vgpr3
                                        ; implicit-def: $vgpr1
.LBB6_2448:                             ;   in Loop: Header=BB6_136 Depth=3
	s_and_not1_saveexec_b32 s13, s74
	s_cbranch_execz .LBB6_2454
; %bb.2449:                             ;   in Loop: Header=BB6_136 Depth=3
	s_mov_b32 s74, exec_lo
                                        ; implicit-def: $vgpr90
	v_cmpx_ne_u64_e32 0, v[2:3]
	s_xor_b32 s74, exec_lo, s74
; %bb.2450:                             ;   in Loop: Header=BB6_136 Depth=3
	v_or_b32_e32 v90, 0x7f, v1
                                        ; implicit-def: $vgpr4
; %bb.2451:                             ;   in Loop: Header=BB6_136 Depth=3
	s_and_not1_saveexec_b32 s74, s74
; %bb.2452:                             ;   in Loop: Header=BB6_136 Depth=3
	v_cmp_lt_i32_e32 vcc_lo, -1, v4
	v_mov_b32_e32 v1, 0x7c
	s_delay_alu instid0(VALU_DEP_1)
	v_cndmask_b32_e32 v90, 0xfc, v1, vcc_lo
; %bb.2453:                             ;   in Loop: Header=BB6_136 Depth=3
	s_or_b32 exec_lo, exec_lo, s74
.LBB6_2454:                             ;   in Loop: Header=BB6_136 Depth=3
	s_delay_alu instid0(SALU_CYCLE_1) | instskip(SKIP_3) | instid1(VALU_DEP_2)
	s_or_b32 exec_lo, exec_lo, s13
	v_lshrrev_b16 v2, 8, v0
	v_mov_b32_e32 v3, 0
	s_mov_b32 s74, exec_lo
	v_cmpx_ne_u16_e32 0, v2
	s_cbranch_execz .LBB6_2464
; %bb.2455:                             ;   in Loop: Header=BB6_136 Depth=3
	v_bfrev_b32_e32 v3, 1
	s_mov_b32 s75, exec_lo
	v_cmpx_ne_u16_e32 0x80, v2
	s_cbranch_execz .LBB6_2463
; %bb.2456:                             ;   in Loop: Header=BB6_136 Depth=3
	v_and_b32_e32 v1, 0xffff, v2
	s_delay_alu instid0(VALU_DEP_1) | instskip(SKIP_1) | instid1(VALU_DEP_2)
	v_and_b32_e32 v3, 0x7c, v1
	v_and_b32_e32 v4, 3, v1
	v_cmp_ne_u32_e32 vcc_lo, 0x7c, v3
                                        ; implicit-def: $vgpr3
	s_and_saveexec_b32 s13, vcc_lo
	s_delay_alu instid0(SALU_CYCLE_1)
	s_xor_b32 s13, exec_lo, s13
	s_cbranch_execz .LBB6_2460
; %bb.2457:                             ;   in Loop: Header=BB6_136 Depth=3
	v_bfe_u32 v1, v1, 2, 5
	s_mov_b32 s76, exec_lo
	s_delay_alu instid0(VALU_DEP_1)
	v_cmpx_eq_u32_e32 0, v1
	s_cbranch_execz .LBB6_2459
; %bb.2458:                             ;   in Loop: Header=BB6_136 Depth=3
	v_clz_i32_u32_e32 v1, v4
	s_delay_alu instid0(VALU_DEP_1) | instskip(SKIP_1) | instid1(VALU_DEP_2)
	v_min_u32_e32 v1, 32, v1
	v_mov_b32_e32 v3, v113
	v_subrev_nc_u32_e32 v4, 29, v1
	v_sub_nc_u32_e32 v1, 30, v1
	s_delay_alu instid0(VALU_DEP_2) | instskip(NEXT) | instid1(VALU_DEP_1)
	v_lshlrev_b64_e32 v[2:3], v4, v[2:3]
	v_and_b32_e32 v4, 3, v2
.LBB6_2459:                             ;   in Loop: Header=BB6_136 Depth=3
	s_or_b32 exec_lo, exec_lo, s76
	v_lshlrev_b32_e32 v0, 16, v0
	s_delay_alu instid0(VALU_DEP_1) | instskip(NEXT) | instid1(VALU_DEP_1)
	v_and_b32_e32 v0, 0x80000000, v0
	v_lshl_add_u32 v0, v1, 23, v0
	s_delay_alu instid0(VALU_DEP_1) | instskip(NEXT) | instid1(VALU_DEP_1)
	v_lshl_or_b32 v0, v4, 21, v0
                                        ; implicit-def: $vgpr4
	v_add_nc_u32_e32 v3, 0x38000000, v0
                                        ; implicit-def: $vgpr0_vgpr1
.LBB6_2460:                             ;   in Loop: Header=BB6_136 Depth=3
	s_and_not1_saveexec_b32 s76, s13
; %bb.2461:                             ;   in Loop: Header=BB6_136 Depth=3
	v_cmp_lt_i16_e64 s13, -1, v0
	v_mov_b32_e32 v0, 0x7f800000
	v_cmp_eq_u32_e32 vcc_lo, 0, v4
	s_delay_alu instid0(VALU_DEP_2) | instskip(NEXT) | instid1(VALU_DEP_1)
	v_cndmask_b32_e64 v0, 0xff800000, v0, s13
	v_cndmask_b32_e32 v3, 0x7f800001, v0, vcc_lo
; %bb.2462:                             ;   in Loop: Header=BB6_136 Depth=3
	s_or_b32 exec_lo, exec_lo, s76
.LBB6_2463:                             ;   in Loop: Header=BB6_136 Depth=3
	s_delay_alu instid0(SALU_CYCLE_1)
	s_or_b32 exec_lo, exec_lo, s75
.LBB6_2464:                             ;   in Loop: Header=BB6_136 Depth=3
	s_delay_alu instid0(SALU_CYCLE_1) | instskip(NEXT) | instid1(VALU_DEP_1)
	s_or_b32 exec_lo, exec_lo, s74
	v_dual_mul_f32 v2, s73, v3 :: v_dual_mov_b32 v5, v113
	v_mov_b32_e32 v1, v113
                                        ; implicit-def: $vgpr91
	s_mov_b32 s13, exec_lo
	s_delay_alu instid0(VALU_DEP_2) | instskip(SKIP_2) | instid1(VALU_DEP_3)
	v_and_b32_e32 v4, 0x7f800000, v2
	v_and_b32_e32 v0, 0x7fffff, v2
	v_lshrrev_b32_e32 v3, 24, v2
	v_cmpx_ne_u64_e32 0x7f800000, v[4:5]
	s_xor_b32 s74, exec_lo, s13
	s_cbranch_execz .LBB6_2478
; %bb.2465:                             ;   in Loop: Header=BB6_136 Depth=3
	v_and_b32_e32 v4, 0x7fffffff, v2
	v_mov_b32_e32 v5, v113
                                        ; implicit-def: $vgpr91
	s_delay_alu instid0(VALU_DEP_1) | instskip(SKIP_2) | instid1(SALU_CYCLE_1)
	v_cmp_gt_u64_e32 vcc_lo, 0x47600001, v[4:5]
	v_and_b32_e32 v4, 0x80, v3
	s_and_saveexec_b32 s13, vcc_lo
	s_xor_b32 s75, exec_lo, s13
	s_cbranch_execz .LBB6_2475
; %bb.2466:                             ;   in Loop: Header=BB6_136 Depth=3
	v_mov_b32_e32 v91, 0
	s_mov_b32 s76, exec_lo
	v_cmpx_ne_u32_e32 0, v2
	s_cbranch_execz .LBB6_2474
; %bb.2467:                             ;   in Loop: Header=BB6_136 Depth=3
	v_bfe_u32 v5, v2, 23, 8
	v_or_b32_e32 v3, 0x800000, v0
	s_delay_alu instid0(VALU_DEP_2) | instskip(SKIP_2) | instid1(VALU_DEP_2)
	v_cmp_gt_u32_e64 s13, 0x72, v5
	v_sub_nc_u32_e32 v2, 0x71, v5
	v_cmp_eq_u32_e32 vcc_lo, 0, v5
	v_dual_cndmask_b32 v2, 0, v2, s13 :: v_dual_cndmask_b32 v0, v3, v0, vcc_lo
	s_delay_alu instid0(VALU_DEP_1) | instskip(NEXT) | instid1(VALU_DEP_1)
	v_cndmask_b32_e64 v7, v2, 0x70, vcc_lo
	v_dual_add_nc_u32 v2, 21, v7 :: v_dual_add_nc_u32 v8, 20, v7
	s_delay_alu instid0(VALU_DEP_1) | instskip(NEXT) | instid1(VALU_DEP_2)
	v_lshlrev_b64_e64 v[2:3], v2, -1
	v_lshlrev_b64_e64 v[8:9], v8, 1
	s_delay_alu instid0(VALU_DEP_2) | instskip(SKIP_1) | instid1(VALU_DEP_4)
	v_bfi_b32 v2, v2, 0, v0
	v_lshrrev_b64 v[0:1], v7, v[0:1]
	v_bfi_b32 v3, v3, 0, 0
	s_delay_alu instid0(VALU_DEP_1) | instskip(NEXT) | instid1(VALU_DEP_3)
	v_cmp_eq_u64_e64 s13, v[2:3], v[8:9]
	v_mov_b64_e32 v[2:3], v[0:1]
	s_and_saveexec_b32 s77, s13
; %bb.2468:                             ;   in Loop: Header=BB6_136 Depth=3
	v_bfe_u32 v2, v0, 21, 1
	v_mov_b32_e32 v3, v113
	s_delay_alu instid0(VALU_DEP_1) | instskip(NEXT) | instid1(VALU_DEP_1)
	v_add_nc_u64_e32 v[2:3], v[0:1], v[2:3]
	v_add_nc_u64_e32 v[2:3], -1, v[2:3]
; %bb.2469:                             ;   in Loop: Header=BB6_136 Depth=3
	s_or_b32 exec_lo, exec_lo, s77
	v_add_nc_u32_e32 v1, 0xffffff81, v5
	v_lshrrev_b32_e32 v3, 23, v0
	s_mov_b32 s13, exec_lo
	s_delay_alu instid0(VALU_DEP_2) | instskip(NEXT) | instid1(VALU_DEP_1)
	v_cndmask_b32_e64 v1, v1, 0xffffff82, vcc_lo
	v_add3_u32 v5, v7, v1, v3
	v_and_b32_e32 v1, 0x1fffff, v2
                                        ; implicit-def: $vgpr2
	s_delay_alu instid0(VALU_DEP_1) | instskip(SKIP_1) | instid1(VALU_DEP_2)
	v_dual_add_nc_u32 v3, 14, v5 :: v_dual_add_nc_u32 v0, v1, v0
	v_mov_b32_e32 v1, v113
	v_cmpx_ne_u32_e32 0, v3
	s_xor_b32 s13, exec_lo, s13
; %bb.2470:                             ;   in Loop: Header=BB6_136 Depth=3
	s_delay_alu instid0(VALU_DEP_2) | instskip(SKIP_1) | instid1(VALU_DEP_1)
	v_cmp_lt_u64_e32 vcc_lo, 0xffffff, v[0:1]
	v_add_nc_u32_e32 v2, 15, v5
	v_cndmask_b32_e32 v2, v3, v2, vcc_lo
	v_cndmask_b32_e64 v3, 0, 1, vcc_lo
	s_delay_alu instid0(VALU_DEP_1)
	v_lshrrev_b64 v[0:1], v3, v[0:1]
; %bb.2471:                             ;   in Loop: Header=BB6_136 Depth=3
	s_and_not1_saveexec_b32 s13, s13
; %bb.2472:                             ;   in Loop: Header=BB6_136 Depth=3
	s_delay_alu instid0(VALU_DEP_1)
	v_bfe_u32 v2, v0, 23, 1
; %bb.2473:                             ;   in Loop: Header=BB6_136 Depth=3
	s_or_b32 exec_lo, exec_lo, s13
	s_delay_alu instid0(VALU_DEP_2) | instskip(NEXT) | instid1(VALU_DEP_2)
	v_lshrrev_b64 v[0:1], 21, v[0:1]
	v_cmp_gt_i32_e32 vcc_lo, 32, v2
	v_min_i32_e32 v3, 31, v2
	v_cmp_eq_u32_e64 s13, 0, v2
	s_delay_alu instid0(VALU_DEP_2) | instskip(SKIP_1) | instid1(VALU_DEP_2)
	v_dual_cndmask_b32 v1, 0, v1, vcc_lo :: v_dual_lshlrev_b32 v3, 2, v3
	v_cndmask_b32_e32 v0, 3, v0, vcc_lo
	v_and_b32_e32 v3, 0xfc, v3
	s_delay_alu instid0(VALU_DEP_2) | instskip(NEXT) | instid1(VALU_DEP_2)
	v_cmp_eq_u64_e32 vcc_lo, 0, v[0:1]
	v_and_or_b32 v0, v0, 3, v3
	s_and_b32 s13, s13, vcc_lo
	s_delay_alu instid0(VALU_DEP_1) | instid1(SALU_CYCLE_1)
	v_cndmask_b32_e64 v0, v0, 0, s13
	s_delay_alu instid0(VALU_DEP_1)
	v_or_b32_e32 v91, v0, v4
.LBB6_2474:                             ;   in Loop: Header=BB6_136 Depth=3
	s_or_b32 exec_lo, exec_lo, s76
                                        ; implicit-def: $vgpr4
.LBB6_2475:                             ;   in Loop: Header=BB6_136 Depth=3
	s_and_not1_saveexec_b32 s13, s75
; %bb.2476:                             ;   in Loop: Header=BB6_136 Depth=3
	v_or_b32_e32 v91, 0x7b, v4
; %bb.2477:                             ;   in Loop: Header=BB6_136 Depth=3
	s_or_b32 exec_lo, exec_lo, s13
                                        ; implicit-def: $vgpr2
                                        ; implicit-def: $vgpr0_vgpr1
                                        ; implicit-def: $vgpr3
.LBB6_2478:                             ;   in Loop: Header=BB6_136 Depth=3
	s_and_not1_saveexec_b32 s13, s74
	s_cbranch_execz .LBB6_2484
; %bb.2479:                             ;   in Loop: Header=BB6_136 Depth=3
	s_mov_b32 s74, exec_lo
                                        ; implicit-def: $vgpr91
	v_cmpx_ne_u64_e32 0, v[0:1]
	s_xor_b32 s74, exec_lo, s74
; %bb.2480:                             ;   in Loop: Header=BB6_136 Depth=3
	v_or_b32_e32 v91, 0x7f, v3
                                        ; implicit-def: $vgpr2
; %bb.2481:                             ;   in Loop: Header=BB6_136 Depth=3
	s_and_not1_saveexec_b32 s74, s74
; %bb.2482:                             ;   in Loop: Header=BB6_136 Depth=3
	v_cmp_lt_i32_e32 vcc_lo, -1, v2
	v_mov_b32_e32 v0, 0x7c
	s_delay_alu instid0(VALU_DEP_1)
	v_cndmask_b32_e32 v91, 0xfc, v0, vcc_lo
; %bb.2483:                             ;   in Loop: Header=BB6_136 Depth=3
	s_or_b32 exec_lo, exec_lo, s74
.LBB6_2484:                             ;   in Loop: Header=BB6_136 Depth=3
	s_delay_alu instid0(SALU_CYCLE_1) | instskip(SKIP_2) | instid1(VALU_DEP_1)
	s_or_b32 exec_lo, exec_lo, s13
	v_dual_mov_b32 v1, 0 :: v_dual_lshrrev_b32 v0, 16, v11
	s_mov_b32 s74, exec_lo
	v_and_b32_e32 v2, 0xff, v0
	s_delay_alu instid0(VALU_DEP_1)
	v_cmpx_ne_u16_e32 0, v2
	s_cbranch_execz .LBB6_2494
; %bb.2485:                             ;   in Loop: Header=BB6_136 Depth=3
	v_bfrev_b32_e32 v1, 1
	s_mov_b32 s75, exec_lo
	v_cmpx_ne_u16_e32 0x80, v2
	s_cbranch_execz .LBB6_2493
; %bb.2486:                             ;   in Loop: Header=BB6_136 Depth=3
	v_and_b32_e32 v1, 0x7c0000, v11
	v_bfe_u32 v2, v11, 16, 2
	s_delay_alu instid0(VALU_DEP_2) | instskip(SKIP_1) | instid1(SALU_CYCLE_1)
	v_cmp_ne_u32_e32 vcc_lo, 0x7c0000, v1
                                        ; implicit-def: $vgpr1
	s_and_saveexec_b32 s13, vcc_lo
	s_xor_b32 s13, exec_lo, s13
	s_cbranch_execz .LBB6_2490
; %bb.2487:                             ;   in Loop: Header=BB6_136 Depth=3
	v_bfe_u32 v1, v11, 18, 5
	s_mov_b32 s76, exec_lo
	s_delay_alu instid0(VALU_DEP_1)
	v_cmpx_eq_u32_e32 0, v1
; %bb.2488:                             ;   in Loop: Header=BB6_136 Depth=3
	v_clz_i32_u32_e32 v1, v2
	s_delay_alu instid0(VALU_DEP_1) | instskip(NEXT) | instid1(VALU_DEP_1)
	v_min_u32_e32 v1, 32, v1
	v_subrev_nc_u32_e32 v2, 29, v1
	s_delay_alu instid0(VALU_DEP_1) | instskip(NEXT) | instid1(VALU_DEP_1)
	v_lshlrev_b64_e32 v[2:3], v2, v[0:1]
	v_dual_sub_nc_u32 v1, 30, v1 :: v_dual_bitop2_b32 v2, 3, v2 bitop3:0x40
; %bb.2489:                             ;   in Loop: Header=BB6_136 Depth=3
	s_or_b32 exec_lo, exec_lo, s76
	v_lshlrev_b32_e32 v0, 24, v0
	s_delay_alu instid0(VALU_DEP_1) | instskip(NEXT) | instid1(VALU_DEP_1)
	v_and_b32_e32 v0, 0x80000000, v0
	v_lshl_add_u32 v0, v1, 23, v0
	s_delay_alu instid0(VALU_DEP_1) | instskip(NEXT) | instid1(VALU_DEP_1)
	v_lshl_or_b32 v0, v2, 21, v0
                                        ; implicit-def: $vgpr2
	v_add_nc_u32_e32 v1, 0x38000000, v0
                                        ; implicit-def: $vgpr0
.LBB6_2490:                             ;   in Loop: Header=BB6_136 Depth=3
	s_and_not1_saveexec_b32 s76, s13
; %bb.2491:                             ;   in Loop: Header=BB6_136 Depth=3
	v_bfe_i32 v0, v0, 0, 8
	v_cmp_eq_u32_e32 vcc_lo, 0, v2
	s_delay_alu instid0(VALU_DEP_2) | instskip(SKIP_1) | instid1(VALU_DEP_1)
	v_cmp_lt_i16_e64 s13, -1, v0
	v_mov_b32_e32 v0, 0x7f800000
	v_cndmask_b32_e64 v0, 0xff800000, v0, s13
	s_delay_alu instid0(VALU_DEP_1)
	v_cndmask_b32_e32 v1, 0x7f800001, v0, vcc_lo
; %bb.2492:                             ;   in Loop: Header=BB6_136 Depth=3
	s_or_b32 exec_lo, exec_lo, s76
.LBB6_2493:                             ;   in Loop: Header=BB6_136 Depth=3
	s_delay_alu instid0(SALU_CYCLE_1)
	s_or_b32 exec_lo, exec_lo, s75
.LBB6_2494:                             ;   in Loop: Header=BB6_136 Depth=3
	s_delay_alu instid0(SALU_CYCLE_1) | instskip(NEXT) | instid1(VALU_DEP_1)
	s_or_b32 exec_lo, exec_lo, s74
	v_dual_mul_f32 v2, s73, v1 :: v_dual_mov_b32 v5, v113
	v_mov_b32_e32 v1, v113
                                        ; implicit-def: $vgpr92
	s_mov_b32 s13, exec_lo
	s_delay_alu instid0(VALU_DEP_2) | instskip(SKIP_2) | instid1(VALU_DEP_3)
	v_and_b32_e32 v4, 0x7f800000, v2
	v_and_b32_e32 v0, 0x7fffff, v2
	v_lshrrev_b32_e32 v3, 24, v2
	v_cmpx_ne_u64_e32 0x7f800000, v[4:5]
	s_xor_b32 s74, exec_lo, s13
	s_cbranch_execz .LBB6_2508
; %bb.2495:                             ;   in Loop: Header=BB6_136 Depth=3
	v_and_b32_e32 v4, 0x7fffffff, v2
	v_mov_b32_e32 v5, v113
                                        ; implicit-def: $vgpr92
	s_delay_alu instid0(VALU_DEP_1) | instskip(SKIP_2) | instid1(SALU_CYCLE_1)
	v_cmp_gt_u64_e32 vcc_lo, 0x47600001, v[4:5]
	v_and_b32_e32 v4, 0x80, v3
	s_and_saveexec_b32 s13, vcc_lo
	s_xor_b32 s75, exec_lo, s13
	s_cbranch_execz .LBB6_2505
; %bb.2496:                             ;   in Loop: Header=BB6_136 Depth=3
	v_mov_b32_e32 v92, 0
	s_mov_b32 s76, exec_lo
	v_cmpx_ne_u32_e32 0, v2
	s_cbranch_execz .LBB6_2504
; %bb.2497:                             ;   in Loop: Header=BB6_136 Depth=3
	v_bfe_u32 v5, v2, 23, 8
	v_or_b32_e32 v3, 0x800000, v0
	s_delay_alu instid0(VALU_DEP_2) | instskip(SKIP_2) | instid1(VALU_DEP_2)
	v_cmp_gt_u32_e64 s13, 0x72, v5
	v_sub_nc_u32_e32 v2, 0x71, v5
	v_cmp_eq_u32_e32 vcc_lo, 0, v5
	v_dual_cndmask_b32 v2, 0, v2, s13 :: v_dual_cndmask_b32 v0, v3, v0, vcc_lo
	s_delay_alu instid0(VALU_DEP_1) | instskip(NEXT) | instid1(VALU_DEP_1)
	v_cndmask_b32_e64 v7, v2, 0x70, vcc_lo
	v_dual_add_nc_u32 v2, 21, v7 :: v_dual_add_nc_u32 v8, 20, v7
	s_delay_alu instid0(VALU_DEP_1) | instskip(NEXT) | instid1(VALU_DEP_2)
	v_lshlrev_b64_e64 v[2:3], v2, -1
	v_lshlrev_b64_e64 v[8:9], v8, 1
	s_delay_alu instid0(VALU_DEP_2) | instskip(SKIP_1) | instid1(VALU_DEP_4)
	v_bfi_b32 v2, v2, 0, v0
	v_lshrrev_b64 v[0:1], v7, v[0:1]
	v_bfi_b32 v3, v3, 0, 0
	s_delay_alu instid0(VALU_DEP_1) | instskip(NEXT) | instid1(VALU_DEP_3)
	v_cmp_eq_u64_e64 s13, v[2:3], v[8:9]
	v_mov_b64_e32 v[2:3], v[0:1]
	s_and_saveexec_b32 s77, s13
; %bb.2498:                             ;   in Loop: Header=BB6_136 Depth=3
	v_bfe_u32 v2, v0, 21, 1
	v_mov_b32_e32 v3, v113
	s_delay_alu instid0(VALU_DEP_1) | instskip(NEXT) | instid1(VALU_DEP_1)
	v_add_nc_u64_e32 v[2:3], v[0:1], v[2:3]
	v_add_nc_u64_e32 v[2:3], -1, v[2:3]
; %bb.2499:                             ;   in Loop: Header=BB6_136 Depth=3
	s_or_b32 exec_lo, exec_lo, s77
	v_add_nc_u32_e32 v1, 0xffffff81, v5
	v_lshrrev_b32_e32 v3, 23, v0
	s_mov_b32 s13, exec_lo
	s_delay_alu instid0(VALU_DEP_2) | instskip(NEXT) | instid1(VALU_DEP_1)
	v_cndmask_b32_e64 v1, v1, 0xffffff82, vcc_lo
	v_add3_u32 v5, v7, v1, v3
	v_and_b32_e32 v1, 0x1fffff, v2
                                        ; implicit-def: $vgpr2
	s_delay_alu instid0(VALU_DEP_1) | instskip(SKIP_1) | instid1(VALU_DEP_2)
	v_dual_add_nc_u32 v3, 14, v5 :: v_dual_add_nc_u32 v0, v1, v0
	v_mov_b32_e32 v1, v113
	v_cmpx_ne_u32_e32 0, v3
	s_xor_b32 s13, exec_lo, s13
; %bb.2500:                             ;   in Loop: Header=BB6_136 Depth=3
	s_delay_alu instid0(VALU_DEP_2) | instskip(SKIP_1) | instid1(VALU_DEP_1)
	v_cmp_lt_u64_e32 vcc_lo, 0xffffff, v[0:1]
	v_add_nc_u32_e32 v2, 15, v5
	v_cndmask_b32_e32 v2, v3, v2, vcc_lo
	v_cndmask_b32_e64 v3, 0, 1, vcc_lo
	s_delay_alu instid0(VALU_DEP_1)
	v_lshrrev_b64 v[0:1], v3, v[0:1]
; %bb.2501:                             ;   in Loop: Header=BB6_136 Depth=3
	s_and_not1_saveexec_b32 s13, s13
; %bb.2502:                             ;   in Loop: Header=BB6_136 Depth=3
	s_delay_alu instid0(VALU_DEP_1)
	v_bfe_u32 v2, v0, 23, 1
; %bb.2503:                             ;   in Loop: Header=BB6_136 Depth=3
	s_or_b32 exec_lo, exec_lo, s13
	s_delay_alu instid0(VALU_DEP_2) | instskip(NEXT) | instid1(VALU_DEP_2)
	v_lshrrev_b64 v[0:1], 21, v[0:1]
	v_cmp_gt_i32_e32 vcc_lo, 32, v2
	v_min_i32_e32 v3, 31, v2
	v_cmp_eq_u32_e64 s13, 0, v2
	s_delay_alu instid0(VALU_DEP_2) | instskip(SKIP_1) | instid1(VALU_DEP_2)
	v_dual_cndmask_b32 v1, 0, v1, vcc_lo :: v_dual_lshlrev_b32 v3, 2, v3
	v_cndmask_b32_e32 v0, 3, v0, vcc_lo
	v_and_b32_e32 v3, 0xfc, v3
	s_delay_alu instid0(VALU_DEP_2) | instskip(NEXT) | instid1(VALU_DEP_2)
	v_cmp_eq_u64_e32 vcc_lo, 0, v[0:1]
	v_and_or_b32 v0, v0, 3, v3
	s_and_b32 s13, s13, vcc_lo
	s_delay_alu instid0(VALU_DEP_1) | instid1(SALU_CYCLE_1)
	v_cndmask_b32_e64 v0, v0, 0, s13
	s_delay_alu instid0(VALU_DEP_1)
	v_or_b32_e32 v92, v0, v4
.LBB6_2504:                             ;   in Loop: Header=BB6_136 Depth=3
	s_or_b32 exec_lo, exec_lo, s76
                                        ; implicit-def: $vgpr4
.LBB6_2505:                             ;   in Loop: Header=BB6_136 Depth=3
	s_and_not1_saveexec_b32 s13, s75
; %bb.2506:                             ;   in Loop: Header=BB6_136 Depth=3
	v_or_b32_e32 v92, 0x7b, v4
; %bb.2507:                             ;   in Loop: Header=BB6_136 Depth=3
	s_or_b32 exec_lo, exec_lo, s13
                                        ; implicit-def: $vgpr2
                                        ; implicit-def: $vgpr0_vgpr1
                                        ; implicit-def: $vgpr3
.LBB6_2508:                             ;   in Loop: Header=BB6_136 Depth=3
	s_and_not1_saveexec_b32 s13, s74
	s_cbranch_execz .LBB6_2514
; %bb.2509:                             ;   in Loop: Header=BB6_136 Depth=3
	s_mov_b32 s74, exec_lo
                                        ; implicit-def: $vgpr92
	v_cmpx_ne_u64_e32 0, v[0:1]
	s_xor_b32 s74, exec_lo, s74
; %bb.2510:                             ;   in Loop: Header=BB6_136 Depth=3
	v_or_b32_e32 v92, 0x7f, v3
                                        ; implicit-def: $vgpr2
; %bb.2511:                             ;   in Loop: Header=BB6_136 Depth=3
	s_and_not1_saveexec_b32 s74, s74
; %bb.2512:                             ;   in Loop: Header=BB6_136 Depth=3
	v_cmp_lt_i32_e32 vcc_lo, -1, v2
	v_mov_b32_e32 v0, 0x7c
	s_delay_alu instid0(VALU_DEP_1)
	v_cndmask_b32_e32 v92, 0xfc, v0, vcc_lo
; %bb.2513:                             ;   in Loop: Header=BB6_136 Depth=3
	s_or_b32 exec_lo, exec_lo, s74
.LBB6_2514:                             ;   in Loop: Header=BB6_136 Depth=3
	s_delay_alu instid0(SALU_CYCLE_1)
	s_or_b32 exec_lo, exec_lo, s13
	v_mov_b32_e32 v1, 0
	s_mov_b32 s74, exec_lo
	v_cmpx_lt_u64_e64 s[22:23], v[10:11]
	s_cbranch_execz .LBB6_2524
; %bb.2515:                             ;   in Loop: Header=BB6_136 Depth=3
	v_lshrrev_b32_e32 v0, 24, v11
	v_bfrev_b32_e32 v1, 1
	s_mov_b32 s75, exec_lo
	s_delay_alu instid0(VALU_DEP_2)
	v_cmpx_ne_u32_e32 0x80, v0
	s_cbranch_execz .LBB6_2523
; %bb.2516:                             ;   in Loop: Header=BB6_136 Depth=3
	v_and_b32_e32 v1, 0x7c000000, v11
	v_bfe_u32 v2, v11, 24, 2
	s_delay_alu instid0(VALU_DEP_2) | instskip(SKIP_1) | instid1(SALU_CYCLE_1)
	v_cmp_ne_u32_e32 vcc_lo, 0x7c000000, v1
                                        ; implicit-def: $vgpr1
	s_and_saveexec_b32 s13, vcc_lo
	s_xor_b32 s13, exec_lo, s13
	s_cbranch_execz .LBB6_2520
; %bb.2517:                             ;   in Loop: Header=BB6_136 Depth=3
	v_bfe_u32 v1, v11, 26, 5
	s_mov_b32 s76, exec_lo
	s_delay_alu instid0(VALU_DEP_1)
	v_cmpx_eq_u32_e32 0, v1
; %bb.2518:                             ;   in Loop: Header=BB6_136 Depth=3
	v_clz_i32_u32_e32 v1, v2
	s_delay_alu instid0(VALU_DEP_1) | instskip(NEXT) | instid1(VALU_DEP_1)
	v_min_u32_e32 v2, 32, v1
	v_subrev_nc_u32_e32 v1, 29, v2
	s_delay_alu instid0(VALU_DEP_1) | instskip(NEXT) | instid1(VALU_DEP_1)
	v_lshlrev_b64_e32 v[0:1], v1, v[0:1]
	v_dual_sub_nc_u32 v1, 30, v2 :: v_dual_bitop2_b32 v2, 3, v0 bitop3:0x40
; %bb.2519:                             ;   in Loop: Header=BB6_136 Depth=3
	s_or_b32 exec_lo, exec_lo, s76
	v_and_b32_e32 v0, 0x80000000, v11
                                        ; implicit-def: $vgpr10_vgpr11
	s_delay_alu instid0(VALU_DEP_1) | instskip(NEXT) | instid1(VALU_DEP_1)
	v_lshl_add_u32 v0, v1, 23, v0
	v_lshl_or_b32 v0, v2, 21, v0
                                        ; implicit-def: $vgpr2
	s_delay_alu instid0(VALU_DEP_1)
	v_add_nc_u32_e32 v1, 0x38000000, v0
.LBB6_2520:                             ;   in Loop: Header=BB6_136 Depth=3
	s_and_not1_saveexec_b32 s76, s13
; %bb.2521:                             ;   in Loop: Header=BB6_136 Depth=3
	v_cmp_lt_i64_e64 s13, -1, v[10:11]
	v_mov_b32_e32 v0, 0x7f800000
	v_cmp_eq_u32_e32 vcc_lo, 0, v2
	s_delay_alu instid0(VALU_DEP_2) | instskip(NEXT) | instid1(VALU_DEP_1)
	v_cndmask_b32_e64 v0, 0xff800000, v0, s13
	v_cndmask_b32_e32 v1, 0x7f800001, v0, vcc_lo
; %bb.2522:                             ;   in Loop: Header=BB6_136 Depth=3
	s_or_b32 exec_lo, exec_lo, s76
.LBB6_2523:                             ;   in Loop: Header=BB6_136 Depth=3
	s_delay_alu instid0(SALU_CYCLE_1)
	s_or_b32 exec_lo, exec_lo, s75
.LBB6_2524:                             ;   in Loop: Header=BB6_136 Depth=3
	s_delay_alu instid0(SALU_CYCLE_1) | instskip(NEXT) | instid1(VALU_DEP_1)
	s_or_b32 exec_lo, exec_lo, s74
	v_dual_mul_f32 v2, s73, v1 :: v_dual_mov_b32 v5, v113
	v_mov_b32_e32 v1, v113
                                        ; implicit-def: $vgpr93
	s_mov_b32 s13, exec_lo
	s_delay_alu instid0(VALU_DEP_2) | instskip(SKIP_2) | instid1(VALU_DEP_3)
	v_and_b32_e32 v4, 0x7f800000, v2
	v_and_b32_e32 v0, 0x7fffff, v2
	v_lshrrev_b32_e32 v3, 24, v2
	v_cmpx_ne_u64_e32 0x7f800000, v[4:5]
	s_xor_b32 s74, exec_lo, s13
	s_cbranch_execz .LBB6_2538
; %bb.2525:                             ;   in Loop: Header=BB6_136 Depth=3
	v_and_b32_e32 v4, 0x7fffffff, v2
	v_mov_b32_e32 v5, v113
                                        ; implicit-def: $vgpr93
	s_delay_alu instid0(VALU_DEP_1) | instskip(SKIP_2) | instid1(SALU_CYCLE_1)
	v_cmp_gt_u64_e32 vcc_lo, 0x47600001, v[4:5]
	v_and_b32_e32 v4, 0x80, v3
	s_and_saveexec_b32 s13, vcc_lo
	s_xor_b32 s75, exec_lo, s13
	s_cbranch_execz .LBB6_2535
; %bb.2526:                             ;   in Loop: Header=BB6_136 Depth=3
	v_mov_b32_e32 v93, 0
	s_mov_b32 s76, exec_lo
	v_cmpx_ne_u32_e32 0, v2
	s_cbranch_execz .LBB6_2534
; %bb.2527:                             ;   in Loop: Header=BB6_136 Depth=3
	v_bfe_u32 v5, v2, 23, 8
	v_or_b32_e32 v3, 0x800000, v0
	s_delay_alu instid0(VALU_DEP_2) | instskip(SKIP_2) | instid1(VALU_DEP_2)
	v_cmp_gt_u32_e64 s13, 0x72, v5
	v_sub_nc_u32_e32 v2, 0x71, v5
	v_cmp_eq_u32_e32 vcc_lo, 0, v5
	v_dual_cndmask_b32 v2, 0, v2, s13 :: v_dual_cndmask_b32 v0, v3, v0, vcc_lo
	s_delay_alu instid0(VALU_DEP_1) | instskip(NEXT) | instid1(VALU_DEP_1)
	v_cndmask_b32_e64 v7, v2, 0x70, vcc_lo
	v_dual_add_nc_u32 v2, 21, v7 :: v_dual_add_nc_u32 v8, 20, v7
	s_delay_alu instid0(VALU_DEP_1) | instskip(NEXT) | instid1(VALU_DEP_2)
	v_lshlrev_b64_e64 v[2:3], v2, -1
	v_lshlrev_b64_e64 v[8:9], v8, 1
	s_delay_alu instid0(VALU_DEP_2) | instskip(SKIP_1) | instid1(VALU_DEP_4)
	v_bfi_b32 v2, v2, 0, v0
	v_lshrrev_b64 v[0:1], v7, v[0:1]
	v_bfi_b32 v3, v3, 0, 0
	s_delay_alu instid0(VALU_DEP_1) | instskip(NEXT) | instid1(VALU_DEP_3)
	v_cmp_eq_u64_e64 s13, v[2:3], v[8:9]
	v_mov_b64_e32 v[2:3], v[0:1]
	s_and_saveexec_b32 s77, s13
; %bb.2528:                             ;   in Loop: Header=BB6_136 Depth=3
	v_bfe_u32 v2, v0, 21, 1
	v_mov_b32_e32 v3, v113
	s_delay_alu instid0(VALU_DEP_1) | instskip(NEXT) | instid1(VALU_DEP_1)
	v_add_nc_u64_e32 v[2:3], v[0:1], v[2:3]
	v_add_nc_u64_e32 v[2:3], -1, v[2:3]
; %bb.2529:                             ;   in Loop: Header=BB6_136 Depth=3
	s_or_b32 exec_lo, exec_lo, s77
	v_add_nc_u32_e32 v1, 0xffffff81, v5
	v_lshrrev_b32_e32 v3, 23, v0
	s_mov_b32 s13, exec_lo
	s_delay_alu instid0(VALU_DEP_2) | instskip(NEXT) | instid1(VALU_DEP_1)
	v_cndmask_b32_e64 v1, v1, 0xffffff82, vcc_lo
	v_add3_u32 v5, v7, v1, v3
	v_and_b32_e32 v1, 0x1fffff, v2
                                        ; implicit-def: $vgpr2
	s_delay_alu instid0(VALU_DEP_1) | instskip(SKIP_1) | instid1(VALU_DEP_2)
	v_dual_add_nc_u32 v3, 14, v5 :: v_dual_add_nc_u32 v0, v1, v0
	v_mov_b32_e32 v1, v113
	v_cmpx_ne_u32_e32 0, v3
	s_xor_b32 s13, exec_lo, s13
; %bb.2530:                             ;   in Loop: Header=BB6_136 Depth=3
	s_delay_alu instid0(VALU_DEP_2) | instskip(SKIP_1) | instid1(VALU_DEP_1)
	v_cmp_lt_u64_e32 vcc_lo, 0xffffff, v[0:1]
	v_add_nc_u32_e32 v2, 15, v5
	v_cndmask_b32_e32 v2, v3, v2, vcc_lo
	v_cndmask_b32_e64 v3, 0, 1, vcc_lo
	s_delay_alu instid0(VALU_DEP_1)
	v_lshrrev_b64 v[0:1], v3, v[0:1]
; %bb.2531:                             ;   in Loop: Header=BB6_136 Depth=3
	s_and_not1_saveexec_b32 s13, s13
; %bb.2532:                             ;   in Loop: Header=BB6_136 Depth=3
	s_delay_alu instid0(VALU_DEP_1)
	v_bfe_u32 v2, v0, 23, 1
; %bb.2533:                             ;   in Loop: Header=BB6_136 Depth=3
	s_or_b32 exec_lo, exec_lo, s13
	s_delay_alu instid0(VALU_DEP_2) | instskip(NEXT) | instid1(VALU_DEP_2)
	v_lshrrev_b64 v[0:1], 21, v[0:1]
	v_cmp_gt_i32_e32 vcc_lo, 32, v2
	v_min_i32_e32 v3, 31, v2
	v_cmp_eq_u32_e64 s13, 0, v2
	s_delay_alu instid0(VALU_DEP_2) | instskip(SKIP_1) | instid1(VALU_DEP_2)
	v_dual_cndmask_b32 v1, 0, v1, vcc_lo :: v_dual_lshlrev_b32 v3, 2, v3
	v_cndmask_b32_e32 v0, 3, v0, vcc_lo
	v_and_b32_e32 v3, 0xfc, v3
	s_delay_alu instid0(VALU_DEP_2) | instskip(NEXT) | instid1(VALU_DEP_2)
	v_cmp_eq_u64_e32 vcc_lo, 0, v[0:1]
	v_and_or_b32 v0, v0, 3, v3
	s_and_b32 s13, s13, vcc_lo
	s_delay_alu instid0(VALU_DEP_1) | instid1(SALU_CYCLE_1)
	v_cndmask_b32_e64 v0, v0, 0, s13
	s_delay_alu instid0(VALU_DEP_1)
	v_or_b32_e32 v93, v0, v4
.LBB6_2534:                             ;   in Loop: Header=BB6_136 Depth=3
	s_or_b32 exec_lo, exec_lo, s76
                                        ; implicit-def: $vgpr4
.LBB6_2535:                             ;   in Loop: Header=BB6_136 Depth=3
	s_and_not1_saveexec_b32 s13, s75
; %bb.2536:                             ;   in Loop: Header=BB6_136 Depth=3
	v_or_b32_e32 v93, 0x7b, v4
; %bb.2537:                             ;   in Loop: Header=BB6_136 Depth=3
	s_or_b32 exec_lo, exec_lo, s13
                                        ; implicit-def: $vgpr2
                                        ; implicit-def: $vgpr0_vgpr1
                                        ; implicit-def: $vgpr3
.LBB6_2538:                             ;   in Loop: Header=BB6_136 Depth=3
	s_and_not1_saveexec_b32 s13, s74
	s_cbranch_execz .LBB6_2544
; %bb.2539:                             ;   in Loop: Header=BB6_136 Depth=3
	s_mov_b32 s74, exec_lo
                                        ; implicit-def: $vgpr93
	v_cmpx_ne_u64_e32 0, v[0:1]
	s_xor_b32 s74, exec_lo, s74
; %bb.2540:                             ;   in Loop: Header=BB6_136 Depth=3
	v_or_b32_e32 v93, 0x7f, v3
                                        ; implicit-def: $vgpr2
; %bb.2541:                             ;   in Loop: Header=BB6_136 Depth=3
	s_and_not1_saveexec_b32 s74, s74
; %bb.2542:                             ;   in Loop: Header=BB6_136 Depth=3
	v_cmp_lt_i32_e32 vcc_lo, -1, v2
	v_mov_b32_e32 v0, 0x7c
	s_delay_alu instid0(VALU_DEP_1)
	v_cndmask_b32_e32 v93, 0xfc, v0, vcc_lo
; %bb.2543:                             ;   in Loop: Header=BB6_136 Depth=3
	s_or_b32 exec_lo, exec_lo, s74
.LBB6_2544:                             ;   in Loop: Header=BB6_136 Depth=3
	s_delay_alu instid0(SALU_CYCLE_1) | instskip(SKIP_3) | instid1(VALU_DEP_1)
	s_or_b32 exec_lo, exec_lo, s13
	global_load_b128 v[8:11], v[12:13], off offset:2560 th:TH_LOAD_NT
	s_wait_loadcnt 0x0
	v_and_b32_e32 v0, 0xff, v8
	v_cmp_ne_u16_e32 vcc_lo, 0, v0
	v_mov_b32_e32 v0, 0
	s_wait_xcnt 0x0
	s_and_saveexec_b32 s74, vcc_lo
	s_cbranch_execz .LBB6_2554
; %bb.2545:                             ;   in Loop: Header=BB6_136 Depth=3
	v_bfe_i32 v2, v8, 0, 8
	v_bfrev_b32_e32 v0, 1
	s_mov_b32 s75, exec_lo
	s_delay_alu instid0(VALU_DEP_2)
	v_cmpx_ne_u16_e32 0xff80, v2
	s_cbranch_execz .LBB6_2553
; %bb.2546:                             ;   in Loop: Header=BB6_136 Depth=3
	v_and_b32_e32 v0, 0x7c, v8
	v_and_b32_e32 v1, 3, v8
	s_delay_alu instid0(VALU_DEP_2) | instskip(SKIP_1) | instid1(SALU_CYCLE_1)
	v_cmp_ne_u32_e32 vcc_lo, 0x7c, v0
                                        ; implicit-def: $vgpr0
	s_and_saveexec_b32 s13, vcc_lo
	s_xor_b32 s13, exec_lo, s13
	s_cbranch_execz .LBB6_2550
; %bb.2547:                             ;   in Loop: Header=BB6_136 Depth=3
	v_bfe_u32 v0, v8, 2, 5
	s_mov_b32 s76, exec_lo
	s_delay_alu instid0(VALU_DEP_1)
	v_cmpx_eq_u32_e32 0, v0
; %bb.2548:                             ;   in Loop: Header=BB6_136 Depth=3
	v_clz_i32_u32_e32 v0, v1
	s_delay_alu instid0(VALU_DEP_1) | instskip(NEXT) | instid1(VALU_DEP_1)
	v_min_u32_e32 v0, 32, v0
	v_subrev_nc_u32_e32 v1, 29, v0
	s_delay_alu instid0(VALU_DEP_1) | instskip(NEXT) | instid1(VALU_DEP_1)
	v_lshlrev_b64_e32 v[2:3], v1, v[8:9]
	v_dual_sub_nc_u32 v0, 30, v0 :: v_dual_bitop2_b32 v1, 3, v2 bitop3:0x40
; %bb.2549:                             ;   in Loop: Header=BB6_136 Depth=3
	s_or_b32 exec_lo, exec_lo, s76
	v_lshlrev_b32_e32 v2, 24, v8
	s_delay_alu instid0(VALU_DEP_1) | instskip(NEXT) | instid1(VALU_DEP_1)
	v_and_b32_e32 v2, 0x80000000, v2
	v_lshl_add_u32 v0, v0, 23, v2
                                        ; implicit-def: $vgpr2
	s_delay_alu instid0(VALU_DEP_1) | instskip(NEXT) | instid1(VALU_DEP_1)
	v_lshl_or_b32 v0, v1, 21, v0
                                        ; implicit-def: $vgpr1
	v_add_nc_u32_e32 v0, 0x38000000, v0
.LBB6_2550:                             ;   in Loop: Header=BB6_136 Depth=3
	s_and_not1_saveexec_b32 s76, s13
; %bb.2551:                             ;   in Loop: Header=BB6_136 Depth=3
	v_cmp_lt_i16_e64 s13, -1, v2
	v_mov_b32_e32 v0, 0x7f800000
	v_cmp_eq_u32_e32 vcc_lo, 0, v1
	s_delay_alu instid0(VALU_DEP_2) | instskip(NEXT) | instid1(VALU_DEP_1)
	v_cndmask_b32_e64 v0, 0xff800000, v0, s13
	v_cndmask_b32_e32 v0, 0x7f800001, v0, vcc_lo
; %bb.2552:                             ;   in Loop: Header=BB6_136 Depth=3
	s_or_b32 exec_lo, exec_lo, s76
.LBB6_2553:                             ;   in Loop: Header=BB6_136 Depth=3
	s_delay_alu instid0(SALU_CYCLE_1)
	s_or_b32 exec_lo, exec_lo, s75
.LBB6_2554:                             ;   in Loop: Header=BB6_136 Depth=3
	s_delay_alu instid0(SALU_CYCLE_1) | instskip(NEXT) | instid1(VALU_DEP_1)
	s_or_b32 exec_lo, exec_lo, s74
	v_dual_mul_f32 v2, s73, v0 :: v_dual_mov_b32 v5, v113
	v_mov_b32_e32 v1, v113
                                        ; implicit-def: $vgpr14
	s_mov_b32 s13, exec_lo
	s_delay_alu instid0(VALU_DEP_2) | instskip(SKIP_2) | instid1(VALU_DEP_3)
	v_and_b32_e32 v4, 0x7f800000, v2
	v_and_b32_e32 v0, 0x7fffff, v2
	v_lshrrev_b32_e32 v3, 24, v2
	v_cmpx_ne_u64_e32 0x7f800000, v[4:5]
	s_xor_b32 s74, exec_lo, s13
	s_cbranch_execz .LBB6_2568
; %bb.2555:                             ;   in Loop: Header=BB6_136 Depth=3
	v_and_b32_e32 v4, 0x7fffffff, v2
	v_mov_b32_e32 v5, v113
                                        ; implicit-def: $vgpr14
	s_delay_alu instid0(VALU_DEP_1) | instskip(SKIP_2) | instid1(SALU_CYCLE_1)
	v_cmp_gt_u64_e32 vcc_lo, 0x47600001, v[4:5]
	v_and_b32_e32 v4, 0x80, v3
	s_and_saveexec_b32 s13, vcc_lo
	s_xor_b32 s75, exec_lo, s13
	s_cbranch_execz .LBB6_2565
; %bb.2556:                             ;   in Loop: Header=BB6_136 Depth=3
	v_mov_b32_e32 v14, 0
	s_mov_b32 s76, exec_lo
	v_cmpx_ne_u32_e32 0, v2
	s_cbranch_execz .LBB6_2564
; %bb.2557:                             ;   in Loop: Header=BB6_136 Depth=3
	v_bfe_u32 v5, v2, 23, 8
	v_or_b32_e32 v3, 0x800000, v0
	s_delay_alu instid0(VALU_DEP_2) | instskip(SKIP_2) | instid1(VALU_DEP_2)
	v_cmp_gt_u32_e64 s13, 0x72, v5
	v_sub_nc_u32_e32 v2, 0x71, v5
	v_cmp_eq_u32_e32 vcc_lo, 0, v5
	v_dual_cndmask_b32 v2, 0, v2, s13 :: v_dual_cndmask_b32 v0, v3, v0, vcc_lo
	s_delay_alu instid0(VALU_DEP_1) | instskip(NEXT) | instid1(VALU_DEP_1)
	v_cndmask_b32_e64 v7, v2, 0x70, vcc_lo
	v_dual_add_nc_u32 v2, 21, v7 :: v_dual_add_nc_u32 v14, 20, v7
	s_delay_alu instid0(VALU_DEP_1) | instskip(NEXT) | instid1(VALU_DEP_2)
	v_lshlrev_b64_e64 v[2:3], v2, -1
	v_lshlrev_b64_e64 v[24:25], v14, 1
	s_delay_alu instid0(VALU_DEP_2) | instskip(SKIP_1) | instid1(VALU_DEP_4)
	v_bfi_b32 v2, v2, 0, v0
	v_lshrrev_b64 v[0:1], v7, v[0:1]
	v_bfi_b32 v3, v3, 0, 0
	s_delay_alu instid0(VALU_DEP_1) | instskip(NEXT) | instid1(VALU_DEP_3)
	v_cmp_eq_u64_e64 s13, v[2:3], v[24:25]
	v_mov_b64_e32 v[2:3], v[0:1]
	s_and_saveexec_b32 s77, s13
; %bb.2558:                             ;   in Loop: Header=BB6_136 Depth=3
	v_bfe_u32 v2, v0, 21, 1
	v_mov_b32_e32 v3, v113
	s_delay_alu instid0(VALU_DEP_1) | instskip(NEXT) | instid1(VALU_DEP_1)
	v_add_nc_u64_e32 v[2:3], v[0:1], v[2:3]
	v_add_nc_u64_e32 v[2:3], -1, v[2:3]
; %bb.2559:                             ;   in Loop: Header=BB6_136 Depth=3
	s_or_b32 exec_lo, exec_lo, s77
	v_add_nc_u32_e32 v1, 0xffffff81, v5
	v_lshrrev_b32_e32 v3, 23, v0
	s_mov_b32 s13, exec_lo
	s_delay_alu instid0(VALU_DEP_2) | instskip(NEXT) | instid1(VALU_DEP_1)
	v_cndmask_b32_e64 v1, v1, 0xffffff82, vcc_lo
	v_add3_u32 v5, v7, v1, v3
	v_and_b32_e32 v1, 0x1fffff, v2
                                        ; implicit-def: $vgpr2
	s_delay_alu instid0(VALU_DEP_1) | instskip(SKIP_1) | instid1(VALU_DEP_2)
	v_dual_add_nc_u32 v3, 14, v5 :: v_dual_add_nc_u32 v0, v1, v0
	v_mov_b32_e32 v1, v113
	v_cmpx_ne_u32_e32 0, v3
	s_xor_b32 s13, exec_lo, s13
; %bb.2560:                             ;   in Loop: Header=BB6_136 Depth=3
	s_delay_alu instid0(VALU_DEP_2) | instskip(SKIP_1) | instid1(VALU_DEP_1)
	v_cmp_lt_u64_e32 vcc_lo, 0xffffff, v[0:1]
	v_add_nc_u32_e32 v2, 15, v5
	v_cndmask_b32_e32 v2, v3, v2, vcc_lo
	v_cndmask_b32_e64 v3, 0, 1, vcc_lo
	s_delay_alu instid0(VALU_DEP_1)
	v_lshrrev_b64 v[0:1], v3, v[0:1]
; %bb.2561:                             ;   in Loop: Header=BB6_136 Depth=3
	s_and_not1_saveexec_b32 s13, s13
; %bb.2562:                             ;   in Loop: Header=BB6_136 Depth=3
	s_delay_alu instid0(VALU_DEP_1)
	v_bfe_u32 v2, v0, 23, 1
; %bb.2563:                             ;   in Loop: Header=BB6_136 Depth=3
	s_or_b32 exec_lo, exec_lo, s13
	s_delay_alu instid0(VALU_DEP_2) | instskip(NEXT) | instid1(VALU_DEP_2)
	v_lshrrev_b64 v[0:1], 21, v[0:1]
	v_cmp_gt_i32_e32 vcc_lo, 32, v2
	v_min_i32_e32 v3, 31, v2
	v_cmp_eq_u32_e64 s13, 0, v2
	s_delay_alu instid0(VALU_DEP_2) | instskip(SKIP_1) | instid1(VALU_DEP_2)
	v_dual_cndmask_b32 v1, 0, v1, vcc_lo :: v_dual_lshlrev_b32 v3, 2, v3
	v_cndmask_b32_e32 v0, 3, v0, vcc_lo
	v_and_b32_e32 v3, 0xfc, v3
	s_delay_alu instid0(VALU_DEP_2) | instskip(NEXT) | instid1(VALU_DEP_2)
	v_cmp_eq_u64_e32 vcc_lo, 0, v[0:1]
	v_and_or_b32 v0, v0, 3, v3
	s_and_b32 s13, s13, vcc_lo
	s_delay_alu instid0(VALU_DEP_1) | instid1(SALU_CYCLE_1)
	v_cndmask_b32_e64 v0, v0, 0, s13
	s_delay_alu instid0(VALU_DEP_1)
	v_or_b32_e32 v14, v0, v4
.LBB6_2564:                             ;   in Loop: Header=BB6_136 Depth=3
	s_or_b32 exec_lo, exec_lo, s76
                                        ; implicit-def: $vgpr4
.LBB6_2565:                             ;   in Loop: Header=BB6_136 Depth=3
	s_and_not1_saveexec_b32 s13, s75
; %bb.2566:                             ;   in Loop: Header=BB6_136 Depth=3
	v_or_b32_e32 v14, 0x7b, v4
; %bb.2567:                             ;   in Loop: Header=BB6_136 Depth=3
	s_or_b32 exec_lo, exec_lo, s13
                                        ; implicit-def: $vgpr2
                                        ; implicit-def: $vgpr0_vgpr1
                                        ; implicit-def: $vgpr3
.LBB6_2568:                             ;   in Loop: Header=BB6_136 Depth=3
	s_and_not1_saveexec_b32 s13, s74
	s_cbranch_execz .LBB6_2574
; %bb.2569:                             ;   in Loop: Header=BB6_136 Depth=3
	s_mov_b32 s74, exec_lo
                                        ; implicit-def: $vgpr14
	v_cmpx_ne_u64_e32 0, v[0:1]
	s_xor_b32 s74, exec_lo, s74
; %bb.2570:                             ;   in Loop: Header=BB6_136 Depth=3
	v_or_b32_e32 v14, 0x7f, v3
                                        ; implicit-def: $vgpr2
; %bb.2571:                             ;   in Loop: Header=BB6_136 Depth=3
	s_and_not1_saveexec_b32 s74, s74
; %bb.2572:                             ;   in Loop: Header=BB6_136 Depth=3
	v_cmp_lt_i32_e32 vcc_lo, -1, v2
	v_mov_b32_e32 v0, 0x7c
	s_delay_alu instid0(VALU_DEP_1)
	v_cndmask_b32_e32 v14, 0xfc, v0, vcc_lo
; %bb.2573:                             ;   in Loop: Header=BB6_136 Depth=3
	s_or_b32 exec_lo, exec_lo, s74
.LBB6_2574:                             ;   in Loop: Header=BB6_136 Depth=3
	s_delay_alu instid0(SALU_CYCLE_1) | instskip(SKIP_3) | instid1(VALU_DEP_2)
	s_or_b32 exec_lo, exec_lo, s13
	v_lshrrev_b16 v0, 8, v8
	v_mov_b32_e32 v1, 0
	s_mov_b32 s74, exec_lo
	v_cmpx_ne_u16_e32 0, v0
	s_cbranch_execz .LBB6_2584
; %bb.2575:                             ;   in Loop: Header=BB6_136 Depth=3
	v_bfrev_b32_e32 v1, 1
	s_mov_b32 s75, exec_lo
	v_cmpx_ne_u16_e32 0x80, v0
	s_cbranch_execz .LBB6_2583
; %bb.2576:                             ;   in Loop: Header=BB6_136 Depth=3
	v_and_b32_e32 v3, 0xffff, v0
	s_delay_alu instid0(VALU_DEP_1) | instskip(SKIP_1) | instid1(VALU_DEP_2)
	v_and_b32_e32 v1, 0x7c, v3
	v_and_b32_e32 v2, 3, v3
	v_cmp_ne_u32_e32 vcc_lo, 0x7c, v1
                                        ; implicit-def: $vgpr1
	s_and_saveexec_b32 s13, vcc_lo
	s_delay_alu instid0(SALU_CYCLE_1)
	s_xor_b32 s13, exec_lo, s13
	s_cbranch_execz .LBB6_2580
; %bb.2577:                             ;   in Loop: Header=BB6_136 Depth=3
	v_bfe_u32 v1, v3, 2, 5
	s_mov_b32 s76, exec_lo
	s_delay_alu instid0(VALU_DEP_1)
	v_cmpx_eq_u32_e32 0, v1
; %bb.2578:                             ;   in Loop: Header=BB6_136 Depth=3
	v_clz_i32_u32_e32 v1, v2
	s_delay_alu instid0(VALU_DEP_1) | instskip(SKIP_1) | instid1(VALU_DEP_2)
	v_min_u32_e32 v2, 32, v1
	v_mov_b32_e32 v1, v113
	v_subrev_nc_u32_e32 v3, 29, v2
	s_delay_alu instid0(VALU_DEP_1) | instskip(NEXT) | instid1(VALU_DEP_1)
	v_lshlrev_b64_e32 v[0:1], v3, v[0:1]
	v_dual_sub_nc_u32 v1, 30, v2 :: v_dual_bitop2_b32 v2, 3, v0 bitop3:0x40
; %bb.2579:                             ;   in Loop: Header=BB6_136 Depth=3
	s_or_b32 exec_lo, exec_lo, s76
	v_lshlrev_b32_e32 v0, 16, v8
	s_delay_alu instid0(VALU_DEP_1) | instskip(NEXT) | instid1(VALU_DEP_1)
	v_and_b32_e32 v0, 0x80000000, v0
	v_lshl_add_u32 v0, v1, 23, v0
	s_delay_alu instid0(VALU_DEP_1) | instskip(NEXT) | instid1(VALU_DEP_1)
	v_lshl_or_b32 v0, v2, 21, v0
                                        ; implicit-def: $vgpr2
	v_add_nc_u32_e32 v1, 0x38000000, v0
.LBB6_2580:                             ;   in Loop: Header=BB6_136 Depth=3
	s_and_not1_saveexec_b32 s76, s13
; %bb.2581:                             ;   in Loop: Header=BB6_136 Depth=3
	v_cmp_lt_i16_e64 s13, -1, v8
	v_mov_b32_e32 v0, 0x7f800000
	v_cmp_eq_u32_e32 vcc_lo, 0, v2
	s_delay_alu instid0(VALU_DEP_2) | instskip(NEXT) | instid1(VALU_DEP_1)
	v_cndmask_b32_e64 v0, 0xff800000, v0, s13
	v_cndmask_b32_e32 v1, 0x7f800001, v0, vcc_lo
; %bb.2582:                             ;   in Loop: Header=BB6_136 Depth=3
	s_or_b32 exec_lo, exec_lo, s76
.LBB6_2583:                             ;   in Loop: Header=BB6_136 Depth=3
	s_delay_alu instid0(SALU_CYCLE_1)
	s_or_b32 exec_lo, exec_lo, s75
.LBB6_2584:                             ;   in Loop: Header=BB6_136 Depth=3
	s_delay_alu instid0(SALU_CYCLE_1) | instskip(NEXT) | instid1(VALU_DEP_1)
	s_or_b32 exec_lo, exec_lo, s74
	v_dual_mul_f32 v2, s73, v1 :: v_dual_mov_b32 v5, v113
	v_mov_b32_e32 v1, v113
                                        ; implicit-def: $vgpr94
	s_mov_b32 s13, exec_lo
	s_delay_alu instid0(VALU_DEP_2) | instskip(SKIP_2) | instid1(VALU_DEP_3)
	v_and_b32_e32 v4, 0x7f800000, v2
	v_and_b32_e32 v0, 0x7fffff, v2
	v_lshrrev_b32_e32 v3, 24, v2
	v_cmpx_ne_u64_e32 0x7f800000, v[4:5]
	s_xor_b32 s74, exec_lo, s13
	s_cbranch_execz .LBB6_2598
; %bb.2585:                             ;   in Loop: Header=BB6_136 Depth=3
	v_and_b32_e32 v4, 0x7fffffff, v2
	v_mov_b32_e32 v5, v113
                                        ; implicit-def: $vgpr94
	s_delay_alu instid0(VALU_DEP_1) | instskip(SKIP_2) | instid1(SALU_CYCLE_1)
	v_cmp_gt_u64_e32 vcc_lo, 0x47600001, v[4:5]
	v_and_b32_e32 v4, 0x80, v3
	s_and_saveexec_b32 s13, vcc_lo
	s_xor_b32 s75, exec_lo, s13
	s_cbranch_execz .LBB6_2595
; %bb.2586:                             ;   in Loop: Header=BB6_136 Depth=3
	v_mov_b32_e32 v94, 0
	s_mov_b32 s76, exec_lo
	v_cmpx_ne_u32_e32 0, v2
	s_cbranch_execz .LBB6_2594
; %bb.2587:                             ;   in Loop: Header=BB6_136 Depth=3
	v_bfe_u32 v5, v2, 23, 8
	v_or_b32_e32 v3, 0x800000, v0
	s_delay_alu instid0(VALU_DEP_2) | instskip(SKIP_2) | instid1(VALU_DEP_2)
	v_cmp_gt_u32_e64 s13, 0x72, v5
	v_sub_nc_u32_e32 v2, 0x71, v5
	v_cmp_eq_u32_e32 vcc_lo, 0, v5
	v_dual_cndmask_b32 v2, 0, v2, s13 :: v_dual_cndmask_b32 v0, v3, v0, vcc_lo
	s_delay_alu instid0(VALU_DEP_1) | instskip(NEXT) | instid1(VALU_DEP_1)
	v_cndmask_b32_e64 v7, v2, 0x70, vcc_lo
	v_dual_add_nc_u32 v2, 21, v7 :: v_dual_add_nc_u32 v24, 20, v7
	s_delay_alu instid0(VALU_DEP_1) | instskip(NEXT) | instid1(VALU_DEP_2)
	v_lshlrev_b64_e64 v[2:3], v2, -1
	v_lshlrev_b64_e64 v[24:25], v24, 1
	s_delay_alu instid0(VALU_DEP_2) | instskip(SKIP_1) | instid1(VALU_DEP_4)
	v_bfi_b32 v2, v2, 0, v0
	v_lshrrev_b64 v[0:1], v7, v[0:1]
	v_bfi_b32 v3, v3, 0, 0
	s_delay_alu instid0(VALU_DEP_1) | instskip(NEXT) | instid1(VALU_DEP_3)
	v_cmp_eq_u64_e64 s13, v[2:3], v[24:25]
	v_mov_b64_e32 v[2:3], v[0:1]
	s_and_saveexec_b32 s77, s13
; %bb.2588:                             ;   in Loop: Header=BB6_136 Depth=3
	v_bfe_u32 v2, v0, 21, 1
	v_mov_b32_e32 v3, v113
	s_delay_alu instid0(VALU_DEP_1) | instskip(NEXT) | instid1(VALU_DEP_1)
	v_add_nc_u64_e32 v[2:3], v[0:1], v[2:3]
	v_add_nc_u64_e32 v[2:3], -1, v[2:3]
; %bb.2589:                             ;   in Loop: Header=BB6_136 Depth=3
	s_or_b32 exec_lo, exec_lo, s77
	v_add_nc_u32_e32 v1, 0xffffff81, v5
	v_lshrrev_b32_e32 v3, 23, v0
	s_mov_b32 s13, exec_lo
	s_delay_alu instid0(VALU_DEP_2) | instskip(NEXT) | instid1(VALU_DEP_1)
	v_cndmask_b32_e64 v1, v1, 0xffffff82, vcc_lo
	v_add3_u32 v5, v7, v1, v3
	v_and_b32_e32 v1, 0x1fffff, v2
                                        ; implicit-def: $vgpr2
	s_delay_alu instid0(VALU_DEP_1) | instskip(SKIP_1) | instid1(VALU_DEP_2)
	v_dual_add_nc_u32 v3, 14, v5 :: v_dual_add_nc_u32 v0, v1, v0
	v_mov_b32_e32 v1, v113
	v_cmpx_ne_u32_e32 0, v3
	s_xor_b32 s13, exec_lo, s13
; %bb.2590:                             ;   in Loop: Header=BB6_136 Depth=3
	s_delay_alu instid0(VALU_DEP_2) | instskip(SKIP_1) | instid1(VALU_DEP_1)
	v_cmp_lt_u64_e32 vcc_lo, 0xffffff, v[0:1]
	v_add_nc_u32_e32 v2, 15, v5
	v_cndmask_b32_e32 v2, v3, v2, vcc_lo
	v_cndmask_b32_e64 v3, 0, 1, vcc_lo
	s_delay_alu instid0(VALU_DEP_1)
	v_lshrrev_b64 v[0:1], v3, v[0:1]
; %bb.2591:                             ;   in Loop: Header=BB6_136 Depth=3
	s_and_not1_saveexec_b32 s13, s13
; %bb.2592:                             ;   in Loop: Header=BB6_136 Depth=3
	s_delay_alu instid0(VALU_DEP_1)
	v_bfe_u32 v2, v0, 23, 1
; %bb.2593:                             ;   in Loop: Header=BB6_136 Depth=3
	s_or_b32 exec_lo, exec_lo, s13
	s_delay_alu instid0(VALU_DEP_2) | instskip(NEXT) | instid1(VALU_DEP_2)
	v_lshrrev_b64 v[0:1], 21, v[0:1]
	v_cmp_gt_i32_e32 vcc_lo, 32, v2
	v_min_i32_e32 v3, 31, v2
	v_cmp_eq_u32_e64 s13, 0, v2
	s_delay_alu instid0(VALU_DEP_2) | instskip(SKIP_1) | instid1(VALU_DEP_2)
	v_dual_cndmask_b32 v1, 0, v1, vcc_lo :: v_dual_lshlrev_b32 v3, 2, v3
	v_cndmask_b32_e32 v0, 3, v0, vcc_lo
	v_and_b32_e32 v3, 0xfc, v3
	s_delay_alu instid0(VALU_DEP_2) | instskip(NEXT) | instid1(VALU_DEP_2)
	v_cmp_eq_u64_e32 vcc_lo, 0, v[0:1]
	v_and_or_b32 v0, v0, 3, v3
	s_and_b32 s13, s13, vcc_lo
	s_delay_alu instid0(VALU_DEP_1) | instid1(SALU_CYCLE_1)
	v_cndmask_b32_e64 v0, v0, 0, s13
	s_delay_alu instid0(VALU_DEP_1)
	v_or_b32_e32 v94, v0, v4
.LBB6_2594:                             ;   in Loop: Header=BB6_136 Depth=3
	s_or_b32 exec_lo, exec_lo, s76
                                        ; implicit-def: $vgpr4
.LBB6_2595:                             ;   in Loop: Header=BB6_136 Depth=3
	s_and_not1_saveexec_b32 s13, s75
; %bb.2596:                             ;   in Loop: Header=BB6_136 Depth=3
	v_or_b32_e32 v94, 0x7b, v4
; %bb.2597:                             ;   in Loop: Header=BB6_136 Depth=3
	s_or_b32 exec_lo, exec_lo, s13
                                        ; implicit-def: $vgpr2
                                        ; implicit-def: $vgpr0_vgpr1
                                        ; implicit-def: $vgpr3
.LBB6_2598:                             ;   in Loop: Header=BB6_136 Depth=3
	s_and_not1_saveexec_b32 s13, s74
	s_cbranch_execz .LBB6_2604
; %bb.2599:                             ;   in Loop: Header=BB6_136 Depth=3
	s_mov_b32 s74, exec_lo
                                        ; implicit-def: $vgpr94
	v_cmpx_ne_u64_e32 0, v[0:1]
	s_xor_b32 s74, exec_lo, s74
; %bb.2600:                             ;   in Loop: Header=BB6_136 Depth=3
	v_or_b32_e32 v94, 0x7f, v3
                                        ; implicit-def: $vgpr2
; %bb.2601:                             ;   in Loop: Header=BB6_136 Depth=3
	s_and_not1_saveexec_b32 s74, s74
; %bb.2602:                             ;   in Loop: Header=BB6_136 Depth=3
	v_cmp_lt_i32_e32 vcc_lo, -1, v2
	v_mov_b32_e32 v0, 0x7c
	s_delay_alu instid0(VALU_DEP_1)
	v_cndmask_b32_e32 v94, 0xfc, v0, vcc_lo
; %bb.2603:                             ;   in Loop: Header=BB6_136 Depth=3
	s_or_b32 exec_lo, exec_lo, s74
.LBB6_2604:                             ;   in Loop: Header=BB6_136 Depth=3
	s_delay_alu instid0(SALU_CYCLE_1) | instskip(SKIP_2) | instid1(VALU_DEP_1)
	s_or_b32 exec_lo, exec_lo, s13
	v_dual_mov_b32 v1, 0 :: v_dual_lshrrev_b32 v0, 16, v8
	s_mov_b32 s74, exec_lo
	v_and_b32_e32 v2, 0xff, v0
	s_delay_alu instid0(VALU_DEP_1)
	v_cmpx_ne_u16_e32 0, v2
	s_cbranch_execz .LBB6_2614
; %bb.2605:                             ;   in Loop: Header=BB6_136 Depth=3
	v_bfrev_b32_e32 v1, 1
	s_mov_b32 s75, exec_lo
	v_cmpx_ne_u16_e32 0x80, v2
	s_cbranch_execz .LBB6_2613
; %bb.2606:                             ;   in Loop: Header=BB6_136 Depth=3
	v_and_b32_e32 v1, 0x7c0000, v8
	v_bfe_u32 v2, v8, 16, 2
	s_delay_alu instid0(VALU_DEP_2) | instskip(SKIP_1) | instid1(SALU_CYCLE_1)
	v_cmp_ne_u32_e32 vcc_lo, 0x7c0000, v1
                                        ; implicit-def: $vgpr1
	s_and_saveexec_b32 s13, vcc_lo
	s_xor_b32 s13, exec_lo, s13
	s_cbranch_execz .LBB6_2610
; %bb.2607:                             ;   in Loop: Header=BB6_136 Depth=3
	v_bfe_u32 v1, v8, 18, 5
	s_mov_b32 s76, exec_lo
	s_delay_alu instid0(VALU_DEP_1)
	v_cmpx_eq_u32_e32 0, v1
; %bb.2608:                             ;   in Loop: Header=BB6_136 Depth=3
	v_clz_i32_u32_e32 v1, v2
	s_delay_alu instid0(VALU_DEP_1) | instskip(NEXT) | instid1(VALU_DEP_1)
	v_min_u32_e32 v1, 32, v1
	v_subrev_nc_u32_e32 v2, 29, v1
	s_delay_alu instid0(VALU_DEP_1) | instskip(NEXT) | instid1(VALU_DEP_1)
	v_lshlrev_b64_e32 v[2:3], v2, v[0:1]
	v_dual_sub_nc_u32 v1, 30, v1 :: v_dual_bitop2_b32 v2, 3, v2 bitop3:0x40
; %bb.2609:                             ;   in Loop: Header=BB6_136 Depth=3
	s_or_b32 exec_lo, exec_lo, s76
	v_lshlrev_b32_e32 v0, 24, v0
	s_delay_alu instid0(VALU_DEP_1) | instskip(NEXT) | instid1(VALU_DEP_1)
	v_and_b32_e32 v0, 0x80000000, v0
	v_lshl_add_u32 v0, v1, 23, v0
	s_delay_alu instid0(VALU_DEP_1) | instskip(NEXT) | instid1(VALU_DEP_1)
	v_lshl_or_b32 v0, v2, 21, v0
                                        ; implicit-def: $vgpr2
	v_add_nc_u32_e32 v1, 0x38000000, v0
                                        ; implicit-def: $vgpr0
.LBB6_2610:                             ;   in Loop: Header=BB6_136 Depth=3
	s_and_not1_saveexec_b32 s76, s13
; %bb.2611:                             ;   in Loop: Header=BB6_136 Depth=3
	v_bfe_i32 v0, v0, 0, 8
	v_cmp_eq_u32_e32 vcc_lo, 0, v2
	s_delay_alu instid0(VALU_DEP_2) | instskip(SKIP_1) | instid1(VALU_DEP_1)
	v_cmp_lt_i16_e64 s13, -1, v0
	v_mov_b32_e32 v0, 0x7f800000
	v_cndmask_b32_e64 v0, 0xff800000, v0, s13
	s_delay_alu instid0(VALU_DEP_1)
	v_cndmask_b32_e32 v1, 0x7f800001, v0, vcc_lo
; %bb.2612:                             ;   in Loop: Header=BB6_136 Depth=3
	s_or_b32 exec_lo, exec_lo, s76
.LBB6_2613:                             ;   in Loop: Header=BB6_136 Depth=3
	s_delay_alu instid0(SALU_CYCLE_1)
	s_or_b32 exec_lo, exec_lo, s75
.LBB6_2614:                             ;   in Loop: Header=BB6_136 Depth=3
	s_delay_alu instid0(SALU_CYCLE_1) | instskip(NEXT) | instid1(VALU_DEP_1)
	s_or_b32 exec_lo, exec_lo, s74
	v_dual_mul_f32 v2, s73, v1 :: v_dual_mov_b32 v5, v113
	v_mov_b32_e32 v1, v113
                                        ; implicit-def: $vgpr95
	s_mov_b32 s13, exec_lo
	s_delay_alu instid0(VALU_DEP_2) | instskip(SKIP_2) | instid1(VALU_DEP_3)
	v_and_b32_e32 v4, 0x7f800000, v2
	v_and_b32_e32 v0, 0x7fffff, v2
	v_lshrrev_b32_e32 v3, 24, v2
	v_cmpx_ne_u64_e32 0x7f800000, v[4:5]
	s_xor_b32 s74, exec_lo, s13
	s_cbranch_execz .LBB6_2628
; %bb.2615:                             ;   in Loop: Header=BB6_136 Depth=3
	v_and_b32_e32 v4, 0x7fffffff, v2
	v_mov_b32_e32 v5, v113
                                        ; implicit-def: $vgpr95
	s_delay_alu instid0(VALU_DEP_1) | instskip(SKIP_2) | instid1(SALU_CYCLE_1)
	v_cmp_gt_u64_e32 vcc_lo, 0x47600001, v[4:5]
	v_and_b32_e32 v4, 0x80, v3
	s_and_saveexec_b32 s13, vcc_lo
	s_xor_b32 s75, exec_lo, s13
	s_cbranch_execz .LBB6_2625
; %bb.2616:                             ;   in Loop: Header=BB6_136 Depth=3
	v_mov_b32_e32 v95, 0
	s_mov_b32 s76, exec_lo
	v_cmpx_ne_u32_e32 0, v2
	s_cbranch_execz .LBB6_2624
; %bb.2617:                             ;   in Loop: Header=BB6_136 Depth=3
	v_bfe_u32 v5, v2, 23, 8
	v_or_b32_e32 v3, 0x800000, v0
	s_delay_alu instid0(VALU_DEP_2) | instskip(SKIP_2) | instid1(VALU_DEP_2)
	v_cmp_gt_u32_e64 s13, 0x72, v5
	v_sub_nc_u32_e32 v2, 0x71, v5
	v_cmp_eq_u32_e32 vcc_lo, 0, v5
	v_dual_cndmask_b32 v2, 0, v2, s13 :: v_dual_cndmask_b32 v0, v3, v0, vcc_lo
	s_delay_alu instid0(VALU_DEP_1) | instskip(NEXT) | instid1(VALU_DEP_1)
	v_cndmask_b32_e64 v7, v2, 0x70, vcc_lo
	v_dual_add_nc_u32 v2, 21, v7 :: v_dual_add_nc_u32 v24, 20, v7
	s_delay_alu instid0(VALU_DEP_1) | instskip(NEXT) | instid1(VALU_DEP_2)
	v_lshlrev_b64_e64 v[2:3], v2, -1
	v_lshlrev_b64_e64 v[24:25], v24, 1
	s_delay_alu instid0(VALU_DEP_2) | instskip(SKIP_1) | instid1(VALU_DEP_4)
	v_bfi_b32 v2, v2, 0, v0
	v_lshrrev_b64 v[0:1], v7, v[0:1]
	v_bfi_b32 v3, v3, 0, 0
	s_delay_alu instid0(VALU_DEP_1) | instskip(NEXT) | instid1(VALU_DEP_3)
	v_cmp_eq_u64_e64 s13, v[2:3], v[24:25]
	v_mov_b64_e32 v[2:3], v[0:1]
	s_and_saveexec_b32 s77, s13
; %bb.2618:                             ;   in Loop: Header=BB6_136 Depth=3
	v_bfe_u32 v2, v0, 21, 1
	v_mov_b32_e32 v3, v113
	s_delay_alu instid0(VALU_DEP_1) | instskip(NEXT) | instid1(VALU_DEP_1)
	v_add_nc_u64_e32 v[2:3], v[0:1], v[2:3]
	v_add_nc_u64_e32 v[2:3], -1, v[2:3]
; %bb.2619:                             ;   in Loop: Header=BB6_136 Depth=3
	s_or_b32 exec_lo, exec_lo, s77
	v_add_nc_u32_e32 v1, 0xffffff81, v5
	v_lshrrev_b32_e32 v3, 23, v0
	s_mov_b32 s13, exec_lo
	s_delay_alu instid0(VALU_DEP_2) | instskip(NEXT) | instid1(VALU_DEP_1)
	v_cndmask_b32_e64 v1, v1, 0xffffff82, vcc_lo
	v_add3_u32 v5, v7, v1, v3
	v_and_b32_e32 v1, 0x1fffff, v2
                                        ; implicit-def: $vgpr2
	s_delay_alu instid0(VALU_DEP_1) | instskip(SKIP_1) | instid1(VALU_DEP_2)
	v_dual_add_nc_u32 v3, 14, v5 :: v_dual_add_nc_u32 v0, v1, v0
	v_mov_b32_e32 v1, v113
	v_cmpx_ne_u32_e32 0, v3
	s_xor_b32 s13, exec_lo, s13
; %bb.2620:                             ;   in Loop: Header=BB6_136 Depth=3
	s_delay_alu instid0(VALU_DEP_2) | instskip(SKIP_1) | instid1(VALU_DEP_1)
	v_cmp_lt_u64_e32 vcc_lo, 0xffffff, v[0:1]
	v_add_nc_u32_e32 v2, 15, v5
	v_cndmask_b32_e32 v2, v3, v2, vcc_lo
	v_cndmask_b32_e64 v3, 0, 1, vcc_lo
	s_delay_alu instid0(VALU_DEP_1)
	v_lshrrev_b64 v[0:1], v3, v[0:1]
; %bb.2621:                             ;   in Loop: Header=BB6_136 Depth=3
	s_and_not1_saveexec_b32 s13, s13
; %bb.2622:                             ;   in Loop: Header=BB6_136 Depth=3
	s_delay_alu instid0(VALU_DEP_1)
	v_bfe_u32 v2, v0, 23, 1
; %bb.2623:                             ;   in Loop: Header=BB6_136 Depth=3
	s_or_b32 exec_lo, exec_lo, s13
	s_delay_alu instid0(VALU_DEP_2) | instskip(NEXT) | instid1(VALU_DEP_2)
	v_lshrrev_b64 v[0:1], 21, v[0:1]
	v_cmp_gt_i32_e32 vcc_lo, 32, v2
	v_min_i32_e32 v3, 31, v2
	v_cmp_eq_u32_e64 s13, 0, v2
	s_delay_alu instid0(VALU_DEP_2) | instskip(SKIP_1) | instid1(VALU_DEP_2)
	v_dual_cndmask_b32 v1, 0, v1, vcc_lo :: v_dual_lshlrev_b32 v3, 2, v3
	v_cndmask_b32_e32 v0, 3, v0, vcc_lo
	v_and_b32_e32 v3, 0xfc, v3
	s_delay_alu instid0(VALU_DEP_2) | instskip(NEXT) | instid1(VALU_DEP_2)
	v_cmp_eq_u64_e32 vcc_lo, 0, v[0:1]
	v_and_or_b32 v0, v0, 3, v3
	s_and_b32 s13, s13, vcc_lo
	s_delay_alu instid0(VALU_DEP_1) | instid1(SALU_CYCLE_1)
	v_cndmask_b32_e64 v0, v0, 0, s13
	s_delay_alu instid0(VALU_DEP_1)
	v_or_b32_e32 v95, v0, v4
.LBB6_2624:                             ;   in Loop: Header=BB6_136 Depth=3
	s_or_b32 exec_lo, exec_lo, s76
                                        ; implicit-def: $vgpr4
.LBB6_2625:                             ;   in Loop: Header=BB6_136 Depth=3
	s_and_not1_saveexec_b32 s13, s75
; %bb.2626:                             ;   in Loop: Header=BB6_136 Depth=3
	v_or_b32_e32 v95, 0x7b, v4
; %bb.2627:                             ;   in Loop: Header=BB6_136 Depth=3
	s_or_b32 exec_lo, exec_lo, s13
                                        ; implicit-def: $vgpr2
                                        ; implicit-def: $vgpr0_vgpr1
                                        ; implicit-def: $vgpr3
.LBB6_2628:                             ;   in Loop: Header=BB6_136 Depth=3
	s_and_not1_saveexec_b32 s13, s74
	s_cbranch_execz .LBB6_2634
; %bb.2629:                             ;   in Loop: Header=BB6_136 Depth=3
	s_mov_b32 s74, exec_lo
                                        ; implicit-def: $vgpr95
	v_cmpx_ne_u64_e32 0, v[0:1]
	s_xor_b32 s74, exec_lo, s74
; %bb.2630:                             ;   in Loop: Header=BB6_136 Depth=3
	v_or_b32_e32 v95, 0x7f, v3
                                        ; implicit-def: $vgpr2
; %bb.2631:                             ;   in Loop: Header=BB6_136 Depth=3
	s_and_not1_saveexec_b32 s74, s74
; %bb.2632:                             ;   in Loop: Header=BB6_136 Depth=3
	v_cmp_lt_i32_e32 vcc_lo, -1, v2
	v_mov_b32_e32 v0, 0x7c
	s_delay_alu instid0(VALU_DEP_1)
	v_cndmask_b32_e32 v95, 0xfc, v0, vcc_lo
; %bb.2633:                             ;   in Loop: Header=BB6_136 Depth=3
	s_or_b32 exec_lo, exec_lo, s74
.LBB6_2634:                             ;   in Loop: Header=BB6_136 Depth=3
	s_delay_alu instid0(SALU_CYCLE_1)
	s_or_b32 exec_lo, exec_lo, s13
	v_mov_b32_e32 v1, 0
	s_mov_b32 s74, exec_lo
	v_cmpx_lt_u32_e32 0xffffff, v8
	s_cbranch_execz .LBB6_2644
; %bb.2635:                             ;   in Loop: Header=BB6_136 Depth=3
	v_lshrrev_b32_e32 v0, 24, v8
	v_bfrev_b32_e32 v1, 1
	s_mov_b32 s75, exec_lo
	s_delay_alu instid0(VALU_DEP_2)
	v_cmpx_ne_u32_e32 0x80, v0
	s_cbranch_execz .LBB6_2643
; %bb.2636:                             ;   in Loop: Header=BB6_136 Depth=3
	v_and_b32_e32 v1, 0x7c000000, v8
	v_bfe_u32 v2, v8, 24, 2
	s_delay_alu instid0(VALU_DEP_2) | instskip(SKIP_1) | instid1(SALU_CYCLE_1)
	v_cmp_ne_u32_e32 vcc_lo, 0x7c000000, v1
                                        ; implicit-def: $vgpr1
	s_and_saveexec_b32 s13, vcc_lo
	s_xor_b32 s13, exec_lo, s13
	s_cbranch_execz .LBB6_2640
; %bb.2637:                             ;   in Loop: Header=BB6_136 Depth=3
	v_bfe_u32 v1, v8, 26, 5
	s_mov_b32 s76, exec_lo
	s_delay_alu instid0(VALU_DEP_1)
	v_cmpx_eq_u32_e32 0, v1
; %bb.2638:                             ;   in Loop: Header=BB6_136 Depth=3
	v_clz_i32_u32_e32 v1, v2
	s_delay_alu instid0(VALU_DEP_1) | instskip(NEXT) | instid1(VALU_DEP_1)
	v_min_u32_e32 v2, 32, v1
	v_subrev_nc_u32_e32 v1, 29, v2
	s_delay_alu instid0(VALU_DEP_1) | instskip(NEXT) | instid1(VALU_DEP_1)
	v_lshlrev_b64_e32 v[0:1], v1, v[0:1]
	v_dual_sub_nc_u32 v1, 30, v2 :: v_dual_bitop2_b32 v2, 3, v0 bitop3:0x40
; %bb.2639:                             ;   in Loop: Header=BB6_136 Depth=3
	s_or_b32 exec_lo, exec_lo, s76
	v_and_b32_e32 v0, 0x80000000, v8
	s_delay_alu instid0(VALU_DEP_1) | instskip(NEXT) | instid1(VALU_DEP_1)
	v_lshl_add_u32 v0, v1, 23, v0
	v_lshl_or_b32 v0, v2, 21, v0
                                        ; implicit-def: $vgpr2
	s_delay_alu instid0(VALU_DEP_1)
	v_add_nc_u32_e32 v1, 0x38000000, v0
.LBB6_2640:                             ;   in Loop: Header=BB6_136 Depth=3
	s_and_not1_saveexec_b32 s76, s13
; %bb.2641:                             ;   in Loop: Header=BB6_136 Depth=3
	v_cmp_lt_i32_e64 s13, -1, v8
	v_mov_b32_e32 v0, 0x7f800000
	v_cmp_eq_u32_e32 vcc_lo, 0, v2
	s_delay_alu instid0(VALU_DEP_2) | instskip(NEXT) | instid1(VALU_DEP_1)
	v_cndmask_b32_e64 v0, 0xff800000, v0, s13
	v_cndmask_b32_e32 v1, 0x7f800001, v0, vcc_lo
; %bb.2642:                             ;   in Loop: Header=BB6_136 Depth=3
	s_or_b32 exec_lo, exec_lo, s76
.LBB6_2643:                             ;   in Loop: Header=BB6_136 Depth=3
	s_delay_alu instid0(SALU_CYCLE_1)
	s_or_b32 exec_lo, exec_lo, s75
.LBB6_2644:                             ;   in Loop: Header=BB6_136 Depth=3
	s_delay_alu instid0(SALU_CYCLE_1) | instskip(NEXT) | instid1(VALU_DEP_1)
	s_or_b32 exec_lo, exec_lo, s74
	v_dual_mul_f32 v2, s73, v1 :: v_dual_mov_b32 v5, v113
	v_mov_b32_e32 v1, v113
                                        ; implicit-def: $vgpr104
	s_mov_b32 s13, exec_lo
	s_delay_alu instid0(VALU_DEP_2) | instskip(SKIP_2) | instid1(VALU_DEP_3)
	v_and_b32_e32 v4, 0x7f800000, v2
	v_and_b32_e32 v0, 0x7fffff, v2
	v_lshrrev_b32_e32 v3, 24, v2
	v_cmpx_ne_u64_e32 0x7f800000, v[4:5]
	s_xor_b32 s74, exec_lo, s13
	s_cbranch_execz .LBB6_2658
; %bb.2645:                             ;   in Loop: Header=BB6_136 Depth=3
	v_and_b32_e32 v4, 0x7fffffff, v2
	v_mov_b32_e32 v5, v113
                                        ; implicit-def: $vgpr104
	s_delay_alu instid0(VALU_DEP_1) | instskip(SKIP_2) | instid1(SALU_CYCLE_1)
	v_cmp_gt_u64_e32 vcc_lo, 0x47600001, v[4:5]
	v_and_b32_e32 v4, 0x80, v3
	s_and_saveexec_b32 s13, vcc_lo
	s_xor_b32 s75, exec_lo, s13
	s_cbranch_execz .LBB6_2655
; %bb.2646:                             ;   in Loop: Header=BB6_136 Depth=3
	v_mov_b32_e32 v104, 0
	s_mov_b32 s76, exec_lo
	v_cmpx_ne_u32_e32 0, v2
	s_cbranch_execz .LBB6_2654
; %bb.2647:                             ;   in Loop: Header=BB6_136 Depth=3
	v_bfe_u32 v5, v2, 23, 8
	v_or_b32_e32 v3, 0x800000, v0
	s_delay_alu instid0(VALU_DEP_2) | instskip(SKIP_2) | instid1(VALU_DEP_2)
	v_cmp_gt_u32_e64 s13, 0x72, v5
	v_sub_nc_u32_e32 v2, 0x71, v5
	v_cmp_eq_u32_e32 vcc_lo, 0, v5
	v_dual_cndmask_b32 v2, 0, v2, s13 :: v_dual_cndmask_b32 v0, v3, v0, vcc_lo
	s_delay_alu instid0(VALU_DEP_1) | instskip(NEXT) | instid1(VALU_DEP_1)
	v_cndmask_b32_e64 v7, v2, 0x70, vcc_lo
	v_dual_add_nc_u32 v2, 21, v7 :: v_dual_add_nc_u32 v24, 20, v7
	s_delay_alu instid0(VALU_DEP_1) | instskip(NEXT) | instid1(VALU_DEP_2)
	v_lshlrev_b64_e64 v[2:3], v2, -1
	v_lshlrev_b64_e64 v[24:25], v24, 1
	s_delay_alu instid0(VALU_DEP_2) | instskip(SKIP_1) | instid1(VALU_DEP_4)
	v_bfi_b32 v2, v2, 0, v0
	v_lshrrev_b64 v[0:1], v7, v[0:1]
	v_bfi_b32 v3, v3, 0, 0
	s_delay_alu instid0(VALU_DEP_1) | instskip(NEXT) | instid1(VALU_DEP_3)
	v_cmp_eq_u64_e64 s13, v[2:3], v[24:25]
	v_mov_b64_e32 v[2:3], v[0:1]
	s_and_saveexec_b32 s77, s13
; %bb.2648:                             ;   in Loop: Header=BB6_136 Depth=3
	v_bfe_u32 v2, v0, 21, 1
	v_mov_b32_e32 v3, v113
	s_delay_alu instid0(VALU_DEP_1) | instskip(NEXT) | instid1(VALU_DEP_1)
	v_add_nc_u64_e32 v[2:3], v[0:1], v[2:3]
	v_add_nc_u64_e32 v[2:3], -1, v[2:3]
; %bb.2649:                             ;   in Loop: Header=BB6_136 Depth=3
	s_or_b32 exec_lo, exec_lo, s77
	v_add_nc_u32_e32 v1, 0xffffff81, v5
	v_lshrrev_b32_e32 v3, 23, v0
	s_mov_b32 s13, exec_lo
	s_delay_alu instid0(VALU_DEP_2) | instskip(NEXT) | instid1(VALU_DEP_1)
	v_cndmask_b32_e64 v1, v1, 0xffffff82, vcc_lo
	v_add3_u32 v5, v7, v1, v3
	v_and_b32_e32 v1, 0x1fffff, v2
                                        ; implicit-def: $vgpr2
	s_delay_alu instid0(VALU_DEP_1) | instskip(SKIP_1) | instid1(VALU_DEP_2)
	v_dual_add_nc_u32 v3, 14, v5 :: v_dual_add_nc_u32 v0, v1, v0
	v_mov_b32_e32 v1, v113
	v_cmpx_ne_u32_e32 0, v3
	s_xor_b32 s13, exec_lo, s13
; %bb.2650:                             ;   in Loop: Header=BB6_136 Depth=3
	s_delay_alu instid0(VALU_DEP_2) | instskip(SKIP_1) | instid1(VALU_DEP_1)
	v_cmp_lt_u64_e32 vcc_lo, 0xffffff, v[0:1]
	v_add_nc_u32_e32 v2, 15, v5
	v_cndmask_b32_e32 v2, v3, v2, vcc_lo
	v_cndmask_b32_e64 v3, 0, 1, vcc_lo
	s_delay_alu instid0(VALU_DEP_1)
	v_lshrrev_b64 v[0:1], v3, v[0:1]
; %bb.2651:                             ;   in Loop: Header=BB6_136 Depth=3
	s_and_not1_saveexec_b32 s13, s13
; %bb.2652:                             ;   in Loop: Header=BB6_136 Depth=3
	s_delay_alu instid0(VALU_DEP_1)
	v_bfe_u32 v2, v0, 23, 1
; %bb.2653:                             ;   in Loop: Header=BB6_136 Depth=3
	s_or_b32 exec_lo, exec_lo, s13
	s_delay_alu instid0(VALU_DEP_2) | instskip(NEXT) | instid1(VALU_DEP_2)
	v_lshrrev_b64 v[0:1], 21, v[0:1]
	v_cmp_gt_i32_e32 vcc_lo, 32, v2
	v_min_i32_e32 v3, 31, v2
	v_cmp_eq_u32_e64 s13, 0, v2
	s_delay_alu instid0(VALU_DEP_2) | instskip(SKIP_1) | instid1(VALU_DEP_2)
	v_dual_cndmask_b32 v1, 0, v1, vcc_lo :: v_dual_lshlrev_b32 v3, 2, v3
	v_cndmask_b32_e32 v0, 3, v0, vcc_lo
	v_and_b32_e32 v3, 0xfc, v3
	s_delay_alu instid0(VALU_DEP_2) | instskip(NEXT) | instid1(VALU_DEP_2)
	v_cmp_eq_u64_e32 vcc_lo, 0, v[0:1]
	v_and_or_b32 v0, v0, 3, v3
	s_and_b32 s13, s13, vcc_lo
	s_delay_alu instid0(VALU_DEP_1) | instid1(SALU_CYCLE_1)
	v_cndmask_b32_e64 v0, v0, 0, s13
	s_delay_alu instid0(VALU_DEP_1)
	v_or_b32_e32 v104, v0, v4
.LBB6_2654:                             ;   in Loop: Header=BB6_136 Depth=3
	s_or_b32 exec_lo, exec_lo, s76
                                        ; implicit-def: $vgpr4
.LBB6_2655:                             ;   in Loop: Header=BB6_136 Depth=3
	s_and_not1_saveexec_b32 s13, s75
; %bb.2656:                             ;   in Loop: Header=BB6_136 Depth=3
	v_or_b32_e32 v104, 0x7b, v4
; %bb.2657:                             ;   in Loop: Header=BB6_136 Depth=3
	s_or_b32 exec_lo, exec_lo, s13
                                        ; implicit-def: $vgpr2
                                        ; implicit-def: $vgpr0_vgpr1
                                        ; implicit-def: $vgpr3
.LBB6_2658:                             ;   in Loop: Header=BB6_136 Depth=3
	s_and_not1_saveexec_b32 s13, s74
	s_cbranch_execz .LBB6_2664
; %bb.2659:                             ;   in Loop: Header=BB6_136 Depth=3
	s_mov_b32 s74, exec_lo
                                        ; implicit-def: $vgpr104
	v_cmpx_ne_u64_e32 0, v[0:1]
	s_xor_b32 s74, exec_lo, s74
; %bb.2660:                             ;   in Loop: Header=BB6_136 Depth=3
	v_or_b32_e32 v104, 0x7f, v3
                                        ; implicit-def: $vgpr2
; %bb.2661:                             ;   in Loop: Header=BB6_136 Depth=3
	s_and_not1_saveexec_b32 s74, s74
; %bb.2662:                             ;   in Loop: Header=BB6_136 Depth=3
	v_cmp_lt_i32_e32 vcc_lo, -1, v2
	v_mov_b32_e32 v0, 0x7c
	s_delay_alu instid0(VALU_DEP_1)
	v_cndmask_b32_e32 v104, 0xfc, v0, vcc_lo
; %bb.2663:                             ;   in Loop: Header=BB6_136 Depth=3
	s_or_b32 exec_lo, exec_lo, s74
.LBB6_2664:                             ;   in Loop: Header=BB6_136 Depth=3
	s_delay_alu instid0(SALU_CYCLE_1) | instskip(SKIP_4) | instid1(VALU_DEP_3)
	s_or_b32 exec_lo, exec_lo, s13
	v_and_b32_e32 v3, 0xff, v9
	v_dual_mov_b32 v0, v9 :: v_dual_mov_b32 v1, v113
	v_mov_b32_e32 v2, 0
	s_mov_b32 s74, exec_lo
	v_cmpx_ne_u16_e32 0, v3
	s_cbranch_execz .LBB6_2674
; %bb.2665:                             ;   in Loop: Header=BB6_136 Depth=3
	v_bfrev_b32_e32 v2, 1
	s_mov_b32 s75, exec_lo
	v_cmpx_ne_u16_e32 0x80, v3
	s_cbranch_execz .LBB6_2673
; %bb.2666:                             ;   in Loop: Header=BB6_136 Depth=3
	v_and_b32_e32 v2, 0x7c, v9
	v_and_b32_e32 v3, 3, v9
	s_delay_alu instid0(VALU_DEP_2) | instskip(SKIP_1) | instid1(SALU_CYCLE_1)
	v_cmp_ne_u32_e32 vcc_lo, 0x7c, v2
                                        ; implicit-def: $vgpr2
	s_and_saveexec_b32 s13, vcc_lo
	s_xor_b32 s13, exec_lo, s13
	s_cbranch_execz .LBB6_2670
; %bb.2667:                             ;   in Loop: Header=BB6_136 Depth=3
	v_bfe_u32 v2, v9, 2, 5
	s_mov_b32 s76, exec_lo
	s_delay_alu instid0(VALU_DEP_1)
	v_cmpx_eq_u32_e32 0, v2
; %bb.2668:                             ;   in Loop: Header=BB6_136 Depth=3
	v_clz_i32_u32_e32 v2, v3
	s_delay_alu instid0(VALU_DEP_1) | instskip(NEXT) | instid1(VALU_DEP_1)
	v_min_u32_e32 v2, 32, v2
	v_subrev_nc_u32_e32 v3, 29, v2
	s_delay_alu instid0(VALU_DEP_1) | instskip(NEXT) | instid1(VALU_DEP_1)
	v_lshlrev_b64_e32 v[4:5], v3, v[0:1]
	v_dual_sub_nc_u32 v2, 30, v2 :: v_dual_bitop2_b32 v3, 3, v4 bitop3:0x40
; %bb.2669:                             ;   in Loop: Header=BB6_136 Depth=3
	s_or_b32 exec_lo, exec_lo, s76
	v_lshlrev_b32_e32 v1, 24, v9
	s_delay_alu instid0(VALU_DEP_1) | instskip(NEXT) | instid1(VALU_DEP_1)
	v_and_b32_e32 v1, 0x80000000, v1
	v_lshl_add_u32 v1, v2, 23, v1
	s_delay_alu instid0(VALU_DEP_1) | instskip(NEXT) | instid1(VALU_DEP_1)
	v_lshl_or_b32 v1, v3, 21, v1
                                        ; implicit-def: $vgpr3
	v_add_nc_u32_e32 v2, 0x38000000, v1
.LBB6_2670:                             ;   in Loop: Header=BB6_136 Depth=3
	s_and_not1_saveexec_b32 s76, s13
; %bb.2671:                             ;   in Loop: Header=BB6_136 Depth=3
	v_bfe_i32 v1, v9, 0, 8
	v_cmp_eq_u32_e32 vcc_lo, 0, v3
	s_delay_alu instid0(VALU_DEP_2) | instskip(SKIP_1) | instid1(VALU_DEP_1)
	v_cmp_lt_i16_e64 s13, -1, v1
	v_mov_b32_e32 v1, 0x7f800000
	v_cndmask_b32_e64 v1, 0xff800000, v1, s13
	s_delay_alu instid0(VALU_DEP_1)
	v_cndmask_b32_e32 v2, 0x7f800001, v1, vcc_lo
; %bb.2672:                             ;   in Loop: Header=BB6_136 Depth=3
	s_or_b32 exec_lo, exec_lo, s76
.LBB6_2673:                             ;   in Loop: Header=BB6_136 Depth=3
	s_delay_alu instid0(SALU_CYCLE_1)
	s_or_b32 exec_lo, exec_lo, s75
.LBB6_2674:                             ;   in Loop: Header=BB6_136 Depth=3
	s_delay_alu instid0(SALU_CYCLE_1) | instskip(NEXT) | instid1(VALU_DEP_1)
	s_or_b32 exec_lo, exec_lo, s74
	v_dual_mul_f32 v4, s73, v2 :: v_dual_mov_b32 v25, v113
	v_mov_b32_e32 v3, v113
                                        ; implicit-def: $vgpr105
	s_mov_b32 s13, exec_lo
	s_delay_alu instid0(VALU_DEP_2) | instskip(SKIP_2) | instid1(VALU_DEP_3)
	v_and_b32_e32 v24, 0x7f800000, v4
	v_and_b32_e32 v2, 0x7fffff, v4
	v_lshrrev_b32_e32 v1, 24, v4
	v_cmpx_ne_u64_e32 0x7f800000, v[24:25]
	s_xor_b32 s74, exec_lo, s13
	s_cbranch_execz .LBB6_2688
; %bb.2675:                             ;   in Loop: Header=BB6_136 Depth=3
	v_and_b32_e32 v24, 0x7fffffff, v4
	v_mov_b32_e32 v25, v113
	v_and_b32_e32 v1, 0x80, v1
                                        ; implicit-def: $vgpr105
	s_mov_b32 s13, exec_lo
	s_delay_alu instid0(VALU_DEP_2)
	v_cmpx_gt_u64_e32 0x47600001, v[24:25]
	s_xor_b32 s75, exec_lo, s13
	s_cbranch_execz .LBB6_2685
; %bb.2676:                             ;   in Loop: Header=BB6_136 Depth=3
	v_mov_b32_e32 v105, 0
	s_mov_b32 s76, exec_lo
	v_cmpx_ne_u32_e32 0, v4
	s_cbranch_execz .LBB6_2684
; %bb.2677:                             ;   in Loop: Header=BB6_136 Depth=3
	v_bfe_u32 v7, v4, 23, 8
	v_or_b32_e32 v5, 0x800000, v2
	s_delay_alu instid0(VALU_DEP_2) | instskip(SKIP_2) | instid1(VALU_DEP_2)
	v_cmp_gt_u32_e64 s13, 0x72, v7
	v_sub_nc_u32_e32 v4, 0x71, v7
	v_cmp_eq_u32_e32 vcc_lo, 0, v7
	v_dual_cndmask_b32 v4, 0, v4, s13 :: v_dual_cndmask_b32 v2, v5, v2, vcc_lo
	s_delay_alu instid0(VALU_DEP_1) | instskip(NEXT) | instid1(VALU_DEP_1)
	v_cndmask_b32_e64 v24, v4, 0x70, vcc_lo
	v_dual_add_nc_u32 v4, 21, v24 :: v_dual_add_nc_u32 v25, 20, v24
	s_delay_alu instid0(VALU_DEP_1) | instskip(NEXT) | instid1(VALU_DEP_2)
	v_lshlrev_b64_e64 v[4:5], v4, -1
	v_lshlrev_b64_e64 v[26:27], v25, 1
	s_delay_alu instid0(VALU_DEP_2) | instskip(SKIP_1) | instid1(VALU_DEP_4)
	v_bfi_b32 v4, v4, 0, v2
	v_lshrrev_b64 v[2:3], v24, v[2:3]
	v_bfi_b32 v5, v5, 0, 0
	s_delay_alu instid0(VALU_DEP_1) | instskip(NEXT) | instid1(VALU_DEP_3)
	v_cmp_eq_u64_e64 s13, v[4:5], v[26:27]
	v_mov_b64_e32 v[4:5], v[2:3]
	s_and_saveexec_b32 s77, s13
; %bb.2678:                             ;   in Loop: Header=BB6_136 Depth=3
	v_bfe_u32 v4, v2, 21, 1
	v_mov_b32_e32 v5, v113
	s_delay_alu instid0(VALU_DEP_1) | instskip(NEXT) | instid1(VALU_DEP_1)
	v_add_nc_u64_e32 v[4:5], v[2:3], v[4:5]
	v_add_nc_u64_e32 v[4:5], -1, v[4:5]
; %bb.2679:                             ;   in Loop: Header=BB6_136 Depth=3
	s_or_b32 exec_lo, exec_lo, s77
	v_add_nc_u32_e32 v3, 0xffffff81, v7
	v_lshrrev_b32_e32 v5, 23, v2
	s_mov_b32 s13, exec_lo
	s_delay_alu instid0(VALU_DEP_2) | instskip(NEXT) | instid1(VALU_DEP_1)
	v_cndmask_b32_e64 v3, v3, 0xffffff82, vcc_lo
	v_add3_u32 v7, v24, v3, v5
	v_and_b32_e32 v3, 0x1fffff, v4
                                        ; implicit-def: $vgpr4
	s_delay_alu instid0(VALU_DEP_1) | instskip(SKIP_1) | instid1(VALU_DEP_2)
	v_dual_add_nc_u32 v5, 14, v7 :: v_dual_add_nc_u32 v2, v3, v2
	v_mov_b32_e32 v3, v113
	v_cmpx_ne_u32_e32 0, v5
	s_xor_b32 s13, exec_lo, s13
; %bb.2680:                             ;   in Loop: Header=BB6_136 Depth=3
	s_delay_alu instid0(VALU_DEP_2) | instskip(SKIP_1) | instid1(VALU_DEP_1)
	v_cmp_lt_u64_e32 vcc_lo, 0xffffff, v[2:3]
	v_add_nc_u32_e32 v4, 15, v7
	v_cndmask_b32_e32 v4, v5, v4, vcc_lo
	v_cndmask_b32_e64 v5, 0, 1, vcc_lo
	s_delay_alu instid0(VALU_DEP_1)
	v_lshrrev_b64 v[2:3], v5, v[2:3]
; %bb.2681:                             ;   in Loop: Header=BB6_136 Depth=3
	s_and_not1_saveexec_b32 s13, s13
; %bb.2682:                             ;   in Loop: Header=BB6_136 Depth=3
	s_delay_alu instid0(VALU_DEP_1)
	v_bfe_u32 v4, v2, 23, 1
; %bb.2683:                             ;   in Loop: Header=BB6_136 Depth=3
	s_or_b32 exec_lo, exec_lo, s13
	s_delay_alu instid0(VALU_DEP_2) | instskip(NEXT) | instid1(VALU_DEP_2)
	v_lshrrev_b64 v[2:3], 21, v[2:3]
	v_cmp_gt_i32_e32 vcc_lo, 32, v4
	v_min_i32_e32 v5, 31, v4
	v_cmp_eq_u32_e64 s13, 0, v4
	s_delay_alu instid0(VALU_DEP_2) | instskip(SKIP_1) | instid1(VALU_DEP_2)
	v_dual_cndmask_b32 v3, 0, v3, vcc_lo :: v_dual_lshlrev_b32 v5, 2, v5
	v_cndmask_b32_e32 v2, 3, v2, vcc_lo
	v_and_b32_e32 v5, 0xfc, v5
	s_delay_alu instid0(VALU_DEP_2) | instskip(NEXT) | instid1(VALU_DEP_2)
	v_cmp_eq_u64_e32 vcc_lo, 0, v[2:3]
	v_and_or_b32 v2, v2, 3, v5
	s_and_b32 s13, s13, vcc_lo
	s_delay_alu instid0(VALU_DEP_1) | instid1(SALU_CYCLE_1)
	v_cndmask_b32_e64 v2, v2, 0, s13
	s_delay_alu instid0(VALU_DEP_1)
	v_or_b32_e32 v105, v2, v1
.LBB6_2684:                             ;   in Loop: Header=BB6_136 Depth=3
	s_or_b32 exec_lo, exec_lo, s76
                                        ; implicit-def: $vgpr1
.LBB6_2685:                             ;   in Loop: Header=BB6_136 Depth=3
	s_and_not1_saveexec_b32 s13, s75
; %bb.2686:                             ;   in Loop: Header=BB6_136 Depth=3
	v_or_b32_e32 v105, 0x7b, v1
; %bb.2687:                             ;   in Loop: Header=BB6_136 Depth=3
	s_or_b32 exec_lo, exec_lo, s13
                                        ; implicit-def: $vgpr4
                                        ; implicit-def: $vgpr2_vgpr3
                                        ; implicit-def: $vgpr1
.LBB6_2688:                             ;   in Loop: Header=BB6_136 Depth=3
	s_and_not1_saveexec_b32 s13, s74
	s_cbranch_execz .LBB6_2694
; %bb.2689:                             ;   in Loop: Header=BB6_136 Depth=3
	s_mov_b32 s74, exec_lo
                                        ; implicit-def: $vgpr105
	v_cmpx_ne_u64_e32 0, v[2:3]
	s_xor_b32 s74, exec_lo, s74
; %bb.2690:                             ;   in Loop: Header=BB6_136 Depth=3
	v_or_b32_e32 v105, 0x7f, v1
                                        ; implicit-def: $vgpr4
; %bb.2691:                             ;   in Loop: Header=BB6_136 Depth=3
	s_and_not1_saveexec_b32 s74, s74
; %bb.2692:                             ;   in Loop: Header=BB6_136 Depth=3
	v_cmp_lt_i32_e32 vcc_lo, -1, v4
	v_mov_b32_e32 v1, 0x7c
	s_delay_alu instid0(VALU_DEP_1)
	v_cndmask_b32_e32 v105, 0xfc, v1, vcc_lo
; %bb.2693:                             ;   in Loop: Header=BB6_136 Depth=3
	s_or_b32 exec_lo, exec_lo, s74
.LBB6_2694:                             ;   in Loop: Header=BB6_136 Depth=3
	s_delay_alu instid0(SALU_CYCLE_1) | instskip(SKIP_3) | instid1(VALU_DEP_2)
	s_or_b32 exec_lo, exec_lo, s13
	v_lshrrev_b16 v2, 8, v0
	v_mov_b32_e32 v3, 0
	s_mov_b32 s74, exec_lo
	v_cmpx_ne_u16_e32 0, v2
	s_cbranch_execz .LBB6_2704
; %bb.2695:                             ;   in Loop: Header=BB6_136 Depth=3
	v_bfrev_b32_e32 v3, 1
	s_mov_b32 s75, exec_lo
	v_cmpx_ne_u16_e32 0x80, v2
	s_cbranch_execz .LBB6_2703
; %bb.2696:                             ;   in Loop: Header=BB6_136 Depth=3
	v_and_b32_e32 v1, 0xffff, v2
	s_delay_alu instid0(VALU_DEP_1) | instskip(SKIP_1) | instid1(VALU_DEP_2)
	v_and_b32_e32 v3, 0x7c, v1
	v_and_b32_e32 v4, 3, v1
	v_cmp_ne_u32_e32 vcc_lo, 0x7c, v3
                                        ; implicit-def: $vgpr3
	s_and_saveexec_b32 s13, vcc_lo
	s_delay_alu instid0(SALU_CYCLE_1)
	s_xor_b32 s13, exec_lo, s13
	s_cbranch_execz .LBB6_2700
; %bb.2697:                             ;   in Loop: Header=BB6_136 Depth=3
	v_bfe_u32 v1, v1, 2, 5
	s_mov_b32 s76, exec_lo
	s_delay_alu instid0(VALU_DEP_1)
	v_cmpx_eq_u32_e32 0, v1
	s_cbranch_execz .LBB6_2699
; %bb.2698:                             ;   in Loop: Header=BB6_136 Depth=3
	v_clz_i32_u32_e32 v1, v4
	s_delay_alu instid0(VALU_DEP_1) | instskip(SKIP_1) | instid1(VALU_DEP_2)
	v_min_u32_e32 v1, 32, v1
	v_mov_b32_e32 v3, v113
	v_subrev_nc_u32_e32 v4, 29, v1
	v_sub_nc_u32_e32 v1, 30, v1
	s_delay_alu instid0(VALU_DEP_2) | instskip(NEXT) | instid1(VALU_DEP_1)
	v_lshlrev_b64_e32 v[2:3], v4, v[2:3]
	v_and_b32_e32 v4, 3, v2
.LBB6_2699:                             ;   in Loop: Header=BB6_136 Depth=3
	s_or_b32 exec_lo, exec_lo, s76
	v_lshlrev_b32_e32 v0, 16, v0
	s_delay_alu instid0(VALU_DEP_1) | instskip(NEXT) | instid1(VALU_DEP_1)
	v_and_b32_e32 v0, 0x80000000, v0
	v_lshl_add_u32 v0, v1, 23, v0
	s_delay_alu instid0(VALU_DEP_1) | instskip(NEXT) | instid1(VALU_DEP_1)
	v_lshl_or_b32 v0, v4, 21, v0
                                        ; implicit-def: $vgpr4
	v_add_nc_u32_e32 v3, 0x38000000, v0
                                        ; implicit-def: $vgpr0_vgpr1
.LBB6_2700:                             ;   in Loop: Header=BB6_136 Depth=3
	s_and_not1_saveexec_b32 s76, s13
; %bb.2701:                             ;   in Loop: Header=BB6_136 Depth=3
	v_cmp_lt_i16_e64 s13, -1, v0
	v_mov_b32_e32 v0, 0x7f800000
	v_cmp_eq_u32_e32 vcc_lo, 0, v4
	s_delay_alu instid0(VALU_DEP_2) | instskip(NEXT) | instid1(VALU_DEP_1)
	v_cndmask_b32_e64 v0, 0xff800000, v0, s13
	v_cndmask_b32_e32 v3, 0x7f800001, v0, vcc_lo
; %bb.2702:                             ;   in Loop: Header=BB6_136 Depth=3
	s_or_b32 exec_lo, exec_lo, s76
.LBB6_2703:                             ;   in Loop: Header=BB6_136 Depth=3
	s_delay_alu instid0(SALU_CYCLE_1)
	s_or_b32 exec_lo, exec_lo, s75
.LBB6_2704:                             ;   in Loop: Header=BB6_136 Depth=3
	s_delay_alu instid0(SALU_CYCLE_1) | instskip(NEXT) | instid1(VALU_DEP_1)
	s_or_b32 exec_lo, exec_lo, s74
	v_dual_mul_f32 v2, s73, v3 :: v_dual_mov_b32 v5, v113
	v_mov_b32_e32 v1, v113
                                        ; implicit-def: $vgpr106
	s_mov_b32 s13, exec_lo
	s_delay_alu instid0(VALU_DEP_2) | instskip(SKIP_2) | instid1(VALU_DEP_3)
	v_and_b32_e32 v4, 0x7f800000, v2
	v_and_b32_e32 v0, 0x7fffff, v2
	v_lshrrev_b32_e32 v3, 24, v2
	v_cmpx_ne_u64_e32 0x7f800000, v[4:5]
	s_xor_b32 s74, exec_lo, s13
	s_cbranch_execz .LBB6_2718
; %bb.2705:                             ;   in Loop: Header=BB6_136 Depth=3
	v_and_b32_e32 v4, 0x7fffffff, v2
	v_mov_b32_e32 v5, v113
                                        ; implicit-def: $vgpr106
	s_delay_alu instid0(VALU_DEP_1) | instskip(SKIP_2) | instid1(SALU_CYCLE_1)
	v_cmp_gt_u64_e32 vcc_lo, 0x47600001, v[4:5]
	v_and_b32_e32 v4, 0x80, v3
	s_and_saveexec_b32 s13, vcc_lo
	s_xor_b32 s75, exec_lo, s13
	s_cbranch_execz .LBB6_2715
; %bb.2706:                             ;   in Loop: Header=BB6_136 Depth=3
	v_mov_b32_e32 v106, 0
	s_mov_b32 s76, exec_lo
	v_cmpx_ne_u32_e32 0, v2
	s_cbranch_execz .LBB6_2714
; %bb.2707:                             ;   in Loop: Header=BB6_136 Depth=3
	v_bfe_u32 v5, v2, 23, 8
	v_or_b32_e32 v3, 0x800000, v0
	s_delay_alu instid0(VALU_DEP_2) | instskip(SKIP_2) | instid1(VALU_DEP_2)
	v_cmp_gt_u32_e64 s13, 0x72, v5
	v_sub_nc_u32_e32 v2, 0x71, v5
	v_cmp_eq_u32_e32 vcc_lo, 0, v5
	v_dual_cndmask_b32 v2, 0, v2, s13 :: v_dual_cndmask_b32 v0, v3, v0, vcc_lo
	s_delay_alu instid0(VALU_DEP_1) | instskip(NEXT) | instid1(VALU_DEP_1)
	v_cndmask_b32_e64 v7, v2, 0x70, vcc_lo
	v_dual_add_nc_u32 v2, 21, v7 :: v_dual_add_nc_u32 v24, 20, v7
	s_delay_alu instid0(VALU_DEP_1) | instskip(NEXT) | instid1(VALU_DEP_2)
	v_lshlrev_b64_e64 v[2:3], v2, -1
	v_lshlrev_b64_e64 v[24:25], v24, 1
	s_delay_alu instid0(VALU_DEP_2) | instskip(SKIP_1) | instid1(VALU_DEP_4)
	v_bfi_b32 v2, v2, 0, v0
	v_lshrrev_b64 v[0:1], v7, v[0:1]
	v_bfi_b32 v3, v3, 0, 0
	s_delay_alu instid0(VALU_DEP_1) | instskip(NEXT) | instid1(VALU_DEP_3)
	v_cmp_eq_u64_e64 s13, v[2:3], v[24:25]
	v_mov_b64_e32 v[2:3], v[0:1]
	s_and_saveexec_b32 s77, s13
; %bb.2708:                             ;   in Loop: Header=BB6_136 Depth=3
	v_bfe_u32 v2, v0, 21, 1
	v_mov_b32_e32 v3, v113
	s_delay_alu instid0(VALU_DEP_1) | instskip(NEXT) | instid1(VALU_DEP_1)
	v_add_nc_u64_e32 v[2:3], v[0:1], v[2:3]
	v_add_nc_u64_e32 v[2:3], -1, v[2:3]
; %bb.2709:                             ;   in Loop: Header=BB6_136 Depth=3
	s_or_b32 exec_lo, exec_lo, s77
	v_add_nc_u32_e32 v1, 0xffffff81, v5
	v_lshrrev_b32_e32 v3, 23, v0
	s_mov_b32 s13, exec_lo
	s_delay_alu instid0(VALU_DEP_2) | instskip(NEXT) | instid1(VALU_DEP_1)
	v_cndmask_b32_e64 v1, v1, 0xffffff82, vcc_lo
	v_add3_u32 v5, v7, v1, v3
	v_and_b32_e32 v1, 0x1fffff, v2
                                        ; implicit-def: $vgpr2
	s_delay_alu instid0(VALU_DEP_1) | instskip(SKIP_1) | instid1(VALU_DEP_2)
	v_dual_add_nc_u32 v3, 14, v5 :: v_dual_add_nc_u32 v0, v1, v0
	v_mov_b32_e32 v1, v113
	v_cmpx_ne_u32_e32 0, v3
	s_xor_b32 s13, exec_lo, s13
; %bb.2710:                             ;   in Loop: Header=BB6_136 Depth=3
	s_delay_alu instid0(VALU_DEP_2) | instskip(SKIP_1) | instid1(VALU_DEP_1)
	v_cmp_lt_u64_e32 vcc_lo, 0xffffff, v[0:1]
	v_add_nc_u32_e32 v2, 15, v5
	v_cndmask_b32_e32 v2, v3, v2, vcc_lo
	v_cndmask_b32_e64 v3, 0, 1, vcc_lo
	s_delay_alu instid0(VALU_DEP_1)
	v_lshrrev_b64 v[0:1], v3, v[0:1]
; %bb.2711:                             ;   in Loop: Header=BB6_136 Depth=3
	s_and_not1_saveexec_b32 s13, s13
; %bb.2712:                             ;   in Loop: Header=BB6_136 Depth=3
	s_delay_alu instid0(VALU_DEP_1)
	v_bfe_u32 v2, v0, 23, 1
; %bb.2713:                             ;   in Loop: Header=BB6_136 Depth=3
	s_or_b32 exec_lo, exec_lo, s13
	s_delay_alu instid0(VALU_DEP_2) | instskip(NEXT) | instid1(VALU_DEP_2)
	v_lshrrev_b64 v[0:1], 21, v[0:1]
	v_cmp_gt_i32_e32 vcc_lo, 32, v2
	v_min_i32_e32 v3, 31, v2
	v_cmp_eq_u32_e64 s13, 0, v2
	s_delay_alu instid0(VALU_DEP_2) | instskip(SKIP_1) | instid1(VALU_DEP_2)
	v_dual_cndmask_b32 v1, 0, v1, vcc_lo :: v_dual_lshlrev_b32 v3, 2, v3
	v_cndmask_b32_e32 v0, 3, v0, vcc_lo
	v_and_b32_e32 v3, 0xfc, v3
	s_delay_alu instid0(VALU_DEP_2) | instskip(NEXT) | instid1(VALU_DEP_2)
	v_cmp_eq_u64_e32 vcc_lo, 0, v[0:1]
	v_and_or_b32 v0, v0, 3, v3
	s_and_b32 s13, s13, vcc_lo
	s_delay_alu instid0(VALU_DEP_1) | instid1(SALU_CYCLE_1)
	v_cndmask_b32_e64 v0, v0, 0, s13
	s_delay_alu instid0(VALU_DEP_1)
	v_or_b32_e32 v106, v0, v4
.LBB6_2714:                             ;   in Loop: Header=BB6_136 Depth=3
	s_or_b32 exec_lo, exec_lo, s76
                                        ; implicit-def: $vgpr4
.LBB6_2715:                             ;   in Loop: Header=BB6_136 Depth=3
	s_and_not1_saveexec_b32 s13, s75
; %bb.2716:                             ;   in Loop: Header=BB6_136 Depth=3
	v_or_b32_e32 v106, 0x7b, v4
; %bb.2717:                             ;   in Loop: Header=BB6_136 Depth=3
	s_or_b32 exec_lo, exec_lo, s13
                                        ; implicit-def: $vgpr2
                                        ; implicit-def: $vgpr0_vgpr1
                                        ; implicit-def: $vgpr3
.LBB6_2718:                             ;   in Loop: Header=BB6_136 Depth=3
	s_and_not1_saveexec_b32 s13, s74
	s_cbranch_execz .LBB6_2724
; %bb.2719:                             ;   in Loop: Header=BB6_136 Depth=3
	s_mov_b32 s74, exec_lo
                                        ; implicit-def: $vgpr106
	v_cmpx_ne_u64_e32 0, v[0:1]
	s_xor_b32 s74, exec_lo, s74
; %bb.2720:                             ;   in Loop: Header=BB6_136 Depth=3
	v_or_b32_e32 v106, 0x7f, v3
                                        ; implicit-def: $vgpr2
; %bb.2721:                             ;   in Loop: Header=BB6_136 Depth=3
	s_and_not1_saveexec_b32 s74, s74
; %bb.2722:                             ;   in Loop: Header=BB6_136 Depth=3
	v_cmp_lt_i32_e32 vcc_lo, -1, v2
	v_mov_b32_e32 v0, 0x7c
	s_delay_alu instid0(VALU_DEP_1)
	v_cndmask_b32_e32 v106, 0xfc, v0, vcc_lo
; %bb.2723:                             ;   in Loop: Header=BB6_136 Depth=3
	s_or_b32 exec_lo, exec_lo, s74
.LBB6_2724:                             ;   in Loop: Header=BB6_136 Depth=3
	s_delay_alu instid0(SALU_CYCLE_1) | instskip(SKIP_2) | instid1(VALU_DEP_1)
	s_or_b32 exec_lo, exec_lo, s13
	v_dual_mov_b32 v1, 0 :: v_dual_lshrrev_b32 v0, 16, v9
	s_mov_b32 s74, exec_lo
	v_and_b32_e32 v2, 0xff, v0
	s_delay_alu instid0(VALU_DEP_1)
	v_cmpx_ne_u16_e32 0, v2
	s_cbranch_execz .LBB6_2734
; %bb.2725:                             ;   in Loop: Header=BB6_136 Depth=3
	v_bfrev_b32_e32 v1, 1
	s_mov_b32 s75, exec_lo
	v_cmpx_ne_u16_e32 0x80, v2
	s_cbranch_execz .LBB6_2733
; %bb.2726:                             ;   in Loop: Header=BB6_136 Depth=3
	v_and_b32_e32 v1, 0x7c0000, v9
	v_bfe_u32 v2, v9, 16, 2
	s_delay_alu instid0(VALU_DEP_2) | instskip(SKIP_1) | instid1(SALU_CYCLE_1)
	v_cmp_ne_u32_e32 vcc_lo, 0x7c0000, v1
                                        ; implicit-def: $vgpr1
	s_and_saveexec_b32 s13, vcc_lo
	s_xor_b32 s13, exec_lo, s13
	s_cbranch_execz .LBB6_2730
; %bb.2727:                             ;   in Loop: Header=BB6_136 Depth=3
	v_bfe_u32 v1, v9, 18, 5
	s_mov_b32 s76, exec_lo
	s_delay_alu instid0(VALU_DEP_1)
	v_cmpx_eq_u32_e32 0, v1
; %bb.2728:                             ;   in Loop: Header=BB6_136 Depth=3
	v_clz_i32_u32_e32 v1, v2
	s_delay_alu instid0(VALU_DEP_1) | instskip(NEXT) | instid1(VALU_DEP_1)
	v_min_u32_e32 v1, 32, v1
	v_subrev_nc_u32_e32 v2, 29, v1
	s_delay_alu instid0(VALU_DEP_1) | instskip(NEXT) | instid1(VALU_DEP_1)
	v_lshlrev_b64_e32 v[2:3], v2, v[0:1]
	v_dual_sub_nc_u32 v1, 30, v1 :: v_dual_bitop2_b32 v2, 3, v2 bitop3:0x40
; %bb.2729:                             ;   in Loop: Header=BB6_136 Depth=3
	s_or_b32 exec_lo, exec_lo, s76
	v_lshlrev_b32_e32 v0, 24, v0
	s_delay_alu instid0(VALU_DEP_1) | instskip(NEXT) | instid1(VALU_DEP_1)
	v_and_b32_e32 v0, 0x80000000, v0
	v_lshl_add_u32 v0, v1, 23, v0
	s_delay_alu instid0(VALU_DEP_1) | instskip(NEXT) | instid1(VALU_DEP_1)
	v_lshl_or_b32 v0, v2, 21, v0
                                        ; implicit-def: $vgpr2
	v_add_nc_u32_e32 v1, 0x38000000, v0
                                        ; implicit-def: $vgpr0
.LBB6_2730:                             ;   in Loop: Header=BB6_136 Depth=3
	s_and_not1_saveexec_b32 s76, s13
; %bb.2731:                             ;   in Loop: Header=BB6_136 Depth=3
	v_bfe_i32 v0, v0, 0, 8
	v_cmp_eq_u32_e32 vcc_lo, 0, v2
	s_delay_alu instid0(VALU_DEP_2) | instskip(SKIP_1) | instid1(VALU_DEP_1)
	v_cmp_lt_i16_e64 s13, -1, v0
	v_mov_b32_e32 v0, 0x7f800000
	v_cndmask_b32_e64 v0, 0xff800000, v0, s13
	s_delay_alu instid0(VALU_DEP_1)
	v_cndmask_b32_e32 v1, 0x7f800001, v0, vcc_lo
; %bb.2732:                             ;   in Loop: Header=BB6_136 Depth=3
	s_or_b32 exec_lo, exec_lo, s76
.LBB6_2733:                             ;   in Loop: Header=BB6_136 Depth=3
	s_delay_alu instid0(SALU_CYCLE_1)
	s_or_b32 exec_lo, exec_lo, s75
.LBB6_2734:                             ;   in Loop: Header=BB6_136 Depth=3
	s_delay_alu instid0(SALU_CYCLE_1) | instskip(NEXT) | instid1(VALU_DEP_1)
	s_or_b32 exec_lo, exec_lo, s74
	v_dual_mul_f32 v2, s73, v1 :: v_dual_mov_b32 v5, v113
	v_mov_b32_e32 v1, v113
                                        ; implicit-def: $vgpr107
	s_mov_b32 s13, exec_lo
	s_delay_alu instid0(VALU_DEP_2) | instskip(SKIP_2) | instid1(VALU_DEP_3)
	v_and_b32_e32 v4, 0x7f800000, v2
	v_and_b32_e32 v0, 0x7fffff, v2
	v_lshrrev_b32_e32 v3, 24, v2
	v_cmpx_ne_u64_e32 0x7f800000, v[4:5]
	s_xor_b32 s74, exec_lo, s13
	s_cbranch_execz .LBB6_2748
; %bb.2735:                             ;   in Loop: Header=BB6_136 Depth=3
	v_and_b32_e32 v4, 0x7fffffff, v2
	v_mov_b32_e32 v5, v113
                                        ; implicit-def: $vgpr107
	s_delay_alu instid0(VALU_DEP_1) | instskip(SKIP_2) | instid1(SALU_CYCLE_1)
	v_cmp_gt_u64_e32 vcc_lo, 0x47600001, v[4:5]
	v_and_b32_e32 v4, 0x80, v3
	s_and_saveexec_b32 s13, vcc_lo
	s_xor_b32 s75, exec_lo, s13
	s_cbranch_execz .LBB6_2745
; %bb.2736:                             ;   in Loop: Header=BB6_136 Depth=3
	v_mov_b32_e32 v107, 0
	s_mov_b32 s76, exec_lo
	v_cmpx_ne_u32_e32 0, v2
	s_cbranch_execz .LBB6_2744
; %bb.2737:                             ;   in Loop: Header=BB6_136 Depth=3
	v_bfe_u32 v5, v2, 23, 8
	v_or_b32_e32 v3, 0x800000, v0
	s_delay_alu instid0(VALU_DEP_2) | instskip(SKIP_2) | instid1(VALU_DEP_2)
	v_cmp_gt_u32_e64 s13, 0x72, v5
	v_sub_nc_u32_e32 v2, 0x71, v5
	v_cmp_eq_u32_e32 vcc_lo, 0, v5
	v_dual_cndmask_b32 v2, 0, v2, s13 :: v_dual_cndmask_b32 v0, v3, v0, vcc_lo
	s_delay_alu instid0(VALU_DEP_1) | instskip(NEXT) | instid1(VALU_DEP_1)
	v_cndmask_b32_e64 v7, v2, 0x70, vcc_lo
	v_dual_add_nc_u32 v2, 21, v7 :: v_dual_add_nc_u32 v24, 20, v7
	s_delay_alu instid0(VALU_DEP_1) | instskip(NEXT) | instid1(VALU_DEP_2)
	v_lshlrev_b64_e64 v[2:3], v2, -1
	v_lshlrev_b64_e64 v[24:25], v24, 1
	s_delay_alu instid0(VALU_DEP_2) | instskip(SKIP_1) | instid1(VALU_DEP_4)
	v_bfi_b32 v2, v2, 0, v0
	v_lshrrev_b64 v[0:1], v7, v[0:1]
	v_bfi_b32 v3, v3, 0, 0
	s_delay_alu instid0(VALU_DEP_1) | instskip(NEXT) | instid1(VALU_DEP_3)
	v_cmp_eq_u64_e64 s13, v[2:3], v[24:25]
	v_mov_b64_e32 v[2:3], v[0:1]
	s_and_saveexec_b32 s77, s13
; %bb.2738:                             ;   in Loop: Header=BB6_136 Depth=3
	v_bfe_u32 v2, v0, 21, 1
	v_mov_b32_e32 v3, v113
	s_delay_alu instid0(VALU_DEP_1) | instskip(NEXT) | instid1(VALU_DEP_1)
	v_add_nc_u64_e32 v[2:3], v[0:1], v[2:3]
	v_add_nc_u64_e32 v[2:3], -1, v[2:3]
; %bb.2739:                             ;   in Loop: Header=BB6_136 Depth=3
	s_or_b32 exec_lo, exec_lo, s77
	v_add_nc_u32_e32 v1, 0xffffff81, v5
	v_lshrrev_b32_e32 v3, 23, v0
	s_mov_b32 s13, exec_lo
	s_delay_alu instid0(VALU_DEP_2) | instskip(NEXT) | instid1(VALU_DEP_1)
	v_cndmask_b32_e64 v1, v1, 0xffffff82, vcc_lo
	v_add3_u32 v5, v7, v1, v3
	v_and_b32_e32 v1, 0x1fffff, v2
                                        ; implicit-def: $vgpr2
	s_delay_alu instid0(VALU_DEP_1) | instskip(SKIP_1) | instid1(VALU_DEP_2)
	v_dual_add_nc_u32 v3, 14, v5 :: v_dual_add_nc_u32 v0, v1, v0
	v_mov_b32_e32 v1, v113
	v_cmpx_ne_u32_e32 0, v3
	s_xor_b32 s13, exec_lo, s13
; %bb.2740:                             ;   in Loop: Header=BB6_136 Depth=3
	s_delay_alu instid0(VALU_DEP_2) | instskip(SKIP_1) | instid1(VALU_DEP_1)
	v_cmp_lt_u64_e32 vcc_lo, 0xffffff, v[0:1]
	v_add_nc_u32_e32 v2, 15, v5
	v_cndmask_b32_e32 v2, v3, v2, vcc_lo
	v_cndmask_b32_e64 v3, 0, 1, vcc_lo
	s_delay_alu instid0(VALU_DEP_1)
	v_lshrrev_b64 v[0:1], v3, v[0:1]
; %bb.2741:                             ;   in Loop: Header=BB6_136 Depth=3
	s_and_not1_saveexec_b32 s13, s13
; %bb.2742:                             ;   in Loop: Header=BB6_136 Depth=3
	s_delay_alu instid0(VALU_DEP_1)
	v_bfe_u32 v2, v0, 23, 1
; %bb.2743:                             ;   in Loop: Header=BB6_136 Depth=3
	s_or_b32 exec_lo, exec_lo, s13
	s_delay_alu instid0(VALU_DEP_2) | instskip(NEXT) | instid1(VALU_DEP_2)
	v_lshrrev_b64 v[0:1], 21, v[0:1]
	v_cmp_gt_i32_e32 vcc_lo, 32, v2
	v_min_i32_e32 v3, 31, v2
	v_cmp_eq_u32_e64 s13, 0, v2
	s_delay_alu instid0(VALU_DEP_2) | instskip(SKIP_1) | instid1(VALU_DEP_2)
	v_dual_cndmask_b32 v1, 0, v1, vcc_lo :: v_dual_lshlrev_b32 v3, 2, v3
	v_cndmask_b32_e32 v0, 3, v0, vcc_lo
	v_and_b32_e32 v3, 0xfc, v3
	s_delay_alu instid0(VALU_DEP_2) | instskip(NEXT) | instid1(VALU_DEP_2)
	v_cmp_eq_u64_e32 vcc_lo, 0, v[0:1]
	v_and_or_b32 v0, v0, 3, v3
	s_and_b32 s13, s13, vcc_lo
	s_delay_alu instid0(VALU_DEP_1) | instid1(SALU_CYCLE_1)
	v_cndmask_b32_e64 v0, v0, 0, s13
	s_delay_alu instid0(VALU_DEP_1)
	v_or_b32_e32 v107, v0, v4
.LBB6_2744:                             ;   in Loop: Header=BB6_136 Depth=3
	s_or_b32 exec_lo, exec_lo, s76
                                        ; implicit-def: $vgpr4
.LBB6_2745:                             ;   in Loop: Header=BB6_136 Depth=3
	s_and_not1_saveexec_b32 s13, s75
; %bb.2746:                             ;   in Loop: Header=BB6_136 Depth=3
	v_or_b32_e32 v107, 0x7b, v4
; %bb.2747:                             ;   in Loop: Header=BB6_136 Depth=3
	s_or_b32 exec_lo, exec_lo, s13
                                        ; implicit-def: $vgpr2
                                        ; implicit-def: $vgpr0_vgpr1
                                        ; implicit-def: $vgpr3
.LBB6_2748:                             ;   in Loop: Header=BB6_136 Depth=3
	s_and_not1_saveexec_b32 s13, s74
	s_cbranch_execz .LBB6_2754
; %bb.2749:                             ;   in Loop: Header=BB6_136 Depth=3
	s_mov_b32 s74, exec_lo
                                        ; implicit-def: $vgpr107
	v_cmpx_ne_u64_e32 0, v[0:1]
	s_xor_b32 s74, exec_lo, s74
; %bb.2750:                             ;   in Loop: Header=BB6_136 Depth=3
	v_or_b32_e32 v107, 0x7f, v3
                                        ; implicit-def: $vgpr2
; %bb.2751:                             ;   in Loop: Header=BB6_136 Depth=3
	s_and_not1_saveexec_b32 s74, s74
; %bb.2752:                             ;   in Loop: Header=BB6_136 Depth=3
	v_cmp_lt_i32_e32 vcc_lo, -1, v2
	v_mov_b32_e32 v0, 0x7c
	s_delay_alu instid0(VALU_DEP_1)
	v_cndmask_b32_e32 v107, 0xfc, v0, vcc_lo
; %bb.2753:                             ;   in Loop: Header=BB6_136 Depth=3
	s_or_b32 exec_lo, exec_lo, s74
.LBB6_2754:                             ;   in Loop: Header=BB6_136 Depth=3
	s_delay_alu instid0(SALU_CYCLE_1)
	s_or_b32 exec_lo, exec_lo, s13
	v_mov_b32_e32 v1, 0
	s_mov_b32 s74, exec_lo
	v_cmpx_lt_u64_e64 s[22:23], v[8:9]
	s_cbranch_execz .LBB6_2764
; %bb.2755:                             ;   in Loop: Header=BB6_136 Depth=3
	v_lshrrev_b32_e32 v0, 24, v9
	v_bfrev_b32_e32 v1, 1
	s_mov_b32 s75, exec_lo
	s_delay_alu instid0(VALU_DEP_2)
	v_cmpx_ne_u32_e32 0x80, v0
	s_cbranch_execz .LBB6_2763
; %bb.2756:                             ;   in Loop: Header=BB6_136 Depth=3
	v_and_b32_e32 v1, 0x7c000000, v9
	v_bfe_u32 v2, v9, 24, 2
	s_delay_alu instid0(VALU_DEP_2) | instskip(SKIP_1) | instid1(SALU_CYCLE_1)
	v_cmp_ne_u32_e32 vcc_lo, 0x7c000000, v1
                                        ; implicit-def: $vgpr1
	s_and_saveexec_b32 s13, vcc_lo
	s_xor_b32 s13, exec_lo, s13
	s_cbranch_execz .LBB6_2760
; %bb.2757:                             ;   in Loop: Header=BB6_136 Depth=3
	v_bfe_u32 v1, v9, 26, 5
	s_mov_b32 s76, exec_lo
	s_delay_alu instid0(VALU_DEP_1)
	v_cmpx_eq_u32_e32 0, v1
; %bb.2758:                             ;   in Loop: Header=BB6_136 Depth=3
	v_clz_i32_u32_e32 v1, v2
	s_delay_alu instid0(VALU_DEP_1) | instskip(NEXT) | instid1(VALU_DEP_1)
	v_min_u32_e32 v2, 32, v1
	v_subrev_nc_u32_e32 v1, 29, v2
	s_delay_alu instid0(VALU_DEP_1) | instskip(NEXT) | instid1(VALU_DEP_1)
	v_lshlrev_b64_e32 v[0:1], v1, v[0:1]
	v_dual_sub_nc_u32 v1, 30, v2 :: v_dual_bitop2_b32 v2, 3, v0 bitop3:0x40
; %bb.2759:                             ;   in Loop: Header=BB6_136 Depth=3
	s_or_b32 exec_lo, exec_lo, s76
	v_and_b32_e32 v0, 0x80000000, v9
	s_delay_alu instid0(VALU_DEP_1) | instskip(NEXT) | instid1(VALU_DEP_1)
	v_lshl_add_u32 v0, v1, 23, v0
	v_lshl_or_b32 v0, v2, 21, v0
                                        ; implicit-def: $vgpr2
	s_delay_alu instid0(VALU_DEP_1)
	v_add_nc_u32_e32 v1, 0x38000000, v0
.LBB6_2760:                             ;   in Loop: Header=BB6_136 Depth=3
	s_and_not1_saveexec_b32 s76, s13
; %bb.2761:                             ;   in Loop: Header=BB6_136 Depth=3
	v_cmp_lt_i64_e64 s13, -1, v[8:9]
	v_mov_b32_e32 v0, 0x7f800000
	v_cmp_eq_u32_e32 vcc_lo, 0, v2
	s_delay_alu instid0(VALU_DEP_2) | instskip(NEXT) | instid1(VALU_DEP_1)
	v_cndmask_b32_e64 v0, 0xff800000, v0, s13
	v_cndmask_b32_e32 v1, 0x7f800001, v0, vcc_lo
; %bb.2762:                             ;   in Loop: Header=BB6_136 Depth=3
	s_or_b32 exec_lo, exec_lo, s76
.LBB6_2763:                             ;   in Loop: Header=BB6_136 Depth=3
	s_delay_alu instid0(SALU_CYCLE_1)
	s_or_b32 exec_lo, exec_lo, s75
.LBB6_2764:                             ;   in Loop: Header=BB6_136 Depth=3
	s_delay_alu instid0(SALU_CYCLE_1) | instskip(NEXT) | instid1(VALU_DEP_1)
	s_or_b32 exec_lo, exec_lo, s74
	v_dual_mul_f32 v2, s73, v1 :: v_dual_mov_b32 v5, v113
	v_mov_b32_e32 v1, v113
                                        ; implicit-def: $vgpr108
	s_mov_b32 s13, exec_lo
	s_delay_alu instid0(VALU_DEP_2) | instskip(SKIP_2) | instid1(VALU_DEP_3)
	v_and_b32_e32 v4, 0x7f800000, v2
	v_and_b32_e32 v0, 0x7fffff, v2
	v_lshrrev_b32_e32 v3, 24, v2
	v_cmpx_ne_u64_e32 0x7f800000, v[4:5]
	s_xor_b32 s74, exec_lo, s13
	s_cbranch_execz .LBB6_2778
; %bb.2765:                             ;   in Loop: Header=BB6_136 Depth=3
	v_and_b32_e32 v4, 0x7fffffff, v2
	v_mov_b32_e32 v5, v113
                                        ; implicit-def: $vgpr108
	s_delay_alu instid0(VALU_DEP_1) | instskip(SKIP_2) | instid1(SALU_CYCLE_1)
	v_cmp_gt_u64_e32 vcc_lo, 0x47600001, v[4:5]
	v_and_b32_e32 v4, 0x80, v3
	s_and_saveexec_b32 s13, vcc_lo
	s_xor_b32 s75, exec_lo, s13
	s_cbranch_execz .LBB6_2775
; %bb.2766:                             ;   in Loop: Header=BB6_136 Depth=3
	v_mov_b32_e32 v108, 0
	s_mov_b32 s76, exec_lo
	v_cmpx_ne_u32_e32 0, v2
	s_cbranch_execz .LBB6_2774
; %bb.2767:                             ;   in Loop: Header=BB6_136 Depth=3
	v_bfe_u32 v5, v2, 23, 8
	v_or_b32_e32 v3, 0x800000, v0
	s_delay_alu instid0(VALU_DEP_2) | instskip(SKIP_2) | instid1(VALU_DEP_2)
	v_cmp_gt_u32_e64 s13, 0x72, v5
	v_sub_nc_u32_e32 v2, 0x71, v5
	v_cmp_eq_u32_e32 vcc_lo, 0, v5
	v_dual_cndmask_b32 v2, 0, v2, s13 :: v_dual_cndmask_b32 v0, v3, v0, vcc_lo
	s_delay_alu instid0(VALU_DEP_1) | instskip(NEXT) | instid1(VALU_DEP_1)
	v_cndmask_b32_e64 v7, v2, 0x70, vcc_lo
	v_dual_add_nc_u32 v2, 21, v7 :: v_dual_add_nc_u32 v8, 20, v7
	s_delay_alu instid0(VALU_DEP_1) | instskip(NEXT) | instid1(VALU_DEP_2)
	v_lshlrev_b64_e64 v[2:3], v2, -1
	v_lshlrev_b64_e64 v[8:9], v8, 1
	s_delay_alu instid0(VALU_DEP_2) | instskip(SKIP_1) | instid1(VALU_DEP_4)
	v_bfi_b32 v2, v2, 0, v0
	v_lshrrev_b64 v[0:1], v7, v[0:1]
	v_bfi_b32 v3, v3, 0, 0
	s_delay_alu instid0(VALU_DEP_1) | instskip(NEXT) | instid1(VALU_DEP_3)
	v_cmp_eq_u64_e64 s13, v[2:3], v[8:9]
	v_mov_b64_e32 v[2:3], v[0:1]
	s_and_saveexec_b32 s77, s13
; %bb.2768:                             ;   in Loop: Header=BB6_136 Depth=3
	v_bfe_u32 v2, v0, 21, 1
	v_mov_b32_e32 v3, v113
	s_delay_alu instid0(VALU_DEP_1) | instskip(NEXT) | instid1(VALU_DEP_1)
	v_add_nc_u64_e32 v[2:3], v[0:1], v[2:3]
	v_add_nc_u64_e32 v[2:3], -1, v[2:3]
; %bb.2769:                             ;   in Loop: Header=BB6_136 Depth=3
	s_or_b32 exec_lo, exec_lo, s77
	v_add_nc_u32_e32 v1, 0xffffff81, v5
	v_lshrrev_b32_e32 v3, 23, v0
	s_mov_b32 s13, exec_lo
	s_delay_alu instid0(VALU_DEP_2) | instskip(NEXT) | instid1(VALU_DEP_1)
	v_cndmask_b32_e64 v1, v1, 0xffffff82, vcc_lo
	v_add3_u32 v5, v7, v1, v3
	v_and_b32_e32 v1, 0x1fffff, v2
                                        ; implicit-def: $vgpr2
	s_delay_alu instid0(VALU_DEP_1) | instskip(SKIP_1) | instid1(VALU_DEP_2)
	v_dual_add_nc_u32 v3, 14, v5 :: v_dual_add_nc_u32 v0, v1, v0
	v_mov_b32_e32 v1, v113
	v_cmpx_ne_u32_e32 0, v3
	s_xor_b32 s13, exec_lo, s13
; %bb.2770:                             ;   in Loop: Header=BB6_136 Depth=3
	s_delay_alu instid0(VALU_DEP_2) | instskip(SKIP_1) | instid1(VALU_DEP_1)
	v_cmp_lt_u64_e32 vcc_lo, 0xffffff, v[0:1]
	v_add_nc_u32_e32 v2, 15, v5
	v_cndmask_b32_e32 v2, v3, v2, vcc_lo
	v_cndmask_b32_e64 v3, 0, 1, vcc_lo
	s_delay_alu instid0(VALU_DEP_1)
	v_lshrrev_b64 v[0:1], v3, v[0:1]
; %bb.2771:                             ;   in Loop: Header=BB6_136 Depth=3
	s_and_not1_saveexec_b32 s13, s13
; %bb.2772:                             ;   in Loop: Header=BB6_136 Depth=3
	s_delay_alu instid0(VALU_DEP_1)
	v_bfe_u32 v2, v0, 23, 1
; %bb.2773:                             ;   in Loop: Header=BB6_136 Depth=3
	s_or_b32 exec_lo, exec_lo, s13
	s_delay_alu instid0(VALU_DEP_2) | instskip(NEXT) | instid1(VALU_DEP_2)
	v_lshrrev_b64 v[0:1], 21, v[0:1]
	v_cmp_gt_i32_e32 vcc_lo, 32, v2
	v_min_i32_e32 v3, 31, v2
	v_cmp_eq_u32_e64 s13, 0, v2
	s_delay_alu instid0(VALU_DEP_2) | instskip(SKIP_1) | instid1(VALU_DEP_2)
	v_dual_cndmask_b32 v1, 0, v1, vcc_lo :: v_dual_lshlrev_b32 v3, 2, v3
	v_cndmask_b32_e32 v0, 3, v0, vcc_lo
	v_and_b32_e32 v3, 0xfc, v3
	s_delay_alu instid0(VALU_DEP_2) | instskip(NEXT) | instid1(VALU_DEP_2)
	v_cmp_eq_u64_e32 vcc_lo, 0, v[0:1]
	v_and_or_b32 v0, v0, 3, v3
	s_and_b32 s13, s13, vcc_lo
	s_delay_alu instid0(VALU_DEP_1) | instid1(SALU_CYCLE_1)
	v_cndmask_b32_e64 v0, v0, 0, s13
	s_delay_alu instid0(VALU_DEP_1)
	v_or_b32_e32 v108, v0, v4
.LBB6_2774:                             ;   in Loop: Header=BB6_136 Depth=3
	s_or_b32 exec_lo, exec_lo, s76
                                        ; implicit-def: $vgpr4
.LBB6_2775:                             ;   in Loop: Header=BB6_136 Depth=3
	s_and_not1_saveexec_b32 s13, s75
; %bb.2776:                             ;   in Loop: Header=BB6_136 Depth=3
	v_or_b32_e32 v108, 0x7b, v4
; %bb.2777:                             ;   in Loop: Header=BB6_136 Depth=3
	s_or_b32 exec_lo, exec_lo, s13
                                        ; implicit-def: $vgpr2
                                        ; implicit-def: $vgpr0_vgpr1
                                        ; implicit-def: $vgpr3
.LBB6_2778:                             ;   in Loop: Header=BB6_136 Depth=3
	s_and_not1_saveexec_b32 s13, s74
	s_cbranch_execz .LBB6_2784
; %bb.2779:                             ;   in Loop: Header=BB6_136 Depth=3
	s_mov_b32 s74, exec_lo
                                        ; implicit-def: $vgpr108
	v_cmpx_ne_u64_e32 0, v[0:1]
	s_xor_b32 s74, exec_lo, s74
; %bb.2780:                             ;   in Loop: Header=BB6_136 Depth=3
	v_or_b32_e32 v108, 0x7f, v3
                                        ; implicit-def: $vgpr2
; %bb.2781:                             ;   in Loop: Header=BB6_136 Depth=3
	s_and_not1_saveexec_b32 s74, s74
; %bb.2782:                             ;   in Loop: Header=BB6_136 Depth=3
	v_cmp_lt_i32_e32 vcc_lo, -1, v2
	v_mov_b32_e32 v0, 0x7c
	s_delay_alu instid0(VALU_DEP_1)
	v_cndmask_b32_e32 v108, 0xfc, v0, vcc_lo
; %bb.2783:                             ;   in Loop: Header=BB6_136 Depth=3
	s_or_b32 exec_lo, exec_lo, s74
.LBB6_2784:                             ;   in Loop: Header=BB6_136 Depth=3
	s_delay_alu instid0(SALU_CYCLE_1) | instskip(SKIP_1) | instid1(VALU_DEP_1)
	s_or_b32 exec_lo, exec_lo, s13
	v_and_b32_e32 v0, 0xff, v10
	v_cmp_ne_u16_e32 vcc_lo, 0, v0
	v_mov_b32_e32 v0, 0
	s_and_saveexec_b32 s74, vcc_lo
	s_cbranch_execz .LBB6_2794
; %bb.2785:                             ;   in Loop: Header=BB6_136 Depth=3
	v_bfe_i32 v2, v10, 0, 8
	v_bfrev_b32_e32 v0, 1
	s_mov_b32 s75, exec_lo
	s_delay_alu instid0(VALU_DEP_2)
	v_cmpx_ne_u16_e32 0xff80, v2
	s_cbranch_execz .LBB6_2793
; %bb.2786:                             ;   in Loop: Header=BB6_136 Depth=3
	v_and_b32_e32 v0, 0x7c, v10
	v_and_b32_e32 v1, 3, v10
	s_delay_alu instid0(VALU_DEP_2) | instskip(SKIP_1) | instid1(SALU_CYCLE_1)
	v_cmp_ne_u32_e32 vcc_lo, 0x7c, v0
                                        ; implicit-def: $vgpr0
	s_and_saveexec_b32 s13, vcc_lo
	s_xor_b32 s13, exec_lo, s13
	s_cbranch_execz .LBB6_2790
; %bb.2787:                             ;   in Loop: Header=BB6_136 Depth=3
	v_bfe_u32 v0, v10, 2, 5
	s_mov_b32 s76, exec_lo
	s_delay_alu instid0(VALU_DEP_1)
	v_cmpx_eq_u32_e32 0, v0
; %bb.2788:                             ;   in Loop: Header=BB6_136 Depth=3
	v_clz_i32_u32_e32 v0, v1
	s_delay_alu instid0(VALU_DEP_1) | instskip(NEXT) | instid1(VALU_DEP_1)
	v_min_u32_e32 v0, 32, v0
	v_subrev_nc_u32_e32 v1, 29, v0
	s_delay_alu instid0(VALU_DEP_1) | instskip(NEXT) | instid1(VALU_DEP_1)
	v_lshlrev_b64_e32 v[2:3], v1, v[10:11]
	v_dual_sub_nc_u32 v0, 30, v0 :: v_dual_bitop2_b32 v1, 3, v2 bitop3:0x40
; %bb.2789:                             ;   in Loop: Header=BB6_136 Depth=3
	s_or_b32 exec_lo, exec_lo, s76
	v_lshlrev_b32_e32 v2, 24, v10
	s_delay_alu instid0(VALU_DEP_1) | instskip(NEXT) | instid1(VALU_DEP_1)
	v_and_b32_e32 v2, 0x80000000, v2
	v_lshl_add_u32 v0, v0, 23, v2
                                        ; implicit-def: $vgpr2
	s_delay_alu instid0(VALU_DEP_1) | instskip(NEXT) | instid1(VALU_DEP_1)
	v_lshl_or_b32 v0, v1, 21, v0
                                        ; implicit-def: $vgpr1
	v_add_nc_u32_e32 v0, 0x38000000, v0
.LBB6_2790:                             ;   in Loop: Header=BB6_136 Depth=3
	s_and_not1_saveexec_b32 s76, s13
; %bb.2791:                             ;   in Loop: Header=BB6_136 Depth=3
	v_cmp_lt_i16_e64 s13, -1, v2
	v_mov_b32_e32 v0, 0x7f800000
	v_cmp_eq_u32_e32 vcc_lo, 0, v1
	s_delay_alu instid0(VALU_DEP_2) | instskip(NEXT) | instid1(VALU_DEP_1)
	v_cndmask_b32_e64 v0, 0xff800000, v0, s13
	v_cndmask_b32_e32 v0, 0x7f800001, v0, vcc_lo
; %bb.2792:                             ;   in Loop: Header=BB6_136 Depth=3
	s_or_b32 exec_lo, exec_lo, s76
.LBB6_2793:                             ;   in Loop: Header=BB6_136 Depth=3
	s_delay_alu instid0(SALU_CYCLE_1)
	s_or_b32 exec_lo, exec_lo, s75
.LBB6_2794:                             ;   in Loop: Header=BB6_136 Depth=3
	s_delay_alu instid0(SALU_CYCLE_1) | instskip(NEXT) | instid1(VALU_DEP_1)
	s_or_b32 exec_lo, exec_lo, s74
	v_dual_mul_f32 v2, s73, v0 :: v_dual_mov_b32 v5, v113
	v_mov_b32_e32 v1, v113
                                        ; implicit-def: $vgpr109
	s_mov_b32 s13, exec_lo
	s_delay_alu instid0(VALU_DEP_2) | instskip(SKIP_2) | instid1(VALU_DEP_3)
	v_and_b32_e32 v4, 0x7f800000, v2
	v_and_b32_e32 v0, 0x7fffff, v2
	v_lshrrev_b32_e32 v3, 24, v2
	v_cmpx_ne_u64_e32 0x7f800000, v[4:5]
	s_xor_b32 s74, exec_lo, s13
	s_cbranch_execz .LBB6_2808
; %bb.2795:                             ;   in Loop: Header=BB6_136 Depth=3
	v_and_b32_e32 v4, 0x7fffffff, v2
	v_mov_b32_e32 v5, v113
                                        ; implicit-def: $vgpr109
	s_delay_alu instid0(VALU_DEP_1) | instskip(SKIP_2) | instid1(SALU_CYCLE_1)
	v_cmp_gt_u64_e32 vcc_lo, 0x47600001, v[4:5]
	v_and_b32_e32 v4, 0x80, v3
	s_and_saveexec_b32 s13, vcc_lo
	s_xor_b32 s75, exec_lo, s13
	s_cbranch_execz .LBB6_2805
; %bb.2796:                             ;   in Loop: Header=BB6_136 Depth=3
	v_mov_b32_e32 v109, 0
	s_mov_b32 s76, exec_lo
	v_cmpx_ne_u32_e32 0, v2
	s_cbranch_execz .LBB6_2804
; %bb.2797:                             ;   in Loop: Header=BB6_136 Depth=3
	v_bfe_u32 v5, v2, 23, 8
	v_or_b32_e32 v3, 0x800000, v0
	s_delay_alu instid0(VALU_DEP_2) | instskip(SKIP_2) | instid1(VALU_DEP_2)
	v_cmp_gt_u32_e64 s13, 0x72, v5
	v_sub_nc_u32_e32 v2, 0x71, v5
	v_cmp_eq_u32_e32 vcc_lo, 0, v5
	v_dual_cndmask_b32 v2, 0, v2, s13 :: v_dual_cndmask_b32 v0, v3, v0, vcc_lo
	s_delay_alu instid0(VALU_DEP_1) | instskip(NEXT) | instid1(VALU_DEP_1)
	v_cndmask_b32_e64 v7, v2, 0x70, vcc_lo
	v_dual_add_nc_u32 v2, 21, v7 :: v_dual_add_nc_u32 v8, 20, v7
	s_delay_alu instid0(VALU_DEP_1) | instskip(NEXT) | instid1(VALU_DEP_2)
	v_lshlrev_b64_e64 v[2:3], v2, -1
	v_lshlrev_b64_e64 v[8:9], v8, 1
	s_delay_alu instid0(VALU_DEP_2) | instskip(SKIP_1) | instid1(VALU_DEP_4)
	v_bfi_b32 v2, v2, 0, v0
	v_lshrrev_b64 v[0:1], v7, v[0:1]
	v_bfi_b32 v3, v3, 0, 0
	s_delay_alu instid0(VALU_DEP_1) | instskip(NEXT) | instid1(VALU_DEP_3)
	v_cmp_eq_u64_e64 s13, v[2:3], v[8:9]
	v_mov_b64_e32 v[2:3], v[0:1]
	s_and_saveexec_b32 s77, s13
; %bb.2798:                             ;   in Loop: Header=BB6_136 Depth=3
	v_bfe_u32 v2, v0, 21, 1
	v_mov_b32_e32 v3, v113
	s_delay_alu instid0(VALU_DEP_1) | instskip(NEXT) | instid1(VALU_DEP_1)
	v_add_nc_u64_e32 v[2:3], v[0:1], v[2:3]
	v_add_nc_u64_e32 v[2:3], -1, v[2:3]
; %bb.2799:                             ;   in Loop: Header=BB6_136 Depth=3
	s_or_b32 exec_lo, exec_lo, s77
	v_add_nc_u32_e32 v1, 0xffffff81, v5
	v_lshrrev_b32_e32 v3, 23, v0
	s_mov_b32 s13, exec_lo
	s_delay_alu instid0(VALU_DEP_2) | instskip(NEXT) | instid1(VALU_DEP_1)
	v_cndmask_b32_e64 v1, v1, 0xffffff82, vcc_lo
	v_add3_u32 v5, v7, v1, v3
	v_and_b32_e32 v1, 0x1fffff, v2
                                        ; implicit-def: $vgpr2
	s_delay_alu instid0(VALU_DEP_1) | instskip(SKIP_1) | instid1(VALU_DEP_2)
	v_dual_add_nc_u32 v3, 14, v5 :: v_dual_add_nc_u32 v0, v1, v0
	v_mov_b32_e32 v1, v113
	v_cmpx_ne_u32_e32 0, v3
	s_xor_b32 s13, exec_lo, s13
; %bb.2800:                             ;   in Loop: Header=BB6_136 Depth=3
	s_delay_alu instid0(VALU_DEP_2) | instskip(SKIP_1) | instid1(VALU_DEP_1)
	v_cmp_lt_u64_e32 vcc_lo, 0xffffff, v[0:1]
	v_add_nc_u32_e32 v2, 15, v5
	v_cndmask_b32_e32 v2, v3, v2, vcc_lo
	v_cndmask_b32_e64 v3, 0, 1, vcc_lo
	s_delay_alu instid0(VALU_DEP_1)
	v_lshrrev_b64 v[0:1], v3, v[0:1]
; %bb.2801:                             ;   in Loop: Header=BB6_136 Depth=3
	s_and_not1_saveexec_b32 s13, s13
; %bb.2802:                             ;   in Loop: Header=BB6_136 Depth=3
	s_delay_alu instid0(VALU_DEP_1)
	v_bfe_u32 v2, v0, 23, 1
; %bb.2803:                             ;   in Loop: Header=BB6_136 Depth=3
	s_or_b32 exec_lo, exec_lo, s13
	s_delay_alu instid0(VALU_DEP_2) | instskip(NEXT) | instid1(VALU_DEP_2)
	v_lshrrev_b64 v[0:1], 21, v[0:1]
	v_cmp_gt_i32_e32 vcc_lo, 32, v2
	v_min_i32_e32 v3, 31, v2
	v_cmp_eq_u32_e64 s13, 0, v2
	s_delay_alu instid0(VALU_DEP_2) | instskip(SKIP_1) | instid1(VALU_DEP_2)
	v_dual_cndmask_b32 v1, 0, v1, vcc_lo :: v_dual_lshlrev_b32 v3, 2, v3
	v_cndmask_b32_e32 v0, 3, v0, vcc_lo
	v_and_b32_e32 v3, 0xfc, v3
	s_delay_alu instid0(VALU_DEP_2) | instskip(NEXT) | instid1(VALU_DEP_2)
	v_cmp_eq_u64_e32 vcc_lo, 0, v[0:1]
	v_and_or_b32 v0, v0, 3, v3
	s_and_b32 s13, s13, vcc_lo
	s_delay_alu instid0(VALU_DEP_1) | instid1(SALU_CYCLE_1)
	v_cndmask_b32_e64 v0, v0, 0, s13
	s_delay_alu instid0(VALU_DEP_1)
	v_or_b32_e32 v109, v0, v4
.LBB6_2804:                             ;   in Loop: Header=BB6_136 Depth=3
	s_or_b32 exec_lo, exec_lo, s76
                                        ; implicit-def: $vgpr4
.LBB6_2805:                             ;   in Loop: Header=BB6_136 Depth=3
	s_and_not1_saveexec_b32 s13, s75
; %bb.2806:                             ;   in Loop: Header=BB6_136 Depth=3
	v_or_b32_e32 v109, 0x7b, v4
; %bb.2807:                             ;   in Loop: Header=BB6_136 Depth=3
	s_or_b32 exec_lo, exec_lo, s13
                                        ; implicit-def: $vgpr2
                                        ; implicit-def: $vgpr0_vgpr1
                                        ; implicit-def: $vgpr3
.LBB6_2808:                             ;   in Loop: Header=BB6_136 Depth=3
	s_and_not1_saveexec_b32 s13, s74
	s_cbranch_execz .LBB6_2814
; %bb.2809:                             ;   in Loop: Header=BB6_136 Depth=3
	s_mov_b32 s74, exec_lo
                                        ; implicit-def: $vgpr109
	v_cmpx_ne_u64_e32 0, v[0:1]
	s_xor_b32 s74, exec_lo, s74
; %bb.2810:                             ;   in Loop: Header=BB6_136 Depth=3
	v_or_b32_e32 v109, 0x7f, v3
                                        ; implicit-def: $vgpr2
; %bb.2811:                             ;   in Loop: Header=BB6_136 Depth=3
	s_and_not1_saveexec_b32 s74, s74
; %bb.2812:                             ;   in Loop: Header=BB6_136 Depth=3
	v_cmp_lt_i32_e32 vcc_lo, -1, v2
	v_mov_b32_e32 v0, 0x7c
	s_delay_alu instid0(VALU_DEP_1)
	v_cndmask_b32_e32 v109, 0xfc, v0, vcc_lo
; %bb.2813:                             ;   in Loop: Header=BB6_136 Depth=3
	s_or_b32 exec_lo, exec_lo, s74
.LBB6_2814:                             ;   in Loop: Header=BB6_136 Depth=3
	s_delay_alu instid0(SALU_CYCLE_1) | instskip(SKIP_3) | instid1(VALU_DEP_2)
	s_or_b32 exec_lo, exec_lo, s13
	v_lshrrev_b16 v0, 8, v10
	v_mov_b32_e32 v1, 0
	s_mov_b32 s74, exec_lo
	v_cmpx_ne_u16_e32 0, v0
	s_cbranch_execz .LBB6_2824
; %bb.2815:                             ;   in Loop: Header=BB6_136 Depth=3
	v_bfrev_b32_e32 v1, 1
	s_mov_b32 s75, exec_lo
	v_cmpx_ne_u16_e32 0x80, v0
	s_cbranch_execz .LBB6_2823
; %bb.2816:                             ;   in Loop: Header=BB6_136 Depth=3
	v_and_b32_e32 v3, 0xffff, v0
	s_delay_alu instid0(VALU_DEP_1) | instskip(SKIP_1) | instid1(VALU_DEP_2)
	v_and_b32_e32 v1, 0x7c, v3
	v_and_b32_e32 v2, 3, v3
	v_cmp_ne_u32_e32 vcc_lo, 0x7c, v1
                                        ; implicit-def: $vgpr1
	s_and_saveexec_b32 s13, vcc_lo
	s_delay_alu instid0(SALU_CYCLE_1)
	s_xor_b32 s13, exec_lo, s13
	s_cbranch_execz .LBB6_2820
; %bb.2817:                             ;   in Loop: Header=BB6_136 Depth=3
	v_bfe_u32 v1, v3, 2, 5
	s_mov_b32 s76, exec_lo
	s_delay_alu instid0(VALU_DEP_1)
	v_cmpx_eq_u32_e32 0, v1
; %bb.2818:                             ;   in Loop: Header=BB6_136 Depth=3
	v_clz_i32_u32_e32 v1, v2
	s_delay_alu instid0(VALU_DEP_1) | instskip(SKIP_1) | instid1(VALU_DEP_2)
	v_min_u32_e32 v2, 32, v1
	v_mov_b32_e32 v1, v113
	v_subrev_nc_u32_e32 v3, 29, v2
	s_delay_alu instid0(VALU_DEP_1) | instskip(NEXT) | instid1(VALU_DEP_1)
	v_lshlrev_b64_e32 v[0:1], v3, v[0:1]
	v_dual_sub_nc_u32 v1, 30, v2 :: v_dual_bitop2_b32 v2, 3, v0 bitop3:0x40
; %bb.2819:                             ;   in Loop: Header=BB6_136 Depth=3
	s_or_b32 exec_lo, exec_lo, s76
	v_lshlrev_b32_e32 v0, 16, v10
	s_delay_alu instid0(VALU_DEP_1) | instskip(NEXT) | instid1(VALU_DEP_1)
	v_and_b32_e32 v0, 0x80000000, v0
	v_lshl_add_u32 v0, v1, 23, v0
	s_delay_alu instid0(VALU_DEP_1) | instskip(NEXT) | instid1(VALU_DEP_1)
	v_lshl_or_b32 v0, v2, 21, v0
                                        ; implicit-def: $vgpr2
	v_add_nc_u32_e32 v1, 0x38000000, v0
.LBB6_2820:                             ;   in Loop: Header=BB6_136 Depth=3
	s_and_not1_saveexec_b32 s76, s13
; %bb.2821:                             ;   in Loop: Header=BB6_136 Depth=3
	v_cmp_lt_i16_e64 s13, -1, v10
	v_mov_b32_e32 v0, 0x7f800000
	v_cmp_eq_u32_e32 vcc_lo, 0, v2
	s_delay_alu instid0(VALU_DEP_2) | instskip(NEXT) | instid1(VALU_DEP_1)
	v_cndmask_b32_e64 v0, 0xff800000, v0, s13
	v_cndmask_b32_e32 v1, 0x7f800001, v0, vcc_lo
; %bb.2822:                             ;   in Loop: Header=BB6_136 Depth=3
	s_or_b32 exec_lo, exec_lo, s76
.LBB6_2823:                             ;   in Loop: Header=BB6_136 Depth=3
	s_delay_alu instid0(SALU_CYCLE_1)
	s_or_b32 exec_lo, exec_lo, s75
.LBB6_2824:                             ;   in Loop: Header=BB6_136 Depth=3
	s_delay_alu instid0(SALU_CYCLE_1) | instskip(NEXT) | instid1(VALU_DEP_1)
	s_or_b32 exec_lo, exec_lo, s74
	v_dual_mul_f32 v2, s73, v1 :: v_dual_mov_b32 v5, v113
	v_mov_b32_e32 v1, v113
                                        ; implicit-def: $vgpr110
	s_mov_b32 s13, exec_lo
	s_delay_alu instid0(VALU_DEP_2) | instskip(SKIP_2) | instid1(VALU_DEP_3)
	v_and_b32_e32 v4, 0x7f800000, v2
	v_and_b32_e32 v0, 0x7fffff, v2
	v_lshrrev_b32_e32 v3, 24, v2
	v_cmpx_ne_u64_e32 0x7f800000, v[4:5]
	s_xor_b32 s74, exec_lo, s13
	s_cbranch_execz .LBB6_2838
; %bb.2825:                             ;   in Loop: Header=BB6_136 Depth=3
	v_and_b32_e32 v4, 0x7fffffff, v2
	v_mov_b32_e32 v5, v113
                                        ; implicit-def: $vgpr110
	s_delay_alu instid0(VALU_DEP_1) | instskip(SKIP_2) | instid1(SALU_CYCLE_1)
	v_cmp_gt_u64_e32 vcc_lo, 0x47600001, v[4:5]
	v_and_b32_e32 v4, 0x80, v3
	s_and_saveexec_b32 s13, vcc_lo
	s_xor_b32 s75, exec_lo, s13
	s_cbranch_execz .LBB6_2835
; %bb.2826:                             ;   in Loop: Header=BB6_136 Depth=3
	v_mov_b32_e32 v110, 0
	s_mov_b32 s76, exec_lo
	v_cmpx_ne_u32_e32 0, v2
	s_cbranch_execz .LBB6_2834
; %bb.2827:                             ;   in Loop: Header=BB6_136 Depth=3
	v_bfe_u32 v5, v2, 23, 8
	v_or_b32_e32 v3, 0x800000, v0
	s_delay_alu instid0(VALU_DEP_2) | instskip(SKIP_2) | instid1(VALU_DEP_2)
	v_cmp_gt_u32_e64 s13, 0x72, v5
	v_sub_nc_u32_e32 v2, 0x71, v5
	v_cmp_eq_u32_e32 vcc_lo, 0, v5
	v_dual_cndmask_b32 v2, 0, v2, s13 :: v_dual_cndmask_b32 v0, v3, v0, vcc_lo
	s_delay_alu instid0(VALU_DEP_1) | instskip(NEXT) | instid1(VALU_DEP_1)
	v_cndmask_b32_e64 v7, v2, 0x70, vcc_lo
	v_dual_add_nc_u32 v2, 21, v7 :: v_dual_add_nc_u32 v8, 20, v7
	s_delay_alu instid0(VALU_DEP_1) | instskip(NEXT) | instid1(VALU_DEP_2)
	v_lshlrev_b64_e64 v[2:3], v2, -1
	v_lshlrev_b64_e64 v[8:9], v8, 1
	s_delay_alu instid0(VALU_DEP_2) | instskip(SKIP_1) | instid1(VALU_DEP_4)
	v_bfi_b32 v2, v2, 0, v0
	v_lshrrev_b64 v[0:1], v7, v[0:1]
	v_bfi_b32 v3, v3, 0, 0
	s_delay_alu instid0(VALU_DEP_1) | instskip(NEXT) | instid1(VALU_DEP_3)
	v_cmp_eq_u64_e64 s13, v[2:3], v[8:9]
	v_mov_b64_e32 v[2:3], v[0:1]
	s_and_saveexec_b32 s77, s13
; %bb.2828:                             ;   in Loop: Header=BB6_136 Depth=3
	v_bfe_u32 v2, v0, 21, 1
	v_mov_b32_e32 v3, v113
	s_delay_alu instid0(VALU_DEP_1) | instskip(NEXT) | instid1(VALU_DEP_1)
	v_add_nc_u64_e32 v[2:3], v[0:1], v[2:3]
	v_add_nc_u64_e32 v[2:3], -1, v[2:3]
; %bb.2829:                             ;   in Loop: Header=BB6_136 Depth=3
	s_or_b32 exec_lo, exec_lo, s77
	v_add_nc_u32_e32 v1, 0xffffff81, v5
	v_lshrrev_b32_e32 v3, 23, v0
	s_mov_b32 s13, exec_lo
	s_delay_alu instid0(VALU_DEP_2) | instskip(NEXT) | instid1(VALU_DEP_1)
	v_cndmask_b32_e64 v1, v1, 0xffffff82, vcc_lo
	v_add3_u32 v5, v7, v1, v3
	v_and_b32_e32 v1, 0x1fffff, v2
                                        ; implicit-def: $vgpr2
	s_delay_alu instid0(VALU_DEP_1) | instskip(SKIP_1) | instid1(VALU_DEP_2)
	v_dual_add_nc_u32 v3, 14, v5 :: v_dual_add_nc_u32 v0, v1, v0
	v_mov_b32_e32 v1, v113
	v_cmpx_ne_u32_e32 0, v3
	s_xor_b32 s13, exec_lo, s13
; %bb.2830:                             ;   in Loop: Header=BB6_136 Depth=3
	s_delay_alu instid0(VALU_DEP_2) | instskip(SKIP_1) | instid1(VALU_DEP_1)
	v_cmp_lt_u64_e32 vcc_lo, 0xffffff, v[0:1]
	v_add_nc_u32_e32 v2, 15, v5
	v_cndmask_b32_e32 v2, v3, v2, vcc_lo
	v_cndmask_b32_e64 v3, 0, 1, vcc_lo
	s_delay_alu instid0(VALU_DEP_1)
	v_lshrrev_b64 v[0:1], v3, v[0:1]
; %bb.2831:                             ;   in Loop: Header=BB6_136 Depth=3
	s_and_not1_saveexec_b32 s13, s13
; %bb.2832:                             ;   in Loop: Header=BB6_136 Depth=3
	s_delay_alu instid0(VALU_DEP_1)
	v_bfe_u32 v2, v0, 23, 1
; %bb.2833:                             ;   in Loop: Header=BB6_136 Depth=3
	s_or_b32 exec_lo, exec_lo, s13
	s_delay_alu instid0(VALU_DEP_2) | instskip(NEXT) | instid1(VALU_DEP_2)
	v_lshrrev_b64 v[0:1], 21, v[0:1]
	v_cmp_gt_i32_e32 vcc_lo, 32, v2
	v_min_i32_e32 v3, 31, v2
	v_cmp_eq_u32_e64 s13, 0, v2
	s_delay_alu instid0(VALU_DEP_2) | instskip(SKIP_1) | instid1(VALU_DEP_2)
	v_dual_cndmask_b32 v1, 0, v1, vcc_lo :: v_dual_lshlrev_b32 v3, 2, v3
	v_cndmask_b32_e32 v0, 3, v0, vcc_lo
	v_and_b32_e32 v3, 0xfc, v3
	s_delay_alu instid0(VALU_DEP_2) | instskip(NEXT) | instid1(VALU_DEP_2)
	v_cmp_eq_u64_e32 vcc_lo, 0, v[0:1]
	v_and_or_b32 v0, v0, 3, v3
	s_and_b32 s13, s13, vcc_lo
	s_delay_alu instid0(VALU_DEP_1) | instid1(SALU_CYCLE_1)
	v_cndmask_b32_e64 v0, v0, 0, s13
	s_delay_alu instid0(VALU_DEP_1)
	v_or_b32_e32 v110, v0, v4
.LBB6_2834:                             ;   in Loop: Header=BB6_136 Depth=3
	s_or_b32 exec_lo, exec_lo, s76
                                        ; implicit-def: $vgpr4
.LBB6_2835:                             ;   in Loop: Header=BB6_136 Depth=3
	s_and_not1_saveexec_b32 s13, s75
; %bb.2836:                             ;   in Loop: Header=BB6_136 Depth=3
	v_or_b32_e32 v110, 0x7b, v4
; %bb.2837:                             ;   in Loop: Header=BB6_136 Depth=3
	s_or_b32 exec_lo, exec_lo, s13
                                        ; implicit-def: $vgpr2
                                        ; implicit-def: $vgpr0_vgpr1
                                        ; implicit-def: $vgpr3
.LBB6_2838:                             ;   in Loop: Header=BB6_136 Depth=3
	s_and_not1_saveexec_b32 s13, s74
	s_cbranch_execz .LBB6_2844
; %bb.2839:                             ;   in Loop: Header=BB6_136 Depth=3
	s_mov_b32 s74, exec_lo
                                        ; implicit-def: $vgpr110
	v_cmpx_ne_u64_e32 0, v[0:1]
	s_xor_b32 s74, exec_lo, s74
; %bb.2840:                             ;   in Loop: Header=BB6_136 Depth=3
	v_or_b32_e32 v110, 0x7f, v3
                                        ; implicit-def: $vgpr2
; %bb.2841:                             ;   in Loop: Header=BB6_136 Depth=3
	s_and_not1_saveexec_b32 s74, s74
; %bb.2842:                             ;   in Loop: Header=BB6_136 Depth=3
	v_cmp_lt_i32_e32 vcc_lo, -1, v2
	v_mov_b32_e32 v0, 0x7c
	s_delay_alu instid0(VALU_DEP_1)
	v_cndmask_b32_e32 v110, 0xfc, v0, vcc_lo
; %bb.2843:                             ;   in Loop: Header=BB6_136 Depth=3
	s_or_b32 exec_lo, exec_lo, s74
.LBB6_2844:                             ;   in Loop: Header=BB6_136 Depth=3
	s_delay_alu instid0(SALU_CYCLE_1) | instskip(SKIP_2) | instid1(VALU_DEP_1)
	s_or_b32 exec_lo, exec_lo, s13
	v_dual_mov_b32 v1, 0 :: v_dual_lshrrev_b32 v0, 16, v10
	s_mov_b32 s74, exec_lo
	v_and_b32_e32 v2, 0xff, v0
	s_delay_alu instid0(VALU_DEP_1)
	v_cmpx_ne_u16_e32 0, v2
	s_cbranch_execz .LBB6_2854
; %bb.2845:                             ;   in Loop: Header=BB6_136 Depth=3
	v_bfrev_b32_e32 v1, 1
	s_mov_b32 s75, exec_lo
	v_cmpx_ne_u16_e32 0x80, v2
	s_cbranch_execz .LBB6_2853
; %bb.2846:                             ;   in Loop: Header=BB6_136 Depth=3
	v_and_b32_e32 v1, 0x7c0000, v10
	v_bfe_u32 v2, v10, 16, 2
	s_delay_alu instid0(VALU_DEP_2) | instskip(SKIP_1) | instid1(SALU_CYCLE_1)
	v_cmp_ne_u32_e32 vcc_lo, 0x7c0000, v1
                                        ; implicit-def: $vgpr1
	s_and_saveexec_b32 s13, vcc_lo
	s_xor_b32 s13, exec_lo, s13
	s_cbranch_execz .LBB6_2850
; %bb.2847:                             ;   in Loop: Header=BB6_136 Depth=3
	v_bfe_u32 v1, v10, 18, 5
	s_mov_b32 s76, exec_lo
	s_delay_alu instid0(VALU_DEP_1)
	v_cmpx_eq_u32_e32 0, v1
; %bb.2848:                             ;   in Loop: Header=BB6_136 Depth=3
	v_clz_i32_u32_e32 v1, v2
	s_delay_alu instid0(VALU_DEP_1) | instskip(NEXT) | instid1(VALU_DEP_1)
	v_min_u32_e32 v1, 32, v1
	v_subrev_nc_u32_e32 v2, 29, v1
	s_delay_alu instid0(VALU_DEP_1) | instskip(NEXT) | instid1(VALU_DEP_1)
	v_lshlrev_b64_e32 v[2:3], v2, v[0:1]
	v_dual_sub_nc_u32 v1, 30, v1 :: v_dual_bitop2_b32 v2, 3, v2 bitop3:0x40
; %bb.2849:                             ;   in Loop: Header=BB6_136 Depth=3
	s_or_b32 exec_lo, exec_lo, s76
	v_lshlrev_b32_e32 v0, 24, v0
	s_delay_alu instid0(VALU_DEP_1) | instskip(NEXT) | instid1(VALU_DEP_1)
	v_and_b32_e32 v0, 0x80000000, v0
	v_lshl_add_u32 v0, v1, 23, v0
	s_delay_alu instid0(VALU_DEP_1) | instskip(NEXT) | instid1(VALU_DEP_1)
	v_lshl_or_b32 v0, v2, 21, v0
                                        ; implicit-def: $vgpr2
	v_add_nc_u32_e32 v1, 0x38000000, v0
                                        ; implicit-def: $vgpr0
.LBB6_2850:                             ;   in Loop: Header=BB6_136 Depth=3
	s_and_not1_saveexec_b32 s76, s13
; %bb.2851:                             ;   in Loop: Header=BB6_136 Depth=3
	v_bfe_i32 v0, v0, 0, 8
	v_cmp_eq_u32_e32 vcc_lo, 0, v2
	s_delay_alu instid0(VALU_DEP_2) | instskip(SKIP_1) | instid1(VALU_DEP_1)
	v_cmp_lt_i16_e64 s13, -1, v0
	v_mov_b32_e32 v0, 0x7f800000
	v_cndmask_b32_e64 v0, 0xff800000, v0, s13
	s_delay_alu instid0(VALU_DEP_1)
	v_cndmask_b32_e32 v1, 0x7f800001, v0, vcc_lo
; %bb.2852:                             ;   in Loop: Header=BB6_136 Depth=3
	s_or_b32 exec_lo, exec_lo, s76
.LBB6_2853:                             ;   in Loop: Header=BB6_136 Depth=3
	s_delay_alu instid0(SALU_CYCLE_1)
	s_or_b32 exec_lo, exec_lo, s75
.LBB6_2854:                             ;   in Loop: Header=BB6_136 Depth=3
	s_delay_alu instid0(SALU_CYCLE_1) | instskip(NEXT) | instid1(VALU_DEP_1)
	s_or_b32 exec_lo, exec_lo, s74
	v_dual_mul_f32 v2, s73, v1 :: v_dual_mov_b32 v5, v113
	v_mov_b32_e32 v1, v113
                                        ; implicit-def: $vgpr111
	s_mov_b32 s13, exec_lo
	s_delay_alu instid0(VALU_DEP_2) | instskip(SKIP_2) | instid1(VALU_DEP_3)
	v_and_b32_e32 v4, 0x7f800000, v2
	v_and_b32_e32 v0, 0x7fffff, v2
	v_lshrrev_b32_e32 v3, 24, v2
	v_cmpx_ne_u64_e32 0x7f800000, v[4:5]
	s_xor_b32 s74, exec_lo, s13
	s_cbranch_execz .LBB6_2868
; %bb.2855:                             ;   in Loop: Header=BB6_136 Depth=3
	v_and_b32_e32 v4, 0x7fffffff, v2
	v_mov_b32_e32 v5, v113
                                        ; implicit-def: $vgpr111
	s_delay_alu instid0(VALU_DEP_1) | instskip(SKIP_2) | instid1(SALU_CYCLE_1)
	v_cmp_gt_u64_e32 vcc_lo, 0x47600001, v[4:5]
	v_and_b32_e32 v4, 0x80, v3
	s_and_saveexec_b32 s13, vcc_lo
	s_xor_b32 s75, exec_lo, s13
	s_cbranch_execz .LBB6_2865
; %bb.2856:                             ;   in Loop: Header=BB6_136 Depth=3
	v_mov_b32_e32 v111, 0
	s_mov_b32 s76, exec_lo
	v_cmpx_ne_u32_e32 0, v2
	s_cbranch_execz .LBB6_2864
; %bb.2857:                             ;   in Loop: Header=BB6_136 Depth=3
	v_bfe_u32 v5, v2, 23, 8
	v_or_b32_e32 v3, 0x800000, v0
	s_delay_alu instid0(VALU_DEP_2) | instskip(SKIP_2) | instid1(VALU_DEP_2)
	v_cmp_gt_u32_e64 s13, 0x72, v5
	v_sub_nc_u32_e32 v2, 0x71, v5
	v_cmp_eq_u32_e32 vcc_lo, 0, v5
	v_dual_cndmask_b32 v2, 0, v2, s13 :: v_dual_cndmask_b32 v0, v3, v0, vcc_lo
	s_delay_alu instid0(VALU_DEP_1) | instskip(NEXT) | instid1(VALU_DEP_1)
	v_cndmask_b32_e64 v7, v2, 0x70, vcc_lo
	v_dual_add_nc_u32 v2, 21, v7 :: v_dual_add_nc_u32 v8, 20, v7
	s_delay_alu instid0(VALU_DEP_1) | instskip(NEXT) | instid1(VALU_DEP_2)
	v_lshlrev_b64_e64 v[2:3], v2, -1
	v_lshlrev_b64_e64 v[8:9], v8, 1
	s_delay_alu instid0(VALU_DEP_2) | instskip(SKIP_1) | instid1(VALU_DEP_4)
	v_bfi_b32 v2, v2, 0, v0
	v_lshrrev_b64 v[0:1], v7, v[0:1]
	v_bfi_b32 v3, v3, 0, 0
	s_delay_alu instid0(VALU_DEP_1) | instskip(NEXT) | instid1(VALU_DEP_3)
	v_cmp_eq_u64_e64 s13, v[2:3], v[8:9]
	v_mov_b64_e32 v[2:3], v[0:1]
	s_and_saveexec_b32 s77, s13
; %bb.2858:                             ;   in Loop: Header=BB6_136 Depth=3
	v_bfe_u32 v2, v0, 21, 1
	v_mov_b32_e32 v3, v113
	s_delay_alu instid0(VALU_DEP_1) | instskip(NEXT) | instid1(VALU_DEP_1)
	v_add_nc_u64_e32 v[2:3], v[0:1], v[2:3]
	v_add_nc_u64_e32 v[2:3], -1, v[2:3]
; %bb.2859:                             ;   in Loop: Header=BB6_136 Depth=3
	s_or_b32 exec_lo, exec_lo, s77
	v_add_nc_u32_e32 v1, 0xffffff81, v5
	v_lshrrev_b32_e32 v3, 23, v0
	s_mov_b32 s13, exec_lo
	s_delay_alu instid0(VALU_DEP_2) | instskip(NEXT) | instid1(VALU_DEP_1)
	v_cndmask_b32_e64 v1, v1, 0xffffff82, vcc_lo
	v_add3_u32 v5, v7, v1, v3
	v_and_b32_e32 v1, 0x1fffff, v2
                                        ; implicit-def: $vgpr2
	s_delay_alu instid0(VALU_DEP_1) | instskip(SKIP_1) | instid1(VALU_DEP_2)
	v_dual_add_nc_u32 v3, 14, v5 :: v_dual_add_nc_u32 v0, v1, v0
	v_mov_b32_e32 v1, v113
	v_cmpx_ne_u32_e32 0, v3
	s_xor_b32 s13, exec_lo, s13
; %bb.2860:                             ;   in Loop: Header=BB6_136 Depth=3
	s_delay_alu instid0(VALU_DEP_2) | instskip(SKIP_1) | instid1(VALU_DEP_1)
	v_cmp_lt_u64_e32 vcc_lo, 0xffffff, v[0:1]
	v_add_nc_u32_e32 v2, 15, v5
	v_cndmask_b32_e32 v2, v3, v2, vcc_lo
	v_cndmask_b32_e64 v3, 0, 1, vcc_lo
	s_delay_alu instid0(VALU_DEP_1)
	v_lshrrev_b64 v[0:1], v3, v[0:1]
; %bb.2861:                             ;   in Loop: Header=BB6_136 Depth=3
	s_and_not1_saveexec_b32 s13, s13
; %bb.2862:                             ;   in Loop: Header=BB6_136 Depth=3
	s_delay_alu instid0(VALU_DEP_1)
	v_bfe_u32 v2, v0, 23, 1
; %bb.2863:                             ;   in Loop: Header=BB6_136 Depth=3
	s_or_b32 exec_lo, exec_lo, s13
	s_delay_alu instid0(VALU_DEP_2) | instskip(NEXT) | instid1(VALU_DEP_2)
	v_lshrrev_b64 v[0:1], 21, v[0:1]
	v_cmp_gt_i32_e32 vcc_lo, 32, v2
	v_min_i32_e32 v3, 31, v2
	v_cmp_eq_u32_e64 s13, 0, v2
	s_delay_alu instid0(VALU_DEP_2) | instskip(SKIP_1) | instid1(VALU_DEP_2)
	v_dual_cndmask_b32 v1, 0, v1, vcc_lo :: v_dual_lshlrev_b32 v3, 2, v3
	v_cndmask_b32_e32 v0, 3, v0, vcc_lo
	v_and_b32_e32 v3, 0xfc, v3
	s_delay_alu instid0(VALU_DEP_2) | instskip(NEXT) | instid1(VALU_DEP_2)
	v_cmp_eq_u64_e32 vcc_lo, 0, v[0:1]
	v_and_or_b32 v0, v0, 3, v3
	s_and_b32 s13, s13, vcc_lo
	s_delay_alu instid0(VALU_DEP_1) | instid1(SALU_CYCLE_1)
	v_cndmask_b32_e64 v0, v0, 0, s13
	s_delay_alu instid0(VALU_DEP_1)
	v_or_b32_e32 v111, v0, v4
.LBB6_2864:                             ;   in Loop: Header=BB6_136 Depth=3
	s_or_b32 exec_lo, exec_lo, s76
                                        ; implicit-def: $vgpr4
.LBB6_2865:                             ;   in Loop: Header=BB6_136 Depth=3
	s_and_not1_saveexec_b32 s13, s75
; %bb.2866:                             ;   in Loop: Header=BB6_136 Depth=3
	v_or_b32_e32 v111, 0x7b, v4
; %bb.2867:                             ;   in Loop: Header=BB6_136 Depth=3
	s_or_b32 exec_lo, exec_lo, s13
                                        ; implicit-def: $vgpr2
                                        ; implicit-def: $vgpr0_vgpr1
                                        ; implicit-def: $vgpr3
.LBB6_2868:                             ;   in Loop: Header=BB6_136 Depth=3
	s_and_not1_saveexec_b32 s13, s74
	s_cbranch_execz .LBB6_2874
; %bb.2869:                             ;   in Loop: Header=BB6_136 Depth=3
	s_mov_b32 s74, exec_lo
                                        ; implicit-def: $vgpr111
	v_cmpx_ne_u64_e32 0, v[0:1]
	s_xor_b32 s74, exec_lo, s74
; %bb.2870:                             ;   in Loop: Header=BB6_136 Depth=3
	v_or_b32_e32 v111, 0x7f, v3
                                        ; implicit-def: $vgpr2
; %bb.2871:                             ;   in Loop: Header=BB6_136 Depth=3
	s_and_not1_saveexec_b32 s74, s74
; %bb.2872:                             ;   in Loop: Header=BB6_136 Depth=3
	v_cmp_lt_i32_e32 vcc_lo, -1, v2
	v_mov_b32_e32 v0, 0x7c
	s_delay_alu instid0(VALU_DEP_1)
	v_cndmask_b32_e32 v111, 0xfc, v0, vcc_lo
; %bb.2873:                             ;   in Loop: Header=BB6_136 Depth=3
	s_or_b32 exec_lo, exec_lo, s74
.LBB6_2874:                             ;   in Loop: Header=BB6_136 Depth=3
	s_delay_alu instid0(SALU_CYCLE_1)
	s_or_b32 exec_lo, exec_lo, s13
	v_mov_b32_e32 v1, 0
	s_mov_b32 s74, exec_lo
	v_cmpx_lt_u32_e32 0xffffff, v10
	s_cbranch_execz .LBB6_2884
; %bb.2875:                             ;   in Loop: Header=BB6_136 Depth=3
	v_lshrrev_b32_e32 v0, 24, v10
	v_bfrev_b32_e32 v1, 1
	s_mov_b32 s75, exec_lo
	s_delay_alu instid0(VALU_DEP_2)
	v_cmpx_ne_u32_e32 0x80, v0
	s_cbranch_execz .LBB6_2883
; %bb.2876:                             ;   in Loop: Header=BB6_136 Depth=3
	v_and_b32_e32 v1, 0x7c000000, v10
	v_bfe_u32 v2, v10, 24, 2
	s_delay_alu instid0(VALU_DEP_2) | instskip(SKIP_1) | instid1(SALU_CYCLE_1)
	v_cmp_ne_u32_e32 vcc_lo, 0x7c000000, v1
                                        ; implicit-def: $vgpr1
	s_and_saveexec_b32 s13, vcc_lo
	s_xor_b32 s13, exec_lo, s13
	s_cbranch_execz .LBB6_2880
; %bb.2877:                             ;   in Loop: Header=BB6_136 Depth=3
	v_bfe_u32 v1, v10, 26, 5
	s_mov_b32 s76, exec_lo
	s_delay_alu instid0(VALU_DEP_1)
	v_cmpx_eq_u32_e32 0, v1
; %bb.2878:                             ;   in Loop: Header=BB6_136 Depth=3
	v_clz_i32_u32_e32 v1, v2
	s_delay_alu instid0(VALU_DEP_1) | instskip(NEXT) | instid1(VALU_DEP_1)
	v_min_u32_e32 v2, 32, v1
	v_subrev_nc_u32_e32 v1, 29, v2
	s_delay_alu instid0(VALU_DEP_1) | instskip(NEXT) | instid1(VALU_DEP_1)
	v_lshlrev_b64_e32 v[0:1], v1, v[0:1]
	v_dual_sub_nc_u32 v1, 30, v2 :: v_dual_bitop2_b32 v2, 3, v0 bitop3:0x40
; %bb.2879:                             ;   in Loop: Header=BB6_136 Depth=3
	s_or_b32 exec_lo, exec_lo, s76
	v_and_b32_e32 v0, 0x80000000, v10
	s_delay_alu instid0(VALU_DEP_1) | instskip(NEXT) | instid1(VALU_DEP_1)
	v_lshl_add_u32 v0, v1, 23, v0
	v_lshl_or_b32 v0, v2, 21, v0
                                        ; implicit-def: $vgpr2
	s_delay_alu instid0(VALU_DEP_1)
	v_add_nc_u32_e32 v1, 0x38000000, v0
.LBB6_2880:                             ;   in Loop: Header=BB6_136 Depth=3
	s_and_not1_saveexec_b32 s76, s13
; %bb.2881:                             ;   in Loop: Header=BB6_136 Depth=3
	v_cmp_lt_i32_e64 s13, -1, v10
	v_mov_b32_e32 v0, 0x7f800000
	v_cmp_eq_u32_e32 vcc_lo, 0, v2
	s_delay_alu instid0(VALU_DEP_2) | instskip(NEXT) | instid1(VALU_DEP_1)
	v_cndmask_b32_e64 v0, 0xff800000, v0, s13
	v_cndmask_b32_e32 v1, 0x7f800001, v0, vcc_lo
; %bb.2882:                             ;   in Loop: Header=BB6_136 Depth=3
	s_or_b32 exec_lo, exec_lo, s76
.LBB6_2883:                             ;   in Loop: Header=BB6_136 Depth=3
	s_delay_alu instid0(SALU_CYCLE_1)
	s_or_b32 exec_lo, exec_lo, s75
.LBB6_2884:                             ;   in Loop: Header=BB6_136 Depth=3
	s_delay_alu instid0(SALU_CYCLE_1) | instskip(NEXT) | instid1(VALU_DEP_1)
	s_or_b32 exec_lo, exec_lo, s74
	v_dual_mul_f32 v2, s73, v1 :: v_dual_mov_b32 v5, v113
	v_mov_b32_e32 v1, v113
                                        ; implicit-def: $vgpr120
	s_mov_b32 s13, exec_lo
	s_delay_alu instid0(VALU_DEP_2) | instskip(SKIP_2) | instid1(VALU_DEP_3)
	v_and_b32_e32 v4, 0x7f800000, v2
	v_and_b32_e32 v0, 0x7fffff, v2
	v_lshrrev_b32_e32 v3, 24, v2
	v_cmpx_ne_u64_e32 0x7f800000, v[4:5]
	s_xor_b32 s74, exec_lo, s13
	s_cbranch_execz .LBB6_2898
; %bb.2885:                             ;   in Loop: Header=BB6_136 Depth=3
	v_and_b32_e32 v4, 0x7fffffff, v2
	v_mov_b32_e32 v5, v113
                                        ; implicit-def: $vgpr120
	s_delay_alu instid0(VALU_DEP_1) | instskip(SKIP_2) | instid1(SALU_CYCLE_1)
	v_cmp_gt_u64_e32 vcc_lo, 0x47600001, v[4:5]
	v_and_b32_e32 v4, 0x80, v3
	s_and_saveexec_b32 s13, vcc_lo
	s_xor_b32 s75, exec_lo, s13
	s_cbranch_execz .LBB6_2895
; %bb.2886:                             ;   in Loop: Header=BB6_136 Depth=3
	v_mov_b32_e32 v120, 0
	s_mov_b32 s76, exec_lo
	v_cmpx_ne_u32_e32 0, v2
	s_cbranch_execz .LBB6_2894
; %bb.2887:                             ;   in Loop: Header=BB6_136 Depth=3
	v_bfe_u32 v5, v2, 23, 8
	v_or_b32_e32 v3, 0x800000, v0
	s_delay_alu instid0(VALU_DEP_2) | instskip(SKIP_2) | instid1(VALU_DEP_2)
	v_cmp_gt_u32_e64 s13, 0x72, v5
	v_sub_nc_u32_e32 v2, 0x71, v5
	v_cmp_eq_u32_e32 vcc_lo, 0, v5
	v_dual_cndmask_b32 v2, 0, v2, s13 :: v_dual_cndmask_b32 v0, v3, v0, vcc_lo
	s_delay_alu instid0(VALU_DEP_1) | instskip(NEXT) | instid1(VALU_DEP_1)
	v_cndmask_b32_e64 v7, v2, 0x70, vcc_lo
	v_dual_add_nc_u32 v2, 21, v7 :: v_dual_add_nc_u32 v8, 20, v7
	s_delay_alu instid0(VALU_DEP_1) | instskip(NEXT) | instid1(VALU_DEP_2)
	v_lshlrev_b64_e64 v[2:3], v2, -1
	v_lshlrev_b64_e64 v[8:9], v8, 1
	s_delay_alu instid0(VALU_DEP_2) | instskip(SKIP_1) | instid1(VALU_DEP_4)
	v_bfi_b32 v2, v2, 0, v0
	v_lshrrev_b64 v[0:1], v7, v[0:1]
	v_bfi_b32 v3, v3, 0, 0
	s_delay_alu instid0(VALU_DEP_1) | instskip(NEXT) | instid1(VALU_DEP_3)
	v_cmp_eq_u64_e64 s13, v[2:3], v[8:9]
	v_mov_b64_e32 v[2:3], v[0:1]
	s_and_saveexec_b32 s77, s13
; %bb.2888:                             ;   in Loop: Header=BB6_136 Depth=3
	v_bfe_u32 v2, v0, 21, 1
	v_mov_b32_e32 v3, v113
	s_delay_alu instid0(VALU_DEP_1) | instskip(NEXT) | instid1(VALU_DEP_1)
	v_add_nc_u64_e32 v[2:3], v[0:1], v[2:3]
	v_add_nc_u64_e32 v[2:3], -1, v[2:3]
; %bb.2889:                             ;   in Loop: Header=BB6_136 Depth=3
	s_or_b32 exec_lo, exec_lo, s77
	v_add_nc_u32_e32 v1, 0xffffff81, v5
	v_lshrrev_b32_e32 v3, 23, v0
	s_mov_b32 s13, exec_lo
	s_delay_alu instid0(VALU_DEP_2) | instskip(NEXT) | instid1(VALU_DEP_1)
	v_cndmask_b32_e64 v1, v1, 0xffffff82, vcc_lo
	v_add3_u32 v5, v7, v1, v3
	v_and_b32_e32 v1, 0x1fffff, v2
                                        ; implicit-def: $vgpr2
	s_delay_alu instid0(VALU_DEP_1) | instskip(SKIP_1) | instid1(VALU_DEP_2)
	v_dual_add_nc_u32 v3, 14, v5 :: v_dual_add_nc_u32 v0, v1, v0
	v_mov_b32_e32 v1, v113
	v_cmpx_ne_u32_e32 0, v3
	s_xor_b32 s13, exec_lo, s13
; %bb.2890:                             ;   in Loop: Header=BB6_136 Depth=3
	s_delay_alu instid0(VALU_DEP_2) | instskip(SKIP_1) | instid1(VALU_DEP_1)
	v_cmp_lt_u64_e32 vcc_lo, 0xffffff, v[0:1]
	v_add_nc_u32_e32 v2, 15, v5
	v_cndmask_b32_e32 v2, v3, v2, vcc_lo
	v_cndmask_b32_e64 v3, 0, 1, vcc_lo
	s_delay_alu instid0(VALU_DEP_1)
	v_lshrrev_b64 v[0:1], v3, v[0:1]
; %bb.2891:                             ;   in Loop: Header=BB6_136 Depth=3
	s_and_not1_saveexec_b32 s13, s13
; %bb.2892:                             ;   in Loop: Header=BB6_136 Depth=3
	s_delay_alu instid0(VALU_DEP_1)
	v_bfe_u32 v2, v0, 23, 1
; %bb.2893:                             ;   in Loop: Header=BB6_136 Depth=3
	s_or_b32 exec_lo, exec_lo, s13
	s_delay_alu instid0(VALU_DEP_2) | instskip(NEXT) | instid1(VALU_DEP_2)
	v_lshrrev_b64 v[0:1], 21, v[0:1]
	v_cmp_gt_i32_e32 vcc_lo, 32, v2
	v_min_i32_e32 v3, 31, v2
	v_cmp_eq_u32_e64 s13, 0, v2
	s_delay_alu instid0(VALU_DEP_2) | instskip(SKIP_1) | instid1(VALU_DEP_2)
	v_dual_cndmask_b32 v1, 0, v1, vcc_lo :: v_dual_lshlrev_b32 v3, 2, v3
	v_cndmask_b32_e32 v0, 3, v0, vcc_lo
	v_and_b32_e32 v3, 0xfc, v3
	s_delay_alu instid0(VALU_DEP_2) | instskip(NEXT) | instid1(VALU_DEP_2)
	v_cmp_eq_u64_e32 vcc_lo, 0, v[0:1]
	v_and_or_b32 v0, v0, 3, v3
	s_and_b32 s13, s13, vcc_lo
	s_delay_alu instid0(VALU_DEP_1) | instid1(SALU_CYCLE_1)
	v_cndmask_b32_e64 v0, v0, 0, s13
	s_delay_alu instid0(VALU_DEP_1)
	v_or_b32_e32 v120, v0, v4
.LBB6_2894:                             ;   in Loop: Header=BB6_136 Depth=3
	s_or_b32 exec_lo, exec_lo, s76
                                        ; implicit-def: $vgpr4
.LBB6_2895:                             ;   in Loop: Header=BB6_136 Depth=3
	s_and_not1_saveexec_b32 s13, s75
; %bb.2896:                             ;   in Loop: Header=BB6_136 Depth=3
	v_or_b32_e32 v120, 0x7b, v4
; %bb.2897:                             ;   in Loop: Header=BB6_136 Depth=3
	s_or_b32 exec_lo, exec_lo, s13
                                        ; implicit-def: $vgpr2
                                        ; implicit-def: $vgpr0_vgpr1
                                        ; implicit-def: $vgpr3
.LBB6_2898:                             ;   in Loop: Header=BB6_136 Depth=3
	s_and_not1_saveexec_b32 s13, s74
	s_cbranch_execz .LBB6_2904
; %bb.2899:                             ;   in Loop: Header=BB6_136 Depth=3
	s_mov_b32 s74, exec_lo
                                        ; implicit-def: $vgpr120
	v_cmpx_ne_u64_e32 0, v[0:1]
	s_xor_b32 s74, exec_lo, s74
; %bb.2900:                             ;   in Loop: Header=BB6_136 Depth=3
	v_or_b32_e32 v120, 0x7f, v3
                                        ; implicit-def: $vgpr2
; %bb.2901:                             ;   in Loop: Header=BB6_136 Depth=3
	s_and_not1_saveexec_b32 s74, s74
; %bb.2902:                             ;   in Loop: Header=BB6_136 Depth=3
	v_cmp_lt_i32_e32 vcc_lo, -1, v2
	v_mov_b32_e32 v0, 0x7c
	s_delay_alu instid0(VALU_DEP_1)
	v_cndmask_b32_e32 v120, 0xfc, v0, vcc_lo
; %bb.2903:                             ;   in Loop: Header=BB6_136 Depth=3
	s_or_b32 exec_lo, exec_lo, s74
.LBB6_2904:                             ;   in Loop: Header=BB6_136 Depth=3
	s_delay_alu instid0(SALU_CYCLE_1) | instskip(SKIP_4) | instid1(VALU_DEP_3)
	s_or_b32 exec_lo, exec_lo, s13
	v_and_b32_e32 v3, 0xff, v11
	v_dual_mov_b32 v0, v11 :: v_dual_mov_b32 v1, v113
	v_mov_b32_e32 v2, 0
	s_mov_b32 s74, exec_lo
	v_cmpx_ne_u16_e32 0, v3
	s_cbranch_execz .LBB6_2914
; %bb.2905:                             ;   in Loop: Header=BB6_136 Depth=3
	v_bfrev_b32_e32 v2, 1
	s_mov_b32 s75, exec_lo
	v_cmpx_ne_u16_e32 0x80, v3
	s_cbranch_execz .LBB6_2913
; %bb.2906:                             ;   in Loop: Header=BB6_136 Depth=3
	v_and_b32_e32 v2, 0x7c, v11
	v_and_b32_e32 v3, 3, v11
	s_delay_alu instid0(VALU_DEP_2) | instskip(SKIP_1) | instid1(SALU_CYCLE_1)
	v_cmp_ne_u32_e32 vcc_lo, 0x7c, v2
                                        ; implicit-def: $vgpr2
	s_and_saveexec_b32 s13, vcc_lo
	s_xor_b32 s13, exec_lo, s13
	s_cbranch_execz .LBB6_2910
; %bb.2907:                             ;   in Loop: Header=BB6_136 Depth=3
	v_bfe_u32 v2, v11, 2, 5
	s_mov_b32 s76, exec_lo
	s_delay_alu instid0(VALU_DEP_1)
	v_cmpx_eq_u32_e32 0, v2
; %bb.2908:                             ;   in Loop: Header=BB6_136 Depth=3
	v_clz_i32_u32_e32 v2, v3
	s_delay_alu instid0(VALU_DEP_1) | instskip(NEXT) | instid1(VALU_DEP_1)
	v_min_u32_e32 v2, 32, v2
	v_subrev_nc_u32_e32 v3, 29, v2
	s_delay_alu instid0(VALU_DEP_1) | instskip(NEXT) | instid1(VALU_DEP_1)
	v_lshlrev_b64_e32 v[4:5], v3, v[0:1]
	v_dual_sub_nc_u32 v2, 30, v2 :: v_dual_bitop2_b32 v3, 3, v4 bitop3:0x40
; %bb.2909:                             ;   in Loop: Header=BB6_136 Depth=3
	s_or_b32 exec_lo, exec_lo, s76
	v_lshlrev_b32_e32 v1, 24, v11
	s_delay_alu instid0(VALU_DEP_1) | instskip(NEXT) | instid1(VALU_DEP_1)
	v_and_b32_e32 v1, 0x80000000, v1
	v_lshl_add_u32 v1, v2, 23, v1
	s_delay_alu instid0(VALU_DEP_1) | instskip(NEXT) | instid1(VALU_DEP_1)
	v_lshl_or_b32 v1, v3, 21, v1
                                        ; implicit-def: $vgpr3
	v_add_nc_u32_e32 v2, 0x38000000, v1
.LBB6_2910:                             ;   in Loop: Header=BB6_136 Depth=3
	s_and_not1_saveexec_b32 s76, s13
; %bb.2911:                             ;   in Loop: Header=BB6_136 Depth=3
	v_bfe_i32 v1, v11, 0, 8
	v_cmp_eq_u32_e32 vcc_lo, 0, v3
	s_delay_alu instid0(VALU_DEP_2) | instskip(SKIP_1) | instid1(VALU_DEP_1)
	v_cmp_lt_i16_e64 s13, -1, v1
	v_mov_b32_e32 v1, 0x7f800000
	v_cndmask_b32_e64 v1, 0xff800000, v1, s13
	s_delay_alu instid0(VALU_DEP_1)
	v_cndmask_b32_e32 v2, 0x7f800001, v1, vcc_lo
; %bb.2912:                             ;   in Loop: Header=BB6_136 Depth=3
	s_or_b32 exec_lo, exec_lo, s76
.LBB6_2913:                             ;   in Loop: Header=BB6_136 Depth=3
	s_delay_alu instid0(SALU_CYCLE_1)
	s_or_b32 exec_lo, exec_lo, s75
.LBB6_2914:                             ;   in Loop: Header=BB6_136 Depth=3
	s_delay_alu instid0(SALU_CYCLE_1) | instskip(NEXT) | instid1(VALU_DEP_1)
	s_or_b32 exec_lo, exec_lo, s74
	v_dual_mul_f32 v4, s73, v2 :: v_dual_mov_b32 v9, v113
	v_mov_b32_e32 v3, v113
                                        ; implicit-def: $vgpr121
	s_mov_b32 s13, exec_lo
	s_delay_alu instid0(VALU_DEP_2) | instskip(SKIP_2) | instid1(VALU_DEP_3)
	v_and_b32_e32 v8, 0x7f800000, v4
	v_and_b32_e32 v2, 0x7fffff, v4
	v_lshrrev_b32_e32 v1, 24, v4
	v_cmpx_ne_u64_e32 0x7f800000, v[8:9]
	s_xor_b32 s74, exec_lo, s13
	s_cbranch_execz .LBB6_2928
; %bb.2915:                             ;   in Loop: Header=BB6_136 Depth=3
	v_and_b32_e32 v8, 0x7fffffff, v4
	v_mov_b32_e32 v9, v113
	v_and_b32_e32 v1, 0x80, v1
                                        ; implicit-def: $vgpr121
	s_mov_b32 s13, exec_lo
	s_delay_alu instid0(VALU_DEP_2)
	v_cmpx_gt_u64_e32 0x47600001, v[8:9]
	s_xor_b32 s75, exec_lo, s13
	s_cbranch_execz .LBB6_2925
; %bb.2916:                             ;   in Loop: Header=BB6_136 Depth=3
	v_mov_b32_e32 v121, 0
	s_mov_b32 s76, exec_lo
	v_cmpx_ne_u32_e32 0, v4
	s_cbranch_execz .LBB6_2924
; %bb.2917:                             ;   in Loop: Header=BB6_136 Depth=3
	v_bfe_u32 v7, v4, 23, 8
	v_or_b32_e32 v5, 0x800000, v2
	s_delay_alu instid0(VALU_DEP_2) | instskip(SKIP_2) | instid1(VALU_DEP_2)
	v_cmp_gt_u32_e64 s13, 0x72, v7
	v_sub_nc_u32_e32 v4, 0x71, v7
	v_cmp_eq_u32_e32 vcc_lo, 0, v7
	v_dual_cndmask_b32 v4, 0, v4, s13 :: v_dual_cndmask_b32 v2, v5, v2, vcc_lo
	s_delay_alu instid0(VALU_DEP_1) | instskip(NEXT) | instid1(VALU_DEP_1)
	v_cndmask_b32_e64 v8, v4, 0x70, vcc_lo
	v_dual_add_nc_u32 v4, 21, v8 :: v_dual_add_nc_u32 v9, 20, v8
	s_delay_alu instid0(VALU_DEP_1) | instskip(NEXT) | instid1(VALU_DEP_2)
	v_lshlrev_b64_e64 v[4:5], v4, -1
	v_lshlrev_b64_e64 v[24:25], v9, 1
	s_delay_alu instid0(VALU_DEP_2) | instskip(SKIP_1) | instid1(VALU_DEP_4)
	v_bfi_b32 v4, v4, 0, v2
	v_lshrrev_b64 v[2:3], v8, v[2:3]
	v_bfi_b32 v5, v5, 0, 0
	s_delay_alu instid0(VALU_DEP_1) | instskip(NEXT) | instid1(VALU_DEP_3)
	v_cmp_eq_u64_e64 s13, v[4:5], v[24:25]
	v_mov_b64_e32 v[4:5], v[2:3]
	s_and_saveexec_b32 s77, s13
; %bb.2918:                             ;   in Loop: Header=BB6_136 Depth=3
	v_bfe_u32 v4, v2, 21, 1
	v_mov_b32_e32 v5, v113
	s_delay_alu instid0(VALU_DEP_1) | instskip(NEXT) | instid1(VALU_DEP_1)
	v_add_nc_u64_e32 v[4:5], v[2:3], v[4:5]
	v_add_nc_u64_e32 v[4:5], -1, v[4:5]
; %bb.2919:                             ;   in Loop: Header=BB6_136 Depth=3
	s_or_b32 exec_lo, exec_lo, s77
	v_add_nc_u32_e32 v3, 0xffffff81, v7
	v_lshrrev_b32_e32 v5, 23, v2
	s_mov_b32 s13, exec_lo
	s_delay_alu instid0(VALU_DEP_2) | instskip(NEXT) | instid1(VALU_DEP_1)
	v_cndmask_b32_e64 v3, v3, 0xffffff82, vcc_lo
	v_add3_u32 v7, v8, v3, v5
	v_and_b32_e32 v3, 0x1fffff, v4
                                        ; implicit-def: $vgpr4
	s_delay_alu instid0(VALU_DEP_1) | instskip(SKIP_1) | instid1(VALU_DEP_2)
	v_dual_add_nc_u32 v5, 14, v7 :: v_dual_add_nc_u32 v2, v3, v2
	v_mov_b32_e32 v3, v113
	v_cmpx_ne_u32_e32 0, v5
	s_xor_b32 s13, exec_lo, s13
; %bb.2920:                             ;   in Loop: Header=BB6_136 Depth=3
	s_delay_alu instid0(VALU_DEP_2) | instskip(SKIP_1) | instid1(VALU_DEP_1)
	v_cmp_lt_u64_e32 vcc_lo, 0xffffff, v[2:3]
	v_add_nc_u32_e32 v4, 15, v7
	v_cndmask_b32_e32 v4, v5, v4, vcc_lo
	v_cndmask_b32_e64 v5, 0, 1, vcc_lo
	s_delay_alu instid0(VALU_DEP_1)
	v_lshrrev_b64 v[2:3], v5, v[2:3]
; %bb.2921:                             ;   in Loop: Header=BB6_136 Depth=3
	s_and_not1_saveexec_b32 s13, s13
; %bb.2922:                             ;   in Loop: Header=BB6_136 Depth=3
	s_delay_alu instid0(VALU_DEP_1)
	v_bfe_u32 v4, v2, 23, 1
; %bb.2923:                             ;   in Loop: Header=BB6_136 Depth=3
	s_or_b32 exec_lo, exec_lo, s13
	s_delay_alu instid0(VALU_DEP_2) | instskip(NEXT) | instid1(VALU_DEP_2)
	v_lshrrev_b64 v[2:3], 21, v[2:3]
	v_cmp_gt_i32_e32 vcc_lo, 32, v4
	v_min_i32_e32 v5, 31, v4
	v_cmp_eq_u32_e64 s13, 0, v4
	s_delay_alu instid0(VALU_DEP_2) | instskip(SKIP_1) | instid1(VALU_DEP_2)
	v_dual_cndmask_b32 v3, 0, v3, vcc_lo :: v_dual_lshlrev_b32 v5, 2, v5
	v_cndmask_b32_e32 v2, 3, v2, vcc_lo
	v_and_b32_e32 v5, 0xfc, v5
	s_delay_alu instid0(VALU_DEP_2) | instskip(NEXT) | instid1(VALU_DEP_2)
	v_cmp_eq_u64_e32 vcc_lo, 0, v[2:3]
	v_and_or_b32 v2, v2, 3, v5
	s_and_b32 s13, s13, vcc_lo
	s_delay_alu instid0(VALU_DEP_1) | instid1(SALU_CYCLE_1)
	v_cndmask_b32_e64 v2, v2, 0, s13
	s_delay_alu instid0(VALU_DEP_1)
	v_or_b32_e32 v121, v2, v1
.LBB6_2924:                             ;   in Loop: Header=BB6_136 Depth=3
	s_or_b32 exec_lo, exec_lo, s76
                                        ; implicit-def: $vgpr1
.LBB6_2925:                             ;   in Loop: Header=BB6_136 Depth=3
	s_and_not1_saveexec_b32 s13, s75
; %bb.2926:                             ;   in Loop: Header=BB6_136 Depth=3
	v_or_b32_e32 v121, 0x7b, v1
; %bb.2927:                             ;   in Loop: Header=BB6_136 Depth=3
	s_or_b32 exec_lo, exec_lo, s13
                                        ; implicit-def: $vgpr4
                                        ; implicit-def: $vgpr2_vgpr3
                                        ; implicit-def: $vgpr1
.LBB6_2928:                             ;   in Loop: Header=BB6_136 Depth=3
	s_and_not1_saveexec_b32 s13, s74
	s_cbranch_execz .LBB6_2934
; %bb.2929:                             ;   in Loop: Header=BB6_136 Depth=3
	s_mov_b32 s74, exec_lo
                                        ; implicit-def: $vgpr121
	v_cmpx_ne_u64_e32 0, v[2:3]
	s_xor_b32 s74, exec_lo, s74
; %bb.2930:                             ;   in Loop: Header=BB6_136 Depth=3
	v_or_b32_e32 v121, 0x7f, v1
                                        ; implicit-def: $vgpr4
; %bb.2931:                             ;   in Loop: Header=BB6_136 Depth=3
	s_and_not1_saveexec_b32 s74, s74
; %bb.2932:                             ;   in Loop: Header=BB6_136 Depth=3
	v_cmp_lt_i32_e32 vcc_lo, -1, v4
	v_mov_b32_e32 v1, 0x7c
	s_delay_alu instid0(VALU_DEP_1)
	v_cndmask_b32_e32 v121, 0xfc, v1, vcc_lo
; %bb.2933:                             ;   in Loop: Header=BB6_136 Depth=3
	s_or_b32 exec_lo, exec_lo, s74
.LBB6_2934:                             ;   in Loop: Header=BB6_136 Depth=3
	s_delay_alu instid0(SALU_CYCLE_1) | instskip(SKIP_3) | instid1(VALU_DEP_2)
	s_or_b32 exec_lo, exec_lo, s13
	v_lshrrev_b16 v2, 8, v0
	v_mov_b32_e32 v3, 0
	s_mov_b32 s74, exec_lo
	v_cmpx_ne_u16_e32 0, v2
	s_cbranch_execz .LBB6_2944
; %bb.2935:                             ;   in Loop: Header=BB6_136 Depth=3
	v_bfrev_b32_e32 v3, 1
	s_mov_b32 s75, exec_lo
	v_cmpx_ne_u16_e32 0x80, v2
	s_cbranch_execz .LBB6_2943
; %bb.2936:                             ;   in Loop: Header=BB6_136 Depth=3
	v_and_b32_e32 v1, 0xffff, v2
	s_delay_alu instid0(VALU_DEP_1) | instskip(SKIP_1) | instid1(VALU_DEP_2)
	v_and_b32_e32 v3, 0x7c, v1
	v_and_b32_e32 v4, 3, v1
	v_cmp_ne_u32_e32 vcc_lo, 0x7c, v3
                                        ; implicit-def: $vgpr3
	s_and_saveexec_b32 s13, vcc_lo
	s_delay_alu instid0(SALU_CYCLE_1)
	s_xor_b32 s13, exec_lo, s13
	s_cbranch_execz .LBB6_2940
; %bb.2937:                             ;   in Loop: Header=BB6_136 Depth=3
	v_bfe_u32 v1, v1, 2, 5
	s_mov_b32 s76, exec_lo
	s_delay_alu instid0(VALU_DEP_1)
	v_cmpx_eq_u32_e32 0, v1
	s_cbranch_execz .LBB6_2939
; %bb.2938:                             ;   in Loop: Header=BB6_136 Depth=3
	v_clz_i32_u32_e32 v1, v4
	s_delay_alu instid0(VALU_DEP_1) | instskip(SKIP_1) | instid1(VALU_DEP_2)
	v_min_u32_e32 v1, 32, v1
	v_mov_b32_e32 v3, v113
	v_subrev_nc_u32_e32 v4, 29, v1
	v_sub_nc_u32_e32 v1, 30, v1
	s_delay_alu instid0(VALU_DEP_2) | instskip(NEXT) | instid1(VALU_DEP_1)
	v_lshlrev_b64_e32 v[2:3], v4, v[2:3]
	v_and_b32_e32 v4, 3, v2
.LBB6_2939:                             ;   in Loop: Header=BB6_136 Depth=3
	s_or_b32 exec_lo, exec_lo, s76
	v_lshlrev_b32_e32 v0, 16, v0
	s_delay_alu instid0(VALU_DEP_1) | instskip(NEXT) | instid1(VALU_DEP_1)
	v_and_b32_e32 v0, 0x80000000, v0
	v_lshl_add_u32 v0, v1, 23, v0
	s_delay_alu instid0(VALU_DEP_1) | instskip(NEXT) | instid1(VALU_DEP_1)
	v_lshl_or_b32 v0, v4, 21, v0
                                        ; implicit-def: $vgpr4
	v_add_nc_u32_e32 v3, 0x38000000, v0
                                        ; implicit-def: $vgpr0_vgpr1
.LBB6_2940:                             ;   in Loop: Header=BB6_136 Depth=3
	s_and_not1_saveexec_b32 s76, s13
; %bb.2941:                             ;   in Loop: Header=BB6_136 Depth=3
	v_cmp_lt_i16_e64 s13, -1, v0
	v_mov_b32_e32 v0, 0x7f800000
	v_cmp_eq_u32_e32 vcc_lo, 0, v4
	s_delay_alu instid0(VALU_DEP_2) | instskip(NEXT) | instid1(VALU_DEP_1)
	v_cndmask_b32_e64 v0, 0xff800000, v0, s13
	v_cndmask_b32_e32 v3, 0x7f800001, v0, vcc_lo
; %bb.2942:                             ;   in Loop: Header=BB6_136 Depth=3
	s_or_b32 exec_lo, exec_lo, s76
.LBB6_2943:                             ;   in Loop: Header=BB6_136 Depth=3
	s_delay_alu instid0(SALU_CYCLE_1)
	s_or_b32 exec_lo, exec_lo, s75
.LBB6_2944:                             ;   in Loop: Header=BB6_136 Depth=3
	s_delay_alu instid0(SALU_CYCLE_1) | instskip(NEXT) | instid1(VALU_DEP_1)
	s_or_b32 exec_lo, exec_lo, s74
	v_dual_mul_f32 v2, s73, v3 :: v_dual_mov_b32 v5, v113
	v_mov_b32_e32 v1, v113
                                        ; implicit-def: $vgpr122
	s_mov_b32 s13, exec_lo
	s_delay_alu instid0(VALU_DEP_2) | instskip(SKIP_2) | instid1(VALU_DEP_3)
	v_and_b32_e32 v4, 0x7f800000, v2
	v_and_b32_e32 v0, 0x7fffff, v2
	v_lshrrev_b32_e32 v3, 24, v2
	v_cmpx_ne_u64_e32 0x7f800000, v[4:5]
	s_xor_b32 s74, exec_lo, s13
	s_cbranch_execz .LBB6_2958
; %bb.2945:                             ;   in Loop: Header=BB6_136 Depth=3
	v_and_b32_e32 v4, 0x7fffffff, v2
	v_mov_b32_e32 v5, v113
                                        ; implicit-def: $vgpr122
	s_delay_alu instid0(VALU_DEP_1) | instskip(SKIP_2) | instid1(SALU_CYCLE_1)
	v_cmp_gt_u64_e32 vcc_lo, 0x47600001, v[4:5]
	v_and_b32_e32 v4, 0x80, v3
	s_and_saveexec_b32 s13, vcc_lo
	s_xor_b32 s75, exec_lo, s13
	s_cbranch_execz .LBB6_2955
; %bb.2946:                             ;   in Loop: Header=BB6_136 Depth=3
	v_mov_b32_e32 v122, 0
	s_mov_b32 s76, exec_lo
	v_cmpx_ne_u32_e32 0, v2
	s_cbranch_execz .LBB6_2954
; %bb.2947:                             ;   in Loop: Header=BB6_136 Depth=3
	v_bfe_u32 v5, v2, 23, 8
	v_or_b32_e32 v3, 0x800000, v0
	s_delay_alu instid0(VALU_DEP_2) | instskip(SKIP_2) | instid1(VALU_DEP_2)
	v_cmp_gt_u32_e64 s13, 0x72, v5
	v_sub_nc_u32_e32 v2, 0x71, v5
	v_cmp_eq_u32_e32 vcc_lo, 0, v5
	v_dual_cndmask_b32 v2, 0, v2, s13 :: v_dual_cndmask_b32 v0, v3, v0, vcc_lo
	s_delay_alu instid0(VALU_DEP_1) | instskip(NEXT) | instid1(VALU_DEP_1)
	v_cndmask_b32_e64 v7, v2, 0x70, vcc_lo
	v_dual_add_nc_u32 v2, 21, v7 :: v_dual_add_nc_u32 v8, 20, v7
	s_delay_alu instid0(VALU_DEP_1) | instskip(NEXT) | instid1(VALU_DEP_2)
	v_lshlrev_b64_e64 v[2:3], v2, -1
	v_lshlrev_b64_e64 v[8:9], v8, 1
	s_delay_alu instid0(VALU_DEP_2) | instskip(SKIP_1) | instid1(VALU_DEP_4)
	v_bfi_b32 v2, v2, 0, v0
	v_lshrrev_b64 v[0:1], v7, v[0:1]
	v_bfi_b32 v3, v3, 0, 0
	s_delay_alu instid0(VALU_DEP_1) | instskip(NEXT) | instid1(VALU_DEP_3)
	v_cmp_eq_u64_e64 s13, v[2:3], v[8:9]
	v_mov_b64_e32 v[2:3], v[0:1]
	s_and_saveexec_b32 s77, s13
; %bb.2948:                             ;   in Loop: Header=BB6_136 Depth=3
	v_bfe_u32 v2, v0, 21, 1
	v_mov_b32_e32 v3, v113
	s_delay_alu instid0(VALU_DEP_1) | instskip(NEXT) | instid1(VALU_DEP_1)
	v_add_nc_u64_e32 v[2:3], v[0:1], v[2:3]
	v_add_nc_u64_e32 v[2:3], -1, v[2:3]
; %bb.2949:                             ;   in Loop: Header=BB6_136 Depth=3
	s_or_b32 exec_lo, exec_lo, s77
	v_add_nc_u32_e32 v1, 0xffffff81, v5
	v_lshrrev_b32_e32 v3, 23, v0
	s_mov_b32 s13, exec_lo
	s_delay_alu instid0(VALU_DEP_2) | instskip(NEXT) | instid1(VALU_DEP_1)
	v_cndmask_b32_e64 v1, v1, 0xffffff82, vcc_lo
	v_add3_u32 v5, v7, v1, v3
	v_and_b32_e32 v1, 0x1fffff, v2
                                        ; implicit-def: $vgpr2
	s_delay_alu instid0(VALU_DEP_1) | instskip(SKIP_1) | instid1(VALU_DEP_2)
	v_dual_add_nc_u32 v3, 14, v5 :: v_dual_add_nc_u32 v0, v1, v0
	v_mov_b32_e32 v1, v113
	v_cmpx_ne_u32_e32 0, v3
	s_xor_b32 s13, exec_lo, s13
; %bb.2950:                             ;   in Loop: Header=BB6_136 Depth=3
	s_delay_alu instid0(VALU_DEP_2) | instskip(SKIP_1) | instid1(VALU_DEP_1)
	v_cmp_lt_u64_e32 vcc_lo, 0xffffff, v[0:1]
	v_add_nc_u32_e32 v2, 15, v5
	v_cndmask_b32_e32 v2, v3, v2, vcc_lo
	v_cndmask_b32_e64 v3, 0, 1, vcc_lo
	s_delay_alu instid0(VALU_DEP_1)
	v_lshrrev_b64 v[0:1], v3, v[0:1]
; %bb.2951:                             ;   in Loop: Header=BB6_136 Depth=3
	s_and_not1_saveexec_b32 s13, s13
; %bb.2952:                             ;   in Loop: Header=BB6_136 Depth=3
	s_delay_alu instid0(VALU_DEP_1)
	v_bfe_u32 v2, v0, 23, 1
; %bb.2953:                             ;   in Loop: Header=BB6_136 Depth=3
	s_or_b32 exec_lo, exec_lo, s13
	s_delay_alu instid0(VALU_DEP_2) | instskip(NEXT) | instid1(VALU_DEP_2)
	v_lshrrev_b64 v[0:1], 21, v[0:1]
	v_cmp_gt_i32_e32 vcc_lo, 32, v2
	v_min_i32_e32 v3, 31, v2
	v_cmp_eq_u32_e64 s13, 0, v2
	s_delay_alu instid0(VALU_DEP_2) | instskip(SKIP_1) | instid1(VALU_DEP_2)
	v_dual_cndmask_b32 v1, 0, v1, vcc_lo :: v_dual_lshlrev_b32 v3, 2, v3
	v_cndmask_b32_e32 v0, 3, v0, vcc_lo
	v_and_b32_e32 v3, 0xfc, v3
	s_delay_alu instid0(VALU_DEP_2) | instskip(NEXT) | instid1(VALU_DEP_2)
	v_cmp_eq_u64_e32 vcc_lo, 0, v[0:1]
	v_and_or_b32 v0, v0, 3, v3
	s_and_b32 s13, s13, vcc_lo
	s_delay_alu instid0(VALU_DEP_1) | instid1(SALU_CYCLE_1)
	v_cndmask_b32_e64 v0, v0, 0, s13
	s_delay_alu instid0(VALU_DEP_1)
	v_or_b32_e32 v122, v0, v4
.LBB6_2954:                             ;   in Loop: Header=BB6_136 Depth=3
	s_or_b32 exec_lo, exec_lo, s76
                                        ; implicit-def: $vgpr4
.LBB6_2955:                             ;   in Loop: Header=BB6_136 Depth=3
	s_and_not1_saveexec_b32 s13, s75
; %bb.2956:                             ;   in Loop: Header=BB6_136 Depth=3
	v_or_b32_e32 v122, 0x7b, v4
; %bb.2957:                             ;   in Loop: Header=BB6_136 Depth=3
	s_or_b32 exec_lo, exec_lo, s13
                                        ; implicit-def: $vgpr2
                                        ; implicit-def: $vgpr0_vgpr1
                                        ; implicit-def: $vgpr3
.LBB6_2958:                             ;   in Loop: Header=BB6_136 Depth=3
	s_and_not1_saveexec_b32 s13, s74
	s_cbranch_execz .LBB6_2964
; %bb.2959:                             ;   in Loop: Header=BB6_136 Depth=3
	s_mov_b32 s74, exec_lo
                                        ; implicit-def: $vgpr122
	v_cmpx_ne_u64_e32 0, v[0:1]
	s_xor_b32 s74, exec_lo, s74
; %bb.2960:                             ;   in Loop: Header=BB6_136 Depth=3
	v_or_b32_e32 v122, 0x7f, v3
                                        ; implicit-def: $vgpr2
; %bb.2961:                             ;   in Loop: Header=BB6_136 Depth=3
	s_and_not1_saveexec_b32 s74, s74
; %bb.2962:                             ;   in Loop: Header=BB6_136 Depth=3
	v_cmp_lt_i32_e32 vcc_lo, -1, v2
	v_mov_b32_e32 v0, 0x7c
	s_delay_alu instid0(VALU_DEP_1)
	v_cndmask_b32_e32 v122, 0xfc, v0, vcc_lo
; %bb.2963:                             ;   in Loop: Header=BB6_136 Depth=3
	s_or_b32 exec_lo, exec_lo, s74
.LBB6_2964:                             ;   in Loop: Header=BB6_136 Depth=3
	s_delay_alu instid0(SALU_CYCLE_1) | instskip(SKIP_2) | instid1(VALU_DEP_1)
	s_or_b32 exec_lo, exec_lo, s13
	v_dual_mov_b32 v1, 0 :: v_dual_lshrrev_b32 v0, 16, v11
	s_mov_b32 s74, exec_lo
	v_and_b32_e32 v2, 0xff, v0
	s_delay_alu instid0(VALU_DEP_1)
	v_cmpx_ne_u16_e32 0, v2
	s_cbranch_execz .LBB6_2974
; %bb.2965:                             ;   in Loop: Header=BB6_136 Depth=3
	v_bfrev_b32_e32 v1, 1
	s_mov_b32 s75, exec_lo
	v_cmpx_ne_u16_e32 0x80, v2
	s_cbranch_execz .LBB6_2973
; %bb.2966:                             ;   in Loop: Header=BB6_136 Depth=3
	v_and_b32_e32 v1, 0x7c0000, v11
	v_bfe_u32 v2, v11, 16, 2
	s_delay_alu instid0(VALU_DEP_2) | instskip(SKIP_1) | instid1(SALU_CYCLE_1)
	v_cmp_ne_u32_e32 vcc_lo, 0x7c0000, v1
                                        ; implicit-def: $vgpr1
	s_and_saveexec_b32 s13, vcc_lo
	s_xor_b32 s13, exec_lo, s13
	s_cbranch_execz .LBB6_2970
; %bb.2967:                             ;   in Loop: Header=BB6_136 Depth=3
	v_bfe_u32 v1, v11, 18, 5
	s_mov_b32 s76, exec_lo
	s_delay_alu instid0(VALU_DEP_1)
	v_cmpx_eq_u32_e32 0, v1
; %bb.2968:                             ;   in Loop: Header=BB6_136 Depth=3
	v_clz_i32_u32_e32 v1, v2
	s_delay_alu instid0(VALU_DEP_1) | instskip(NEXT) | instid1(VALU_DEP_1)
	v_min_u32_e32 v1, 32, v1
	v_subrev_nc_u32_e32 v2, 29, v1
	s_delay_alu instid0(VALU_DEP_1) | instskip(NEXT) | instid1(VALU_DEP_1)
	v_lshlrev_b64_e32 v[2:3], v2, v[0:1]
	v_dual_sub_nc_u32 v1, 30, v1 :: v_dual_bitop2_b32 v2, 3, v2 bitop3:0x40
; %bb.2969:                             ;   in Loop: Header=BB6_136 Depth=3
	s_or_b32 exec_lo, exec_lo, s76
	v_lshlrev_b32_e32 v0, 24, v0
	s_delay_alu instid0(VALU_DEP_1) | instskip(NEXT) | instid1(VALU_DEP_1)
	v_and_b32_e32 v0, 0x80000000, v0
	v_lshl_add_u32 v0, v1, 23, v0
	s_delay_alu instid0(VALU_DEP_1) | instskip(NEXT) | instid1(VALU_DEP_1)
	v_lshl_or_b32 v0, v2, 21, v0
                                        ; implicit-def: $vgpr2
	v_add_nc_u32_e32 v1, 0x38000000, v0
                                        ; implicit-def: $vgpr0
.LBB6_2970:                             ;   in Loop: Header=BB6_136 Depth=3
	s_and_not1_saveexec_b32 s76, s13
; %bb.2971:                             ;   in Loop: Header=BB6_136 Depth=3
	v_bfe_i32 v0, v0, 0, 8
	v_cmp_eq_u32_e32 vcc_lo, 0, v2
	s_delay_alu instid0(VALU_DEP_2) | instskip(SKIP_1) | instid1(VALU_DEP_1)
	v_cmp_lt_i16_e64 s13, -1, v0
	v_mov_b32_e32 v0, 0x7f800000
	v_cndmask_b32_e64 v0, 0xff800000, v0, s13
	s_delay_alu instid0(VALU_DEP_1)
	v_cndmask_b32_e32 v1, 0x7f800001, v0, vcc_lo
; %bb.2972:                             ;   in Loop: Header=BB6_136 Depth=3
	s_or_b32 exec_lo, exec_lo, s76
.LBB6_2973:                             ;   in Loop: Header=BB6_136 Depth=3
	s_delay_alu instid0(SALU_CYCLE_1)
	s_or_b32 exec_lo, exec_lo, s75
.LBB6_2974:                             ;   in Loop: Header=BB6_136 Depth=3
	s_delay_alu instid0(SALU_CYCLE_1) | instskip(NEXT) | instid1(VALU_DEP_1)
	s_or_b32 exec_lo, exec_lo, s74
	v_dual_mul_f32 v2, s73, v1 :: v_dual_mov_b32 v5, v113
	v_mov_b32_e32 v1, v113
                                        ; implicit-def: $vgpr123
	s_mov_b32 s13, exec_lo
	s_delay_alu instid0(VALU_DEP_2) | instskip(SKIP_2) | instid1(VALU_DEP_3)
	v_and_b32_e32 v4, 0x7f800000, v2
	v_and_b32_e32 v0, 0x7fffff, v2
	v_lshrrev_b32_e32 v3, 24, v2
	v_cmpx_ne_u64_e32 0x7f800000, v[4:5]
	s_xor_b32 s74, exec_lo, s13
	s_cbranch_execz .LBB6_2988
; %bb.2975:                             ;   in Loop: Header=BB6_136 Depth=3
	v_and_b32_e32 v4, 0x7fffffff, v2
	v_mov_b32_e32 v5, v113
                                        ; implicit-def: $vgpr123
	s_delay_alu instid0(VALU_DEP_1) | instskip(SKIP_2) | instid1(SALU_CYCLE_1)
	v_cmp_gt_u64_e32 vcc_lo, 0x47600001, v[4:5]
	v_and_b32_e32 v4, 0x80, v3
	s_and_saveexec_b32 s13, vcc_lo
	s_xor_b32 s75, exec_lo, s13
	s_cbranch_execz .LBB6_2985
; %bb.2976:                             ;   in Loop: Header=BB6_136 Depth=3
	v_mov_b32_e32 v123, 0
	s_mov_b32 s76, exec_lo
	v_cmpx_ne_u32_e32 0, v2
	s_cbranch_execz .LBB6_2984
; %bb.2977:                             ;   in Loop: Header=BB6_136 Depth=3
	v_bfe_u32 v5, v2, 23, 8
	v_or_b32_e32 v3, 0x800000, v0
	s_delay_alu instid0(VALU_DEP_2) | instskip(SKIP_2) | instid1(VALU_DEP_2)
	v_cmp_gt_u32_e64 s13, 0x72, v5
	v_sub_nc_u32_e32 v2, 0x71, v5
	v_cmp_eq_u32_e32 vcc_lo, 0, v5
	v_dual_cndmask_b32 v2, 0, v2, s13 :: v_dual_cndmask_b32 v0, v3, v0, vcc_lo
	s_delay_alu instid0(VALU_DEP_1) | instskip(NEXT) | instid1(VALU_DEP_1)
	v_cndmask_b32_e64 v7, v2, 0x70, vcc_lo
	v_dual_add_nc_u32 v2, 21, v7 :: v_dual_add_nc_u32 v8, 20, v7
	s_delay_alu instid0(VALU_DEP_1) | instskip(NEXT) | instid1(VALU_DEP_2)
	v_lshlrev_b64_e64 v[2:3], v2, -1
	v_lshlrev_b64_e64 v[8:9], v8, 1
	s_delay_alu instid0(VALU_DEP_2) | instskip(SKIP_1) | instid1(VALU_DEP_4)
	v_bfi_b32 v2, v2, 0, v0
	v_lshrrev_b64 v[0:1], v7, v[0:1]
	v_bfi_b32 v3, v3, 0, 0
	s_delay_alu instid0(VALU_DEP_1) | instskip(NEXT) | instid1(VALU_DEP_3)
	v_cmp_eq_u64_e64 s13, v[2:3], v[8:9]
	v_mov_b64_e32 v[2:3], v[0:1]
	s_and_saveexec_b32 s77, s13
; %bb.2978:                             ;   in Loop: Header=BB6_136 Depth=3
	v_bfe_u32 v2, v0, 21, 1
	v_mov_b32_e32 v3, v113
	s_delay_alu instid0(VALU_DEP_1) | instskip(NEXT) | instid1(VALU_DEP_1)
	v_add_nc_u64_e32 v[2:3], v[0:1], v[2:3]
	v_add_nc_u64_e32 v[2:3], -1, v[2:3]
; %bb.2979:                             ;   in Loop: Header=BB6_136 Depth=3
	s_or_b32 exec_lo, exec_lo, s77
	v_add_nc_u32_e32 v1, 0xffffff81, v5
	v_lshrrev_b32_e32 v3, 23, v0
	s_mov_b32 s13, exec_lo
	s_delay_alu instid0(VALU_DEP_2) | instskip(NEXT) | instid1(VALU_DEP_1)
	v_cndmask_b32_e64 v1, v1, 0xffffff82, vcc_lo
	v_add3_u32 v5, v7, v1, v3
	v_and_b32_e32 v1, 0x1fffff, v2
                                        ; implicit-def: $vgpr2
	s_delay_alu instid0(VALU_DEP_1) | instskip(SKIP_1) | instid1(VALU_DEP_2)
	v_dual_add_nc_u32 v3, 14, v5 :: v_dual_add_nc_u32 v0, v1, v0
	v_mov_b32_e32 v1, v113
	v_cmpx_ne_u32_e32 0, v3
	s_xor_b32 s13, exec_lo, s13
; %bb.2980:                             ;   in Loop: Header=BB6_136 Depth=3
	s_delay_alu instid0(VALU_DEP_2) | instskip(SKIP_1) | instid1(VALU_DEP_1)
	v_cmp_lt_u64_e32 vcc_lo, 0xffffff, v[0:1]
	v_add_nc_u32_e32 v2, 15, v5
	v_cndmask_b32_e32 v2, v3, v2, vcc_lo
	v_cndmask_b32_e64 v3, 0, 1, vcc_lo
	s_delay_alu instid0(VALU_DEP_1)
	v_lshrrev_b64 v[0:1], v3, v[0:1]
; %bb.2981:                             ;   in Loop: Header=BB6_136 Depth=3
	s_and_not1_saveexec_b32 s13, s13
; %bb.2982:                             ;   in Loop: Header=BB6_136 Depth=3
	s_delay_alu instid0(VALU_DEP_1)
	v_bfe_u32 v2, v0, 23, 1
; %bb.2983:                             ;   in Loop: Header=BB6_136 Depth=3
	s_or_b32 exec_lo, exec_lo, s13
	s_delay_alu instid0(VALU_DEP_2) | instskip(NEXT) | instid1(VALU_DEP_2)
	v_lshrrev_b64 v[0:1], 21, v[0:1]
	v_cmp_gt_i32_e32 vcc_lo, 32, v2
	v_min_i32_e32 v3, 31, v2
	v_cmp_eq_u32_e64 s13, 0, v2
	s_delay_alu instid0(VALU_DEP_2) | instskip(SKIP_1) | instid1(VALU_DEP_2)
	v_dual_cndmask_b32 v1, 0, v1, vcc_lo :: v_dual_lshlrev_b32 v3, 2, v3
	v_cndmask_b32_e32 v0, 3, v0, vcc_lo
	v_and_b32_e32 v3, 0xfc, v3
	s_delay_alu instid0(VALU_DEP_2) | instskip(NEXT) | instid1(VALU_DEP_2)
	v_cmp_eq_u64_e32 vcc_lo, 0, v[0:1]
	v_and_or_b32 v0, v0, 3, v3
	s_and_b32 s13, s13, vcc_lo
	s_delay_alu instid0(VALU_DEP_1) | instid1(SALU_CYCLE_1)
	v_cndmask_b32_e64 v0, v0, 0, s13
	s_delay_alu instid0(VALU_DEP_1)
	v_or_b32_e32 v123, v0, v4
.LBB6_2984:                             ;   in Loop: Header=BB6_136 Depth=3
	s_or_b32 exec_lo, exec_lo, s76
                                        ; implicit-def: $vgpr4
.LBB6_2985:                             ;   in Loop: Header=BB6_136 Depth=3
	s_and_not1_saveexec_b32 s13, s75
; %bb.2986:                             ;   in Loop: Header=BB6_136 Depth=3
	v_or_b32_e32 v123, 0x7b, v4
; %bb.2987:                             ;   in Loop: Header=BB6_136 Depth=3
	s_or_b32 exec_lo, exec_lo, s13
                                        ; implicit-def: $vgpr2
                                        ; implicit-def: $vgpr0_vgpr1
                                        ; implicit-def: $vgpr3
.LBB6_2988:                             ;   in Loop: Header=BB6_136 Depth=3
	s_and_not1_saveexec_b32 s13, s74
	s_cbranch_execz .LBB6_2994
; %bb.2989:                             ;   in Loop: Header=BB6_136 Depth=3
	s_mov_b32 s74, exec_lo
                                        ; implicit-def: $vgpr123
	v_cmpx_ne_u64_e32 0, v[0:1]
	s_xor_b32 s74, exec_lo, s74
; %bb.2990:                             ;   in Loop: Header=BB6_136 Depth=3
	v_or_b32_e32 v123, 0x7f, v3
                                        ; implicit-def: $vgpr2
; %bb.2991:                             ;   in Loop: Header=BB6_136 Depth=3
	s_and_not1_saveexec_b32 s74, s74
; %bb.2992:                             ;   in Loop: Header=BB6_136 Depth=3
	v_cmp_lt_i32_e32 vcc_lo, -1, v2
	v_mov_b32_e32 v0, 0x7c
	s_delay_alu instid0(VALU_DEP_1)
	v_cndmask_b32_e32 v123, 0xfc, v0, vcc_lo
; %bb.2993:                             ;   in Loop: Header=BB6_136 Depth=3
	s_or_b32 exec_lo, exec_lo, s74
.LBB6_2994:                             ;   in Loop: Header=BB6_136 Depth=3
	s_delay_alu instid0(SALU_CYCLE_1)
	s_or_b32 exec_lo, exec_lo, s13
	v_mov_b32_e32 v1, 0
	s_mov_b32 s74, exec_lo
	v_cmpx_lt_u64_e64 s[22:23], v[10:11]
	s_cbranch_execz .LBB6_3004
; %bb.2995:                             ;   in Loop: Header=BB6_136 Depth=3
	v_lshrrev_b32_e32 v0, 24, v11
	v_bfrev_b32_e32 v1, 1
	s_mov_b32 s75, exec_lo
	s_delay_alu instid0(VALU_DEP_2)
	v_cmpx_ne_u32_e32 0x80, v0
	s_cbranch_execz .LBB6_3003
; %bb.2996:                             ;   in Loop: Header=BB6_136 Depth=3
	v_and_b32_e32 v1, 0x7c000000, v11
	v_bfe_u32 v2, v11, 24, 2
	s_delay_alu instid0(VALU_DEP_2) | instskip(SKIP_1) | instid1(SALU_CYCLE_1)
	v_cmp_ne_u32_e32 vcc_lo, 0x7c000000, v1
                                        ; implicit-def: $vgpr1
	s_and_saveexec_b32 s13, vcc_lo
	s_xor_b32 s13, exec_lo, s13
	s_cbranch_execz .LBB6_3000
; %bb.2997:                             ;   in Loop: Header=BB6_136 Depth=3
	v_bfe_u32 v1, v11, 26, 5
	s_mov_b32 s76, exec_lo
	s_delay_alu instid0(VALU_DEP_1)
	v_cmpx_eq_u32_e32 0, v1
; %bb.2998:                             ;   in Loop: Header=BB6_136 Depth=3
	v_clz_i32_u32_e32 v1, v2
	s_delay_alu instid0(VALU_DEP_1) | instskip(NEXT) | instid1(VALU_DEP_1)
	v_min_u32_e32 v2, 32, v1
	v_subrev_nc_u32_e32 v1, 29, v2
	s_delay_alu instid0(VALU_DEP_1) | instskip(NEXT) | instid1(VALU_DEP_1)
	v_lshlrev_b64_e32 v[0:1], v1, v[0:1]
	v_dual_sub_nc_u32 v1, 30, v2 :: v_dual_bitop2_b32 v2, 3, v0 bitop3:0x40
; %bb.2999:                             ;   in Loop: Header=BB6_136 Depth=3
	s_or_b32 exec_lo, exec_lo, s76
	v_and_b32_e32 v0, 0x80000000, v11
                                        ; implicit-def: $vgpr10_vgpr11
	s_delay_alu instid0(VALU_DEP_1) | instskip(NEXT) | instid1(VALU_DEP_1)
	v_lshl_add_u32 v0, v1, 23, v0
	v_lshl_or_b32 v0, v2, 21, v0
                                        ; implicit-def: $vgpr2
	s_delay_alu instid0(VALU_DEP_1)
	v_add_nc_u32_e32 v1, 0x38000000, v0
.LBB6_3000:                             ;   in Loop: Header=BB6_136 Depth=3
	s_and_not1_saveexec_b32 s76, s13
; %bb.3001:                             ;   in Loop: Header=BB6_136 Depth=3
	v_cmp_lt_i64_e64 s13, -1, v[10:11]
	v_mov_b32_e32 v0, 0x7f800000
	v_cmp_eq_u32_e32 vcc_lo, 0, v2
	s_delay_alu instid0(VALU_DEP_2) | instskip(NEXT) | instid1(VALU_DEP_1)
	v_cndmask_b32_e64 v0, 0xff800000, v0, s13
	v_cndmask_b32_e32 v1, 0x7f800001, v0, vcc_lo
; %bb.3002:                             ;   in Loop: Header=BB6_136 Depth=3
	s_or_b32 exec_lo, exec_lo, s76
.LBB6_3003:                             ;   in Loop: Header=BB6_136 Depth=3
	s_delay_alu instid0(SALU_CYCLE_1)
	s_or_b32 exec_lo, exec_lo, s75
.LBB6_3004:                             ;   in Loop: Header=BB6_136 Depth=3
	s_delay_alu instid0(SALU_CYCLE_1) | instskip(NEXT) | instid1(VALU_DEP_1)
	s_or_b32 exec_lo, exec_lo, s74
	v_dual_mul_f32 v2, s73, v1 :: v_dual_mov_b32 v5, v113
	v_mov_b32_e32 v1, v113
                                        ; implicit-def: $vgpr124
	s_mov_b32 s13, exec_lo
	s_delay_alu instid0(VALU_DEP_2) | instskip(SKIP_2) | instid1(VALU_DEP_3)
	v_and_b32_e32 v4, 0x7f800000, v2
	v_and_b32_e32 v0, 0x7fffff, v2
	v_lshrrev_b32_e32 v3, 24, v2
	v_cmpx_ne_u64_e32 0x7f800000, v[4:5]
	s_xor_b32 s74, exec_lo, s13
	s_cbranch_execz .LBB6_3018
; %bb.3005:                             ;   in Loop: Header=BB6_136 Depth=3
	v_and_b32_e32 v4, 0x7fffffff, v2
	v_mov_b32_e32 v5, v113
                                        ; implicit-def: $vgpr124
	s_delay_alu instid0(VALU_DEP_1) | instskip(SKIP_2) | instid1(SALU_CYCLE_1)
	v_cmp_gt_u64_e32 vcc_lo, 0x47600001, v[4:5]
	v_and_b32_e32 v4, 0x80, v3
	s_and_saveexec_b32 s13, vcc_lo
	s_xor_b32 s75, exec_lo, s13
	s_cbranch_execz .LBB6_3015
; %bb.3006:                             ;   in Loop: Header=BB6_136 Depth=3
	v_mov_b32_e32 v124, 0
	s_mov_b32 s76, exec_lo
	v_cmpx_ne_u32_e32 0, v2
	s_cbranch_execz .LBB6_3014
; %bb.3007:                             ;   in Loop: Header=BB6_136 Depth=3
	v_bfe_u32 v5, v2, 23, 8
	v_or_b32_e32 v3, 0x800000, v0
	s_delay_alu instid0(VALU_DEP_2) | instskip(SKIP_2) | instid1(VALU_DEP_2)
	v_cmp_gt_u32_e64 s13, 0x72, v5
	v_sub_nc_u32_e32 v2, 0x71, v5
	v_cmp_eq_u32_e32 vcc_lo, 0, v5
	v_dual_cndmask_b32 v2, 0, v2, s13 :: v_dual_cndmask_b32 v0, v3, v0, vcc_lo
	s_delay_alu instid0(VALU_DEP_1) | instskip(NEXT) | instid1(VALU_DEP_1)
	v_cndmask_b32_e64 v7, v2, 0x70, vcc_lo
	v_dual_add_nc_u32 v2, 21, v7 :: v_dual_add_nc_u32 v8, 20, v7
	s_delay_alu instid0(VALU_DEP_1) | instskip(NEXT) | instid1(VALU_DEP_2)
	v_lshlrev_b64_e64 v[2:3], v2, -1
	v_lshlrev_b64_e64 v[8:9], v8, 1
	s_delay_alu instid0(VALU_DEP_2) | instskip(SKIP_1) | instid1(VALU_DEP_4)
	v_bfi_b32 v2, v2, 0, v0
	v_lshrrev_b64 v[0:1], v7, v[0:1]
	v_bfi_b32 v3, v3, 0, 0
	s_delay_alu instid0(VALU_DEP_1) | instskip(NEXT) | instid1(VALU_DEP_3)
	v_cmp_eq_u64_e64 s13, v[2:3], v[8:9]
	v_mov_b64_e32 v[2:3], v[0:1]
	s_and_saveexec_b32 s77, s13
; %bb.3008:                             ;   in Loop: Header=BB6_136 Depth=3
	v_bfe_u32 v2, v0, 21, 1
	v_mov_b32_e32 v3, v113
	s_delay_alu instid0(VALU_DEP_1) | instskip(NEXT) | instid1(VALU_DEP_1)
	v_add_nc_u64_e32 v[2:3], v[0:1], v[2:3]
	v_add_nc_u64_e32 v[2:3], -1, v[2:3]
; %bb.3009:                             ;   in Loop: Header=BB6_136 Depth=3
	s_or_b32 exec_lo, exec_lo, s77
	v_add_nc_u32_e32 v1, 0xffffff81, v5
	v_lshrrev_b32_e32 v3, 23, v0
	s_mov_b32 s13, exec_lo
	s_delay_alu instid0(VALU_DEP_2) | instskip(NEXT) | instid1(VALU_DEP_1)
	v_cndmask_b32_e64 v1, v1, 0xffffff82, vcc_lo
	v_add3_u32 v5, v7, v1, v3
	v_and_b32_e32 v1, 0x1fffff, v2
                                        ; implicit-def: $vgpr2
	s_delay_alu instid0(VALU_DEP_1) | instskip(SKIP_1) | instid1(VALU_DEP_2)
	v_dual_add_nc_u32 v3, 14, v5 :: v_dual_add_nc_u32 v0, v1, v0
	v_mov_b32_e32 v1, v113
	v_cmpx_ne_u32_e32 0, v3
	s_xor_b32 s13, exec_lo, s13
; %bb.3010:                             ;   in Loop: Header=BB6_136 Depth=3
	s_delay_alu instid0(VALU_DEP_2) | instskip(SKIP_1) | instid1(VALU_DEP_1)
	v_cmp_lt_u64_e32 vcc_lo, 0xffffff, v[0:1]
	v_add_nc_u32_e32 v2, 15, v5
	v_cndmask_b32_e32 v2, v3, v2, vcc_lo
	v_cndmask_b32_e64 v3, 0, 1, vcc_lo
	s_delay_alu instid0(VALU_DEP_1)
	v_lshrrev_b64 v[0:1], v3, v[0:1]
; %bb.3011:                             ;   in Loop: Header=BB6_136 Depth=3
	s_and_not1_saveexec_b32 s13, s13
; %bb.3012:                             ;   in Loop: Header=BB6_136 Depth=3
	s_delay_alu instid0(VALU_DEP_1)
	v_bfe_u32 v2, v0, 23, 1
; %bb.3013:                             ;   in Loop: Header=BB6_136 Depth=3
	s_or_b32 exec_lo, exec_lo, s13
	s_delay_alu instid0(VALU_DEP_2) | instskip(NEXT) | instid1(VALU_DEP_2)
	v_lshrrev_b64 v[0:1], 21, v[0:1]
	v_cmp_gt_i32_e32 vcc_lo, 32, v2
	v_min_i32_e32 v3, 31, v2
	v_cmp_eq_u32_e64 s13, 0, v2
	s_delay_alu instid0(VALU_DEP_2) | instskip(SKIP_1) | instid1(VALU_DEP_2)
	v_dual_cndmask_b32 v1, 0, v1, vcc_lo :: v_dual_lshlrev_b32 v3, 2, v3
	v_cndmask_b32_e32 v0, 3, v0, vcc_lo
	v_and_b32_e32 v3, 0xfc, v3
	s_delay_alu instid0(VALU_DEP_2) | instskip(NEXT) | instid1(VALU_DEP_2)
	v_cmp_eq_u64_e32 vcc_lo, 0, v[0:1]
	v_and_or_b32 v0, v0, 3, v3
	s_and_b32 s13, s13, vcc_lo
	s_delay_alu instid0(VALU_DEP_1) | instid1(SALU_CYCLE_1)
	v_cndmask_b32_e64 v0, v0, 0, s13
	s_delay_alu instid0(VALU_DEP_1)
	v_or_b32_e32 v124, v0, v4
.LBB6_3014:                             ;   in Loop: Header=BB6_136 Depth=3
	s_or_b32 exec_lo, exec_lo, s76
                                        ; implicit-def: $vgpr4
.LBB6_3015:                             ;   in Loop: Header=BB6_136 Depth=3
	s_and_not1_saveexec_b32 s13, s75
; %bb.3016:                             ;   in Loop: Header=BB6_136 Depth=3
	v_or_b32_e32 v124, 0x7b, v4
; %bb.3017:                             ;   in Loop: Header=BB6_136 Depth=3
	s_or_b32 exec_lo, exec_lo, s13
                                        ; implicit-def: $vgpr2
                                        ; implicit-def: $vgpr0_vgpr1
                                        ; implicit-def: $vgpr3
.LBB6_3018:                             ;   in Loop: Header=BB6_136 Depth=3
	s_and_not1_saveexec_b32 s13, s74
	s_cbranch_execz .LBB6_3024
; %bb.3019:                             ;   in Loop: Header=BB6_136 Depth=3
	s_mov_b32 s74, exec_lo
                                        ; implicit-def: $vgpr124
	v_cmpx_ne_u64_e32 0, v[0:1]
	s_xor_b32 s74, exec_lo, s74
; %bb.3020:                             ;   in Loop: Header=BB6_136 Depth=3
	v_or_b32_e32 v124, 0x7f, v3
                                        ; implicit-def: $vgpr2
; %bb.3021:                             ;   in Loop: Header=BB6_136 Depth=3
	s_and_not1_saveexec_b32 s74, s74
; %bb.3022:                             ;   in Loop: Header=BB6_136 Depth=3
	v_cmp_lt_i32_e32 vcc_lo, -1, v2
	v_mov_b32_e32 v0, 0x7c
	s_delay_alu instid0(VALU_DEP_1)
	v_cndmask_b32_e32 v124, 0xfc, v0, vcc_lo
; %bb.3023:                             ;   in Loop: Header=BB6_136 Depth=3
	s_or_b32 exec_lo, exec_lo, s74
.LBB6_3024:                             ;   in Loop: Header=BB6_136 Depth=3
	s_delay_alu instid0(SALU_CYCLE_1) | instskip(SKIP_3) | instid1(VALU_DEP_1)
	s_or_b32 exec_lo, exec_lo, s13
	global_load_b128 v[8:11], v[12:13], off offset:3072 th:TH_LOAD_NT
	s_wait_loadcnt 0x0
	v_and_b32_e32 v0, 0xff, v8
	v_cmp_ne_u16_e32 vcc_lo, 0, v0
	v_mov_b32_e32 v0, 0
	s_wait_xcnt 0x0
	s_and_saveexec_b32 s74, vcc_lo
	s_cbranch_execz .LBB6_3034
; %bb.3025:                             ;   in Loop: Header=BB6_136 Depth=3
	v_bfe_i32 v2, v8, 0, 8
	v_bfrev_b32_e32 v0, 1
	s_mov_b32 s75, exec_lo
	s_delay_alu instid0(VALU_DEP_2)
	v_cmpx_ne_u16_e32 0xff80, v2
	s_cbranch_execz .LBB6_3033
; %bb.3026:                             ;   in Loop: Header=BB6_136 Depth=3
	v_and_b32_e32 v0, 0x7c, v8
	v_and_b32_e32 v1, 3, v8
	s_delay_alu instid0(VALU_DEP_2) | instskip(SKIP_1) | instid1(SALU_CYCLE_1)
	v_cmp_ne_u32_e32 vcc_lo, 0x7c, v0
                                        ; implicit-def: $vgpr0
	s_and_saveexec_b32 s13, vcc_lo
	s_xor_b32 s13, exec_lo, s13
	s_cbranch_execz .LBB6_3030
; %bb.3027:                             ;   in Loop: Header=BB6_136 Depth=3
	v_bfe_u32 v0, v8, 2, 5
	s_mov_b32 s76, exec_lo
	s_delay_alu instid0(VALU_DEP_1)
	v_cmpx_eq_u32_e32 0, v0
; %bb.3028:                             ;   in Loop: Header=BB6_136 Depth=3
	v_clz_i32_u32_e32 v0, v1
	s_delay_alu instid0(VALU_DEP_1) | instskip(NEXT) | instid1(VALU_DEP_1)
	v_min_u32_e32 v0, 32, v0
	v_subrev_nc_u32_e32 v1, 29, v0
	s_delay_alu instid0(VALU_DEP_1) | instskip(NEXT) | instid1(VALU_DEP_1)
	v_lshlrev_b64_e32 v[2:3], v1, v[8:9]
	v_dual_sub_nc_u32 v0, 30, v0 :: v_dual_bitop2_b32 v1, 3, v2 bitop3:0x40
; %bb.3029:                             ;   in Loop: Header=BB6_136 Depth=3
	s_or_b32 exec_lo, exec_lo, s76
	v_lshlrev_b32_e32 v2, 24, v8
	s_delay_alu instid0(VALU_DEP_1) | instskip(NEXT) | instid1(VALU_DEP_1)
	v_and_b32_e32 v2, 0x80000000, v2
	v_lshl_add_u32 v0, v0, 23, v2
                                        ; implicit-def: $vgpr2
	s_delay_alu instid0(VALU_DEP_1) | instskip(NEXT) | instid1(VALU_DEP_1)
	v_lshl_or_b32 v0, v1, 21, v0
                                        ; implicit-def: $vgpr1
	v_add_nc_u32_e32 v0, 0x38000000, v0
.LBB6_3030:                             ;   in Loop: Header=BB6_136 Depth=3
	s_and_not1_saveexec_b32 s76, s13
; %bb.3031:                             ;   in Loop: Header=BB6_136 Depth=3
	v_cmp_lt_i16_e64 s13, -1, v2
	v_mov_b32_e32 v0, 0x7f800000
	v_cmp_eq_u32_e32 vcc_lo, 0, v1
	s_delay_alu instid0(VALU_DEP_2) | instskip(NEXT) | instid1(VALU_DEP_1)
	v_cndmask_b32_e64 v0, 0xff800000, v0, s13
	v_cndmask_b32_e32 v0, 0x7f800001, v0, vcc_lo
; %bb.3032:                             ;   in Loop: Header=BB6_136 Depth=3
	s_or_b32 exec_lo, exec_lo, s76
.LBB6_3033:                             ;   in Loop: Header=BB6_136 Depth=3
	s_delay_alu instid0(SALU_CYCLE_1)
	s_or_b32 exec_lo, exec_lo, s75
.LBB6_3034:                             ;   in Loop: Header=BB6_136 Depth=3
	s_delay_alu instid0(SALU_CYCLE_1) | instskip(NEXT) | instid1(VALU_DEP_1)
	s_or_b32 exec_lo, exec_lo, s74
	v_dual_mul_f32 v2, s73, v0 :: v_dual_mov_b32 v5, v113
	v_mov_b32_e32 v1, v113
                                        ; implicit-def: $vgpr125
	s_mov_b32 s13, exec_lo
	s_delay_alu instid0(VALU_DEP_2) | instskip(SKIP_2) | instid1(VALU_DEP_3)
	v_and_b32_e32 v4, 0x7f800000, v2
	v_and_b32_e32 v0, 0x7fffff, v2
	v_lshrrev_b32_e32 v3, 24, v2
	v_cmpx_ne_u64_e32 0x7f800000, v[4:5]
	s_xor_b32 s74, exec_lo, s13
	s_cbranch_execz .LBB6_3048
; %bb.3035:                             ;   in Loop: Header=BB6_136 Depth=3
	v_and_b32_e32 v4, 0x7fffffff, v2
	v_mov_b32_e32 v5, v113
                                        ; implicit-def: $vgpr125
	s_delay_alu instid0(VALU_DEP_1) | instskip(SKIP_2) | instid1(SALU_CYCLE_1)
	v_cmp_gt_u64_e32 vcc_lo, 0x47600001, v[4:5]
	v_and_b32_e32 v4, 0x80, v3
	s_and_saveexec_b32 s13, vcc_lo
	s_xor_b32 s75, exec_lo, s13
	s_cbranch_execz .LBB6_3045
; %bb.3036:                             ;   in Loop: Header=BB6_136 Depth=3
	v_mov_b32_e32 v125, 0
	s_mov_b32 s76, exec_lo
	v_cmpx_ne_u32_e32 0, v2
	s_cbranch_execz .LBB6_3044
; %bb.3037:                             ;   in Loop: Header=BB6_136 Depth=3
	v_bfe_u32 v5, v2, 23, 8
	v_or_b32_e32 v3, 0x800000, v0
	s_delay_alu instid0(VALU_DEP_2) | instskip(SKIP_2) | instid1(VALU_DEP_2)
	v_cmp_gt_u32_e64 s13, 0x72, v5
	v_sub_nc_u32_e32 v2, 0x71, v5
	v_cmp_eq_u32_e32 vcc_lo, 0, v5
	v_dual_cndmask_b32 v2, 0, v2, s13 :: v_dual_cndmask_b32 v0, v3, v0, vcc_lo
	s_delay_alu instid0(VALU_DEP_1) | instskip(NEXT) | instid1(VALU_DEP_1)
	v_cndmask_b32_e64 v7, v2, 0x70, vcc_lo
	v_dual_add_nc_u32 v2, 21, v7 :: v_dual_add_nc_u32 v24, 20, v7
	s_delay_alu instid0(VALU_DEP_1) | instskip(NEXT) | instid1(VALU_DEP_2)
	v_lshlrev_b64_e64 v[2:3], v2, -1
	v_lshlrev_b64_e64 v[24:25], v24, 1
	s_delay_alu instid0(VALU_DEP_2) | instskip(SKIP_1) | instid1(VALU_DEP_4)
	v_bfi_b32 v2, v2, 0, v0
	v_lshrrev_b64 v[0:1], v7, v[0:1]
	v_bfi_b32 v3, v3, 0, 0
	s_delay_alu instid0(VALU_DEP_1) | instskip(NEXT) | instid1(VALU_DEP_3)
	v_cmp_eq_u64_e64 s13, v[2:3], v[24:25]
	v_mov_b64_e32 v[2:3], v[0:1]
	s_and_saveexec_b32 s77, s13
; %bb.3038:                             ;   in Loop: Header=BB6_136 Depth=3
	v_bfe_u32 v2, v0, 21, 1
	v_mov_b32_e32 v3, v113
	s_delay_alu instid0(VALU_DEP_1) | instskip(NEXT) | instid1(VALU_DEP_1)
	v_add_nc_u64_e32 v[2:3], v[0:1], v[2:3]
	v_add_nc_u64_e32 v[2:3], -1, v[2:3]
; %bb.3039:                             ;   in Loop: Header=BB6_136 Depth=3
	s_or_b32 exec_lo, exec_lo, s77
	v_add_nc_u32_e32 v1, 0xffffff81, v5
	v_lshrrev_b32_e32 v3, 23, v0
	s_mov_b32 s13, exec_lo
	s_delay_alu instid0(VALU_DEP_2) | instskip(NEXT) | instid1(VALU_DEP_1)
	v_cndmask_b32_e64 v1, v1, 0xffffff82, vcc_lo
	v_add3_u32 v5, v7, v1, v3
	v_and_b32_e32 v1, 0x1fffff, v2
                                        ; implicit-def: $vgpr2
	s_delay_alu instid0(VALU_DEP_1) | instskip(SKIP_1) | instid1(VALU_DEP_2)
	v_dual_add_nc_u32 v3, 14, v5 :: v_dual_add_nc_u32 v0, v1, v0
	v_mov_b32_e32 v1, v113
	v_cmpx_ne_u32_e32 0, v3
	s_xor_b32 s13, exec_lo, s13
; %bb.3040:                             ;   in Loop: Header=BB6_136 Depth=3
	s_delay_alu instid0(VALU_DEP_2) | instskip(SKIP_1) | instid1(VALU_DEP_1)
	v_cmp_lt_u64_e32 vcc_lo, 0xffffff, v[0:1]
	v_add_nc_u32_e32 v2, 15, v5
	v_cndmask_b32_e32 v2, v3, v2, vcc_lo
	v_cndmask_b32_e64 v3, 0, 1, vcc_lo
	s_delay_alu instid0(VALU_DEP_1)
	v_lshrrev_b64 v[0:1], v3, v[0:1]
; %bb.3041:                             ;   in Loop: Header=BB6_136 Depth=3
	s_and_not1_saveexec_b32 s13, s13
; %bb.3042:                             ;   in Loop: Header=BB6_136 Depth=3
	s_delay_alu instid0(VALU_DEP_1)
	v_bfe_u32 v2, v0, 23, 1
; %bb.3043:                             ;   in Loop: Header=BB6_136 Depth=3
	s_or_b32 exec_lo, exec_lo, s13
	s_delay_alu instid0(VALU_DEP_2) | instskip(NEXT) | instid1(VALU_DEP_2)
	v_lshrrev_b64 v[0:1], 21, v[0:1]
	v_cmp_gt_i32_e32 vcc_lo, 32, v2
	v_min_i32_e32 v3, 31, v2
	v_cmp_eq_u32_e64 s13, 0, v2
	s_delay_alu instid0(VALU_DEP_2) | instskip(SKIP_1) | instid1(VALU_DEP_2)
	v_dual_cndmask_b32 v1, 0, v1, vcc_lo :: v_dual_lshlrev_b32 v3, 2, v3
	v_cndmask_b32_e32 v0, 3, v0, vcc_lo
	v_and_b32_e32 v3, 0xfc, v3
	s_delay_alu instid0(VALU_DEP_2) | instskip(NEXT) | instid1(VALU_DEP_2)
	v_cmp_eq_u64_e32 vcc_lo, 0, v[0:1]
	v_and_or_b32 v0, v0, 3, v3
	s_and_b32 s13, s13, vcc_lo
	s_delay_alu instid0(VALU_DEP_1) | instid1(SALU_CYCLE_1)
	v_cndmask_b32_e64 v0, v0, 0, s13
	s_delay_alu instid0(VALU_DEP_1)
	v_or_b32_e32 v125, v0, v4
.LBB6_3044:                             ;   in Loop: Header=BB6_136 Depth=3
	s_or_b32 exec_lo, exec_lo, s76
                                        ; implicit-def: $vgpr4
.LBB6_3045:                             ;   in Loop: Header=BB6_136 Depth=3
	s_and_not1_saveexec_b32 s13, s75
; %bb.3046:                             ;   in Loop: Header=BB6_136 Depth=3
	v_or_b32_e32 v125, 0x7b, v4
; %bb.3047:                             ;   in Loop: Header=BB6_136 Depth=3
	s_or_b32 exec_lo, exec_lo, s13
                                        ; implicit-def: $vgpr2
                                        ; implicit-def: $vgpr0_vgpr1
                                        ; implicit-def: $vgpr3
.LBB6_3048:                             ;   in Loop: Header=BB6_136 Depth=3
	s_and_not1_saveexec_b32 s13, s74
	s_cbranch_execz .LBB6_3054
; %bb.3049:                             ;   in Loop: Header=BB6_136 Depth=3
	s_mov_b32 s74, exec_lo
                                        ; implicit-def: $vgpr125
	v_cmpx_ne_u64_e32 0, v[0:1]
	s_xor_b32 s74, exec_lo, s74
; %bb.3050:                             ;   in Loop: Header=BB6_136 Depth=3
	v_or_b32_e32 v125, 0x7f, v3
                                        ; implicit-def: $vgpr2
; %bb.3051:                             ;   in Loop: Header=BB6_136 Depth=3
	s_and_not1_saveexec_b32 s74, s74
; %bb.3052:                             ;   in Loop: Header=BB6_136 Depth=3
	v_cmp_lt_i32_e32 vcc_lo, -1, v2
	v_mov_b32_e32 v0, 0x7c
	s_delay_alu instid0(VALU_DEP_1)
	v_cndmask_b32_e32 v125, 0xfc, v0, vcc_lo
; %bb.3053:                             ;   in Loop: Header=BB6_136 Depth=3
	s_or_b32 exec_lo, exec_lo, s74
.LBB6_3054:                             ;   in Loop: Header=BB6_136 Depth=3
	s_delay_alu instid0(SALU_CYCLE_1) | instskip(SKIP_3) | instid1(VALU_DEP_2)
	s_or_b32 exec_lo, exec_lo, s13
	v_lshrrev_b16 v0, 8, v8
	v_mov_b32_e32 v1, 0
	s_mov_b32 s74, exec_lo
	v_cmpx_ne_u16_e32 0, v0
	s_cbranch_execz .LBB6_3064
; %bb.3055:                             ;   in Loop: Header=BB6_136 Depth=3
	v_bfrev_b32_e32 v1, 1
	s_mov_b32 s75, exec_lo
	v_cmpx_ne_u16_e32 0x80, v0
	s_cbranch_execz .LBB6_3063
; %bb.3056:                             ;   in Loop: Header=BB6_136 Depth=3
	v_and_b32_e32 v3, 0xffff, v0
	s_delay_alu instid0(VALU_DEP_1) | instskip(SKIP_1) | instid1(VALU_DEP_2)
	v_and_b32_e32 v1, 0x7c, v3
	v_and_b32_e32 v2, 3, v3
	v_cmp_ne_u32_e32 vcc_lo, 0x7c, v1
                                        ; implicit-def: $vgpr1
	s_and_saveexec_b32 s13, vcc_lo
	s_delay_alu instid0(SALU_CYCLE_1)
	s_xor_b32 s13, exec_lo, s13
	s_cbranch_execz .LBB6_3060
; %bb.3057:                             ;   in Loop: Header=BB6_136 Depth=3
	v_bfe_u32 v1, v3, 2, 5
	s_mov_b32 s76, exec_lo
	s_delay_alu instid0(VALU_DEP_1)
	v_cmpx_eq_u32_e32 0, v1
; %bb.3058:                             ;   in Loop: Header=BB6_136 Depth=3
	v_clz_i32_u32_e32 v1, v2
	s_delay_alu instid0(VALU_DEP_1) | instskip(SKIP_1) | instid1(VALU_DEP_2)
	v_min_u32_e32 v2, 32, v1
	v_mov_b32_e32 v1, v113
	v_subrev_nc_u32_e32 v3, 29, v2
	s_delay_alu instid0(VALU_DEP_1) | instskip(NEXT) | instid1(VALU_DEP_1)
	v_lshlrev_b64_e32 v[0:1], v3, v[0:1]
	v_dual_sub_nc_u32 v1, 30, v2 :: v_dual_bitop2_b32 v2, 3, v0 bitop3:0x40
; %bb.3059:                             ;   in Loop: Header=BB6_136 Depth=3
	s_or_b32 exec_lo, exec_lo, s76
	v_lshlrev_b32_e32 v0, 16, v8
	s_delay_alu instid0(VALU_DEP_1) | instskip(NEXT) | instid1(VALU_DEP_1)
	v_and_b32_e32 v0, 0x80000000, v0
	v_lshl_add_u32 v0, v1, 23, v0
	s_delay_alu instid0(VALU_DEP_1) | instskip(NEXT) | instid1(VALU_DEP_1)
	v_lshl_or_b32 v0, v2, 21, v0
                                        ; implicit-def: $vgpr2
	v_add_nc_u32_e32 v1, 0x38000000, v0
.LBB6_3060:                             ;   in Loop: Header=BB6_136 Depth=3
	s_and_not1_saveexec_b32 s76, s13
; %bb.3061:                             ;   in Loop: Header=BB6_136 Depth=3
	v_cmp_lt_i16_e64 s13, -1, v8
	v_mov_b32_e32 v0, 0x7f800000
	v_cmp_eq_u32_e32 vcc_lo, 0, v2
	s_delay_alu instid0(VALU_DEP_2) | instskip(NEXT) | instid1(VALU_DEP_1)
	v_cndmask_b32_e64 v0, 0xff800000, v0, s13
	v_cndmask_b32_e32 v1, 0x7f800001, v0, vcc_lo
; %bb.3062:                             ;   in Loop: Header=BB6_136 Depth=3
	s_or_b32 exec_lo, exec_lo, s76
.LBB6_3063:                             ;   in Loop: Header=BB6_136 Depth=3
	s_delay_alu instid0(SALU_CYCLE_1)
	s_or_b32 exec_lo, exec_lo, s75
.LBB6_3064:                             ;   in Loop: Header=BB6_136 Depth=3
	s_delay_alu instid0(SALU_CYCLE_1) | instskip(NEXT) | instid1(VALU_DEP_1)
	s_or_b32 exec_lo, exec_lo, s74
	v_dual_mul_f32 v2, s73, v1 :: v_dual_mov_b32 v5, v113
	v_mov_b32_e32 v1, v113
                                        ; implicit-def: $vgpr126
	s_mov_b32 s13, exec_lo
	s_delay_alu instid0(VALU_DEP_2) | instskip(SKIP_2) | instid1(VALU_DEP_3)
	v_and_b32_e32 v4, 0x7f800000, v2
	v_and_b32_e32 v0, 0x7fffff, v2
	v_lshrrev_b32_e32 v3, 24, v2
	v_cmpx_ne_u64_e32 0x7f800000, v[4:5]
	s_xor_b32 s74, exec_lo, s13
	s_cbranch_execz .LBB6_3078
; %bb.3065:                             ;   in Loop: Header=BB6_136 Depth=3
	v_and_b32_e32 v4, 0x7fffffff, v2
	v_mov_b32_e32 v5, v113
                                        ; implicit-def: $vgpr126
	s_delay_alu instid0(VALU_DEP_1) | instskip(SKIP_2) | instid1(SALU_CYCLE_1)
	v_cmp_gt_u64_e32 vcc_lo, 0x47600001, v[4:5]
	v_and_b32_e32 v4, 0x80, v3
	s_and_saveexec_b32 s13, vcc_lo
	s_xor_b32 s75, exec_lo, s13
	s_cbranch_execz .LBB6_3075
; %bb.3066:                             ;   in Loop: Header=BB6_136 Depth=3
	v_mov_b32_e32 v126, 0
	s_mov_b32 s76, exec_lo
	v_cmpx_ne_u32_e32 0, v2
	s_cbranch_execz .LBB6_3074
; %bb.3067:                             ;   in Loop: Header=BB6_136 Depth=3
	v_bfe_u32 v5, v2, 23, 8
	v_or_b32_e32 v3, 0x800000, v0
	s_delay_alu instid0(VALU_DEP_2) | instskip(SKIP_2) | instid1(VALU_DEP_2)
	v_cmp_gt_u32_e64 s13, 0x72, v5
	v_sub_nc_u32_e32 v2, 0x71, v5
	v_cmp_eq_u32_e32 vcc_lo, 0, v5
	v_dual_cndmask_b32 v2, 0, v2, s13 :: v_dual_cndmask_b32 v0, v3, v0, vcc_lo
	s_delay_alu instid0(VALU_DEP_1) | instskip(NEXT) | instid1(VALU_DEP_1)
	v_cndmask_b32_e64 v7, v2, 0x70, vcc_lo
	v_dual_add_nc_u32 v2, 21, v7 :: v_dual_add_nc_u32 v24, 20, v7
	s_delay_alu instid0(VALU_DEP_1) | instskip(NEXT) | instid1(VALU_DEP_2)
	v_lshlrev_b64_e64 v[2:3], v2, -1
	v_lshlrev_b64_e64 v[24:25], v24, 1
	s_delay_alu instid0(VALU_DEP_2) | instskip(SKIP_1) | instid1(VALU_DEP_4)
	v_bfi_b32 v2, v2, 0, v0
	v_lshrrev_b64 v[0:1], v7, v[0:1]
	v_bfi_b32 v3, v3, 0, 0
	s_delay_alu instid0(VALU_DEP_1) | instskip(NEXT) | instid1(VALU_DEP_3)
	v_cmp_eq_u64_e64 s13, v[2:3], v[24:25]
	v_mov_b64_e32 v[2:3], v[0:1]
	s_and_saveexec_b32 s77, s13
; %bb.3068:                             ;   in Loop: Header=BB6_136 Depth=3
	v_bfe_u32 v2, v0, 21, 1
	v_mov_b32_e32 v3, v113
	s_delay_alu instid0(VALU_DEP_1) | instskip(NEXT) | instid1(VALU_DEP_1)
	v_add_nc_u64_e32 v[2:3], v[0:1], v[2:3]
	v_add_nc_u64_e32 v[2:3], -1, v[2:3]
; %bb.3069:                             ;   in Loop: Header=BB6_136 Depth=3
	s_or_b32 exec_lo, exec_lo, s77
	v_add_nc_u32_e32 v1, 0xffffff81, v5
	v_lshrrev_b32_e32 v3, 23, v0
	s_mov_b32 s13, exec_lo
	s_delay_alu instid0(VALU_DEP_2) | instskip(NEXT) | instid1(VALU_DEP_1)
	v_cndmask_b32_e64 v1, v1, 0xffffff82, vcc_lo
	v_add3_u32 v5, v7, v1, v3
	v_and_b32_e32 v1, 0x1fffff, v2
                                        ; implicit-def: $vgpr2
	s_delay_alu instid0(VALU_DEP_1) | instskip(SKIP_1) | instid1(VALU_DEP_2)
	v_dual_add_nc_u32 v3, 14, v5 :: v_dual_add_nc_u32 v0, v1, v0
	v_mov_b32_e32 v1, v113
	v_cmpx_ne_u32_e32 0, v3
	s_xor_b32 s13, exec_lo, s13
; %bb.3070:                             ;   in Loop: Header=BB6_136 Depth=3
	s_delay_alu instid0(VALU_DEP_2) | instskip(SKIP_1) | instid1(VALU_DEP_1)
	v_cmp_lt_u64_e32 vcc_lo, 0xffffff, v[0:1]
	v_add_nc_u32_e32 v2, 15, v5
	v_cndmask_b32_e32 v2, v3, v2, vcc_lo
	v_cndmask_b32_e64 v3, 0, 1, vcc_lo
	s_delay_alu instid0(VALU_DEP_1)
	v_lshrrev_b64 v[0:1], v3, v[0:1]
; %bb.3071:                             ;   in Loop: Header=BB6_136 Depth=3
	s_and_not1_saveexec_b32 s13, s13
; %bb.3072:                             ;   in Loop: Header=BB6_136 Depth=3
	s_delay_alu instid0(VALU_DEP_1)
	v_bfe_u32 v2, v0, 23, 1
; %bb.3073:                             ;   in Loop: Header=BB6_136 Depth=3
	s_or_b32 exec_lo, exec_lo, s13
	s_delay_alu instid0(VALU_DEP_2) | instskip(NEXT) | instid1(VALU_DEP_2)
	v_lshrrev_b64 v[0:1], 21, v[0:1]
	v_cmp_gt_i32_e32 vcc_lo, 32, v2
	v_min_i32_e32 v3, 31, v2
	v_cmp_eq_u32_e64 s13, 0, v2
	s_delay_alu instid0(VALU_DEP_2) | instskip(SKIP_1) | instid1(VALU_DEP_2)
	v_dual_cndmask_b32 v1, 0, v1, vcc_lo :: v_dual_lshlrev_b32 v3, 2, v3
	v_cndmask_b32_e32 v0, 3, v0, vcc_lo
	v_and_b32_e32 v3, 0xfc, v3
	s_delay_alu instid0(VALU_DEP_2) | instskip(NEXT) | instid1(VALU_DEP_2)
	v_cmp_eq_u64_e32 vcc_lo, 0, v[0:1]
	v_and_or_b32 v0, v0, 3, v3
	s_and_b32 s13, s13, vcc_lo
	s_delay_alu instid0(VALU_DEP_1) | instid1(SALU_CYCLE_1)
	v_cndmask_b32_e64 v0, v0, 0, s13
	s_delay_alu instid0(VALU_DEP_1)
	v_or_b32_e32 v126, v0, v4
.LBB6_3074:                             ;   in Loop: Header=BB6_136 Depth=3
	s_or_b32 exec_lo, exec_lo, s76
                                        ; implicit-def: $vgpr4
.LBB6_3075:                             ;   in Loop: Header=BB6_136 Depth=3
	s_and_not1_saveexec_b32 s13, s75
; %bb.3076:                             ;   in Loop: Header=BB6_136 Depth=3
	v_or_b32_e32 v126, 0x7b, v4
; %bb.3077:                             ;   in Loop: Header=BB6_136 Depth=3
	s_or_b32 exec_lo, exec_lo, s13
                                        ; implicit-def: $vgpr2
                                        ; implicit-def: $vgpr0_vgpr1
                                        ; implicit-def: $vgpr3
.LBB6_3078:                             ;   in Loop: Header=BB6_136 Depth=3
	s_and_not1_saveexec_b32 s13, s74
	s_cbranch_execz .LBB6_3084
; %bb.3079:                             ;   in Loop: Header=BB6_136 Depth=3
	s_mov_b32 s74, exec_lo
                                        ; implicit-def: $vgpr126
	v_cmpx_ne_u64_e32 0, v[0:1]
	s_xor_b32 s74, exec_lo, s74
; %bb.3080:                             ;   in Loop: Header=BB6_136 Depth=3
	v_or_b32_e32 v126, 0x7f, v3
                                        ; implicit-def: $vgpr2
; %bb.3081:                             ;   in Loop: Header=BB6_136 Depth=3
	s_and_not1_saveexec_b32 s74, s74
; %bb.3082:                             ;   in Loop: Header=BB6_136 Depth=3
	v_cmp_lt_i32_e32 vcc_lo, -1, v2
	v_mov_b32_e32 v0, 0x7c
	s_delay_alu instid0(VALU_DEP_1)
	v_cndmask_b32_e32 v126, 0xfc, v0, vcc_lo
; %bb.3083:                             ;   in Loop: Header=BB6_136 Depth=3
	s_or_b32 exec_lo, exec_lo, s74
.LBB6_3084:                             ;   in Loop: Header=BB6_136 Depth=3
	s_delay_alu instid0(SALU_CYCLE_1) | instskip(SKIP_2) | instid1(VALU_DEP_1)
	s_or_b32 exec_lo, exec_lo, s13
	v_dual_mov_b32 v1, 0 :: v_dual_lshrrev_b32 v0, 16, v8
	s_mov_b32 s74, exec_lo
	v_and_b32_e32 v2, 0xff, v0
	s_delay_alu instid0(VALU_DEP_1)
	v_cmpx_ne_u16_e32 0, v2
	s_cbranch_execz .LBB6_3094
; %bb.3085:                             ;   in Loop: Header=BB6_136 Depth=3
	v_bfrev_b32_e32 v1, 1
	s_mov_b32 s75, exec_lo
	v_cmpx_ne_u16_e32 0x80, v2
	s_cbranch_execz .LBB6_3093
; %bb.3086:                             ;   in Loop: Header=BB6_136 Depth=3
	v_and_b32_e32 v1, 0x7c0000, v8
	v_bfe_u32 v2, v8, 16, 2
	s_delay_alu instid0(VALU_DEP_2) | instskip(SKIP_1) | instid1(SALU_CYCLE_1)
	v_cmp_ne_u32_e32 vcc_lo, 0x7c0000, v1
                                        ; implicit-def: $vgpr1
	s_and_saveexec_b32 s13, vcc_lo
	s_xor_b32 s13, exec_lo, s13
	s_cbranch_execz .LBB6_3090
; %bb.3087:                             ;   in Loop: Header=BB6_136 Depth=3
	v_bfe_u32 v1, v8, 18, 5
	s_mov_b32 s76, exec_lo
	s_delay_alu instid0(VALU_DEP_1)
	v_cmpx_eq_u32_e32 0, v1
; %bb.3088:                             ;   in Loop: Header=BB6_136 Depth=3
	v_clz_i32_u32_e32 v1, v2
	s_delay_alu instid0(VALU_DEP_1) | instskip(NEXT) | instid1(VALU_DEP_1)
	v_min_u32_e32 v1, 32, v1
	v_subrev_nc_u32_e32 v2, 29, v1
	s_delay_alu instid0(VALU_DEP_1) | instskip(NEXT) | instid1(VALU_DEP_1)
	v_lshlrev_b64_e32 v[2:3], v2, v[0:1]
	v_dual_sub_nc_u32 v1, 30, v1 :: v_dual_bitop2_b32 v2, 3, v2 bitop3:0x40
; %bb.3089:                             ;   in Loop: Header=BB6_136 Depth=3
	s_or_b32 exec_lo, exec_lo, s76
	v_lshlrev_b32_e32 v0, 24, v0
	s_delay_alu instid0(VALU_DEP_1) | instskip(NEXT) | instid1(VALU_DEP_1)
	v_and_b32_e32 v0, 0x80000000, v0
	v_lshl_add_u32 v0, v1, 23, v0
	s_delay_alu instid0(VALU_DEP_1) | instskip(NEXT) | instid1(VALU_DEP_1)
	v_lshl_or_b32 v0, v2, 21, v0
                                        ; implicit-def: $vgpr2
	v_add_nc_u32_e32 v1, 0x38000000, v0
                                        ; implicit-def: $vgpr0
.LBB6_3090:                             ;   in Loop: Header=BB6_136 Depth=3
	s_and_not1_saveexec_b32 s76, s13
; %bb.3091:                             ;   in Loop: Header=BB6_136 Depth=3
	v_bfe_i32 v0, v0, 0, 8
	v_cmp_eq_u32_e32 vcc_lo, 0, v2
	s_delay_alu instid0(VALU_DEP_2) | instskip(SKIP_1) | instid1(VALU_DEP_1)
	v_cmp_lt_i16_e64 s13, -1, v0
	v_mov_b32_e32 v0, 0x7f800000
	v_cndmask_b32_e64 v0, 0xff800000, v0, s13
	s_delay_alu instid0(VALU_DEP_1)
	v_cndmask_b32_e32 v1, 0x7f800001, v0, vcc_lo
; %bb.3092:                             ;   in Loop: Header=BB6_136 Depth=3
	s_or_b32 exec_lo, exec_lo, s76
.LBB6_3093:                             ;   in Loop: Header=BB6_136 Depth=3
	s_delay_alu instid0(SALU_CYCLE_1)
	s_or_b32 exec_lo, exec_lo, s75
.LBB6_3094:                             ;   in Loop: Header=BB6_136 Depth=3
	s_delay_alu instid0(SALU_CYCLE_1) | instskip(NEXT) | instid1(VALU_DEP_1)
	s_or_b32 exec_lo, exec_lo, s74
	v_dual_mul_f32 v2, s73, v1 :: v_dual_mov_b32 v5, v113
	v_mov_b32_e32 v1, v113
                                        ; implicit-def: $vgpr7
	s_mov_b32 s13, exec_lo
	s_delay_alu instid0(VALU_DEP_2) | instskip(SKIP_2) | instid1(VALU_DEP_3)
	v_and_b32_e32 v4, 0x7f800000, v2
	v_and_b32_e32 v0, 0x7fffff, v2
	v_lshrrev_b32_e32 v3, 24, v2
	v_cmpx_ne_u64_e32 0x7f800000, v[4:5]
	s_xor_b32 s74, exec_lo, s13
	s_cbranch_execz .LBB6_3108
; %bb.3095:                             ;   in Loop: Header=BB6_136 Depth=3
	v_and_b32_e32 v4, 0x7fffffff, v2
	v_mov_b32_e32 v5, v113
                                        ; implicit-def: $vgpr7
	s_delay_alu instid0(VALU_DEP_1) | instskip(SKIP_2) | instid1(SALU_CYCLE_1)
	v_cmp_gt_u64_e32 vcc_lo, 0x47600001, v[4:5]
	v_and_b32_e32 v4, 0x80, v3
	s_and_saveexec_b32 s13, vcc_lo
	s_xor_b32 s75, exec_lo, s13
	s_cbranch_execz .LBB6_3105
; %bb.3096:                             ;   in Loop: Header=BB6_136 Depth=3
	v_mov_b32_e32 v7, 0
	s_mov_b32 s76, exec_lo
	v_cmpx_ne_u32_e32 0, v2
	s_cbranch_execz .LBB6_3104
; %bb.3097:                             ;   in Loop: Header=BB6_136 Depth=3
	v_bfe_u32 v5, v2, 23, 8
	v_or_b32_e32 v3, 0x800000, v0
	s_delay_alu instid0(VALU_DEP_2) | instskip(SKIP_2) | instid1(VALU_DEP_2)
	v_cmp_gt_u32_e64 s13, 0x72, v5
	v_sub_nc_u32_e32 v2, 0x71, v5
	v_cmp_eq_u32_e32 vcc_lo, 0, v5
	v_dual_cndmask_b32 v2, 0, v2, s13 :: v_dual_cndmask_b32 v0, v3, v0, vcc_lo
	s_delay_alu instid0(VALU_DEP_1) | instskip(NEXT) | instid1(VALU_DEP_1)
	v_cndmask_b32_e64 v7, v2, 0x70, vcc_lo
	v_dual_add_nc_u32 v2, 21, v7 :: v_dual_add_nc_u32 v24, 20, v7
	s_delay_alu instid0(VALU_DEP_1) | instskip(NEXT) | instid1(VALU_DEP_2)
	v_lshlrev_b64_e64 v[2:3], v2, -1
	v_lshlrev_b64_e64 v[24:25], v24, 1
	s_delay_alu instid0(VALU_DEP_2) | instskip(SKIP_1) | instid1(VALU_DEP_4)
	v_bfi_b32 v2, v2, 0, v0
	v_lshrrev_b64 v[0:1], v7, v[0:1]
	v_bfi_b32 v3, v3, 0, 0
	s_delay_alu instid0(VALU_DEP_1) | instskip(NEXT) | instid1(VALU_DEP_3)
	v_cmp_eq_u64_e64 s13, v[2:3], v[24:25]
	v_mov_b64_e32 v[2:3], v[0:1]
	s_and_saveexec_b32 s77, s13
; %bb.3098:                             ;   in Loop: Header=BB6_136 Depth=3
	v_bfe_u32 v2, v0, 21, 1
	v_mov_b32_e32 v3, v113
	s_delay_alu instid0(VALU_DEP_1) | instskip(NEXT) | instid1(VALU_DEP_1)
	v_add_nc_u64_e32 v[2:3], v[0:1], v[2:3]
	v_add_nc_u64_e32 v[2:3], -1, v[2:3]
; %bb.3099:                             ;   in Loop: Header=BB6_136 Depth=3
	s_or_b32 exec_lo, exec_lo, s77
	v_add_nc_u32_e32 v1, 0xffffff81, v5
	v_lshrrev_b32_e32 v3, 23, v0
	s_mov_b32 s13, exec_lo
	s_delay_alu instid0(VALU_DEP_2) | instskip(NEXT) | instid1(VALU_DEP_1)
	v_cndmask_b32_e64 v1, v1, 0xffffff82, vcc_lo
	v_add3_u32 v5, v7, v1, v3
	v_and_b32_e32 v1, 0x1fffff, v2
                                        ; implicit-def: $vgpr2
	s_delay_alu instid0(VALU_DEP_1) | instskip(SKIP_1) | instid1(VALU_DEP_2)
	v_dual_add_nc_u32 v3, 14, v5 :: v_dual_add_nc_u32 v0, v1, v0
	v_mov_b32_e32 v1, v113
	v_cmpx_ne_u32_e32 0, v3
	s_xor_b32 s13, exec_lo, s13
; %bb.3100:                             ;   in Loop: Header=BB6_136 Depth=3
	s_delay_alu instid0(VALU_DEP_2) | instskip(SKIP_1) | instid1(VALU_DEP_1)
	v_cmp_lt_u64_e32 vcc_lo, 0xffffff, v[0:1]
	v_add_nc_u32_e32 v2, 15, v5
	v_cndmask_b32_e32 v2, v3, v2, vcc_lo
	v_cndmask_b32_e64 v3, 0, 1, vcc_lo
	s_delay_alu instid0(VALU_DEP_1)
	v_lshrrev_b64 v[0:1], v3, v[0:1]
; %bb.3101:                             ;   in Loop: Header=BB6_136 Depth=3
	s_and_not1_saveexec_b32 s13, s13
; %bb.3102:                             ;   in Loop: Header=BB6_136 Depth=3
	s_delay_alu instid0(VALU_DEP_1)
	v_bfe_u32 v2, v0, 23, 1
; %bb.3103:                             ;   in Loop: Header=BB6_136 Depth=3
	s_or_b32 exec_lo, exec_lo, s13
	s_delay_alu instid0(VALU_DEP_2) | instskip(NEXT) | instid1(VALU_DEP_2)
	v_lshrrev_b64 v[0:1], 21, v[0:1]
	v_cmp_gt_i32_e32 vcc_lo, 32, v2
	v_min_i32_e32 v3, 31, v2
	v_cmp_eq_u32_e64 s13, 0, v2
	s_delay_alu instid0(VALU_DEP_2) | instskip(SKIP_1) | instid1(VALU_DEP_2)
	v_dual_cndmask_b32 v1, 0, v1, vcc_lo :: v_dual_lshlrev_b32 v3, 2, v3
	v_cndmask_b32_e32 v0, 3, v0, vcc_lo
	v_and_b32_e32 v3, 0xfc, v3
	s_delay_alu instid0(VALU_DEP_2) | instskip(NEXT) | instid1(VALU_DEP_2)
	v_cmp_eq_u64_e32 vcc_lo, 0, v[0:1]
	v_and_or_b32 v0, v0, 3, v3
	s_and_b32 s13, s13, vcc_lo
	s_delay_alu instid0(VALU_DEP_1) | instid1(SALU_CYCLE_1)
	v_cndmask_b32_e64 v0, v0, 0, s13
	s_delay_alu instid0(VALU_DEP_1)
	v_or_b32_e32 v7, v0, v4
.LBB6_3104:                             ;   in Loop: Header=BB6_136 Depth=3
	s_or_b32 exec_lo, exec_lo, s76
                                        ; implicit-def: $vgpr4
.LBB6_3105:                             ;   in Loop: Header=BB6_136 Depth=3
	s_and_not1_saveexec_b32 s13, s75
; %bb.3106:                             ;   in Loop: Header=BB6_136 Depth=3
	v_or_b32_e32 v7, 0x7b, v4
; %bb.3107:                             ;   in Loop: Header=BB6_136 Depth=3
	s_or_b32 exec_lo, exec_lo, s13
                                        ; implicit-def: $vgpr2
                                        ; implicit-def: $vgpr0_vgpr1
                                        ; implicit-def: $vgpr3
.LBB6_3108:                             ;   in Loop: Header=BB6_136 Depth=3
	s_and_not1_saveexec_b32 s13, s74
	s_cbranch_execz .LBB6_3114
; %bb.3109:                             ;   in Loop: Header=BB6_136 Depth=3
	s_mov_b32 s74, exec_lo
                                        ; implicit-def: $vgpr7
	v_cmpx_ne_u64_e32 0, v[0:1]
	s_xor_b32 s74, exec_lo, s74
; %bb.3110:                             ;   in Loop: Header=BB6_136 Depth=3
	v_or_b32_e32 v7, 0x7f, v3
                                        ; implicit-def: $vgpr2
; %bb.3111:                             ;   in Loop: Header=BB6_136 Depth=3
	s_and_not1_saveexec_b32 s74, s74
; %bb.3112:                             ;   in Loop: Header=BB6_136 Depth=3
	v_cmp_lt_i32_e32 vcc_lo, -1, v2
	v_mov_b32_e32 v0, 0x7c
	s_delay_alu instid0(VALU_DEP_1)
	v_cndmask_b32_e32 v7, 0xfc, v0, vcc_lo
; %bb.3113:                             ;   in Loop: Header=BB6_136 Depth=3
	s_or_b32 exec_lo, exec_lo, s74
.LBB6_3114:                             ;   in Loop: Header=BB6_136 Depth=3
	s_delay_alu instid0(SALU_CYCLE_1)
	s_or_b32 exec_lo, exec_lo, s13
	v_mov_b32_e32 v1, 0
	s_mov_b32 s74, exec_lo
	v_cmpx_lt_u32_e32 0xffffff, v8
	s_cbranch_execz .LBB6_3124
; %bb.3115:                             ;   in Loop: Header=BB6_136 Depth=3
	v_lshrrev_b32_e32 v0, 24, v8
	v_bfrev_b32_e32 v1, 1
	s_mov_b32 s75, exec_lo
	s_delay_alu instid0(VALU_DEP_2)
	v_cmpx_ne_u32_e32 0x80, v0
	s_cbranch_execz .LBB6_3123
; %bb.3116:                             ;   in Loop: Header=BB6_136 Depth=3
	v_and_b32_e32 v1, 0x7c000000, v8
	v_bfe_u32 v2, v8, 24, 2
	s_delay_alu instid0(VALU_DEP_2) | instskip(SKIP_1) | instid1(SALU_CYCLE_1)
	v_cmp_ne_u32_e32 vcc_lo, 0x7c000000, v1
                                        ; implicit-def: $vgpr1
	s_and_saveexec_b32 s13, vcc_lo
	s_xor_b32 s13, exec_lo, s13
	s_cbranch_execz .LBB6_3120
; %bb.3117:                             ;   in Loop: Header=BB6_136 Depth=3
	v_bfe_u32 v1, v8, 26, 5
	s_mov_b32 s76, exec_lo
	s_delay_alu instid0(VALU_DEP_1)
	v_cmpx_eq_u32_e32 0, v1
; %bb.3118:                             ;   in Loop: Header=BB6_136 Depth=3
	v_clz_i32_u32_e32 v1, v2
	s_delay_alu instid0(VALU_DEP_1) | instskip(NEXT) | instid1(VALU_DEP_1)
	v_min_u32_e32 v2, 32, v1
	v_subrev_nc_u32_e32 v1, 29, v2
	s_delay_alu instid0(VALU_DEP_1) | instskip(NEXT) | instid1(VALU_DEP_1)
	v_lshlrev_b64_e32 v[0:1], v1, v[0:1]
	v_dual_sub_nc_u32 v1, 30, v2 :: v_dual_bitop2_b32 v2, 3, v0 bitop3:0x40
; %bb.3119:                             ;   in Loop: Header=BB6_136 Depth=3
	s_or_b32 exec_lo, exec_lo, s76
	v_and_b32_e32 v0, 0x80000000, v8
	s_delay_alu instid0(VALU_DEP_1) | instskip(NEXT) | instid1(VALU_DEP_1)
	v_lshl_add_u32 v0, v1, 23, v0
	v_lshl_or_b32 v0, v2, 21, v0
                                        ; implicit-def: $vgpr2
	s_delay_alu instid0(VALU_DEP_1)
	v_add_nc_u32_e32 v1, 0x38000000, v0
.LBB6_3120:                             ;   in Loop: Header=BB6_136 Depth=3
	s_and_not1_saveexec_b32 s76, s13
; %bb.3121:                             ;   in Loop: Header=BB6_136 Depth=3
	v_cmp_lt_i32_e64 s13, -1, v8
	v_mov_b32_e32 v0, 0x7f800000
	v_cmp_eq_u32_e32 vcc_lo, 0, v2
	s_delay_alu instid0(VALU_DEP_2) | instskip(NEXT) | instid1(VALU_DEP_1)
	v_cndmask_b32_e64 v0, 0xff800000, v0, s13
	v_cndmask_b32_e32 v1, 0x7f800001, v0, vcc_lo
; %bb.3122:                             ;   in Loop: Header=BB6_136 Depth=3
	s_or_b32 exec_lo, exec_lo, s76
.LBB6_3123:                             ;   in Loop: Header=BB6_136 Depth=3
	s_delay_alu instid0(SALU_CYCLE_1)
	s_or_b32 exec_lo, exec_lo, s75
.LBB6_3124:                             ;   in Loop: Header=BB6_136 Depth=3
	s_delay_alu instid0(SALU_CYCLE_1) | instskip(NEXT) | instid1(VALU_DEP_1)
	s_or_b32 exec_lo, exec_lo, s74
	v_dual_mul_f32 v2, s73, v1 :: v_dual_mov_b32 v5, v113
	v_mov_b32_e32 v1, v113
                                        ; implicit-def: $vgpr46
	s_mov_b32 s13, exec_lo
	s_delay_alu instid0(VALU_DEP_2) | instskip(SKIP_2) | instid1(VALU_DEP_3)
	v_and_b32_e32 v4, 0x7f800000, v2
	v_and_b32_e32 v0, 0x7fffff, v2
	v_lshrrev_b32_e32 v3, 24, v2
	v_cmpx_ne_u64_e32 0x7f800000, v[4:5]
	s_xor_b32 s74, exec_lo, s13
	s_cbranch_execz .LBB6_3138
; %bb.3125:                             ;   in Loop: Header=BB6_136 Depth=3
	v_and_b32_e32 v4, 0x7fffffff, v2
	v_mov_b32_e32 v5, v113
                                        ; implicit-def: $vgpr46
	s_delay_alu instid0(VALU_DEP_1) | instskip(SKIP_2) | instid1(SALU_CYCLE_1)
	v_cmp_gt_u64_e32 vcc_lo, 0x47600001, v[4:5]
	v_and_b32_e32 v4, 0x80, v3
	s_and_saveexec_b32 s13, vcc_lo
	s_xor_b32 s75, exec_lo, s13
	s_cbranch_execz .LBB6_3135
; %bb.3126:                             ;   in Loop: Header=BB6_136 Depth=3
	v_mov_b32_e32 v46, 0
	s_mov_b32 s76, exec_lo
	v_cmpx_ne_u32_e32 0, v2
	s_cbranch_execz .LBB6_3134
; %bb.3127:                             ;   in Loop: Header=BB6_136 Depth=3
	v_bfe_u32 v5, v2, 23, 8
	v_or_b32_e32 v3, 0x800000, v0
	s_delay_alu instid0(VALU_DEP_2) | instskip(SKIP_2) | instid1(VALU_DEP_2)
	v_cmp_gt_u32_e64 s13, 0x72, v5
	v_sub_nc_u32_e32 v2, 0x71, v5
	v_cmp_eq_u32_e32 vcc_lo, 0, v5
	v_dual_cndmask_b32 v2, 0, v2, s13 :: v_dual_cndmask_b32 v0, v3, v0, vcc_lo
	s_delay_alu instid0(VALU_DEP_1) | instskip(NEXT) | instid1(VALU_DEP_1)
	v_cndmask_b32_e64 v24, v2, 0x70, vcc_lo
	v_dual_add_nc_u32 v2, 21, v24 :: v_dual_add_nc_u32 v25, 20, v24
	s_delay_alu instid0(VALU_DEP_1) | instskip(NEXT) | instid1(VALU_DEP_2)
	v_lshlrev_b64_e64 v[2:3], v2, -1
	v_lshlrev_b64_e64 v[26:27], v25, 1
	s_delay_alu instid0(VALU_DEP_2) | instskip(SKIP_1) | instid1(VALU_DEP_4)
	v_bfi_b32 v2, v2, 0, v0
	v_lshrrev_b64 v[0:1], v24, v[0:1]
	v_bfi_b32 v3, v3, 0, 0
	s_delay_alu instid0(VALU_DEP_1) | instskip(NEXT) | instid1(VALU_DEP_3)
	v_cmp_eq_u64_e64 s13, v[2:3], v[26:27]
	v_mov_b64_e32 v[2:3], v[0:1]
	s_and_saveexec_b32 s77, s13
; %bb.3128:                             ;   in Loop: Header=BB6_136 Depth=3
	v_bfe_u32 v2, v0, 21, 1
	v_mov_b32_e32 v3, v113
	s_delay_alu instid0(VALU_DEP_1) | instskip(NEXT) | instid1(VALU_DEP_1)
	v_add_nc_u64_e32 v[2:3], v[0:1], v[2:3]
	v_add_nc_u64_e32 v[2:3], -1, v[2:3]
; %bb.3129:                             ;   in Loop: Header=BB6_136 Depth=3
	s_or_b32 exec_lo, exec_lo, s77
	v_add_nc_u32_e32 v1, 0xffffff81, v5
	v_lshrrev_b32_e32 v3, 23, v0
	s_mov_b32 s13, exec_lo
	s_delay_alu instid0(VALU_DEP_2) | instskip(NEXT) | instid1(VALU_DEP_1)
	v_cndmask_b32_e64 v1, v1, 0xffffff82, vcc_lo
	v_add3_u32 v5, v24, v1, v3
	v_and_b32_e32 v1, 0x1fffff, v2
                                        ; implicit-def: $vgpr2
	s_delay_alu instid0(VALU_DEP_1) | instskip(SKIP_1) | instid1(VALU_DEP_2)
	v_dual_add_nc_u32 v3, 14, v5 :: v_dual_add_nc_u32 v0, v1, v0
	v_mov_b32_e32 v1, v113
	v_cmpx_ne_u32_e32 0, v3
	s_xor_b32 s13, exec_lo, s13
; %bb.3130:                             ;   in Loop: Header=BB6_136 Depth=3
	s_delay_alu instid0(VALU_DEP_2) | instskip(SKIP_1) | instid1(VALU_DEP_1)
	v_cmp_lt_u64_e32 vcc_lo, 0xffffff, v[0:1]
	v_add_nc_u32_e32 v2, 15, v5
	v_cndmask_b32_e32 v2, v3, v2, vcc_lo
	v_cndmask_b32_e64 v3, 0, 1, vcc_lo
	s_delay_alu instid0(VALU_DEP_1)
	v_lshrrev_b64 v[0:1], v3, v[0:1]
; %bb.3131:                             ;   in Loop: Header=BB6_136 Depth=3
	s_and_not1_saveexec_b32 s13, s13
; %bb.3132:                             ;   in Loop: Header=BB6_136 Depth=3
	s_delay_alu instid0(VALU_DEP_1)
	v_bfe_u32 v2, v0, 23, 1
; %bb.3133:                             ;   in Loop: Header=BB6_136 Depth=3
	s_or_b32 exec_lo, exec_lo, s13
	s_delay_alu instid0(VALU_DEP_2) | instskip(NEXT) | instid1(VALU_DEP_2)
	v_lshrrev_b64 v[0:1], 21, v[0:1]
	v_cmp_gt_i32_e32 vcc_lo, 32, v2
	v_min_i32_e32 v3, 31, v2
	v_cmp_eq_u32_e64 s13, 0, v2
	s_delay_alu instid0(VALU_DEP_2) | instskip(SKIP_1) | instid1(VALU_DEP_2)
	v_dual_cndmask_b32 v1, 0, v1, vcc_lo :: v_dual_lshlrev_b32 v3, 2, v3
	v_cndmask_b32_e32 v0, 3, v0, vcc_lo
	v_and_b32_e32 v3, 0xfc, v3
	s_delay_alu instid0(VALU_DEP_2) | instskip(NEXT) | instid1(VALU_DEP_2)
	v_cmp_eq_u64_e32 vcc_lo, 0, v[0:1]
	v_and_or_b32 v0, v0, 3, v3
	s_and_b32 s13, s13, vcc_lo
	s_delay_alu instid0(VALU_DEP_1) | instid1(SALU_CYCLE_1)
	v_cndmask_b32_e64 v0, v0, 0, s13
	s_delay_alu instid0(VALU_DEP_1)
	v_or_b32_e32 v46, v0, v4
.LBB6_3134:                             ;   in Loop: Header=BB6_136 Depth=3
	s_or_b32 exec_lo, exec_lo, s76
                                        ; implicit-def: $vgpr4
.LBB6_3135:                             ;   in Loop: Header=BB6_136 Depth=3
	s_and_not1_saveexec_b32 s13, s75
; %bb.3136:                             ;   in Loop: Header=BB6_136 Depth=3
	v_or_b32_e32 v46, 0x7b, v4
; %bb.3137:                             ;   in Loop: Header=BB6_136 Depth=3
	s_or_b32 exec_lo, exec_lo, s13
                                        ; implicit-def: $vgpr2
                                        ; implicit-def: $vgpr0_vgpr1
                                        ; implicit-def: $vgpr3
.LBB6_3138:                             ;   in Loop: Header=BB6_136 Depth=3
	s_and_not1_saveexec_b32 s13, s74
	s_cbranch_execz .LBB6_3144
; %bb.3139:                             ;   in Loop: Header=BB6_136 Depth=3
	s_mov_b32 s74, exec_lo
                                        ; implicit-def: $vgpr46
	v_cmpx_ne_u64_e32 0, v[0:1]
	s_xor_b32 s74, exec_lo, s74
; %bb.3140:                             ;   in Loop: Header=BB6_136 Depth=3
	v_or_b32_e32 v46, 0x7f, v3
                                        ; implicit-def: $vgpr2
; %bb.3141:                             ;   in Loop: Header=BB6_136 Depth=3
	s_and_not1_saveexec_b32 s74, s74
; %bb.3142:                             ;   in Loop: Header=BB6_136 Depth=3
	v_cmp_lt_i32_e32 vcc_lo, -1, v2
	v_mov_b32_e32 v0, 0x7c
	s_delay_alu instid0(VALU_DEP_1)
	v_cndmask_b32_e32 v46, 0xfc, v0, vcc_lo
; %bb.3143:                             ;   in Loop: Header=BB6_136 Depth=3
	s_or_b32 exec_lo, exec_lo, s74
.LBB6_3144:                             ;   in Loop: Header=BB6_136 Depth=3
	s_delay_alu instid0(SALU_CYCLE_1) | instskip(SKIP_4) | instid1(VALU_DEP_3)
	s_or_b32 exec_lo, exec_lo, s13
	v_and_b32_e32 v3, 0xff, v9
	v_dual_mov_b32 v0, v9 :: v_dual_mov_b32 v1, v113
	v_mov_b32_e32 v2, 0
	s_mov_b32 s74, exec_lo
	v_cmpx_ne_u16_e32 0, v3
	s_cbranch_execz .LBB6_3154
; %bb.3145:                             ;   in Loop: Header=BB6_136 Depth=3
	v_bfrev_b32_e32 v2, 1
	s_mov_b32 s75, exec_lo
	v_cmpx_ne_u16_e32 0x80, v3
	s_cbranch_execz .LBB6_3153
; %bb.3146:                             ;   in Loop: Header=BB6_136 Depth=3
	v_and_b32_e32 v2, 0x7c, v9
	v_and_b32_e32 v3, 3, v9
	s_delay_alu instid0(VALU_DEP_2) | instskip(SKIP_1) | instid1(SALU_CYCLE_1)
	v_cmp_ne_u32_e32 vcc_lo, 0x7c, v2
                                        ; implicit-def: $vgpr2
	s_and_saveexec_b32 s13, vcc_lo
	s_xor_b32 s13, exec_lo, s13
	s_cbranch_execz .LBB6_3150
; %bb.3147:                             ;   in Loop: Header=BB6_136 Depth=3
	v_bfe_u32 v2, v9, 2, 5
	s_mov_b32 s76, exec_lo
	s_delay_alu instid0(VALU_DEP_1)
	v_cmpx_eq_u32_e32 0, v2
; %bb.3148:                             ;   in Loop: Header=BB6_136 Depth=3
	v_clz_i32_u32_e32 v2, v3
	s_delay_alu instid0(VALU_DEP_1) | instskip(NEXT) | instid1(VALU_DEP_1)
	v_min_u32_e32 v2, 32, v2
	v_subrev_nc_u32_e32 v3, 29, v2
	s_delay_alu instid0(VALU_DEP_1) | instskip(NEXT) | instid1(VALU_DEP_1)
	v_lshlrev_b64_e32 v[4:5], v3, v[0:1]
	v_dual_sub_nc_u32 v2, 30, v2 :: v_dual_bitop2_b32 v3, 3, v4 bitop3:0x40
; %bb.3149:                             ;   in Loop: Header=BB6_136 Depth=3
	s_or_b32 exec_lo, exec_lo, s76
	v_lshlrev_b32_e32 v1, 24, v9
	s_delay_alu instid0(VALU_DEP_1) | instskip(NEXT) | instid1(VALU_DEP_1)
	v_and_b32_e32 v1, 0x80000000, v1
	v_lshl_add_u32 v1, v2, 23, v1
	s_delay_alu instid0(VALU_DEP_1) | instskip(NEXT) | instid1(VALU_DEP_1)
	v_lshl_or_b32 v1, v3, 21, v1
                                        ; implicit-def: $vgpr3
	v_add_nc_u32_e32 v2, 0x38000000, v1
.LBB6_3150:                             ;   in Loop: Header=BB6_136 Depth=3
	s_and_not1_saveexec_b32 s76, s13
; %bb.3151:                             ;   in Loop: Header=BB6_136 Depth=3
	v_bfe_i32 v1, v9, 0, 8
	v_cmp_eq_u32_e32 vcc_lo, 0, v3
	s_delay_alu instid0(VALU_DEP_2) | instskip(SKIP_1) | instid1(VALU_DEP_1)
	v_cmp_lt_i16_e64 s13, -1, v1
	v_mov_b32_e32 v1, 0x7f800000
	v_cndmask_b32_e64 v1, 0xff800000, v1, s13
	s_delay_alu instid0(VALU_DEP_1)
	v_cndmask_b32_e32 v2, 0x7f800001, v1, vcc_lo
; %bb.3152:                             ;   in Loop: Header=BB6_136 Depth=3
	s_or_b32 exec_lo, exec_lo, s76
.LBB6_3153:                             ;   in Loop: Header=BB6_136 Depth=3
	s_delay_alu instid0(SALU_CYCLE_1)
	s_or_b32 exec_lo, exec_lo, s75
.LBB6_3154:                             ;   in Loop: Header=BB6_136 Depth=3
	s_delay_alu instid0(SALU_CYCLE_1) | instskip(NEXT) | instid1(VALU_DEP_1)
	s_or_b32 exec_lo, exec_lo, s74
	v_dual_mul_f32 v4, s73, v2 :: v_dual_mov_b32 v25, v113
	v_mov_b32_e32 v3, v113
                                        ; implicit-def: $vgpr47
	s_mov_b32 s13, exec_lo
	s_delay_alu instid0(VALU_DEP_2) | instskip(SKIP_2) | instid1(VALU_DEP_3)
	v_and_b32_e32 v24, 0x7f800000, v4
	v_and_b32_e32 v2, 0x7fffff, v4
	v_lshrrev_b32_e32 v1, 24, v4
	v_cmpx_ne_u64_e32 0x7f800000, v[24:25]
	s_xor_b32 s74, exec_lo, s13
	s_cbranch_execz .LBB6_3168
; %bb.3155:                             ;   in Loop: Header=BB6_136 Depth=3
	v_and_b32_e32 v24, 0x7fffffff, v4
	v_mov_b32_e32 v25, v113
	v_and_b32_e32 v1, 0x80, v1
                                        ; implicit-def: $vgpr47
	s_mov_b32 s13, exec_lo
	s_delay_alu instid0(VALU_DEP_2)
	v_cmpx_gt_u64_e32 0x47600001, v[24:25]
	s_xor_b32 s75, exec_lo, s13
	s_cbranch_execz .LBB6_3165
; %bb.3156:                             ;   in Loop: Header=BB6_136 Depth=3
	v_mov_b32_e32 v47, 0
	s_mov_b32 s76, exec_lo
	v_cmpx_ne_u32_e32 0, v4
	s_cbranch_execz .LBB6_3164
; %bb.3157:                             ;   in Loop: Header=BB6_136 Depth=3
	v_bfe_u32 v24, v4, 23, 8
	v_or_b32_e32 v5, 0x800000, v2
	s_delay_alu instid0(VALU_DEP_2) | instskip(SKIP_2) | instid1(VALU_DEP_2)
	v_cmp_gt_u32_e64 s13, 0x72, v24
	v_sub_nc_u32_e32 v4, 0x71, v24
	v_cmp_eq_u32_e32 vcc_lo, 0, v24
	v_dual_cndmask_b32 v4, 0, v4, s13 :: v_dual_cndmask_b32 v2, v5, v2, vcc_lo
	s_delay_alu instid0(VALU_DEP_1) | instskip(NEXT) | instid1(VALU_DEP_1)
	v_cndmask_b32_e64 v25, v4, 0x70, vcc_lo
	v_dual_add_nc_u32 v4, 21, v25 :: v_dual_add_nc_u32 v26, 20, v25
	s_delay_alu instid0(VALU_DEP_1) | instskip(NEXT) | instid1(VALU_DEP_2)
	v_lshlrev_b64_e64 v[4:5], v4, -1
	v_lshlrev_b64_e64 v[26:27], v26, 1
	s_delay_alu instid0(VALU_DEP_2) | instskip(SKIP_1) | instid1(VALU_DEP_4)
	v_bfi_b32 v4, v4, 0, v2
	v_lshrrev_b64 v[2:3], v25, v[2:3]
	v_bfi_b32 v5, v5, 0, 0
	s_delay_alu instid0(VALU_DEP_1) | instskip(NEXT) | instid1(VALU_DEP_3)
	v_cmp_eq_u64_e64 s13, v[4:5], v[26:27]
	v_mov_b64_e32 v[4:5], v[2:3]
	s_and_saveexec_b32 s77, s13
; %bb.3158:                             ;   in Loop: Header=BB6_136 Depth=3
	v_bfe_u32 v4, v2, 21, 1
	v_mov_b32_e32 v5, v113
	s_delay_alu instid0(VALU_DEP_1) | instskip(NEXT) | instid1(VALU_DEP_1)
	v_add_nc_u64_e32 v[4:5], v[2:3], v[4:5]
	v_add_nc_u64_e32 v[4:5], -1, v[4:5]
; %bb.3159:                             ;   in Loop: Header=BB6_136 Depth=3
	s_or_b32 exec_lo, exec_lo, s77
	v_add_nc_u32_e32 v3, 0xffffff81, v24
	v_lshrrev_b32_e32 v5, 23, v2
	s_mov_b32 s13, exec_lo
	s_delay_alu instid0(VALU_DEP_2) | instskip(NEXT) | instid1(VALU_DEP_1)
	v_cndmask_b32_e64 v3, v3, 0xffffff82, vcc_lo
	v_add3_u32 v24, v25, v3, v5
	v_and_b32_e32 v3, 0x1fffff, v4
                                        ; implicit-def: $vgpr4
	s_delay_alu instid0(VALU_DEP_1) | instskip(SKIP_1) | instid1(VALU_DEP_2)
	v_dual_add_nc_u32 v5, 14, v24 :: v_dual_add_nc_u32 v2, v3, v2
	v_mov_b32_e32 v3, v113
	v_cmpx_ne_u32_e32 0, v5
	s_xor_b32 s13, exec_lo, s13
; %bb.3160:                             ;   in Loop: Header=BB6_136 Depth=3
	s_delay_alu instid0(VALU_DEP_2) | instskip(SKIP_1) | instid1(VALU_DEP_1)
	v_cmp_lt_u64_e32 vcc_lo, 0xffffff, v[2:3]
	v_add_nc_u32_e32 v4, 15, v24
	v_cndmask_b32_e32 v4, v5, v4, vcc_lo
	v_cndmask_b32_e64 v5, 0, 1, vcc_lo
	s_delay_alu instid0(VALU_DEP_1)
	v_lshrrev_b64 v[2:3], v5, v[2:3]
; %bb.3161:                             ;   in Loop: Header=BB6_136 Depth=3
	s_and_not1_saveexec_b32 s13, s13
; %bb.3162:                             ;   in Loop: Header=BB6_136 Depth=3
	s_delay_alu instid0(VALU_DEP_1)
	v_bfe_u32 v4, v2, 23, 1
; %bb.3163:                             ;   in Loop: Header=BB6_136 Depth=3
	s_or_b32 exec_lo, exec_lo, s13
	s_delay_alu instid0(VALU_DEP_2) | instskip(NEXT) | instid1(VALU_DEP_2)
	v_lshrrev_b64 v[2:3], 21, v[2:3]
	v_cmp_gt_i32_e32 vcc_lo, 32, v4
	v_min_i32_e32 v5, 31, v4
	v_cmp_eq_u32_e64 s13, 0, v4
	s_delay_alu instid0(VALU_DEP_2) | instskip(SKIP_1) | instid1(VALU_DEP_2)
	v_dual_cndmask_b32 v3, 0, v3, vcc_lo :: v_dual_lshlrev_b32 v5, 2, v5
	v_cndmask_b32_e32 v2, 3, v2, vcc_lo
	v_and_b32_e32 v5, 0xfc, v5
	s_delay_alu instid0(VALU_DEP_2) | instskip(NEXT) | instid1(VALU_DEP_2)
	v_cmp_eq_u64_e32 vcc_lo, 0, v[2:3]
	v_and_or_b32 v2, v2, 3, v5
	s_and_b32 s13, s13, vcc_lo
	s_delay_alu instid0(VALU_DEP_1) | instid1(SALU_CYCLE_1)
	v_cndmask_b32_e64 v2, v2, 0, s13
	s_delay_alu instid0(VALU_DEP_1)
	v_or_b32_e32 v47, v2, v1
.LBB6_3164:                             ;   in Loop: Header=BB6_136 Depth=3
	s_or_b32 exec_lo, exec_lo, s76
                                        ; implicit-def: $vgpr1
.LBB6_3165:                             ;   in Loop: Header=BB6_136 Depth=3
	s_and_not1_saveexec_b32 s13, s75
; %bb.3166:                             ;   in Loop: Header=BB6_136 Depth=3
	v_or_b32_e32 v47, 0x7b, v1
; %bb.3167:                             ;   in Loop: Header=BB6_136 Depth=3
	s_or_b32 exec_lo, exec_lo, s13
                                        ; implicit-def: $vgpr4
                                        ; implicit-def: $vgpr2_vgpr3
                                        ; implicit-def: $vgpr1
.LBB6_3168:                             ;   in Loop: Header=BB6_136 Depth=3
	s_and_not1_saveexec_b32 s13, s74
	s_cbranch_execz .LBB6_3174
; %bb.3169:                             ;   in Loop: Header=BB6_136 Depth=3
	s_mov_b32 s74, exec_lo
                                        ; implicit-def: $vgpr47
	v_cmpx_ne_u64_e32 0, v[2:3]
	s_xor_b32 s74, exec_lo, s74
; %bb.3170:                             ;   in Loop: Header=BB6_136 Depth=3
	v_or_b32_e32 v47, 0x7f, v1
                                        ; implicit-def: $vgpr4
; %bb.3171:                             ;   in Loop: Header=BB6_136 Depth=3
	s_and_not1_saveexec_b32 s74, s74
; %bb.3172:                             ;   in Loop: Header=BB6_136 Depth=3
	v_cmp_lt_i32_e32 vcc_lo, -1, v4
	v_mov_b32_e32 v1, 0x7c
	s_delay_alu instid0(VALU_DEP_1)
	v_cndmask_b32_e32 v47, 0xfc, v1, vcc_lo
; %bb.3173:                             ;   in Loop: Header=BB6_136 Depth=3
	s_or_b32 exec_lo, exec_lo, s74
.LBB6_3174:                             ;   in Loop: Header=BB6_136 Depth=3
	s_delay_alu instid0(SALU_CYCLE_1) | instskip(SKIP_3) | instid1(VALU_DEP_2)
	s_or_b32 exec_lo, exec_lo, s13
	v_lshrrev_b16 v2, 8, v0
	v_mov_b32_e32 v3, 0
	s_mov_b32 s74, exec_lo
	v_cmpx_ne_u16_e32 0, v2
	s_cbranch_execz .LBB6_3184
; %bb.3175:                             ;   in Loop: Header=BB6_136 Depth=3
	v_bfrev_b32_e32 v3, 1
	s_mov_b32 s75, exec_lo
	v_cmpx_ne_u16_e32 0x80, v2
	s_cbranch_execz .LBB6_3183
; %bb.3176:                             ;   in Loop: Header=BB6_136 Depth=3
	v_and_b32_e32 v1, 0xffff, v2
	s_delay_alu instid0(VALU_DEP_1) | instskip(SKIP_1) | instid1(VALU_DEP_2)
	v_and_b32_e32 v3, 0x7c, v1
	v_and_b32_e32 v4, 3, v1
	v_cmp_ne_u32_e32 vcc_lo, 0x7c, v3
                                        ; implicit-def: $vgpr3
	s_and_saveexec_b32 s13, vcc_lo
	s_delay_alu instid0(SALU_CYCLE_1)
	s_xor_b32 s13, exec_lo, s13
	s_cbranch_execz .LBB6_3180
; %bb.3177:                             ;   in Loop: Header=BB6_136 Depth=3
	v_bfe_u32 v1, v1, 2, 5
	s_mov_b32 s76, exec_lo
	s_delay_alu instid0(VALU_DEP_1)
	v_cmpx_eq_u32_e32 0, v1
	s_cbranch_execz .LBB6_3179
; %bb.3178:                             ;   in Loop: Header=BB6_136 Depth=3
	v_clz_i32_u32_e32 v1, v4
	s_delay_alu instid0(VALU_DEP_1) | instskip(SKIP_1) | instid1(VALU_DEP_2)
	v_min_u32_e32 v1, 32, v1
	v_mov_b32_e32 v3, v113
	v_subrev_nc_u32_e32 v4, 29, v1
	v_sub_nc_u32_e32 v1, 30, v1
	s_delay_alu instid0(VALU_DEP_2) | instskip(NEXT) | instid1(VALU_DEP_1)
	v_lshlrev_b64_e32 v[2:3], v4, v[2:3]
	v_and_b32_e32 v4, 3, v2
.LBB6_3179:                             ;   in Loop: Header=BB6_136 Depth=3
	s_or_b32 exec_lo, exec_lo, s76
	v_lshlrev_b32_e32 v0, 16, v0
	s_delay_alu instid0(VALU_DEP_1) | instskip(NEXT) | instid1(VALU_DEP_1)
	v_and_b32_e32 v0, 0x80000000, v0
	v_lshl_add_u32 v0, v1, 23, v0
	s_delay_alu instid0(VALU_DEP_1) | instskip(NEXT) | instid1(VALU_DEP_1)
	v_lshl_or_b32 v0, v4, 21, v0
                                        ; implicit-def: $vgpr4
	v_add_nc_u32_e32 v3, 0x38000000, v0
                                        ; implicit-def: $vgpr0_vgpr1
.LBB6_3180:                             ;   in Loop: Header=BB6_136 Depth=3
	s_and_not1_saveexec_b32 s76, s13
; %bb.3181:                             ;   in Loop: Header=BB6_136 Depth=3
	v_cmp_lt_i16_e64 s13, -1, v0
	v_mov_b32_e32 v0, 0x7f800000
	v_cmp_eq_u32_e32 vcc_lo, 0, v4
	s_delay_alu instid0(VALU_DEP_2) | instskip(NEXT) | instid1(VALU_DEP_1)
	v_cndmask_b32_e64 v0, 0xff800000, v0, s13
	v_cndmask_b32_e32 v3, 0x7f800001, v0, vcc_lo
; %bb.3182:                             ;   in Loop: Header=BB6_136 Depth=3
	s_or_b32 exec_lo, exec_lo, s76
.LBB6_3183:                             ;   in Loop: Header=BB6_136 Depth=3
	s_delay_alu instid0(SALU_CYCLE_1)
	s_or_b32 exec_lo, exec_lo, s75
.LBB6_3184:                             ;   in Loop: Header=BB6_136 Depth=3
	s_delay_alu instid0(SALU_CYCLE_1) | instskip(NEXT) | instid1(VALU_DEP_1)
	s_or_b32 exec_lo, exec_lo, s74
	v_dual_mul_f32 v2, s73, v3 :: v_dual_mov_b32 v5, v113
	v_mov_b32_e32 v1, v113
                                        ; implicit-def: $vgpr25
	s_mov_b32 s13, exec_lo
	s_delay_alu instid0(VALU_DEP_2) | instskip(SKIP_2) | instid1(VALU_DEP_3)
	v_and_b32_e32 v4, 0x7f800000, v2
	v_and_b32_e32 v0, 0x7fffff, v2
	v_lshrrev_b32_e32 v3, 24, v2
	v_cmpx_ne_u64_e32 0x7f800000, v[4:5]
	s_xor_b32 s74, exec_lo, s13
	s_cbranch_execz .LBB6_3198
; %bb.3185:                             ;   in Loop: Header=BB6_136 Depth=3
	v_and_b32_e32 v4, 0x7fffffff, v2
	v_mov_b32_e32 v5, v113
                                        ; implicit-def: $vgpr25
	s_delay_alu instid0(VALU_DEP_1) | instskip(SKIP_2) | instid1(SALU_CYCLE_1)
	v_cmp_gt_u64_e32 vcc_lo, 0x47600001, v[4:5]
	v_and_b32_e32 v4, 0x80, v3
	s_and_saveexec_b32 s13, vcc_lo
	s_xor_b32 s75, exec_lo, s13
	s_cbranch_execz .LBB6_3195
; %bb.3186:                             ;   in Loop: Header=BB6_136 Depth=3
	v_mov_b32_e32 v25, 0
	s_mov_b32 s76, exec_lo
	v_cmpx_ne_u32_e32 0, v2
	s_cbranch_execz .LBB6_3194
; %bb.3187:                             ;   in Loop: Header=BB6_136 Depth=3
	v_bfe_u32 v5, v2, 23, 8
	v_or_b32_e32 v3, 0x800000, v0
	s_delay_alu instid0(VALU_DEP_2) | instskip(SKIP_2) | instid1(VALU_DEP_2)
	v_cmp_gt_u32_e64 s13, 0x72, v5
	v_sub_nc_u32_e32 v2, 0x71, v5
	v_cmp_eq_u32_e32 vcc_lo, 0, v5
	v_dual_cndmask_b32 v2, 0, v2, s13 :: v_dual_cndmask_b32 v0, v3, v0, vcc_lo
	s_delay_alu instid0(VALU_DEP_1) | instskip(NEXT) | instid1(VALU_DEP_1)
	v_cndmask_b32_e64 v24, v2, 0x70, vcc_lo
	v_dual_add_nc_u32 v2, 21, v24 :: v_dual_add_nc_u32 v25, 20, v24
	s_delay_alu instid0(VALU_DEP_1) | instskip(NEXT) | instid1(VALU_DEP_2)
	v_lshlrev_b64_e64 v[2:3], v2, -1
	v_lshlrev_b64_e64 v[26:27], v25, 1
	s_delay_alu instid0(VALU_DEP_2) | instskip(SKIP_1) | instid1(VALU_DEP_4)
	v_bfi_b32 v2, v2, 0, v0
	v_lshrrev_b64 v[0:1], v24, v[0:1]
	v_bfi_b32 v3, v3, 0, 0
	s_delay_alu instid0(VALU_DEP_1) | instskip(NEXT) | instid1(VALU_DEP_3)
	v_cmp_eq_u64_e64 s13, v[2:3], v[26:27]
	v_mov_b64_e32 v[2:3], v[0:1]
	s_and_saveexec_b32 s77, s13
; %bb.3188:                             ;   in Loop: Header=BB6_136 Depth=3
	v_bfe_u32 v2, v0, 21, 1
	v_mov_b32_e32 v3, v113
	s_delay_alu instid0(VALU_DEP_1) | instskip(NEXT) | instid1(VALU_DEP_1)
	v_add_nc_u64_e32 v[2:3], v[0:1], v[2:3]
	v_add_nc_u64_e32 v[2:3], -1, v[2:3]
; %bb.3189:                             ;   in Loop: Header=BB6_136 Depth=3
	s_or_b32 exec_lo, exec_lo, s77
	v_add_nc_u32_e32 v1, 0xffffff81, v5
	v_lshrrev_b32_e32 v3, 23, v0
	s_mov_b32 s13, exec_lo
	s_delay_alu instid0(VALU_DEP_2) | instskip(NEXT) | instid1(VALU_DEP_1)
	v_cndmask_b32_e64 v1, v1, 0xffffff82, vcc_lo
	v_add3_u32 v5, v24, v1, v3
	v_and_b32_e32 v1, 0x1fffff, v2
                                        ; implicit-def: $vgpr2
	s_delay_alu instid0(VALU_DEP_1) | instskip(SKIP_1) | instid1(VALU_DEP_2)
	v_dual_add_nc_u32 v3, 14, v5 :: v_dual_add_nc_u32 v0, v1, v0
	v_mov_b32_e32 v1, v113
	v_cmpx_ne_u32_e32 0, v3
	s_xor_b32 s13, exec_lo, s13
; %bb.3190:                             ;   in Loop: Header=BB6_136 Depth=3
	s_delay_alu instid0(VALU_DEP_2) | instskip(SKIP_1) | instid1(VALU_DEP_1)
	v_cmp_lt_u64_e32 vcc_lo, 0xffffff, v[0:1]
	v_add_nc_u32_e32 v2, 15, v5
	v_cndmask_b32_e32 v2, v3, v2, vcc_lo
	v_cndmask_b32_e64 v3, 0, 1, vcc_lo
	s_delay_alu instid0(VALU_DEP_1)
	v_lshrrev_b64 v[0:1], v3, v[0:1]
; %bb.3191:                             ;   in Loop: Header=BB6_136 Depth=3
	s_and_not1_saveexec_b32 s13, s13
; %bb.3192:                             ;   in Loop: Header=BB6_136 Depth=3
	s_delay_alu instid0(VALU_DEP_1)
	v_bfe_u32 v2, v0, 23, 1
; %bb.3193:                             ;   in Loop: Header=BB6_136 Depth=3
	s_or_b32 exec_lo, exec_lo, s13
	s_delay_alu instid0(VALU_DEP_2) | instskip(NEXT) | instid1(VALU_DEP_2)
	v_lshrrev_b64 v[0:1], 21, v[0:1]
	v_cmp_gt_i32_e32 vcc_lo, 32, v2
	v_min_i32_e32 v3, 31, v2
	v_cmp_eq_u32_e64 s13, 0, v2
	s_delay_alu instid0(VALU_DEP_2) | instskip(SKIP_1) | instid1(VALU_DEP_2)
	v_dual_cndmask_b32 v1, 0, v1, vcc_lo :: v_dual_lshlrev_b32 v3, 2, v3
	v_cndmask_b32_e32 v0, 3, v0, vcc_lo
	v_and_b32_e32 v3, 0xfc, v3
	s_delay_alu instid0(VALU_DEP_2) | instskip(NEXT) | instid1(VALU_DEP_2)
	v_cmp_eq_u64_e32 vcc_lo, 0, v[0:1]
	v_and_or_b32 v0, v0, 3, v3
	s_and_b32 s13, s13, vcc_lo
	s_delay_alu instid0(VALU_DEP_1) | instid1(SALU_CYCLE_1)
	v_cndmask_b32_e64 v0, v0, 0, s13
	s_delay_alu instid0(VALU_DEP_1)
	v_or_b32_e32 v25, v0, v4
.LBB6_3194:                             ;   in Loop: Header=BB6_136 Depth=3
	s_or_b32 exec_lo, exec_lo, s76
                                        ; implicit-def: $vgpr4
.LBB6_3195:                             ;   in Loop: Header=BB6_136 Depth=3
	s_and_not1_saveexec_b32 s13, s75
; %bb.3196:                             ;   in Loop: Header=BB6_136 Depth=3
	v_or_b32_e32 v25, 0x7b, v4
; %bb.3197:                             ;   in Loop: Header=BB6_136 Depth=3
	s_or_b32 exec_lo, exec_lo, s13
                                        ; implicit-def: $vgpr2
                                        ; implicit-def: $vgpr0_vgpr1
                                        ; implicit-def: $vgpr3
.LBB6_3198:                             ;   in Loop: Header=BB6_136 Depth=3
	s_and_not1_saveexec_b32 s13, s74
	s_cbranch_execz .LBB6_3204
; %bb.3199:                             ;   in Loop: Header=BB6_136 Depth=3
	s_mov_b32 s74, exec_lo
                                        ; implicit-def: $vgpr25
	v_cmpx_ne_u64_e32 0, v[0:1]
	s_xor_b32 s74, exec_lo, s74
; %bb.3200:                             ;   in Loop: Header=BB6_136 Depth=3
	v_or_b32_e32 v25, 0x7f, v3
                                        ; implicit-def: $vgpr2
; %bb.3201:                             ;   in Loop: Header=BB6_136 Depth=3
	s_and_not1_saveexec_b32 s74, s74
; %bb.3202:                             ;   in Loop: Header=BB6_136 Depth=3
	v_cmp_lt_i32_e32 vcc_lo, -1, v2
	v_mov_b32_e32 v0, 0x7c
	s_delay_alu instid0(VALU_DEP_1)
	v_cndmask_b32_e32 v25, 0xfc, v0, vcc_lo
; %bb.3203:                             ;   in Loop: Header=BB6_136 Depth=3
	s_or_b32 exec_lo, exec_lo, s74
.LBB6_3204:                             ;   in Loop: Header=BB6_136 Depth=3
	s_delay_alu instid0(SALU_CYCLE_1) | instskip(SKIP_2) | instid1(VALU_DEP_1)
	s_or_b32 exec_lo, exec_lo, s13
	v_dual_mov_b32 v1, 0 :: v_dual_lshrrev_b32 v0, 16, v9
	s_mov_b32 s74, exec_lo
	v_and_b32_e32 v2, 0xff, v0
	s_delay_alu instid0(VALU_DEP_1)
	v_cmpx_ne_u16_e32 0, v2
	s_cbranch_execz .LBB6_3214
; %bb.3205:                             ;   in Loop: Header=BB6_136 Depth=3
	v_bfrev_b32_e32 v1, 1
	s_mov_b32 s75, exec_lo
	v_cmpx_ne_u16_e32 0x80, v2
	s_cbranch_execz .LBB6_3213
; %bb.3206:                             ;   in Loop: Header=BB6_136 Depth=3
	v_and_b32_e32 v1, 0x7c0000, v9
	v_bfe_u32 v2, v9, 16, 2
	s_delay_alu instid0(VALU_DEP_2) | instskip(SKIP_1) | instid1(SALU_CYCLE_1)
	v_cmp_ne_u32_e32 vcc_lo, 0x7c0000, v1
                                        ; implicit-def: $vgpr1
	s_and_saveexec_b32 s13, vcc_lo
	s_xor_b32 s13, exec_lo, s13
	s_cbranch_execz .LBB6_3210
; %bb.3207:                             ;   in Loop: Header=BB6_136 Depth=3
	v_bfe_u32 v1, v9, 18, 5
	s_mov_b32 s76, exec_lo
	s_delay_alu instid0(VALU_DEP_1)
	v_cmpx_eq_u32_e32 0, v1
; %bb.3208:                             ;   in Loop: Header=BB6_136 Depth=3
	v_clz_i32_u32_e32 v1, v2
	s_delay_alu instid0(VALU_DEP_1) | instskip(NEXT) | instid1(VALU_DEP_1)
	v_min_u32_e32 v1, 32, v1
	v_subrev_nc_u32_e32 v2, 29, v1
	s_delay_alu instid0(VALU_DEP_1) | instskip(NEXT) | instid1(VALU_DEP_1)
	v_lshlrev_b64_e32 v[2:3], v2, v[0:1]
	v_dual_sub_nc_u32 v1, 30, v1 :: v_dual_bitop2_b32 v2, 3, v2 bitop3:0x40
; %bb.3209:                             ;   in Loop: Header=BB6_136 Depth=3
	s_or_b32 exec_lo, exec_lo, s76
	v_lshlrev_b32_e32 v0, 24, v0
	s_delay_alu instid0(VALU_DEP_1) | instskip(NEXT) | instid1(VALU_DEP_1)
	v_and_b32_e32 v0, 0x80000000, v0
	v_lshl_add_u32 v0, v1, 23, v0
	s_delay_alu instid0(VALU_DEP_1) | instskip(NEXT) | instid1(VALU_DEP_1)
	v_lshl_or_b32 v0, v2, 21, v0
                                        ; implicit-def: $vgpr2
	v_add_nc_u32_e32 v1, 0x38000000, v0
                                        ; implicit-def: $vgpr0
.LBB6_3210:                             ;   in Loop: Header=BB6_136 Depth=3
	s_and_not1_saveexec_b32 s76, s13
; %bb.3211:                             ;   in Loop: Header=BB6_136 Depth=3
	v_bfe_i32 v0, v0, 0, 8
	v_cmp_eq_u32_e32 vcc_lo, 0, v2
	s_delay_alu instid0(VALU_DEP_2) | instskip(SKIP_1) | instid1(VALU_DEP_1)
	v_cmp_lt_i16_e64 s13, -1, v0
	v_mov_b32_e32 v0, 0x7f800000
	v_cndmask_b32_e64 v0, 0xff800000, v0, s13
	s_delay_alu instid0(VALU_DEP_1)
	v_cndmask_b32_e32 v1, 0x7f800001, v0, vcc_lo
; %bb.3212:                             ;   in Loop: Header=BB6_136 Depth=3
	s_or_b32 exec_lo, exec_lo, s76
.LBB6_3213:                             ;   in Loop: Header=BB6_136 Depth=3
	s_delay_alu instid0(SALU_CYCLE_1)
	s_or_b32 exec_lo, exec_lo, s75
.LBB6_3214:                             ;   in Loop: Header=BB6_136 Depth=3
	s_delay_alu instid0(SALU_CYCLE_1) | instskip(NEXT) | instid1(VALU_DEP_1)
	s_or_b32 exec_lo, exec_lo, s74
	v_dual_mul_f32 v2, s73, v1 :: v_dual_mov_b32 v5, v113
	v_mov_b32_e32 v1, v113
                                        ; implicit-def: $vgpr24
	s_mov_b32 s13, exec_lo
	s_delay_alu instid0(VALU_DEP_2) | instskip(SKIP_2) | instid1(VALU_DEP_3)
	v_and_b32_e32 v4, 0x7f800000, v2
	v_and_b32_e32 v0, 0x7fffff, v2
	v_lshrrev_b32_e32 v3, 24, v2
	v_cmpx_ne_u64_e32 0x7f800000, v[4:5]
	s_xor_b32 s74, exec_lo, s13
	s_cbranch_execz .LBB6_3228
; %bb.3215:                             ;   in Loop: Header=BB6_136 Depth=3
	v_and_b32_e32 v4, 0x7fffffff, v2
	v_mov_b32_e32 v5, v113
                                        ; implicit-def: $vgpr24
	s_delay_alu instid0(VALU_DEP_1) | instskip(SKIP_2) | instid1(SALU_CYCLE_1)
	v_cmp_gt_u64_e32 vcc_lo, 0x47600001, v[4:5]
	v_and_b32_e32 v4, 0x80, v3
	s_and_saveexec_b32 s13, vcc_lo
	s_xor_b32 s75, exec_lo, s13
	s_cbranch_execz .LBB6_3225
; %bb.3216:                             ;   in Loop: Header=BB6_136 Depth=3
	v_mov_b32_e32 v24, 0
	s_mov_b32 s76, exec_lo
	v_cmpx_ne_u32_e32 0, v2
	s_cbranch_execz .LBB6_3224
; %bb.3217:                             ;   in Loop: Header=BB6_136 Depth=3
	v_bfe_u32 v5, v2, 23, 8
	v_or_b32_e32 v3, 0x800000, v0
	s_delay_alu instid0(VALU_DEP_2) | instskip(SKIP_2) | instid1(VALU_DEP_2)
	v_cmp_gt_u32_e64 s13, 0x72, v5
	v_sub_nc_u32_e32 v2, 0x71, v5
	v_cmp_eq_u32_e32 vcc_lo, 0, v5
	v_dual_cndmask_b32 v2, 0, v2, s13 :: v_dual_cndmask_b32 v0, v3, v0, vcc_lo
	s_delay_alu instid0(VALU_DEP_1) | instskip(NEXT) | instid1(VALU_DEP_1)
	v_cndmask_b32_e64 v24, v2, 0x70, vcc_lo
	v_dual_add_nc_u32 v2, 21, v24 :: v_dual_add_nc_u32 v26, 20, v24
	s_delay_alu instid0(VALU_DEP_1) | instskip(NEXT) | instid1(VALU_DEP_2)
	v_lshlrev_b64_e64 v[2:3], v2, -1
	v_lshlrev_b64_e64 v[26:27], v26, 1
	s_delay_alu instid0(VALU_DEP_2) | instskip(SKIP_1) | instid1(VALU_DEP_4)
	v_bfi_b32 v2, v2, 0, v0
	v_lshrrev_b64 v[0:1], v24, v[0:1]
	v_bfi_b32 v3, v3, 0, 0
	s_delay_alu instid0(VALU_DEP_1) | instskip(NEXT) | instid1(VALU_DEP_3)
	v_cmp_eq_u64_e64 s13, v[2:3], v[26:27]
	v_mov_b64_e32 v[2:3], v[0:1]
	s_and_saveexec_b32 s77, s13
; %bb.3218:                             ;   in Loop: Header=BB6_136 Depth=3
	v_bfe_u32 v2, v0, 21, 1
	v_mov_b32_e32 v3, v113
	s_delay_alu instid0(VALU_DEP_1) | instskip(NEXT) | instid1(VALU_DEP_1)
	v_add_nc_u64_e32 v[2:3], v[0:1], v[2:3]
	v_add_nc_u64_e32 v[2:3], -1, v[2:3]
; %bb.3219:                             ;   in Loop: Header=BB6_136 Depth=3
	s_or_b32 exec_lo, exec_lo, s77
	v_add_nc_u32_e32 v1, 0xffffff81, v5
	v_lshrrev_b32_e32 v3, 23, v0
	s_mov_b32 s13, exec_lo
	s_delay_alu instid0(VALU_DEP_2) | instskip(NEXT) | instid1(VALU_DEP_1)
	v_cndmask_b32_e64 v1, v1, 0xffffff82, vcc_lo
	v_add3_u32 v5, v24, v1, v3
	v_and_b32_e32 v1, 0x1fffff, v2
                                        ; implicit-def: $vgpr2
	s_delay_alu instid0(VALU_DEP_1) | instskip(SKIP_1) | instid1(VALU_DEP_2)
	v_dual_add_nc_u32 v3, 14, v5 :: v_dual_add_nc_u32 v0, v1, v0
	v_mov_b32_e32 v1, v113
	v_cmpx_ne_u32_e32 0, v3
	s_xor_b32 s13, exec_lo, s13
; %bb.3220:                             ;   in Loop: Header=BB6_136 Depth=3
	s_delay_alu instid0(VALU_DEP_2) | instskip(SKIP_1) | instid1(VALU_DEP_1)
	v_cmp_lt_u64_e32 vcc_lo, 0xffffff, v[0:1]
	v_add_nc_u32_e32 v2, 15, v5
	v_cndmask_b32_e32 v2, v3, v2, vcc_lo
	v_cndmask_b32_e64 v3, 0, 1, vcc_lo
	s_delay_alu instid0(VALU_DEP_1)
	v_lshrrev_b64 v[0:1], v3, v[0:1]
; %bb.3221:                             ;   in Loop: Header=BB6_136 Depth=3
	s_and_not1_saveexec_b32 s13, s13
; %bb.3222:                             ;   in Loop: Header=BB6_136 Depth=3
	s_delay_alu instid0(VALU_DEP_1)
	v_bfe_u32 v2, v0, 23, 1
; %bb.3223:                             ;   in Loop: Header=BB6_136 Depth=3
	s_or_b32 exec_lo, exec_lo, s13
	s_delay_alu instid0(VALU_DEP_2) | instskip(NEXT) | instid1(VALU_DEP_2)
	v_lshrrev_b64 v[0:1], 21, v[0:1]
	v_cmp_gt_i32_e32 vcc_lo, 32, v2
	v_min_i32_e32 v3, 31, v2
	v_cmp_eq_u32_e64 s13, 0, v2
	s_delay_alu instid0(VALU_DEP_2) | instskip(SKIP_1) | instid1(VALU_DEP_2)
	v_dual_cndmask_b32 v1, 0, v1, vcc_lo :: v_dual_lshlrev_b32 v3, 2, v3
	v_cndmask_b32_e32 v0, 3, v0, vcc_lo
	v_and_b32_e32 v3, 0xfc, v3
	s_delay_alu instid0(VALU_DEP_2) | instskip(NEXT) | instid1(VALU_DEP_2)
	v_cmp_eq_u64_e32 vcc_lo, 0, v[0:1]
	v_and_or_b32 v0, v0, 3, v3
	s_and_b32 s13, s13, vcc_lo
	s_delay_alu instid0(VALU_DEP_1) | instid1(SALU_CYCLE_1)
	v_cndmask_b32_e64 v0, v0, 0, s13
	s_delay_alu instid0(VALU_DEP_1)
	v_or_b32_e32 v24, v0, v4
.LBB6_3224:                             ;   in Loop: Header=BB6_136 Depth=3
	s_or_b32 exec_lo, exec_lo, s76
                                        ; implicit-def: $vgpr4
.LBB6_3225:                             ;   in Loop: Header=BB6_136 Depth=3
	s_and_not1_saveexec_b32 s13, s75
; %bb.3226:                             ;   in Loop: Header=BB6_136 Depth=3
	v_or_b32_e32 v24, 0x7b, v4
; %bb.3227:                             ;   in Loop: Header=BB6_136 Depth=3
	s_or_b32 exec_lo, exec_lo, s13
                                        ; implicit-def: $vgpr2
                                        ; implicit-def: $vgpr0_vgpr1
                                        ; implicit-def: $vgpr3
.LBB6_3228:                             ;   in Loop: Header=BB6_136 Depth=3
	s_and_not1_saveexec_b32 s13, s74
	s_cbranch_execz .LBB6_3234
; %bb.3229:                             ;   in Loop: Header=BB6_136 Depth=3
	s_mov_b32 s74, exec_lo
                                        ; implicit-def: $vgpr24
	v_cmpx_ne_u64_e32 0, v[0:1]
	s_xor_b32 s74, exec_lo, s74
; %bb.3230:                             ;   in Loop: Header=BB6_136 Depth=3
	v_or_b32_e32 v24, 0x7f, v3
                                        ; implicit-def: $vgpr2
; %bb.3231:                             ;   in Loop: Header=BB6_136 Depth=3
	s_and_not1_saveexec_b32 s74, s74
; %bb.3232:                             ;   in Loop: Header=BB6_136 Depth=3
	v_cmp_lt_i32_e32 vcc_lo, -1, v2
	v_mov_b32_e32 v0, 0x7c
	s_delay_alu instid0(VALU_DEP_1)
	v_cndmask_b32_e32 v24, 0xfc, v0, vcc_lo
; %bb.3233:                             ;   in Loop: Header=BB6_136 Depth=3
	s_or_b32 exec_lo, exec_lo, s74
.LBB6_3234:                             ;   in Loop: Header=BB6_136 Depth=3
	s_delay_alu instid0(SALU_CYCLE_1)
	s_or_b32 exec_lo, exec_lo, s13
	v_mov_b32_e32 v1, 0
	s_mov_b32 s74, exec_lo
	v_cmpx_lt_u64_e64 s[22:23], v[8:9]
	s_cbranch_execz .LBB6_3244
; %bb.3235:                             ;   in Loop: Header=BB6_136 Depth=3
	v_lshrrev_b32_e32 v0, 24, v9
	v_bfrev_b32_e32 v1, 1
	s_mov_b32 s75, exec_lo
	s_delay_alu instid0(VALU_DEP_2)
	v_cmpx_ne_u32_e32 0x80, v0
	s_cbranch_execz .LBB6_3243
; %bb.3236:                             ;   in Loop: Header=BB6_136 Depth=3
	v_and_b32_e32 v1, 0x7c000000, v9
	v_bfe_u32 v2, v9, 24, 2
	s_delay_alu instid0(VALU_DEP_2) | instskip(SKIP_1) | instid1(SALU_CYCLE_1)
	v_cmp_ne_u32_e32 vcc_lo, 0x7c000000, v1
                                        ; implicit-def: $vgpr1
	s_and_saveexec_b32 s13, vcc_lo
	s_xor_b32 s13, exec_lo, s13
	s_cbranch_execz .LBB6_3240
; %bb.3237:                             ;   in Loop: Header=BB6_136 Depth=3
	v_bfe_u32 v1, v9, 26, 5
	s_mov_b32 s76, exec_lo
	s_delay_alu instid0(VALU_DEP_1)
	v_cmpx_eq_u32_e32 0, v1
; %bb.3238:                             ;   in Loop: Header=BB6_136 Depth=3
	v_clz_i32_u32_e32 v1, v2
	s_delay_alu instid0(VALU_DEP_1) | instskip(NEXT) | instid1(VALU_DEP_1)
	v_min_u32_e32 v2, 32, v1
	v_subrev_nc_u32_e32 v1, 29, v2
	s_delay_alu instid0(VALU_DEP_1) | instskip(NEXT) | instid1(VALU_DEP_1)
	v_lshlrev_b64_e32 v[0:1], v1, v[0:1]
	v_dual_sub_nc_u32 v1, 30, v2 :: v_dual_bitop2_b32 v2, 3, v0 bitop3:0x40
; %bb.3239:                             ;   in Loop: Header=BB6_136 Depth=3
	s_or_b32 exec_lo, exec_lo, s76
	v_and_b32_e32 v0, 0x80000000, v9
	s_delay_alu instid0(VALU_DEP_1) | instskip(NEXT) | instid1(VALU_DEP_1)
	v_lshl_add_u32 v0, v1, 23, v0
	v_lshl_or_b32 v0, v2, 21, v0
                                        ; implicit-def: $vgpr2
	s_delay_alu instid0(VALU_DEP_1)
	v_add_nc_u32_e32 v1, 0x38000000, v0
.LBB6_3240:                             ;   in Loop: Header=BB6_136 Depth=3
	s_and_not1_saveexec_b32 s76, s13
; %bb.3241:                             ;   in Loop: Header=BB6_136 Depth=3
	v_cmp_lt_i64_e64 s13, -1, v[8:9]
	v_mov_b32_e32 v0, 0x7f800000
	v_cmp_eq_u32_e32 vcc_lo, 0, v2
	s_delay_alu instid0(VALU_DEP_2) | instskip(NEXT) | instid1(VALU_DEP_1)
	v_cndmask_b32_e64 v0, 0xff800000, v0, s13
	v_cndmask_b32_e32 v1, 0x7f800001, v0, vcc_lo
; %bb.3242:                             ;   in Loop: Header=BB6_136 Depth=3
	s_or_b32 exec_lo, exec_lo, s76
.LBB6_3243:                             ;   in Loop: Header=BB6_136 Depth=3
	s_delay_alu instid0(SALU_CYCLE_1)
	s_or_b32 exec_lo, exec_lo, s75
.LBB6_3244:                             ;   in Loop: Header=BB6_136 Depth=3
	s_delay_alu instid0(SALU_CYCLE_1) | instskip(NEXT) | instid1(VALU_DEP_1)
	s_or_b32 exec_lo, exec_lo, s74
	v_dual_mul_f32 v2, s73, v1 :: v_dual_mov_b32 v5, v113
	v_mov_b32_e32 v1, v113
                                        ; implicit-def: $vgpr26
	s_mov_b32 s13, exec_lo
	s_delay_alu instid0(VALU_DEP_2) | instskip(SKIP_2) | instid1(VALU_DEP_3)
	v_and_b32_e32 v4, 0x7f800000, v2
	v_and_b32_e32 v0, 0x7fffff, v2
	v_lshrrev_b32_e32 v3, 24, v2
	v_cmpx_ne_u64_e32 0x7f800000, v[4:5]
	s_xor_b32 s74, exec_lo, s13
	s_cbranch_execz .LBB6_3258
; %bb.3245:                             ;   in Loop: Header=BB6_136 Depth=3
	v_and_b32_e32 v4, 0x7fffffff, v2
	v_mov_b32_e32 v5, v113
                                        ; implicit-def: $vgpr26
	s_delay_alu instid0(VALU_DEP_1) | instskip(SKIP_2) | instid1(SALU_CYCLE_1)
	v_cmp_gt_u64_e32 vcc_lo, 0x47600001, v[4:5]
	v_and_b32_e32 v4, 0x80, v3
	s_and_saveexec_b32 s13, vcc_lo
	s_xor_b32 s75, exec_lo, s13
	s_cbranch_execz .LBB6_3255
; %bb.3246:                             ;   in Loop: Header=BB6_136 Depth=3
	v_mov_b32_e32 v26, 0
	s_mov_b32 s76, exec_lo
	v_cmpx_ne_u32_e32 0, v2
	s_cbranch_execz .LBB6_3254
; %bb.3247:                             ;   in Loop: Header=BB6_136 Depth=3
	v_bfe_u32 v5, v2, 23, 8
	v_or_b32_e32 v3, 0x800000, v0
	s_delay_alu instid0(VALU_DEP_2) | instskip(SKIP_2) | instid1(VALU_DEP_2)
	v_cmp_gt_u32_e64 s13, 0x72, v5
	v_sub_nc_u32_e32 v2, 0x71, v5
	v_cmp_eq_u32_e32 vcc_lo, 0, v5
	v_dual_cndmask_b32 v2, 0, v2, s13 :: v_dual_cndmask_b32 v0, v3, v0, vcc_lo
	s_delay_alu instid0(VALU_DEP_1) | instskip(NEXT) | instid1(VALU_DEP_1)
	v_cndmask_b32_e64 v8, v2, 0x70, vcc_lo
	v_dual_add_nc_u32 v2, 21, v8 :: v_dual_add_nc_u32 v9, 20, v8
	s_delay_alu instid0(VALU_DEP_1) | instskip(NEXT) | instid1(VALU_DEP_2)
	v_lshlrev_b64_e64 v[2:3], v2, -1
	v_lshlrev_b64_e64 v[26:27], v9, 1
	s_delay_alu instid0(VALU_DEP_2) | instskip(SKIP_1) | instid1(VALU_DEP_4)
	v_bfi_b32 v2, v2, 0, v0
	v_lshrrev_b64 v[0:1], v8, v[0:1]
	v_bfi_b32 v3, v3, 0, 0
	s_delay_alu instid0(VALU_DEP_1) | instskip(NEXT) | instid1(VALU_DEP_3)
	v_cmp_eq_u64_e64 s13, v[2:3], v[26:27]
	v_mov_b64_e32 v[2:3], v[0:1]
	s_and_saveexec_b32 s77, s13
; %bb.3248:                             ;   in Loop: Header=BB6_136 Depth=3
	v_bfe_u32 v2, v0, 21, 1
	v_mov_b32_e32 v3, v113
	s_delay_alu instid0(VALU_DEP_1) | instskip(NEXT) | instid1(VALU_DEP_1)
	v_add_nc_u64_e32 v[2:3], v[0:1], v[2:3]
	v_add_nc_u64_e32 v[2:3], -1, v[2:3]
; %bb.3249:                             ;   in Loop: Header=BB6_136 Depth=3
	s_or_b32 exec_lo, exec_lo, s77
	v_add_nc_u32_e32 v1, 0xffffff81, v5
	v_lshrrev_b32_e32 v3, 23, v0
	s_mov_b32 s13, exec_lo
	s_delay_alu instid0(VALU_DEP_2) | instskip(NEXT) | instid1(VALU_DEP_1)
	v_cndmask_b32_e64 v1, v1, 0xffffff82, vcc_lo
	v_add3_u32 v5, v8, v1, v3
	v_and_b32_e32 v1, 0x1fffff, v2
                                        ; implicit-def: $vgpr2
	s_delay_alu instid0(VALU_DEP_1) | instskip(SKIP_1) | instid1(VALU_DEP_2)
	v_dual_add_nc_u32 v3, 14, v5 :: v_dual_add_nc_u32 v0, v1, v0
	v_mov_b32_e32 v1, v113
	v_cmpx_ne_u32_e32 0, v3
	s_xor_b32 s13, exec_lo, s13
; %bb.3250:                             ;   in Loop: Header=BB6_136 Depth=3
	s_delay_alu instid0(VALU_DEP_2) | instskip(SKIP_1) | instid1(VALU_DEP_1)
	v_cmp_lt_u64_e32 vcc_lo, 0xffffff, v[0:1]
	v_add_nc_u32_e32 v2, 15, v5
	v_cndmask_b32_e32 v2, v3, v2, vcc_lo
	v_cndmask_b32_e64 v3, 0, 1, vcc_lo
	s_delay_alu instid0(VALU_DEP_1)
	v_lshrrev_b64 v[0:1], v3, v[0:1]
; %bb.3251:                             ;   in Loop: Header=BB6_136 Depth=3
	s_and_not1_saveexec_b32 s13, s13
; %bb.3252:                             ;   in Loop: Header=BB6_136 Depth=3
	s_delay_alu instid0(VALU_DEP_1)
	v_bfe_u32 v2, v0, 23, 1
; %bb.3253:                             ;   in Loop: Header=BB6_136 Depth=3
	s_or_b32 exec_lo, exec_lo, s13
	s_delay_alu instid0(VALU_DEP_2) | instskip(NEXT) | instid1(VALU_DEP_2)
	v_lshrrev_b64 v[0:1], 21, v[0:1]
	v_cmp_gt_i32_e32 vcc_lo, 32, v2
	v_min_i32_e32 v3, 31, v2
	v_cmp_eq_u32_e64 s13, 0, v2
	s_delay_alu instid0(VALU_DEP_2) | instskip(SKIP_1) | instid1(VALU_DEP_2)
	v_dual_cndmask_b32 v1, 0, v1, vcc_lo :: v_dual_lshlrev_b32 v3, 2, v3
	v_cndmask_b32_e32 v0, 3, v0, vcc_lo
	v_and_b32_e32 v3, 0xfc, v3
	s_delay_alu instid0(VALU_DEP_2) | instskip(NEXT) | instid1(VALU_DEP_2)
	v_cmp_eq_u64_e32 vcc_lo, 0, v[0:1]
	v_and_or_b32 v0, v0, 3, v3
	s_and_b32 s13, s13, vcc_lo
	s_delay_alu instid0(VALU_DEP_1) | instid1(SALU_CYCLE_1)
	v_cndmask_b32_e64 v0, v0, 0, s13
	s_delay_alu instid0(VALU_DEP_1)
	v_or_b32_e32 v26, v0, v4
.LBB6_3254:                             ;   in Loop: Header=BB6_136 Depth=3
	s_or_b32 exec_lo, exec_lo, s76
                                        ; implicit-def: $vgpr4
.LBB6_3255:                             ;   in Loop: Header=BB6_136 Depth=3
	s_and_not1_saveexec_b32 s13, s75
; %bb.3256:                             ;   in Loop: Header=BB6_136 Depth=3
	v_or_b32_e32 v26, 0x7b, v4
; %bb.3257:                             ;   in Loop: Header=BB6_136 Depth=3
	s_or_b32 exec_lo, exec_lo, s13
                                        ; implicit-def: $vgpr2
                                        ; implicit-def: $vgpr0_vgpr1
                                        ; implicit-def: $vgpr3
.LBB6_3258:                             ;   in Loop: Header=BB6_136 Depth=3
	s_and_not1_saveexec_b32 s13, s74
	s_cbranch_execz .LBB6_3264
; %bb.3259:                             ;   in Loop: Header=BB6_136 Depth=3
	s_mov_b32 s74, exec_lo
                                        ; implicit-def: $vgpr26
	v_cmpx_ne_u64_e32 0, v[0:1]
	s_xor_b32 s74, exec_lo, s74
; %bb.3260:                             ;   in Loop: Header=BB6_136 Depth=3
	v_or_b32_e32 v26, 0x7f, v3
                                        ; implicit-def: $vgpr2
; %bb.3261:                             ;   in Loop: Header=BB6_136 Depth=3
	s_and_not1_saveexec_b32 s74, s74
; %bb.3262:                             ;   in Loop: Header=BB6_136 Depth=3
	v_cmp_lt_i32_e32 vcc_lo, -1, v2
	v_mov_b32_e32 v0, 0x7c
	s_delay_alu instid0(VALU_DEP_1)
	v_cndmask_b32_e32 v26, 0xfc, v0, vcc_lo
; %bb.3263:                             ;   in Loop: Header=BB6_136 Depth=3
	s_or_b32 exec_lo, exec_lo, s74
.LBB6_3264:                             ;   in Loop: Header=BB6_136 Depth=3
	s_delay_alu instid0(SALU_CYCLE_1) | instskip(SKIP_1) | instid1(VALU_DEP_1)
	s_or_b32 exec_lo, exec_lo, s13
	v_and_b32_e32 v0, 0xff, v10
	v_cmp_ne_u16_e32 vcc_lo, 0, v0
	v_mov_b32_e32 v0, 0
	s_and_saveexec_b32 s74, vcc_lo
	s_cbranch_execz .LBB6_3274
; %bb.3265:                             ;   in Loop: Header=BB6_136 Depth=3
	v_bfe_i32 v2, v10, 0, 8
	v_bfrev_b32_e32 v0, 1
	s_mov_b32 s75, exec_lo
	s_delay_alu instid0(VALU_DEP_2)
	v_cmpx_ne_u16_e32 0xff80, v2
	s_cbranch_execz .LBB6_3273
; %bb.3266:                             ;   in Loop: Header=BB6_136 Depth=3
	v_and_b32_e32 v0, 0x7c, v10
	v_and_b32_e32 v1, 3, v10
	s_delay_alu instid0(VALU_DEP_2) | instskip(SKIP_1) | instid1(SALU_CYCLE_1)
	v_cmp_ne_u32_e32 vcc_lo, 0x7c, v0
                                        ; implicit-def: $vgpr0
	s_and_saveexec_b32 s13, vcc_lo
	s_xor_b32 s13, exec_lo, s13
	s_cbranch_execz .LBB6_3270
; %bb.3267:                             ;   in Loop: Header=BB6_136 Depth=3
	v_bfe_u32 v0, v10, 2, 5
	s_mov_b32 s76, exec_lo
	s_delay_alu instid0(VALU_DEP_1)
	v_cmpx_eq_u32_e32 0, v0
; %bb.3268:                             ;   in Loop: Header=BB6_136 Depth=3
	v_clz_i32_u32_e32 v0, v1
	s_delay_alu instid0(VALU_DEP_1) | instskip(NEXT) | instid1(VALU_DEP_1)
	v_min_u32_e32 v0, 32, v0
	v_subrev_nc_u32_e32 v1, 29, v0
	s_delay_alu instid0(VALU_DEP_1) | instskip(NEXT) | instid1(VALU_DEP_1)
	v_lshlrev_b64_e32 v[2:3], v1, v[10:11]
	v_dual_sub_nc_u32 v0, 30, v0 :: v_dual_bitop2_b32 v1, 3, v2 bitop3:0x40
; %bb.3269:                             ;   in Loop: Header=BB6_136 Depth=3
	s_or_b32 exec_lo, exec_lo, s76
	v_lshlrev_b32_e32 v2, 24, v10
	s_delay_alu instid0(VALU_DEP_1) | instskip(NEXT) | instid1(VALU_DEP_1)
	v_and_b32_e32 v2, 0x80000000, v2
	v_lshl_add_u32 v0, v0, 23, v2
                                        ; implicit-def: $vgpr2
	s_delay_alu instid0(VALU_DEP_1) | instskip(NEXT) | instid1(VALU_DEP_1)
	v_lshl_or_b32 v0, v1, 21, v0
                                        ; implicit-def: $vgpr1
	v_add_nc_u32_e32 v0, 0x38000000, v0
.LBB6_3270:                             ;   in Loop: Header=BB6_136 Depth=3
	s_and_not1_saveexec_b32 s76, s13
; %bb.3271:                             ;   in Loop: Header=BB6_136 Depth=3
	v_cmp_lt_i16_e64 s13, -1, v2
	v_mov_b32_e32 v0, 0x7f800000
	v_cmp_eq_u32_e32 vcc_lo, 0, v1
	s_delay_alu instid0(VALU_DEP_2) | instskip(NEXT) | instid1(VALU_DEP_1)
	v_cndmask_b32_e64 v0, 0xff800000, v0, s13
	v_cndmask_b32_e32 v0, 0x7f800001, v0, vcc_lo
; %bb.3272:                             ;   in Loop: Header=BB6_136 Depth=3
	s_or_b32 exec_lo, exec_lo, s76
.LBB6_3273:                             ;   in Loop: Header=BB6_136 Depth=3
	s_delay_alu instid0(SALU_CYCLE_1)
	s_or_b32 exec_lo, exec_lo, s75
.LBB6_3274:                             ;   in Loop: Header=BB6_136 Depth=3
	s_delay_alu instid0(SALU_CYCLE_1) | instskip(NEXT) | instid1(VALU_DEP_1)
	s_or_b32 exec_lo, exec_lo, s74
	v_dual_mul_f32 v2, s73, v0 :: v_dual_mov_b32 v5, v113
	v_mov_b32_e32 v1, v113
                                        ; implicit-def: $vgpr27
	s_mov_b32 s13, exec_lo
	s_delay_alu instid0(VALU_DEP_2) | instskip(SKIP_2) | instid1(VALU_DEP_3)
	v_and_b32_e32 v4, 0x7f800000, v2
	v_and_b32_e32 v0, 0x7fffff, v2
	v_lshrrev_b32_e32 v3, 24, v2
	v_cmpx_ne_u64_e32 0x7f800000, v[4:5]
	s_xor_b32 s74, exec_lo, s13
	s_cbranch_execz .LBB6_3288
; %bb.3275:                             ;   in Loop: Header=BB6_136 Depth=3
	v_and_b32_e32 v4, 0x7fffffff, v2
	v_mov_b32_e32 v5, v113
                                        ; implicit-def: $vgpr27
	s_delay_alu instid0(VALU_DEP_1) | instskip(SKIP_2) | instid1(SALU_CYCLE_1)
	v_cmp_gt_u64_e32 vcc_lo, 0x47600001, v[4:5]
	v_and_b32_e32 v4, 0x80, v3
	s_and_saveexec_b32 s13, vcc_lo
	s_xor_b32 s75, exec_lo, s13
	s_cbranch_execz .LBB6_3285
; %bb.3276:                             ;   in Loop: Header=BB6_136 Depth=3
	v_mov_b32_e32 v27, 0
	s_mov_b32 s76, exec_lo
	v_cmpx_ne_u32_e32 0, v2
	s_cbranch_execz .LBB6_3284
; %bb.3277:                             ;   in Loop: Header=BB6_136 Depth=3
	v_bfe_u32 v5, v2, 23, 8
	v_or_b32_e32 v3, 0x800000, v0
	s_delay_alu instid0(VALU_DEP_2) | instskip(SKIP_2) | instid1(VALU_DEP_2)
	v_cmp_gt_u32_e64 s13, 0x72, v5
	v_sub_nc_u32_e32 v2, 0x71, v5
	v_cmp_eq_u32_e32 vcc_lo, 0, v5
	v_dual_cndmask_b32 v2, 0, v2, s13 :: v_dual_cndmask_b32 v0, v3, v0, vcc_lo
	s_delay_alu instid0(VALU_DEP_1) | instskip(NEXT) | instid1(VALU_DEP_1)
	v_cndmask_b32_e64 v8, v2, 0x70, vcc_lo
	v_dual_add_nc_u32 v2, 21, v8 :: v_dual_add_nc_u32 v9, 20, v8
	s_delay_alu instid0(VALU_DEP_1) | instskip(NEXT) | instid1(VALU_DEP_2)
	v_lshlrev_b64_e64 v[2:3], v2, -1
	v_lshlrev_b64_e64 v[28:29], v9, 1
	s_delay_alu instid0(VALU_DEP_2) | instskip(SKIP_1) | instid1(VALU_DEP_4)
	v_bfi_b32 v2, v2, 0, v0
	v_lshrrev_b64 v[0:1], v8, v[0:1]
	v_bfi_b32 v3, v3, 0, 0
	s_delay_alu instid0(VALU_DEP_1) | instskip(NEXT) | instid1(VALU_DEP_3)
	v_cmp_eq_u64_e64 s13, v[2:3], v[28:29]
	v_mov_b64_e32 v[2:3], v[0:1]
	s_and_saveexec_b32 s77, s13
; %bb.3278:                             ;   in Loop: Header=BB6_136 Depth=3
	v_bfe_u32 v2, v0, 21, 1
	v_mov_b32_e32 v3, v113
	s_delay_alu instid0(VALU_DEP_1) | instskip(NEXT) | instid1(VALU_DEP_1)
	v_add_nc_u64_e32 v[2:3], v[0:1], v[2:3]
	v_add_nc_u64_e32 v[2:3], -1, v[2:3]
; %bb.3279:                             ;   in Loop: Header=BB6_136 Depth=3
	s_or_b32 exec_lo, exec_lo, s77
	v_add_nc_u32_e32 v1, 0xffffff81, v5
	v_lshrrev_b32_e32 v3, 23, v0
	s_mov_b32 s13, exec_lo
	s_delay_alu instid0(VALU_DEP_2) | instskip(NEXT) | instid1(VALU_DEP_1)
	v_cndmask_b32_e64 v1, v1, 0xffffff82, vcc_lo
	v_add3_u32 v5, v8, v1, v3
	v_and_b32_e32 v1, 0x1fffff, v2
                                        ; implicit-def: $vgpr2
	s_delay_alu instid0(VALU_DEP_1) | instskip(SKIP_1) | instid1(VALU_DEP_2)
	v_dual_add_nc_u32 v3, 14, v5 :: v_dual_add_nc_u32 v0, v1, v0
	v_mov_b32_e32 v1, v113
	v_cmpx_ne_u32_e32 0, v3
	s_xor_b32 s13, exec_lo, s13
; %bb.3280:                             ;   in Loop: Header=BB6_136 Depth=3
	s_delay_alu instid0(VALU_DEP_2) | instskip(SKIP_1) | instid1(VALU_DEP_1)
	v_cmp_lt_u64_e32 vcc_lo, 0xffffff, v[0:1]
	v_add_nc_u32_e32 v2, 15, v5
	v_cndmask_b32_e32 v2, v3, v2, vcc_lo
	v_cndmask_b32_e64 v3, 0, 1, vcc_lo
	s_delay_alu instid0(VALU_DEP_1)
	v_lshrrev_b64 v[0:1], v3, v[0:1]
; %bb.3281:                             ;   in Loop: Header=BB6_136 Depth=3
	s_and_not1_saveexec_b32 s13, s13
; %bb.3282:                             ;   in Loop: Header=BB6_136 Depth=3
	s_delay_alu instid0(VALU_DEP_1)
	v_bfe_u32 v2, v0, 23, 1
; %bb.3283:                             ;   in Loop: Header=BB6_136 Depth=3
	s_or_b32 exec_lo, exec_lo, s13
	s_delay_alu instid0(VALU_DEP_2) | instskip(NEXT) | instid1(VALU_DEP_2)
	v_lshrrev_b64 v[0:1], 21, v[0:1]
	v_cmp_gt_i32_e32 vcc_lo, 32, v2
	v_min_i32_e32 v3, 31, v2
	v_cmp_eq_u32_e64 s13, 0, v2
	s_delay_alu instid0(VALU_DEP_2) | instskip(SKIP_1) | instid1(VALU_DEP_2)
	v_dual_cndmask_b32 v1, 0, v1, vcc_lo :: v_dual_lshlrev_b32 v3, 2, v3
	v_cndmask_b32_e32 v0, 3, v0, vcc_lo
	v_and_b32_e32 v3, 0xfc, v3
	s_delay_alu instid0(VALU_DEP_2) | instskip(NEXT) | instid1(VALU_DEP_2)
	v_cmp_eq_u64_e32 vcc_lo, 0, v[0:1]
	v_and_or_b32 v0, v0, 3, v3
	s_and_b32 s13, s13, vcc_lo
	s_delay_alu instid0(VALU_DEP_1) | instid1(SALU_CYCLE_1)
	v_cndmask_b32_e64 v0, v0, 0, s13
	s_delay_alu instid0(VALU_DEP_1)
	v_or_b32_e32 v27, v0, v4
.LBB6_3284:                             ;   in Loop: Header=BB6_136 Depth=3
	s_or_b32 exec_lo, exec_lo, s76
                                        ; implicit-def: $vgpr4
.LBB6_3285:                             ;   in Loop: Header=BB6_136 Depth=3
	s_and_not1_saveexec_b32 s13, s75
; %bb.3286:                             ;   in Loop: Header=BB6_136 Depth=3
	v_or_b32_e32 v27, 0x7b, v4
; %bb.3287:                             ;   in Loop: Header=BB6_136 Depth=3
	s_or_b32 exec_lo, exec_lo, s13
                                        ; implicit-def: $vgpr2
                                        ; implicit-def: $vgpr0_vgpr1
                                        ; implicit-def: $vgpr3
.LBB6_3288:                             ;   in Loop: Header=BB6_136 Depth=3
	s_and_not1_saveexec_b32 s13, s74
	s_cbranch_execz .LBB6_3294
; %bb.3289:                             ;   in Loop: Header=BB6_136 Depth=3
	s_mov_b32 s74, exec_lo
                                        ; implicit-def: $vgpr27
	v_cmpx_ne_u64_e32 0, v[0:1]
	s_xor_b32 s74, exec_lo, s74
; %bb.3290:                             ;   in Loop: Header=BB6_136 Depth=3
	v_or_b32_e32 v27, 0x7f, v3
                                        ; implicit-def: $vgpr2
; %bb.3291:                             ;   in Loop: Header=BB6_136 Depth=3
	s_and_not1_saveexec_b32 s74, s74
; %bb.3292:                             ;   in Loop: Header=BB6_136 Depth=3
	v_cmp_lt_i32_e32 vcc_lo, -1, v2
	v_mov_b32_e32 v0, 0x7c
	s_delay_alu instid0(VALU_DEP_1)
	v_cndmask_b32_e32 v27, 0xfc, v0, vcc_lo
; %bb.3293:                             ;   in Loop: Header=BB6_136 Depth=3
	s_or_b32 exec_lo, exec_lo, s74
.LBB6_3294:                             ;   in Loop: Header=BB6_136 Depth=3
	s_delay_alu instid0(SALU_CYCLE_1) | instskip(SKIP_3) | instid1(VALU_DEP_2)
	s_or_b32 exec_lo, exec_lo, s13
	v_lshrrev_b16 v0, 8, v10
	v_mov_b32_e32 v1, 0
	s_mov_b32 s74, exec_lo
	v_cmpx_ne_u16_e32 0, v0
	s_cbranch_execz .LBB6_3304
; %bb.3295:                             ;   in Loop: Header=BB6_136 Depth=3
	v_bfrev_b32_e32 v1, 1
	s_mov_b32 s75, exec_lo
	v_cmpx_ne_u16_e32 0x80, v0
	s_cbranch_execz .LBB6_3303
; %bb.3296:                             ;   in Loop: Header=BB6_136 Depth=3
	v_and_b32_e32 v3, 0xffff, v0
	s_delay_alu instid0(VALU_DEP_1) | instskip(SKIP_1) | instid1(VALU_DEP_2)
	v_and_b32_e32 v1, 0x7c, v3
	v_and_b32_e32 v2, 3, v3
	v_cmp_ne_u32_e32 vcc_lo, 0x7c, v1
                                        ; implicit-def: $vgpr1
	s_and_saveexec_b32 s13, vcc_lo
	s_delay_alu instid0(SALU_CYCLE_1)
	s_xor_b32 s13, exec_lo, s13
	s_cbranch_execz .LBB6_3300
; %bb.3297:                             ;   in Loop: Header=BB6_136 Depth=3
	v_bfe_u32 v1, v3, 2, 5
	s_mov_b32 s76, exec_lo
	s_delay_alu instid0(VALU_DEP_1)
	v_cmpx_eq_u32_e32 0, v1
; %bb.3298:                             ;   in Loop: Header=BB6_136 Depth=3
	v_clz_i32_u32_e32 v1, v2
	s_delay_alu instid0(VALU_DEP_1) | instskip(SKIP_1) | instid1(VALU_DEP_2)
	v_min_u32_e32 v2, 32, v1
	v_mov_b32_e32 v1, v113
	v_subrev_nc_u32_e32 v3, 29, v2
	s_delay_alu instid0(VALU_DEP_1) | instskip(NEXT) | instid1(VALU_DEP_1)
	v_lshlrev_b64_e32 v[0:1], v3, v[0:1]
	v_dual_sub_nc_u32 v1, 30, v2 :: v_dual_bitop2_b32 v2, 3, v0 bitop3:0x40
; %bb.3299:                             ;   in Loop: Header=BB6_136 Depth=3
	s_or_b32 exec_lo, exec_lo, s76
	v_lshlrev_b32_e32 v0, 16, v10
	s_delay_alu instid0(VALU_DEP_1) | instskip(NEXT) | instid1(VALU_DEP_1)
	v_and_b32_e32 v0, 0x80000000, v0
	v_lshl_add_u32 v0, v1, 23, v0
	s_delay_alu instid0(VALU_DEP_1) | instskip(NEXT) | instid1(VALU_DEP_1)
	v_lshl_or_b32 v0, v2, 21, v0
                                        ; implicit-def: $vgpr2
	v_add_nc_u32_e32 v1, 0x38000000, v0
.LBB6_3300:                             ;   in Loop: Header=BB6_136 Depth=3
	s_and_not1_saveexec_b32 s76, s13
; %bb.3301:                             ;   in Loop: Header=BB6_136 Depth=3
	v_cmp_lt_i16_e64 s13, -1, v10
	v_mov_b32_e32 v0, 0x7f800000
	v_cmp_eq_u32_e32 vcc_lo, 0, v2
	s_delay_alu instid0(VALU_DEP_2) | instskip(NEXT) | instid1(VALU_DEP_1)
	v_cndmask_b32_e64 v0, 0xff800000, v0, s13
	v_cndmask_b32_e32 v1, 0x7f800001, v0, vcc_lo
; %bb.3302:                             ;   in Loop: Header=BB6_136 Depth=3
	s_or_b32 exec_lo, exec_lo, s76
.LBB6_3303:                             ;   in Loop: Header=BB6_136 Depth=3
	s_delay_alu instid0(SALU_CYCLE_1)
	s_or_b32 exec_lo, exec_lo, s75
.LBB6_3304:                             ;   in Loop: Header=BB6_136 Depth=3
	s_delay_alu instid0(SALU_CYCLE_1) | instskip(NEXT) | instid1(VALU_DEP_1)
	s_or_b32 exec_lo, exec_lo, s74
	v_dual_mul_f32 v2, s73, v1 :: v_dual_mov_b32 v5, v113
	v_mov_b32_e32 v1, v113
                                        ; implicit-def: $vgpr28
	s_mov_b32 s13, exec_lo
	s_delay_alu instid0(VALU_DEP_2) | instskip(SKIP_2) | instid1(VALU_DEP_3)
	v_and_b32_e32 v4, 0x7f800000, v2
	v_and_b32_e32 v0, 0x7fffff, v2
	v_lshrrev_b32_e32 v3, 24, v2
	v_cmpx_ne_u64_e32 0x7f800000, v[4:5]
	s_xor_b32 s74, exec_lo, s13
	s_cbranch_execz .LBB6_3318
; %bb.3305:                             ;   in Loop: Header=BB6_136 Depth=3
	v_and_b32_e32 v4, 0x7fffffff, v2
	v_mov_b32_e32 v5, v113
                                        ; implicit-def: $vgpr28
	s_delay_alu instid0(VALU_DEP_1) | instskip(SKIP_2) | instid1(SALU_CYCLE_1)
	v_cmp_gt_u64_e32 vcc_lo, 0x47600001, v[4:5]
	v_and_b32_e32 v4, 0x80, v3
	s_and_saveexec_b32 s13, vcc_lo
	s_xor_b32 s75, exec_lo, s13
	s_cbranch_execz .LBB6_3315
; %bb.3306:                             ;   in Loop: Header=BB6_136 Depth=3
	v_mov_b32_e32 v28, 0
	s_mov_b32 s76, exec_lo
	v_cmpx_ne_u32_e32 0, v2
	s_cbranch_execz .LBB6_3314
; %bb.3307:                             ;   in Loop: Header=BB6_136 Depth=3
	v_bfe_u32 v5, v2, 23, 8
	v_or_b32_e32 v3, 0x800000, v0
	s_delay_alu instid0(VALU_DEP_2) | instskip(SKIP_2) | instid1(VALU_DEP_2)
	v_cmp_gt_u32_e64 s13, 0x72, v5
	v_sub_nc_u32_e32 v2, 0x71, v5
	v_cmp_eq_u32_e32 vcc_lo, 0, v5
	v_dual_cndmask_b32 v2, 0, v2, s13 :: v_dual_cndmask_b32 v0, v3, v0, vcc_lo
	s_delay_alu instid0(VALU_DEP_1) | instskip(NEXT) | instid1(VALU_DEP_1)
	v_cndmask_b32_e64 v8, v2, 0x70, vcc_lo
	v_dual_add_nc_u32 v2, 21, v8 :: v_dual_add_nc_u32 v9, 20, v8
	s_delay_alu instid0(VALU_DEP_1) | instskip(NEXT) | instid1(VALU_DEP_2)
	v_lshlrev_b64_e64 v[2:3], v2, -1
	v_lshlrev_b64_e64 v[28:29], v9, 1
	s_delay_alu instid0(VALU_DEP_2) | instskip(SKIP_1) | instid1(VALU_DEP_4)
	v_bfi_b32 v2, v2, 0, v0
	v_lshrrev_b64 v[0:1], v8, v[0:1]
	v_bfi_b32 v3, v3, 0, 0
	s_delay_alu instid0(VALU_DEP_1) | instskip(NEXT) | instid1(VALU_DEP_3)
	v_cmp_eq_u64_e64 s13, v[2:3], v[28:29]
	v_mov_b64_e32 v[2:3], v[0:1]
	s_and_saveexec_b32 s77, s13
; %bb.3308:                             ;   in Loop: Header=BB6_136 Depth=3
	v_bfe_u32 v2, v0, 21, 1
	v_mov_b32_e32 v3, v113
	s_delay_alu instid0(VALU_DEP_1) | instskip(NEXT) | instid1(VALU_DEP_1)
	v_add_nc_u64_e32 v[2:3], v[0:1], v[2:3]
	v_add_nc_u64_e32 v[2:3], -1, v[2:3]
; %bb.3309:                             ;   in Loop: Header=BB6_136 Depth=3
	s_or_b32 exec_lo, exec_lo, s77
	v_add_nc_u32_e32 v1, 0xffffff81, v5
	v_lshrrev_b32_e32 v3, 23, v0
	s_mov_b32 s13, exec_lo
	s_delay_alu instid0(VALU_DEP_2) | instskip(NEXT) | instid1(VALU_DEP_1)
	v_cndmask_b32_e64 v1, v1, 0xffffff82, vcc_lo
	v_add3_u32 v5, v8, v1, v3
	v_and_b32_e32 v1, 0x1fffff, v2
                                        ; implicit-def: $vgpr2
	s_delay_alu instid0(VALU_DEP_1) | instskip(SKIP_1) | instid1(VALU_DEP_2)
	v_dual_add_nc_u32 v3, 14, v5 :: v_dual_add_nc_u32 v0, v1, v0
	v_mov_b32_e32 v1, v113
	v_cmpx_ne_u32_e32 0, v3
	s_xor_b32 s13, exec_lo, s13
; %bb.3310:                             ;   in Loop: Header=BB6_136 Depth=3
	s_delay_alu instid0(VALU_DEP_2) | instskip(SKIP_1) | instid1(VALU_DEP_1)
	v_cmp_lt_u64_e32 vcc_lo, 0xffffff, v[0:1]
	v_add_nc_u32_e32 v2, 15, v5
	v_cndmask_b32_e32 v2, v3, v2, vcc_lo
	v_cndmask_b32_e64 v3, 0, 1, vcc_lo
	s_delay_alu instid0(VALU_DEP_1)
	v_lshrrev_b64 v[0:1], v3, v[0:1]
; %bb.3311:                             ;   in Loop: Header=BB6_136 Depth=3
	s_and_not1_saveexec_b32 s13, s13
; %bb.3312:                             ;   in Loop: Header=BB6_136 Depth=3
	s_delay_alu instid0(VALU_DEP_1)
	v_bfe_u32 v2, v0, 23, 1
; %bb.3313:                             ;   in Loop: Header=BB6_136 Depth=3
	s_or_b32 exec_lo, exec_lo, s13
	s_delay_alu instid0(VALU_DEP_2) | instskip(NEXT) | instid1(VALU_DEP_2)
	v_lshrrev_b64 v[0:1], 21, v[0:1]
	v_cmp_gt_i32_e32 vcc_lo, 32, v2
	v_min_i32_e32 v3, 31, v2
	v_cmp_eq_u32_e64 s13, 0, v2
	s_delay_alu instid0(VALU_DEP_2) | instskip(SKIP_1) | instid1(VALU_DEP_2)
	v_dual_cndmask_b32 v1, 0, v1, vcc_lo :: v_dual_lshlrev_b32 v3, 2, v3
	v_cndmask_b32_e32 v0, 3, v0, vcc_lo
	v_and_b32_e32 v3, 0xfc, v3
	s_delay_alu instid0(VALU_DEP_2) | instskip(NEXT) | instid1(VALU_DEP_2)
	v_cmp_eq_u64_e32 vcc_lo, 0, v[0:1]
	v_and_or_b32 v0, v0, 3, v3
	s_and_b32 s13, s13, vcc_lo
	s_delay_alu instid0(VALU_DEP_1) | instid1(SALU_CYCLE_1)
	v_cndmask_b32_e64 v0, v0, 0, s13
	s_delay_alu instid0(VALU_DEP_1)
	v_or_b32_e32 v28, v0, v4
.LBB6_3314:                             ;   in Loop: Header=BB6_136 Depth=3
	s_or_b32 exec_lo, exec_lo, s76
                                        ; implicit-def: $vgpr4
.LBB6_3315:                             ;   in Loop: Header=BB6_136 Depth=3
	s_and_not1_saveexec_b32 s13, s75
; %bb.3316:                             ;   in Loop: Header=BB6_136 Depth=3
	v_or_b32_e32 v28, 0x7b, v4
; %bb.3317:                             ;   in Loop: Header=BB6_136 Depth=3
	s_or_b32 exec_lo, exec_lo, s13
                                        ; implicit-def: $vgpr2
                                        ; implicit-def: $vgpr0_vgpr1
                                        ; implicit-def: $vgpr3
.LBB6_3318:                             ;   in Loop: Header=BB6_136 Depth=3
	s_and_not1_saveexec_b32 s13, s74
	s_cbranch_execz .LBB6_3324
; %bb.3319:                             ;   in Loop: Header=BB6_136 Depth=3
	s_mov_b32 s74, exec_lo
                                        ; implicit-def: $vgpr28
	v_cmpx_ne_u64_e32 0, v[0:1]
	s_xor_b32 s74, exec_lo, s74
; %bb.3320:                             ;   in Loop: Header=BB6_136 Depth=3
	v_or_b32_e32 v28, 0x7f, v3
                                        ; implicit-def: $vgpr2
; %bb.3321:                             ;   in Loop: Header=BB6_136 Depth=3
	s_and_not1_saveexec_b32 s74, s74
; %bb.3322:                             ;   in Loop: Header=BB6_136 Depth=3
	v_cmp_lt_i32_e32 vcc_lo, -1, v2
	v_mov_b32_e32 v0, 0x7c
	s_delay_alu instid0(VALU_DEP_1)
	v_cndmask_b32_e32 v28, 0xfc, v0, vcc_lo
; %bb.3323:                             ;   in Loop: Header=BB6_136 Depth=3
	s_or_b32 exec_lo, exec_lo, s74
.LBB6_3324:                             ;   in Loop: Header=BB6_136 Depth=3
	s_delay_alu instid0(SALU_CYCLE_1) | instskip(SKIP_2) | instid1(VALU_DEP_1)
	s_or_b32 exec_lo, exec_lo, s13
	v_dual_mov_b32 v1, 0 :: v_dual_lshrrev_b32 v0, 16, v10
	s_mov_b32 s74, exec_lo
	v_and_b32_e32 v2, 0xff, v0
	s_delay_alu instid0(VALU_DEP_1)
	v_cmpx_ne_u16_e32 0, v2
	s_cbranch_execz .LBB6_3334
; %bb.3325:                             ;   in Loop: Header=BB6_136 Depth=3
	v_bfrev_b32_e32 v1, 1
	s_mov_b32 s75, exec_lo
	v_cmpx_ne_u16_e32 0x80, v2
	s_cbranch_execz .LBB6_3333
; %bb.3326:                             ;   in Loop: Header=BB6_136 Depth=3
	v_and_b32_e32 v1, 0x7c0000, v10
	v_bfe_u32 v2, v10, 16, 2
	s_delay_alu instid0(VALU_DEP_2) | instskip(SKIP_1) | instid1(SALU_CYCLE_1)
	v_cmp_ne_u32_e32 vcc_lo, 0x7c0000, v1
                                        ; implicit-def: $vgpr1
	s_and_saveexec_b32 s13, vcc_lo
	s_xor_b32 s13, exec_lo, s13
	s_cbranch_execz .LBB6_3330
; %bb.3327:                             ;   in Loop: Header=BB6_136 Depth=3
	v_bfe_u32 v1, v10, 18, 5
	s_mov_b32 s76, exec_lo
	s_delay_alu instid0(VALU_DEP_1)
	v_cmpx_eq_u32_e32 0, v1
; %bb.3328:                             ;   in Loop: Header=BB6_136 Depth=3
	v_clz_i32_u32_e32 v1, v2
	s_delay_alu instid0(VALU_DEP_1) | instskip(NEXT) | instid1(VALU_DEP_1)
	v_min_u32_e32 v1, 32, v1
	v_subrev_nc_u32_e32 v2, 29, v1
	s_delay_alu instid0(VALU_DEP_1) | instskip(NEXT) | instid1(VALU_DEP_1)
	v_lshlrev_b64_e32 v[2:3], v2, v[0:1]
	v_dual_sub_nc_u32 v1, 30, v1 :: v_dual_bitop2_b32 v2, 3, v2 bitop3:0x40
; %bb.3329:                             ;   in Loop: Header=BB6_136 Depth=3
	s_or_b32 exec_lo, exec_lo, s76
	v_lshlrev_b32_e32 v0, 24, v0
	s_delay_alu instid0(VALU_DEP_1) | instskip(NEXT) | instid1(VALU_DEP_1)
	v_and_b32_e32 v0, 0x80000000, v0
	v_lshl_add_u32 v0, v1, 23, v0
	s_delay_alu instid0(VALU_DEP_1) | instskip(NEXT) | instid1(VALU_DEP_1)
	v_lshl_or_b32 v0, v2, 21, v0
                                        ; implicit-def: $vgpr2
	v_add_nc_u32_e32 v1, 0x38000000, v0
                                        ; implicit-def: $vgpr0
.LBB6_3330:                             ;   in Loop: Header=BB6_136 Depth=3
	s_and_not1_saveexec_b32 s76, s13
; %bb.3331:                             ;   in Loop: Header=BB6_136 Depth=3
	v_bfe_i32 v0, v0, 0, 8
	v_cmp_eq_u32_e32 vcc_lo, 0, v2
	s_delay_alu instid0(VALU_DEP_2) | instskip(SKIP_1) | instid1(VALU_DEP_1)
	v_cmp_lt_i16_e64 s13, -1, v0
	v_mov_b32_e32 v0, 0x7f800000
	v_cndmask_b32_e64 v0, 0xff800000, v0, s13
	s_delay_alu instid0(VALU_DEP_1)
	v_cndmask_b32_e32 v1, 0x7f800001, v0, vcc_lo
; %bb.3332:                             ;   in Loop: Header=BB6_136 Depth=3
	s_or_b32 exec_lo, exec_lo, s76
.LBB6_3333:                             ;   in Loop: Header=BB6_136 Depth=3
	s_delay_alu instid0(SALU_CYCLE_1)
	s_or_b32 exec_lo, exec_lo, s75
.LBB6_3334:                             ;   in Loop: Header=BB6_136 Depth=3
	s_delay_alu instid0(SALU_CYCLE_1) | instskip(NEXT) | instid1(VALU_DEP_1)
	s_or_b32 exec_lo, exec_lo, s74
	v_dual_mul_f32 v2, s73, v1 :: v_dual_mov_b32 v5, v113
	v_mov_b32_e32 v1, v113
                                        ; implicit-def: $vgpr29
	s_mov_b32 s13, exec_lo
	s_delay_alu instid0(VALU_DEP_2) | instskip(SKIP_2) | instid1(VALU_DEP_3)
	v_and_b32_e32 v4, 0x7f800000, v2
	v_and_b32_e32 v0, 0x7fffff, v2
	v_lshrrev_b32_e32 v3, 24, v2
	v_cmpx_ne_u64_e32 0x7f800000, v[4:5]
	s_xor_b32 s74, exec_lo, s13
	s_cbranch_execz .LBB6_3348
; %bb.3335:                             ;   in Loop: Header=BB6_136 Depth=3
	v_and_b32_e32 v4, 0x7fffffff, v2
	v_mov_b32_e32 v5, v113
                                        ; implicit-def: $vgpr29
	s_delay_alu instid0(VALU_DEP_1) | instskip(SKIP_2) | instid1(SALU_CYCLE_1)
	v_cmp_gt_u64_e32 vcc_lo, 0x47600001, v[4:5]
	v_and_b32_e32 v4, 0x80, v3
	s_and_saveexec_b32 s13, vcc_lo
	s_xor_b32 s75, exec_lo, s13
	s_cbranch_execz .LBB6_3345
; %bb.3336:                             ;   in Loop: Header=BB6_136 Depth=3
	v_mov_b32_e32 v29, 0
	s_mov_b32 s76, exec_lo
	v_cmpx_ne_u32_e32 0, v2
	s_cbranch_execz .LBB6_3344
; %bb.3337:                             ;   in Loop: Header=BB6_136 Depth=3
	v_bfe_u32 v5, v2, 23, 8
	v_or_b32_e32 v3, 0x800000, v0
	s_delay_alu instid0(VALU_DEP_2) | instskip(SKIP_2) | instid1(VALU_DEP_2)
	v_cmp_gt_u32_e64 s13, 0x72, v5
	v_sub_nc_u32_e32 v2, 0x71, v5
	v_cmp_eq_u32_e32 vcc_lo, 0, v5
	v_dual_cndmask_b32 v2, 0, v2, s13 :: v_dual_cndmask_b32 v0, v3, v0, vcc_lo
	s_delay_alu instid0(VALU_DEP_1) | instskip(NEXT) | instid1(VALU_DEP_1)
	v_cndmask_b32_e64 v8, v2, 0x70, vcc_lo
	v_dual_add_nc_u32 v2, 21, v8 :: v_dual_add_nc_u32 v9, 20, v8
	s_delay_alu instid0(VALU_DEP_1) | instskip(NEXT) | instid1(VALU_DEP_2)
	v_lshlrev_b64_e64 v[2:3], v2, -1
	v_lshlrev_b64_e64 v[30:31], v9, 1
	s_delay_alu instid0(VALU_DEP_2) | instskip(SKIP_1) | instid1(VALU_DEP_4)
	v_bfi_b32 v2, v2, 0, v0
	v_lshrrev_b64 v[0:1], v8, v[0:1]
	v_bfi_b32 v3, v3, 0, 0
	s_delay_alu instid0(VALU_DEP_1) | instskip(NEXT) | instid1(VALU_DEP_3)
	v_cmp_eq_u64_e64 s13, v[2:3], v[30:31]
	v_mov_b64_e32 v[2:3], v[0:1]
	s_and_saveexec_b32 s77, s13
; %bb.3338:                             ;   in Loop: Header=BB6_136 Depth=3
	v_bfe_u32 v2, v0, 21, 1
	v_mov_b32_e32 v3, v113
	s_delay_alu instid0(VALU_DEP_1) | instskip(NEXT) | instid1(VALU_DEP_1)
	v_add_nc_u64_e32 v[2:3], v[0:1], v[2:3]
	v_add_nc_u64_e32 v[2:3], -1, v[2:3]
; %bb.3339:                             ;   in Loop: Header=BB6_136 Depth=3
	s_or_b32 exec_lo, exec_lo, s77
	v_add_nc_u32_e32 v1, 0xffffff81, v5
	v_lshrrev_b32_e32 v3, 23, v0
	s_mov_b32 s13, exec_lo
	s_delay_alu instid0(VALU_DEP_2) | instskip(NEXT) | instid1(VALU_DEP_1)
	v_cndmask_b32_e64 v1, v1, 0xffffff82, vcc_lo
	v_add3_u32 v5, v8, v1, v3
	v_and_b32_e32 v1, 0x1fffff, v2
                                        ; implicit-def: $vgpr2
	s_delay_alu instid0(VALU_DEP_1) | instskip(SKIP_1) | instid1(VALU_DEP_2)
	v_dual_add_nc_u32 v3, 14, v5 :: v_dual_add_nc_u32 v0, v1, v0
	v_mov_b32_e32 v1, v113
	v_cmpx_ne_u32_e32 0, v3
	s_xor_b32 s13, exec_lo, s13
; %bb.3340:                             ;   in Loop: Header=BB6_136 Depth=3
	s_delay_alu instid0(VALU_DEP_2) | instskip(SKIP_1) | instid1(VALU_DEP_1)
	v_cmp_lt_u64_e32 vcc_lo, 0xffffff, v[0:1]
	v_add_nc_u32_e32 v2, 15, v5
	v_cndmask_b32_e32 v2, v3, v2, vcc_lo
	v_cndmask_b32_e64 v3, 0, 1, vcc_lo
	s_delay_alu instid0(VALU_DEP_1)
	v_lshrrev_b64 v[0:1], v3, v[0:1]
; %bb.3341:                             ;   in Loop: Header=BB6_136 Depth=3
	s_and_not1_saveexec_b32 s13, s13
; %bb.3342:                             ;   in Loop: Header=BB6_136 Depth=3
	s_delay_alu instid0(VALU_DEP_1)
	v_bfe_u32 v2, v0, 23, 1
; %bb.3343:                             ;   in Loop: Header=BB6_136 Depth=3
	s_or_b32 exec_lo, exec_lo, s13
	s_delay_alu instid0(VALU_DEP_2) | instskip(NEXT) | instid1(VALU_DEP_2)
	v_lshrrev_b64 v[0:1], 21, v[0:1]
	v_cmp_gt_i32_e32 vcc_lo, 32, v2
	v_min_i32_e32 v3, 31, v2
	v_cmp_eq_u32_e64 s13, 0, v2
	s_delay_alu instid0(VALU_DEP_2) | instskip(SKIP_1) | instid1(VALU_DEP_2)
	v_dual_cndmask_b32 v1, 0, v1, vcc_lo :: v_dual_lshlrev_b32 v3, 2, v3
	v_cndmask_b32_e32 v0, 3, v0, vcc_lo
	v_and_b32_e32 v3, 0xfc, v3
	s_delay_alu instid0(VALU_DEP_2) | instskip(NEXT) | instid1(VALU_DEP_2)
	v_cmp_eq_u64_e32 vcc_lo, 0, v[0:1]
	v_and_or_b32 v0, v0, 3, v3
	s_and_b32 s13, s13, vcc_lo
	s_delay_alu instid0(VALU_DEP_1) | instid1(SALU_CYCLE_1)
	v_cndmask_b32_e64 v0, v0, 0, s13
	s_delay_alu instid0(VALU_DEP_1)
	v_or_b32_e32 v29, v0, v4
.LBB6_3344:                             ;   in Loop: Header=BB6_136 Depth=3
	s_or_b32 exec_lo, exec_lo, s76
                                        ; implicit-def: $vgpr4
.LBB6_3345:                             ;   in Loop: Header=BB6_136 Depth=3
	s_and_not1_saveexec_b32 s13, s75
; %bb.3346:                             ;   in Loop: Header=BB6_136 Depth=3
	v_or_b32_e32 v29, 0x7b, v4
; %bb.3347:                             ;   in Loop: Header=BB6_136 Depth=3
	s_or_b32 exec_lo, exec_lo, s13
                                        ; implicit-def: $vgpr2
                                        ; implicit-def: $vgpr0_vgpr1
                                        ; implicit-def: $vgpr3
.LBB6_3348:                             ;   in Loop: Header=BB6_136 Depth=3
	s_and_not1_saveexec_b32 s13, s74
	s_cbranch_execz .LBB6_3354
; %bb.3349:                             ;   in Loop: Header=BB6_136 Depth=3
	s_mov_b32 s74, exec_lo
                                        ; implicit-def: $vgpr29
	v_cmpx_ne_u64_e32 0, v[0:1]
	s_xor_b32 s74, exec_lo, s74
; %bb.3350:                             ;   in Loop: Header=BB6_136 Depth=3
	v_or_b32_e32 v29, 0x7f, v3
                                        ; implicit-def: $vgpr2
; %bb.3351:                             ;   in Loop: Header=BB6_136 Depth=3
	s_and_not1_saveexec_b32 s74, s74
; %bb.3352:                             ;   in Loop: Header=BB6_136 Depth=3
	v_cmp_lt_i32_e32 vcc_lo, -1, v2
	v_mov_b32_e32 v0, 0x7c
	s_delay_alu instid0(VALU_DEP_1)
	v_cndmask_b32_e32 v29, 0xfc, v0, vcc_lo
; %bb.3353:                             ;   in Loop: Header=BB6_136 Depth=3
	s_or_b32 exec_lo, exec_lo, s74
.LBB6_3354:                             ;   in Loop: Header=BB6_136 Depth=3
	s_delay_alu instid0(SALU_CYCLE_1)
	s_or_b32 exec_lo, exec_lo, s13
	v_mov_b32_e32 v1, 0
	s_mov_b32 s74, exec_lo
	v_cmpx_lt_u32_e32 0xffffff, v10
	s_cbranch_execz .LBB6_3364
; %bb.3355:                             ;   in Loop: Header=BB6_136 Depth=3
	v_lshrrev_b32_e32 v0, 24, v10
	v_bfrev_b32_e32 v1, 1
	s_mov_b32 s75, exec_lo
	s_delay_alu instid0(VALU_DEP_2)
	v_cmpx_ne_u32_e32 0x80, v0
	s_cbranch_execz .LBB6_3363
; %bb.3356:                             ;   in Loop: Header=BB6_136 Depth=3
	v_and_b32_e32 v1, 0x7c000000, v10
	v_bfe_u32 v2, v10, 24, 2
	s_delay_alu instid0(VALU_DEP_2) | instskip(SKIP_1) | instid1(SALU_CYCLE_1)
	v_cmp_ne_u32_e32 vcc_lo, 0x7c000000, v1
                                        ; implicit-def: $vgpr1
	s_and_saveexec_b32 s13, vcc_lo
	s_xor_b32 s13, exec_lo, s13
	s_cbranch_execz .LBB6_3360
; %bb.3357:                             ;   in Loop: Header=BB6_136 Depth=3
	v_bfe_u32 v1, v10, 26, 5
	s_mov_b32 s76, exec_lo
	s_delay_alu instid0(VALU_DEP_1)
	v_cmpx_eq_u32_e32 0, v1
; %bb.3358:                             ;   in Loop: Header=BB6_136 Depth=3
	v_clz_i32_u32_e32 v1, v2
	s_delay_alu instid0(VALU_DEP_1) | instskip(NEXT) | instid1(VALU_DEP_1)
	v_min_u32_e32 v2, 32, v1
	v_subrev_nc_u32_e32 v1, 29, v2
	s_delay_alu instid0(VALU_DEP_1) | instskip(NEXT) | instid1(VALU_DEP_1)
	v_lshlrev_b64_e32 v[0:1], v1, v[0:1]
	v_dual_sub_nc_u32 v1, 30, v2 :: v_dual_bitop2_b32 v2, 3, v0 bitop3:0x40
; %bb.3359:                             ;   in Loop: Header=BB6_136 Depth=3
	s_or_b32 exec_lo, exec_lo, s76
	v_and_b32_e32 v0, 0x80000000, v10
	s_delay_alu instid0(VALU_DEP_1) | instskip(NEXT) | instid1(VALU_DEP_1)
	v_lshl_add_u32 v0, v1, 23, v0
	v_lshl_or_b32 v0, v2, 21, v0
                                        ; implicit-def: $vgpr2
	s_delay_alu instid0(VALU_DEP_1)
	v_add_nc_u32_e32 v1, 0x38000000, v0
.LBB6_3360:                             ;   in Loop: Header=BB6_136 Depth=3
	s_and_not1_saveexec_b32 s76, s13
; %bb.3361:                             ;   in Loop: Header=BB6_136 Depth=3
	v_cmp_lt_i32_e64 s13, -1, v10
	v_mov_b32_e32 v0, 0x7f800000
	v_cmp_eq_u32_e32 vcc_lo, 0, v2
	s_delay_alu instid0(VALU_DEP_2) | instskip(NEXT) | instid1(VALU_DEP_1)
	v_cndmask_b32_e64 v0, 0xff800000, v0, s13
	v_cndmask_b32_e32 v1, 0x7f800001, v0, vcc_lo
; %bb.3362:                             ;   in Loop: Header=BB6_136 Depth=3
	s_or_b32 exec_lo, exec_lo, s76
.LBB6_3363:                             ;   in Loop: Header=BB6_136 Depth=3
	s_delay_alu instid0(SALU_CYCLE_1)
	s_or_b32 exec_lo, exec_lo, s75
.LBB6_3364:                             ;   in Loop: Header=BB6_136 Depth=3
	s_delay_alu instid0(SALU_CYCLE_1) | instskip(NEXT) | instid1(VALU_DEP_1)
	s_or_b32 exec_lo, exec_lo, s74
	v_dual_mul_f32 v2, s73, v1 :: v_dual_mov_b32 v5, v113
	v_mov_b32_e32 v1, v113
                                        ; implicit-def: $vgpr30
	s_mov_b32 s13, exec_lo
	s_delay_alu instid0(VALU_DEP_2) | instskip(SKIP_2) | instid1(VALU_DEP_3)
	v_and_b32_e32 v4, 0x7f800000, v2
	v_and_b32_e32 v0, 0x7fffff, v2
	v_lshrrev_b32_e32 v3, 24, v2
	v_cmpx_ne_u64_e32 0x7f800000, v[4:5]
	s_xor_b32 s74, exec_lo, s13
	s_cbranch_execz .LBB6_3378
; %bb.3365:                             ;   in Loop: Header=BB6_136 Depth=3
	v_and_b32_e32 v4, 0x7fffffff, v2
	v_mov_b32_e32 v5, v113
                                        ; implicit-def: $vgpr30
	s_delay_alu instid0(VALU_DEP_1) | instskip(SKIP_2) | instid1(SALU_CYCLE_1)
	v_cmp_gt_u64_e32 vcc_lo, 0x47600001, v[4:5]
	v_and_b32_e32 v4, 0x80, v3
	s_and_saveexec_b32 s13, vcc_lo
	s_xor_b32 s75, exec_lo, s13
	s_cbranch_execz .LBB6_3375
; %bb.3366:                             ;   in Loop: Header=BB6_136 Depth=3
	v_mov_b32_e32 v30, 0
	s_mov_b32 s76, exec_lo
	v_cmpx_ne_u32_e32 0, v2
	s_cbranch_execz .LBB6_3374
; %bb.3367:                             ;   in Loop: Header=BB6_136 Depth=3
	v_bfe_u32 v5, v2, 23, 8
	v_or_b32_e32 v3, 0x800000, v0
	s_delay_alu instid0(VALU_DEP_2) | instskip(SKIP_2) | instid1(VALU_DEP_2)
	v_cmp_gt_u32_e64 s13, 0x72, v5
	v_sub_nc_u32_e32 v2, 0x71, v5
	v_cmp_eq_u32_e32 vcc_lo, 0, v5
	v_dual_cndmask_b32 v2, 0, v2, s13 :: v_dual_cndmask_b32 v0, v3, v0, vcc_lo
	s_delay_alu instid0(VALU_DEP_1) | instskip(NEXT) | instid1(VALU_DEP_1)
	v_cndmask_b32_e64 v8, v2, 0x70, vcc_lo
	v_dual_add_nc_u32 v2, 21, v8 :: v_dual_add_nc_u32 v9, 20, v8
	s_delay_alu instid0(VALU_DEP_1) | instskip(NEXT) | instid1(VALU_DEP_2)
	v_lshlrev_b64_e64 v[2:3], v2, -1
	v_lshlrev_b64_e64 v[30:31], v9, 1
	s_delay_alu instid0(VALU_DEP_2) | instskip(SKIP_1) | instid1(VALU_DEP_4)
	v_bfi_b32 v2, v2, 0, v0
	v_lshrrev_b64 v[0:1], v8, v[0:1]
	v_bfi_b32 v3, v3, 0, 0
	s_delay_alu instid0(VALU_DEP_1) | instskip(NEXT) | instid1(VALU_DEP_3)
	v_cmp_eq_u64_e64 s13, v[2:3], v[30:31]
	v_mov_b64_e32 v[2:3], v[0:1]
	s_and_saveexec_b32 s77, s13
; %bb.3368:                             ;   in Loop: Header=BB6_136 Depth=3
	v_bfe_u32 v2, v0, 21, 1
	v_mov_b32_e32 v3, v113
	s_delay_alu instid0(VALU_DEP_1) | instskip(NEXT) | instid1(VALU_DEP_1)
	v_add_nc_u64_e32 v[2:3], v[0:1], v[2:3]
	v_add_nc_u64_e32 v[2:3], -1, v[2:3]
; %bb.3369:                             ;   in Loop: Header=BB6_136 Depth=3
	s_or_b32 exec_lo, exec_lo, s77
	v_add_nc_u32_e32 v1, 0xffffff81, v5
	v_lshrrev_b32_e32 v3, 23, v0
	s_mov_b32 s13, exec_lo
	s_delay_alu instid0(VALU_DEP_2) | instskip(NEXT) | instid1(VALU_DEP_1)
	v_cndmask_b32_e64 v1, v1, 0xffffff82, vcc_lo
	v_add3_u32 v5, v8, v1, v3
	v_and_b32_e32 v1, 0x1fffff, v2
                                        ; implicit-def: $vgpr2
	s_delay_alu instid0(VALU_DEP_1) | instskip(SKIP_1) | instid1(VALU_DEP_2)
	v_dual_add_nc_u32 v3, 14, v5 :: v_dual_add_nc_u32 v0, v1, v0
	v_mov_b32_e32 v1, v113
	v_cmpx_ne_u32_e32 0, v3
	s_xor_b32 s13, exec_lo, s13
; %bb.3370:                             ;   in Loop: Header=BB6_136 Depth=3
	s_delay_alu instid0(VALU_DEP_2) | instskip(SKIP_1) | instid1(VALU_DEP_1)
	v_cmp_lt_u64_e32 vcc_lo, 0xffffff, v[0:1]
	v_add_nc_u32_e32 v2, 15, v5
	v_cndmask_b32_e32 v2, v3, v2, vcc_lo
	v_cndmask_b32_e64 v3, 0, 1, vcc_lo
	s_delay_alu instid0(VALU_DEP_1)
	v_lshrrev_b64 v[0:1], v3, v[0:1]
; %bb.3371:                             ;   in Loop: Header=BB6_136 Depth=3
	s_and_not1_saveexec_b32 s13, s13
; %bb.3372:                             ;   in Loop: Header=BB6_136 Depth=3
	s_delay_alu instid0(VALU_DEP_1)
	v_bfe_u32 v2, v0, 23, 1
; %bb.3373:                             ;   in Loop: Header=BB6_136 Depth=3
	s_or_b32 exec_lo, exec_lo, s13
	s_delay_alu instid0(VALU_DEP_2) | instskip(NEXT) | instid1(VALU_DEP_2)
	v_lshrrev_b64 v[0:1], 21, v[0:1]
	v_cmp_gt_i32_e32 vcc_lo, 32, v2
	v_min_i32_e32 v3, 31, v2
	v_cmp_eq_u32_e64 s13, 0, v2
	s_delay_alu instid0(VALU_DEP_2) | instskip(SKIP_1) | instid1(VALU_DEP_2)
	v_dual_cndmask_b32 v1, 0, v1, vcc_lo :: v_dual_lshlrev_b32 v3, 2, v3
	v_cndmask_b32_e32 v0, 3, v0, vcc_lo
	v_and_b32_e32 v3, 0xfc, v3
	s_delay_alu instid0(VALU_DEP_2) | instskip(NEXT) | instid1(VALU_DEP_2)
	v_cmp_eq_u64_e32 vcc_lo, 0, v[0:1]
	v_and_or_b32 v0, v0, 3, v3
	s_and_b32 s13, s13, vcc_lo
	s_delay_alu instid0(VALU_DEP_1) | instid1(SALU_CYCLE_1)
	v_cndmask_b32_e64 v0, v0, 0, s13
	s_delay_alu instid0(VALU_DEP_1)
	v_or_b32_e32 v30, v0, v4
.LBB6_3374:                             ;   in Loop: Header=BB6_136 Depth=3
	s_or_b32 exec_lo, exec_lo, s76
                                        ; implicit-def: $vgpr4
.LBB6_3375:                             ;   in Loop: Header=BB6_136 Depth=3
	s_and_not1_saveexec_b32 s13, s75
; %bb.3376:                             ;   in Loop: Header=BB6_136 Depth=3
	v_or_b32_e32 v30, 0x7b, v4
; %bb.3377:                             ;   in Loop: Header=BB6_136 Depth=3
	s_or_b32 exec_lo, exec_lo, s13
                                        ; implicit-def: $vgpr2
                                        ; implicit-def: $vgpr0_vgpr1
                                        ; implicit-def: $vgpr3
.LBB6_3378:                             ;   in Loop: Header=BB6_136 Depth=3
	s_and_not1_saveexec_b32 s13, s74
	s_cbranch_execz .LBB6_3384
; %bb.3379:                             ;   in Loop: Header=BB6_136 Depth=3
	s_mov_b32 s74, exec_lo
                                        ; implicit-def: $vgpr30
	v_cmpx_ne_u64_e32 0, v[0:1]
	s_xor_b32 s74, exec_lo, s74
; %bb.3380:                             ;   in Loop: Header=BB6_136 Depth=3
	v_or_b32_e32 v30, 0x7f, v3
                                        ; implicit-def: $vgpr2
; %bb.3381:                             ;   in Loop: Header=BB6_136 Depth=3
	s_and_not1_saveexec_b32 s74, s74
; %bb.3382:                             ;   in Loop: Header=BB6_136 Depth=3
	v_cmp_lt_i32_e32 vcc_lo, -1, v2
	v_mov_b32_e32 v0, 0x7c
	s_delay_alu instid0(VALU_DEP_1)
	v_cndmask_b32_e32 v30, 0xfc, v0, vcc_lo
; %bb.3383:                             ;   in Loop: Header=BB6_136 Depth=3
	s_or_b32 exec_lo, exec_lo, s74
.LBB6_3384:                             ;   in Loop: Header=BB6_136 Depth=3
	s_delay_alu instid0(SALU_CYCLE_1) | instskip(SKIP_4) | instid1(VALU_DEP_3)
	s_or_b32 exec_lo, exec_lo, s13
	v_and_b32_e32 v3, 0xff, v11
	v_dual_mov_b32 v0, v11 :: v_dual_mov_b32 v1, v113
	v_mov_b32_e32 v2, 0
	s_mov_b32 s74, exec_lo
	v_cmpx_ne_u16_e32 0, v3
	s_cbranch_execz .LBB6_3394
; %bb.3385:                             ;   in Loop: Header=BB6_136 Depth=3
	v_bfrev_b32_e32 v2, 1
	s_mov_b32 s75, exec_lo
	v_cmpx_ne_u16_e32 0x80, v3
	s_cbranch_execz .LBB6_3393
; %bb.3386:                             ;   in Loop: Header=BB6_136 Depth=3
	v_and_b32_e32 v2, 0x7c, v11
	v_and_b32_e32 v3, 3, v11
	s_delay_alu instid0(VALU_DEP_2) | instskip(SKIP_1) | instid1(SALU_CYCLE_1)
	v_cmp_ne_u32_e32 vcc_lo, 0x7c, v2
                                        ; implicit-def: $vgpr2
	s_and_saveexec_b32 s13, vcc_lo
	s_xor_b32 s13, exec_lo, s13
	s_cbranch_execz .LBB6_3390
; %bb.3387:                             ;   in Loop: Header=BB6_136 Depth=3
	v_bfe_u32 v2, v11, 2, 5
	s_mov_b32 s76, exec_lo
	s_delay_alu instid0(VALU_DEP_1)
	v_cmpx_eq_u32_e32 0, v2
; %bb.3388:                             ;   in Loop: Header=BB6_136 Depth=3
	v_clz_i32_u32_e32 v2, v3
	s_delay_alu instid0(VALU_DEP_1) | instskip(NEXT) | instid1(VALU_DEP_1)
	v_min_u32_e32 v2, 32, v2
	v_subrev_nc_u32_e32 v3, 29, v2
	s_delay_alu instid0(VALU_DEP_1) | instskip(NEXT) | instid1(VALU_DEP_1)
	v_lshlrev_b64_e32 v[4:5], v3, v[0:1]
	v_dual_sub_nc_u32 v2, 30, v2 :: v_dual_bitop2_b32 v3, 3, v4 bitop3:0x40
; %bb.3389:                             ;   in Loop: Header=BB6_136 Depth=3
	s_or_b32 exec_lo, exec_lo, s76
	v_lshlrev_b32_e32 v1, 24, v11
	s_delay_alu instid0(VALU_DEP_1) | instskip(NEXT) | instid1(VALU_DEP_1)
	v_and_b32_e32 v1, 0x80000000, v1
	v_lshl_add_u32 v1, v2, 23, v1
	s_delay_alu instid0(VALU_DEP_1) | instskip(NEXT) | instid1(VALU_DEP_1)
	v_lshl_or_b32 v1, v3, 21, v1
                                        ; implicit-def: $vgpr3
	v_add_nc_u32_e32 v2, 0x38000000, v1
.LBB6_3390:                             ;   in Loop: Header=BB6_136 Depth=3
	s_and_not1_saveexec_b32 s76, s13
; %bb.3391:                             ;   in Loop: Header=BB6_136 Depth=3
	v_bfe_i32 v1, v11, 0, 8
	v_cmp_eq_u32_e32 vcc_lo, 0, v3
	s_delay_alu instid0(VALU_DEP_2) | instskip(SKIP_1) | instid1(VALU_DEP_1)
	v_cmp_lt_i16_e64 s13, -1, v1
	v_mov_b32_e32 v1, 0x7f800000
	v_cndmask_b32_e64 v1, 0xff800000, v1, s13
	s_delay_alu instid0(VALU_DEP_1)
	v_cndmask_b32_e32 v2, 0x7f800001, v1, vcc_lo
; %bb.3392:                             ;   in Loop: Header=BB6_136 Depth=3
	s_or_b32 exec_lo, exec_lo, s76
.LBB6_3393:                             ;   in Loop: Header=BB6_136 Depth=3
	s_delay_alu instid0(SALU_CYCLE_1)
	s_or_b32 exec_lo, exec_lo, s75
.LBB6_3394:                             ;   in Loop: Header=BB6_136 Depth=3
	s_delay_alu instid0(SALU_CYCLE_1) | instskip(NEXT) | instid1(VALU_DEP_1)
	s_or_b32 exec_lo, exec_lo, s74
	v_dual_mul_f32 v4, s73, v2 :: v_dual_mov_b32 v9, v113
	v_mov_b32_e32 v3, v113
                                        ; implicit-def: $vgpr31
	s_mov_b32 s13, exec_lo
	s_delay_alu instid0(VALU_DEP_2) | instskip(SKIP_2) | instid1(VALU_DEP_3)
	v_and_b32_e32 v8, 0x7f800000, v4
	v_and_b32_e32 v2, 0x7fffff, v4
	v_lshrrev_b32_e32 v1, 24, v4
	v_cmpx_ne_u64_e32 0x7f800000, v[8:9]
	s_xor_b32 s74, exec_lo, s13
	s_cbranch_execz .LBB6_3408
; %bb.3395:                             ;   in Loop: Header=BB6_136 Depth=3
	v_and_b32_e32 v8, 0x7fffffff, v4
	v_mov_b32_e32 v9, v113
	v_and_b32_e32 v1, 0x80, v1
                                        ; implicit-def: $vgpr31
	s_mov_b32 s13, exec_lo
	s_delay_alu instid0(VALU_DEP_2)
	v_cmpx_gt_u64_e32 0x47600001, v[8:9]
	s_xor_b32 s75, exec_lo, s13
	s_cbranch_execz .LBB6_3405
; %bb.3396:                             ;   in Loop: Header=BB6_136 Depth=3
	v_mov_b32_e32 v31, 0
	s_mov_b32 s76, exec_lo
	v_cmpx_ne_u32_e32 0, v4
	s_cbranch_execz .LBB6_3404
; %bb.3397:                             ;   in Loop: Header=BB6_136 Depth=3
	v_bfe_u32 v8, v4, 23, 8
	v_or_b32_e32 v5, 0x800000, v2
	s_delay_alu instid0(VALU_DEP_2) | instskip(SKIP_2) | instid1(VALU_DEP_2)
	v_cmp_gt_u32_e64 s13, 0x72, v8
	v_sub_nc_u32_e32 v4, 0x71, v8
	v_cmp_eq_u32_e32 vcc_lo, 0, v8
	v_dual_cndmask_b32 v4, 0, v4, s13 :: v_dual_cndmask_b32 v2, v5, v2, vcc_lo
	s_delay_alu instid0(VALU_DEP_1) | instskip(NEXT) | instid1(VALU_DEP_1)
	v_cndmask_b32_e64 v9, v4, 0x70, vcc_lo
	v_dual_add_nc_u32 v4, 21, v9 :: v_dual_add_nc_u32 v31, 20, v9
	s_delay_alu instid0(VALU_DEP_1) | instskip(NEXT) | instid1(VALU_DEP_2)
	v_lshlrev_b64_e64 v[4:5], v4, -1
	v_lshlrev_b64_e64 v[32:33], v31, 1
	s_delay_alu instid0(VALU_DEP_2) | instskip(SKIP_1) | instid1(VALU_DEP_4)
	v_bfi_b32 v4, v4, 0, v2
	v_lshrrev_b64 v[2:3], v9, v[2:3]
	v_bfi_b32 v5, v5, 0, 0
	s_delay_alu instid0(VALU_DEP_1) | instskip(NEXT) | instid1(VALU_DEP_3)
	v_cmp_eq_u64_e64 s13, v[4:5], v[32:33]
	v_mov_b64_e32 v[4:5], v[2:3]
	s_and_saveexec_b32 s77, s13
; %bb.3398:                             ;   in Loop: Header=BB6_136 Depth=3
	v_bfe_u32 v4, v2, 21, 1
	v_mov_b32_e32 v5, v113
	s_delay_alu instid0(VALU_DEP_1) | instskip(NEXT) | instid1(VALU_DEP_1)
	v_add_nc_u64_e32 v[4:5], v[2:3], v[4:5]
	v_add_nc_u64_e32 v[4:5], -1, v[4:5]
; %bb.3399:                             ;   in Loop: Header=BB6_136 Depth=3
	s_or_b32 exec_lo, exec_lo, s77
	v_add_nc_u32_e32 v3, 0xffffff81, v8
	v_lshrrev_b32_e32 v5, 23, v2
	s_mov_b32 s13, exec_lo
	s_delay_alu instid0(VALU_DEP_2) | instskip(NEXT) | instid1(VALU_DEP_1)
	v_cndmask_b32_e64 v3, v3, 0xffffff82, vcc_lo
	v_add3_u32 v8, v9, v3, v5
	v_and_b32_e32 v3, 0x1fffff, v4
                                        ; implicit-def: $vgpr4
	s_delay_alu instid0(VALU_DEP_1) | instskip(SKIP_1) | instid1(VALU_DEP_2)
	v_dual_add_nc_u32 v5, 14, v8 :: v_dual_add_nc_u32 v2, v3, v2
	v_mov_b32_e32 v3, v113
	v_cmpx_ne_u32_e32 0, v5
	s_xor_b32 s13, exec_lo, s13
; %bb.3400:                             ;   in Loop: Header=BB6_136 Depth=3
	s_delay_alu instid0(VALU_DEP_2) | instskip(SKIP_1) | instid1(VALU_DEP_1)
	v_cmp_lt_u64_e32 vcc_lo, 0xffffff, v[2:3]
	v_add_nc_u32_e32 v4, 15, v8
	v_cndmask_b32_e32 v4, v5, v4, vcc_lo
	v_cndmask_b32_e64 v5, 0, 1, vcc_lo
	s_delay_alu instid0(VALU_DEP_1)
	v_lshrrev_b64 v[2:3], v5, v[2:3]
; %bb.3401:                             ;   in Loop: Header=BB6_136 Depth=3
	s_and_not1_saveexec_b32 s13, s13
; %bb.3402:                             ;   in Loop: Header=BB6_136 Depth=3
	s_delay_alu instid0(VALU_DEP_1)
	v_bfe_u32 v4, v2, 23, 1
; %bb.3403:                             ;   in Loop: Header=BB6_136 Depth=3
	s_or_b32 exec_lo, exec_lo, s13
	s_delay_alu instid0(VALU_DEP_2) | instskip(NEXT) | instid1(VALU_DEP_2)
	v_lshrrev_b64 v[2:3], 21, v[2:3]
	v_cmp_gt_i32_e32 vcc_lo, 32, v4
	v_min_i32_e32 v5, 31, v4
	v_cmp_eq_u32_e64 s13, 0, v4
	s_delay_alu instid0(VALU_DEP_2) | instskip(SKIP_1) | instid1(VALU_DEP_2)
	v_dual_cndmask_b32 v3, 0, v3, vcc_lo :: v_dual_lshlrev_b32 v5, 2, v5
	v_cndmask_b32_e32 v2, 3, v2, vcc_lo
	v_and_b32_e32 v5, 0xfc, v5
	s_delay_alu instid0(VALU_DEP_2) | instskip(NEXT) | instid1(VALU_DEP_2)
	v_cmp_eq_u64_e32 vcc_lo, 0, v[2:3]
	v_and_or_b32 v2, v2, 3, v5
	s_and_b32 s13, s13, vcc_lo
	s_delay_alu instid0(VALU_DEP_1) | instid1(SALU_CYCLE_1)
	v_cndmask_b32_e64 v2, v2, 0, s13
	s_delay_alu instid0(VALU_DEP_1)
	v_or_b32_e32 v31, v2, v1
.LBB6_3404:                             ;   in Loop: Header=BB6_136 Depth=3
	s_or_b32 exec_lo, exec_lo, s76
                                        ; implicit-def: $vgpr1
.LBB6_3405:                             ;   in Loop: Header=BB6_136 Depth=3
	s_and_not1_saveexec_b32 s13, s75
; %bb.3406:                             ;   in Loop: Header=BB6_136 Depth=3
	v_or_b32_e32 v31, 0x7b, v1
; %bb.3407:                             ;   in Loop: Header=BB6_136 Depth=3
	s_or_b32 exec_lo, exec_lo, s13
                                        ; implicit-def: $vgpr4
                                        ; implicit-def: $vgpr2_vgpr3
                                        ; implicit-def: $vgpr1
.LBB6_3408:                             ;   in Loop: Header=BB6_136 Depth=3
	s_and_not1_saveexec_b32 s13, s74
	s_cbranch_execz .LBB6_3414
; %bb.3409:                             ;   in Loop: Header=BB6_136 Depth=3
	s_mov_b32 s74, exec_lo
                                        ; implicit-def: $vgpr31
	v_cmpx_ne_u64_e32 0, v[2:3]
	s_xor_b32 s74, exec_lo, s74
; %bb.3410:                             ;   in Loop: Header=BB6_136 Depth=3
	v_or_b32_e32 v31, 0x7f, v1
                                        ; implicit-def: $vgpr4
; %bb.3411:                             ;   in Loop: Header=BB6_136 Depth=3
	s_and_not1_saveexec_b32 s74, s74
; %bb.3412:                             ;   in Loop: Header=BB6_136 Depth=3
	v_cmp_lt_i32_e32 vcc_lo, -1, v4
	v_mov_b32_e32 v1, 0x7c
	s_delay_alu instid0(VALU_DEP_1)
	v_cndmask_b32_e32 v31, 0xfc, v1, vcc_lo
; %bb.3413:                             ;   in Loop: Header=BB6_136 Depth=3
	s_or_b32 exec_lo, exec_lo, s74
.LBB6_3414:                             ;   in Loop: Header=BB6_136 Depth=3
	s_delay_alu instid0(SALU_CYCLE_1) | instskip(SKIP_3) | instid1(VALU_DEP_2)
	s_or_b32 exec_lo, exec_lo, s13
	v_lshrrev_b16 v2, 8, v0
	v_mov_b32_e32 v3, 0
	s_mov_b32 s74, exec_lo
	v_cmpx_ne_u16_e32 0, v2
	s_cbranch_execz .LBB6_3424
; %bb.3415:                             ;   in Loop: Header=BB6_136 Depth=3
	v_bfrev_b32_e32 v3, 1
	s_mov_b32 s75, exec_lo
	v_cmpx_ne_u16_e32 0x80, v2
	s_cbranch_execz .LBB6_3423
; %bb.3416:                             ;   in Loop: Header=BB6_136 Depth=3
	v_and_b32_e32 v1, 0xffff, v2
	s_delay_alu instid0(VALU_DEP_1) | instskip(SKIP_1) | instid1(VALU_DEP_2)
	v_and_b32_e32 v3, 0x7c, v1
	v_and_b32_e32 v4, 3, v1
	v_cmp_ne_u32_e32 vcc_lo, 0x7c, v3
                                        ; implicit-def: $vgpr3
	s_and_saveexec_b32 s13, vcc_lo
	s_delay_alu instid0(SALU_CYCLE_1)
	s_xor_b32 s13, exec_lo, s13
	s_cbranch_execz .LBB6_3420
; %bb.3417:                             ;   in Loop: Header=BB6_136 Depth=3
	v_bfe_u32 v1, v1, 2, 5
	s_mov_b32 s76, exec_lo
	s_delay_alu instid0(VALU_DEP_1)
	v_cmpx_eq_u32_e32 0, v1
	s_cbranch_execz .LBB6_3419
; %bb.3418:                             ;   in Loop: Header=BB6_136 Depth=3
	v_clz_i32_u32_e32 v1, v4
	s_delay_alu instid0(VALU_DEP_1) | instskip(SKIP_1) | instid1(VALU_DEP_2)
	v_min_u32_e32 v1, 32, v1
	v_mov_b32_e32 v3, v113
	v_subrev_nc_u32_e32 v4, 29, v1
	v_sub_nc_u32_e32 v1, 30, v1
	s_delay_alu instid0(VALU_DEP_2) | instskip(NEXT) | instid1(VALU_DEP_1)
	v_lshlrev_b64_e32 v[2:3], v4, v[2:3]
	v_and_b32_e32 v4, 3, v2
.LBB6_3419:                             ;   in Loop: Header=BB6_136 Depth=3
	s_or_b32 exec_lo, exec_lo, s76
	v_lshlrev_b32_e32 v0, 16, v0
	s_delay_alu instid0(VALU_DEP_1) | instskip(NEXT) | instid1(VALU_DEP_1)
	v_and_b32_e32 v0, 0x80000000, v0
	v_lshl_add_u32 v0, v1, 23, v0
	s_delay_alu instid0(VALU_DEP_1) | instskip(NEXT) | instid1(VALU_DEP_1)
	v_lshl_or_b32 v0, v4, 21, v0
                                        ; implicit-def: $vgpr4
	v_add_nc_u32_e32 v3, 0x38000000, v0
                                        ; implicit-def: $vgpr0_vgpr1
.LBB6_3420:                             ;   in Loop: Header=BB6_136 Depth=3
	s_and_not1_saveexec_b32 s76, s13
; %bb.3421:                             ;   in Loop: Header=BB6_136 Depth=3
	v_cmp_lt_i16_e64 s13, -1, v0
	v_mov_b32_e32 v0, 0x7f800000
	v_cmp_eq_u32_e32 vcc_lo, 0, v4
	s_delay_alu instid0(VALU_DEP_2) | instskip(NEXT) | instid1(VALU_DEP_1)
	v_cndmask_b32_e64 v0, 0xff800000, v0, s13
	v_cndmask_b32_e32 v3, 0x7f800001, v0, vcc_lo
; %bb.3422:                             ;   in Loop: Header=BB6_136 Depth=3
	s_or_b32 exec_lo, exec_lo, s76
.LBB6_3423:                             ;   in Loop: Header=BB6_136 Depth=3
	s_delay_alu instid0(SALU_CYCLE_1)
	s_or_b32 exec_lo, exec_lo, s75
.LBB6_3424:                             ;   in Loop: Header=BB6_136 Depth=3
	s_delay_alu instid0(SALU_CYCLE_1) | instskip(NEXT) | instid1(VALU_DEP_1)
	s_or_b32 exec_lo, exec_lo, s74
	v_dual_mul_f32 v2, s73, v3 :: v_dual_mov_b32 v5, v113
	v_mov_b32_e32 v1, v113
                                        ; implicit-def: $vgpr32
	s_mov_b32 s13, exec_lo
	s_delay_alu instid0(VALU_DEP_2) | instskip(SKIP_2) | instid1(VALU_DEP_3)
	v_and_b32_e32 v4, 0x7f800000, v2
	v_and_b32_e32 v0, 0x7fffff, v2
	v_lshrrev_b32_e32 v3, 24, v2
	v_cmpx_ne_u64_e32 0x7f800000, v[4:5]
	s_xor_b32 s74, exec_lo, s13
	s_cbranch_execz .LBB6_3438
; %bb.3425:                             ;   in Loop: Header=BB6_136 Depth=3
	v_and_b32_e32 v4, 0x7fffffff, v2
	v_mov_b32_e32 v5, v113
                                        ; implicit-def: $vgpr32
	s_delay_alu instid0(VALU_DEP_1) | instskip(SKIP_2) | instid1(SALU_CYCLE_1)
	v_cmp_gt_u64_e32 vcc_lo, 0x47600001, v[4:5]
	v_and_b32_e32 v4, 0x80, v3
	s_and_saveexec_b32 s13, vcc_lo
	s_xor_b32 s75, exec_lo, s13
	s_cbranch_execz .LBB6_3435
; %bb.3426:                             ;   in Loop: Header=BB6_136 Depth=3
	v_mov_b32_e32 v32, 0
	s_mov_b32 s76, exec_lo
	v_cmpx_ne_u32_e32 0, v2
	s_cbranch_execz .LBB6_3434
; %bb.3427:                             ;   in Loop: Header=BB6_136 Depth=3
	v_bfe_u32 v5, v2, 23, 8
	v_or_b32_e32 v3, 0x800000, v0
	s_delay_alu instid0(VALU_DEP_2) | instskip(SKIP_2) | instid1(VALU_DEP_2)
	v_cmp_gt_u32_e64 s13, 0x72, v5
	v_sub_nc_u32_e32 v2, 0x71, v5
	v_cmp_eq_u32_e32 vcc_lo, 0, v5
	v_dual_cndmask_b32 v2, 0, v2, s13 :: v_dual_cndmask_b32 v0, v3, v0, vcc_lo
	s_delay_alu instid0(VALU_DEP_1) | instskip(NEXT) | instid1(VALU_DEP_1)
	v_cndmask_b32_e64 v8, v2, 0x70, vcc_lo
	v_dual_add_nc_u32 v2, 21, v8 :: v_dual_add_nc_u32 v9, 20, v8
	s_delay_alu instid0(VALU_DEP_1) | instskip(NEXT) | instid1(VALU_DEP_2)
	v_lshlrev_b64_e64 v[2:3], v2, -1
	v_lshlrev_b64_e64 v[32:33], v9, 1
	s_delay_alu instid0(VALU_DEP_2) | instskip(SKIP_1) | instid1(VALU_DEP_4)
	v_bfi_b32 v2, v2, 0, v0
	v_lshrrev_b64 v[0:1], v8, v[0:1]
	v_bfi_b32 v3, v3, 0, 0
	s_delay_alu instid0(VALU_DEP_1) | instskip(NEXT) | instid1(VALU_DEP_3)
	v_cmp_eq_u64_e64 s13, v[2:3], v[32:33]
	v_mov_b64_e32 v[2:3], v[0:1]
	s_and_saveexec_b32 s77, s13
; %bb.3428:                             ;   in Loop: Header=BB6_136 Depth=3
	v_bfe_u32 v2, v0, 21, 1
	v_mov_b32_e32 v3, v113
	s_delay_alu instid0(VALU_DEP_1) | instskip(NEXT) | instid1(VALU_DEP_1)
	v_add_nc_u64_e32 v[2:3], v[0:1], v[2:3]
	v_add_nc_u64_e32 v[2:3], -1, v[2:3]
; %bb.3429:                             ;   in Loop: Header=BB6_136 Depth=3
	s_or_b32 exec_lo, exec_lo, s77
	v_add_nc_u32_e32 v1, 0xffffff81, v5
	v_lshrrev_b32_e32 v3, 23, v0
	s_mov_b32 s13, exec_lo
	s_delay_alu instid0(VALU_DEP_2) | instskip(NEXT) | instid1(VALU_DEP_1)
	v_cndmask_b32_e64 v1, v1, 0xffffff82, vcc_lo
	v_add3_u32 v5, v8, v1, v3
	v_and_b32_e32 v1, 0x1fffff, v2
                                        ; implicit-def: $vgpr2
	s_delay_alu instid0(VALU_DEP_1) | instskip(SKIP_1) | instid1(VALU_DEP_2)
	v_dual_add_nc_u32 v3, 14, v5 :: v_dual_add_nc_u32 v0, v1, v0
	v_mov_b32_e32 v1, v113
	v_cmpx_ne_u32_e32 0, v3
	s_xor_b32 s13, exec_lo, s13
; %bb.3430:                             ;   in Loop: Header=BB6_136 Depth=3
	s_delay_alu instid0(VALU_DEP_2) | instskip(SKIP_1) | instid1(VALU_DEP_1)
	v_cmp_lt_u64_e32 vcc_lo, 0xffffff, v[0:1]
	v_add_nc_u32_e32 v2, 15, v5
	v_cndmask_b32_e32 v2, v3, v2, vcc_lo
	v_cndmask_b32_e64 v3, 0, 1, vcc_lo
	s_delay_alu instid0(VALU_DEP_1)
	v_lshrrev_b64 v[0:1], v3, v[0:1]
; %bb.3431:                             ;   in Loop: Header=BB6_136 Depth=3
	s_and_not1_saveexec_b32 s13, s13
; %bb.3432:                             ;   in Loop: Header=BB6_136 Depth=3
	s_delay_alu instid0(VALU_DEP_1)
	v_bfe_u32 v2, v0, 23, 1
; %bb.3433:                             ;   in Loop: Header=BB6_136 Depth=3
	s_or_b32 exec_lo, exec_lo, s13
	s_delay_alu instid0(VALU_DEP_2) | instskip(NEXT) | instid1(VALU_DEP_2)
	v_lshrrev_b64 v[0:1], 21, v[0:1]
	v_cmp_gt_i32_e32 vcc_lo, 32, v2
	v_min_i32_e32 v3, 31, v2
	v_cmp_eq_u32_e64 s13, 0, v2
	s_delay_alu instid0(VALU_DEP_2) | instskip(SKIP_1) | instid1(VALU_DEP_2)
	v_dual_cndmask_b32 v1, 0, v1, vcc_lo :: v_dual_lshlrev_b32 v3, 2, v3
	v_cndmask_b32_e32 v0, 3, v0, vcc_lo
	v_and_b32_e32 v3, 0xfc, v3
	s_delay_alu instid0(VALU_DEP_2) | instskip(NEXT) | instid1(VALU_DEP_2)
	v_cmp_eq_u64_e32 vcc_lo, 0, v[0:1]
	v_and_or_b32 v0, v0, 3, v3
	s_and_b32 s13, s13, vcc_lo
	s_delay_alu instid0(VALU_DEP_1) | instid1(SALU_CYCLE_1)
	v_cndmask_b32_e64 v0, v0, 0, s13
	s_delay_alu instid0(VALU_DEP_1)
	v_or_b32_e32 v32, v0, v4
.LBB6_3434:                             ;   in Loop: Header=BB6_136 Depth=3
	s_or_b32 exec_lo, exec_lo, s76
                                        ; implicit-def: $vgpr4
.LBB6_3435:                             ;   in Loop: Header=BB6_136 Depth=3
	s_and_not1_saveexec_b32 s13, s75
; %bb.3436:                             ;   in Loop: Header=BB6_136 Depth=3
	v_or_b32_e32 v32, 0x7b, v4
; %bb.3437:                             ;   in Loop: Header=BB6_136 Depth=3
	s_or_b32 exec_lo, exec_lo, s13
                                        ; implicit-def: $vgpr2
                                        ; implicit-def: $vgpr0_vgpr1
                                        ; implicit-def: $vgpr3
.LBB6_3438:                             ;   in Loop: Header=BB6_136 Depth=3
	s_and_not1_saveexec_b32 s13, s74
	s_cbranch_execz .LBB6_3444
; %bb.3439:                             ;   in Loop: Header=BB6_136 Depth=3
	s_mov_b32 s74, exec_lo
                                        ; implicit-def: $vgpr32
	v_cmpx_ne_u64_e32 0, v[0:1]
	s_xor_b32 s74, exec_lo, s74
; %bb.3440:                             ;   in Loop: Header=BB6_136 Depth=3
	v_or_b32_e32 v32, 0x7f, v3
                                        ; implicit-def: $vgpr2
; %bb.3441:                             ;   in Loop: Header=BB6_136 Depth=3
	s_and_not1_saveexec_b32 s74, s74
; %bb.3442:                             ;   in Loop: Header=BB6_136 Depth=3
	v_cmp_lt_i32_e32 vcc_lo, -1, v2
	v_mov_b32_e32 v0, 0x7c
	s_delay_alu instid0(VALU_DEP_1)
	v_cndmask_b32_e32 v32, 0xfc, v0, vcc_lo
; %bb.3443:                             ;   in Loop: Header=BB6_136 Depth=3
	s_or_b32 exec_lo, exec_lo, s74
.LBB6_3444:                             ;   in Loop: Header=BB6_136 Depth=3
	s_delay_alu instid0(SALU_CYCLE_1) | instskip(SKIP_2) | instid1(VALU_DEP_1)
	s_or_b32 exec_lo, exec_lo, s13
	v_dual_mov_b32 v1, 0 :: v_dual_lshrrev_b32 v0, 16, v11
	s_mov_b32 s74, exec_lo
	v_and_b32_e32 v2, 0xff, v0
	s_delay_alu instid0(VALU_DEP_1)
	v_cmpx_ne_u16_e32 0, v2
	s_cbranch_execz .LBB6_3454
; %bb.3445:                             ;   in Loop: Header=BB6_136 Depth=3
	v_bfrev_b32_e32 v1, 1
	s_mov_b32 s75, exec_lo
	v_cmpx_ne_u16_e32 0x80, v2
	s_cbranch_execz .LBB6_3453
; %bb.3446:                             ;   in Loop: Header=BB6_136 Depth=3
	v_and_b32_e32 v1, 0x7c0000, v11
	v_bfe_u32 v2, v11, 16, 2
	s_delay_alu instid0(VALU_DEP_2) | instskip(SKIP_1) | instid1(SALU_CYCLE_1)
	v_cmp_ne_u32_e32 vcc_lo, 0x7c0000, v1
                                        ; implicit-def: $vgpr1
	s_and_saveexec_b32 s13, vcc_lo
	s_xor_b32 s13, exec_lo, s13
	s_cbranch_execz .LBB6_3450
; %bb.3447:                             ;   in Loop: Header=BB6_136 Depth=3
	v_bfe_u32 v1, v11, 18, 5
	s_mov_b32 s76, exec_lo
	s_delay_alu instid0(VALU_DEP_1)
	v_cmpx_eq_u32_e32 0, v1
; %bb.3448:                             ;   in Loop: Header=BB6_136 Depth=3
	v_clz_i32_u32_e32 v1, v2
	s_delay_alu instid0(VALU_DEP_1) | instskip(NEXT) | instid1(VALU_DEP_1)
	v_min_u32_e32 v1, 32, v1
	v_subrev_nc_u32_e32 v2, 29, v1
	s_delay_alu instid0(VALU_DEP_1) | instskip(NEXT) | instid1(VALU_DEP_1)
	v_lshlrev_b64_e32 v[2:3], v2, v[0:1]
	v_dual_sub_nc_u32 v1, 30, v1 :: v_dual_bitop2_b32 v2, 3, v2 bitop3:0x40
; %bb.3449:                             ;   in Loop: Header=BB6_136 Depth=3
	s_or_b32 exec_lo, exec_lo, s76
	v_lshlrev_b32_e32 v0, 24, v0
	s_delay_alu instid0(VALU_DEP_1) | instskip(NEXT) | instid1(VALU_DEP_1)
	v_and_b32_e32 v0, 0x80000000, v0
	v_lshl_add_u32 v0, v1, 23, v0
	s_delay_alu instid0(VALU_DEP_1) | instskip(NEXT) | instid1(VALU_DEP_1)
	v_lshl_or_b32 v0, v2, 21, v0
                                        ; implicit-def: $vgpr2
	v_add_nc_u32_e32 v1, 0x38000000, v0
                                        ; implicit-def: $vgpr0
.LBB6_3450:                             ;   in Loop: Header=BB6_136 Depth=3
	s_and_not1_saveexec_b32 s76, s13
; %bb.3451:                             ;   in Loop: Header=BB6_136 Depth=3
	v_bfe_i32 v0, v0, 0, 8
	v_cmp_eq_u32_e32 vcc_lo, 0, v2
	s_delay_alu instid0(VALU_DEP_2) | instskip(SKIP_1) | instid1(VALU_DEP_1)
	v_cmp_lt_i16_e64 s13, -1, v0
	v_mov_b32_e32 v0, 0x7f800000
	v_cndmask_b32_e64 v0, 0xff800000, v0, s13
	s_delay_alu instid0(VALU_DEP_1)
	v_cndmask_b32_e32 v1, 0x7f800001, v0, vcc_lo
; %bb.3452:                             ;   in Loop: Header=BB6_136 Depth=3
	s_or_b32 exec_lo, exec_lo, s76
.LBB6_3453:                             ;   in Loop: Header=BB6_136 Depth=3
	s_delay_alu instid0(SALU_CYCLE_1)
	s_or_b32 exec_lo, exec_lo, s75
.LBB6_3454:                             ;   in Loop: Header=BB6_136 Depth=3
	s_delay_alu instid0(SALU_CYCLE_1) | instskip(NEXT) | instid1(VALU_DEP_1)
	s_or_b32 exec_lo, exec_lo, s74
	v_dual_mul_f32 v2, s73, v1 :: v_dual_mov_b32 v5, v113
	v_mov_b32_e32 v1, v113
                                        ; implicit-def: $vgpr33
	s_mov_b32 s13, exec_lo
	s_delay_alu instid0(VALU_DEP_2) | instskip(SKIP_2) | instid1(VALU_DEP_3)
	v_and_b32_e32 v4, 0x7f800000, v2
	v_and_b32_e32 v0, 0x7fffff, v2
	v_lshrrev_b32_e32 v3, 24, v2
	v_cmpx_ne_u64_e32 0x7f800000, v[4:5]
	s_xor_b32 s74, exec_lo, s13
	s_cbranch_execz .LBB6_3468
; %bb.3455:                             ;   in Loop: Header=BB6_136 Depth=3
	v_and_b32_e32 v4, 0x7fffffff, v2
	v_mov_b32_e32 v5, v113
                                        ; implicit-def: $vgpr33
	s_delay_alu instid0(VALU_DEP_1) | instskip(SKIP_2) | instid1(SALU_CYCLE_1)
	v_cmp_gt_u64_e32 vcc_lo, 0x47600001, v[4:5]
	v_and_b32_e32 v4, 0x80, v3
	s_and_saveexec_b32 s13, vcc_lo
	s_xor_b32 s75, exec_lo, s13
	s_cbranch_execz .LBB6_3465
; %bb.3456:                             ;   in Loop: Header=BB6_136 Depth=3
	v_mov_b32_e32 v33, 0
	s_mov_b32 s76, exec_lo
	v_cmpx_ne_u32_e32 0, v2
	s_cbranch_execz .LBB6_3464
; %bb.3457:                             ;   in Loop: Header=BB6_136 Depth=3
	v_bfe_u32 v5, v2, 23, 8
	v_or_b32_e32 v3, 0x800000, v0
	s_delay_alu instid0(VALU_DEP_2) | instskip(SKIP_2) | instid1(VALU_DEP_2)
	v_cmp_gt_u32_e64 s13, 0x72, v5
	v_sub_nc_u32_e32 v2, 0x71, v5
	v_cmp_eq_u32_e32 vcc_lo, 0, v5
	v_dual_cndmask_b32 v2, 0, v2, s13 :: v_dual_cndmask_b32 v0, v3, v0, vcc_lo
	s_delay_alu instid0(VALU_DEP_1) | instskip(NEXT) | instid1(VALU_DEP_1)
	v_cndmask_b32_e64 v8, v2, 0x70, vcc_lo
	v_dual_add_nc_u32 v2, 21, v8 :: v_dual_add_nc_u32 v9, 20, v8
	s_delay_alu instid0(VALU_DEP_1) | instskip(NEXT) | instid1(VALU_DEP_2)
	v_lshlrev_b64_e64 v[2:3], v2, -1
	v_lshlrev_b64_e64 v[34:35], v9, 1
	s_delay_alu instid0(VALU_DEP_2) | instskip(SKIP_1) | instid1(VALU_DEP_4)
	v_bfi_b32 v2, v2, 0, v0
	v_lshrrev_b64 v[0:1], v8, v[0:1]
	v_bfi_b32 v3, v3, 0, 0
	s_delay_alu instid0(VALU_DEP_1) | instskip(NEXT) | instid1(VALU_DEP_3)
	v_cmp_eq_u64_e64 s13, v[2:3], v[34:35]
	v_mov_b64_e32 v[2:3], v[0:1]
	s_and_saveexec_b32 s77, s13
; %bb.3458:                             ;   in Loop: Header=BB6_136 Depth=3
	v_bfe_u32 v2, v0, 21, 1
	v_mov_b32_e32 v3, v113
	s_delay_alu instid0(VALU_DEP_1) | instskip(NEXT) | instid1(VALU_DEP_1)
	v_add_nc_u64_e32 v[2:3], v[0:1], v[2:3]
	v_add_nc_u64_e32 v[2:3], -1, v[2:3]
; %bb.3459:                             ;   in Loop: Header=BB6_136 Depth=3
	s_or_b32 exec_lo, exec_lo, s77
	v_add_nc_u32_e32 v1, 0xffffff81, v5
	v_lshrrev_b32_e32 v3, 23, v0
	s_mov_b32 s13, exec_lo
	s_delay_alu instid0(VALU_DEP_2) | instskip(NEXT) | instid1(VALU_DEP_1)
	v_cndmask_b32_e64 v1, v1, 0xffffff82, vcc_lo
	v_add3_u32 v5, v8, v1, v3
	v_and_b32_e32 v1, 0x1fffff, v2
                                        ; implicit-def: $vgpr2
	s_delay_alu instid0(VALU_DEP_1) | instskip(SKIP_1) | instid1(VALU_DEP_2)
	v_dual_add_nc_u32 v3, 14, v5 :: v_dual_add_nc_u32 v0, v1, v0
	v_mov_b32_e32 v1, v113
	v_cmpx_ne_u32_e32 0, v3
	s_xor_b32 s13, exec_lo, s13
; %bb.3460:                             ;   in Loop: Header=BB6_136 Depth=3
	s_delay_alu instid0(VALU_DEP_2) | instskip(SKIP_1) | instid1(VALU_DEP_1)
	v_cmp_lt_u64_e32 vcc_lo, 0xffffff, v[0:1]
	v_add_nc_u32_e32 v2, 15, v5
	v_cndmask_b32_e32 v2, v3, v2, vcc_lo
	v_cndmask_b32_e64 v3, 0, 1, vcc_lo
	s_delay_alu instid0(VALU_DEP_1)
	v_lshrrev_b64 v[0:1], v3, v[0:1]
; %bb.3461:                             ;   in Loop: Header=BB6_136 Depth=3
	s_and_not1_saveexec_b32 s13, s13
; %bb.3462:                             ;   in Loop: Header=BB6_136 Depth=3
	s_delay_alu instid0(VALU_DEP_1)
	v_bfe_u32 v2, v0, 23, 1
; %bb.3463:                             ;   in Loop: Header=BB6_136 Depth=3
	s_or_b32 exec_lo, exec_lo, s13
	s_delay_alu instid0(VALU_DEP_2) | instskip(NEXT) | instid1(VALU_DEP_2)
	v_lshrrev_b64 v[0:1], 21, v[0:1]
	v_cmp_gt_i32_e32 vcc_lo, 32, v2
	v_min_i32_e32 v3, 31, v2
	v_cmp_eq_u32_e64 s13, 0, v2
	s_delay_alu instid0(VALU_DEP_2) | instskip(SKIP_1) | instid1(VALU_DEP_2)
	v_dual_cndmask_b32 v1, 0, v1, vcc_lo :: v_dual_lshlrev_b32 v3, 2, v3
	v_cndmask_b32_e32 v0, 3, v0, vcc_lo
	v_and_b32_e32 v3, 0xfc, v3
	s_delay_alu instid0(VALU_DEP_2) | instskip(NEXT) | instid1(VALU_DEP_2)
	v_cmp_eq_u64_e32 vcc_lo, 0, v[0:1]
	v_and_or_b32 v0, v0, 3, v3
	s_and_b32 s13, s13, vcc_lo
	s_delay_alu instid0(VALU_DEP_1) | instid1(SALU_CYCLE_1)
	v_cndmask_b32_e64 v0, v0, 0, s13
	s_delay_alu instid0(VALU_DEP_1)
	v_or_b32_e32 v33, v0, v4
.LBB6_3464:                             ;   in Loop: Header=BB6_136 Depth=3
	s_or_b32 exec_lo, exec_lo, s76
                                        ; implicit-def: $vgpr4
.LBB6_3465:                             ;   in Loop: Header=BB6_136 Depth=3
	s_and_not1_saveexec_b32 s13, s75
; %bb.3466:                             ;   in Loop: Header=BB6_136 Depth=3
	v_or_b32_e32 v33, 0x7b, v4
; %bb.3467:                             ;   in Loop: Header=BB6_136 Depth=3
	s_or_b32 exec_lo, exec_lo, s13
                                        ; implicit-def: $vgpr2
                                        ; implicit-def: $vgpr0_vgpr1
                                        ; implicit-def: $vgpr3
.LBB6_3468:                             ;   in Loop: Header=BB6_136 Depth=3
	s_and_not1_saveexec_b32 s13, s74
	s_cbranch_execz .LBB6_3474
; %bb.3469:                             ;   in Loop: Header=BB6_136 Depth=3
	s_mov_b32 s74, exec_lo
                                        ; implicit-def: $vgpr33
	v_cmpx_ne_u64_e32 0, v[0:1]
	s_xor_b32 s74, exec_lo, s74
; %bb.3470:                             ;   in Loop: Header=BB6_136 Depth=3
	v_or_b32_e32 v33, 0x7f, v3
                                        ; implicit-def: $vgpr2
; %bb.3471:                             ;   in Loop: Header=BB6_136 Depth=3
	s_and_not1_saveexec_b32 s74, s74
; %bb.3472:                             ;   in Loop: Header=BB6_136 Depth=3
	v_cmp_lt_i32_e32 vcc_lo, -1, v2
	v_mov_b32_e32 v0, 0x7c
	s_delay_alu instid0(VALU_DEP_1)
	v_cndmask_b32_e32 v33, 0xfc, v0, vcc_lo
; %bb.3473:                             ;   in Loop: Header=BB6_136 Depth=3
	s_or_b32 exec_lo, exec_lo, s74
.LBB6_3474:                             ;   in Loop: Header=BB6_136 Depth=3
	s_delay_alu instid0(SALU_CYCLE_1)
	s_or_b32 exec_lo, exec_lo, s13
	v_mov_b32_e32 v1, 0
	s_mov_b32 s74, exec_lo
	v_cmpx_lt_u64_e64 s[22:23], v[10:11]
	s_cbranch_execz .LBB6_3484
; %bb.3475:                             ;   in Loop: Header=BB6_136 Depth=3
	v_lshrrev_b32_e32 v0, 24, v11
	v_bfrev_b32_e32 v1, 1
	s_mov_b32 s75, exec_lo
	s_delay_alu instid0(VALU_DEP_2)
	v_cmpx_ne_u32_e32 0x80, v0
	s_cbranch_execz .LBB6_3483
; %bb.3476:                             ;   in Loop: Header=BB6_136 Depth=3
	v_and_b32_e32 v1, 0x7c000000, v11
	v_bfe_u32 v2, v11, 24, 2
	s_delay_alu instid0(VALU_DEP_2) | instskip(SKIP_1) | instid1(SALU_CYCLE_1)
	v_cmp_ne_u32_e32 vcc_lo, 0x7c000000, v1
                                        ; implicit-def: $vgpr1
	s_and_saveexec_b32 s13, vcc_lo
	s_xor_b32 s13, exec_lo, s13
	s_cbranch_execz .LBB6_3480
; %bb.3477:                             ;   in Loop: Header=BB6_136 Depth=3
	v_bfe_u32 v1, v11, 26, 5
	s_mov_b32 s76, exec_lo
	s_delay_alu instid0(VALU_DEP_1)
	v_cmpx_eq_u32_e32 0, v1
; %bb.3478:                             ;   in Loop: Header=BB6_136 Depth=3
	v_clz_i32_u32_e32 v1, v2
	s_delay_alu instid0(VALU_DEP_1) | instskip(NEXT) | instid1(VALU_DEP_1)
	v_min_u32_e32 v2, 32, v1
	v_subrev_nc_u32_e32 v1, 29, v2
	s_delay_alu instid0(VALU_DEP_1) | instskip(NEXT) | instid1(VALU_DEP_1)
	v_lshlrev_b64_e32 v[0:1], v1, v[0:1]
	v_dual_sub_nc_u32 v1, 30, v2 :: v_dual_bitop2_b32 v2, 3, v0 bitop3:0x40
; %bb.3479:                             ;   in Loop: Header=BB6_136 Depth=3
	s_or_b32 exec_lo, exec_lo, s76
	v_and_b32_e32 v0, 0x80000000, v11
                                        ; implicit-def: $vgpr10_vgpr11
	s_delay_alu instid0(VALU_DEP_1) | instskip(NEXT) | instid1(VALU_DEP_1)
	v_lshl_add_u32 v0, v1, 23, v0
	v_lshl_or_b32 v0, v2, 21, v0
                                        ; implicit-def: $vgpr2
	s_delay_alu instid0(VALU_DEP_1)
	v_add_nc_u32_e32 v1, 0x38000000, v0
.LBB6_3480:                             ;   in Loop: Header=BB6_136 Depth=3
	s_and_not1_saveexec_b32 s76, s13
; %bb.3481:                             ;   in Loop: Header=BB6_136 Depth=3
	v_cmp_lt_i64_e64 s13, -1, v[10:11]
	v_mov_b32_e32 v0, 0x7f800000
	v_cmp_eq_u32_e32 vcc_lo, 0, v2
	s_delay_alu instid0(VALU_DEP_2) | instskip(NEXT) | instid1(VALU_DEP_1)
	v_cndmask_b32_e64 v0, 0xff800000, v0, s13
	v_cndmask_b32_e32 v1, 0x7f800001, v0, vcc_lo
; %bb.3482:                             ;   in Loop: Header=BB6_136 Depth=3
	s_or_b32 exec_lo, exec_lo, s76
.LBB6_3483:                             ;   in Loop: Header=BB6_136 Depth=3
	s_delay_alu instid0(SALU_CYCLE_1)
	s_or_b32 exec_lo, exec_lo, s75
.LBB6_3484:                             ;   in Loop: Header=BB6_136 Depth=3
	s_delay_alu instid0(SALU_CYCLE_1) | instskip(NEXT) | instid1(VALU_DEP_1)
	s_or_b32 exec_lo, exec_lo, s74
	v_dual_mul_f32 v2, s73, v1 :: v_dual_mov_b32 v5, v113
	v_mov_b32_e32 v1, v113
                                        ; implicit-def: $vgpr34
	s_mov_b32 s13, exec_lo
	s_delay_alu instid0(VALU_DEP_2) | instskip(SKIP_2) | instid1(VALU_DEP_3)
	v_and_b32_e32 v4, 0x7f800000, v2
	v_and_b32_e32 v0, 0x7fffff, v2
	v_lshrrev_b32_e32 v3, 24, v2
	v_cmpx_ne_u64_e32 0x7f800000, v[4:5]
	s_xor_b32 s74, exec_lo, s13
	s_cbranch_execz .LBB6_3498
; %bb.3485:                             ;   in Loop: Header=BB6_136 Depth=3
	v_and_b32_e32 v4, 0x7fffffff, v2
	v_mov_b32_e32 v5, v113
                                        ; implicit-def: $vgpr34
	s_delay_alu instid0(VALU_DEP_1) | instskip(SKIP_2) | instid1(SALU_CYCLE_1)
	v_cmp_gt_u64_e32 vcc_lo, 0x47600001, v[4:5]
	v_and_b32_e32 v4, 0x80, v3
	s_and_saveexec_b32 s13, vcc_lo
	s_xor_b32 s75, exec_lo, s13
	s_cbranch_execz .LBB6_3495
; %bb.3486:                             ;   in Loop: Header=BB6_136 Depth=3
	v_mov_b32_e32 v34, 0
	s_mov_b32 s76, exec_lo
	v_cmpx_ne_u32_e32 0, v2
	s_cbranch_execz .LBB6_3494
; %bb.3487:                             ;   in Loop: Header=BB6_136 Depth=3
	v_bfe_u32 v5, v2, 23, 8
	v_or_b32_e32 v3, 0x800000, v0
	s_delay_alu instid0(VALU_DEP_2) | instskip(SKIP_2) | instid1(VALU_DEP_2)
	v_cmp_gt_u32_e64 s13, 0x72, v5
	v_sub_nc_u32_e32 v2, 0x71, v5
	v_cmp_eq_u32_e32 vcc_lo, 0, v5
	v_dual_cndmask_b32 v2, 0, v2, s13 :: v_dual_cndmask_b32 v0, v3, v0, vcc_lo
	s_delay_alu instid0(VALU_DEP_1) | instskip(NEXT) | instid1(VALU_DEP_1)
	v_cndmask_b32_e64 v8, v2, 0x70, vcc_lo
	v_dual_add_nc_u32 v2, 21, v8 :: v_dual_add_nc_u32 v9, 20, v8
	s_delay_alu instid0(VALU_DEP_1) | instskip(NEXT) | instid1(VALU_DEP_2)
	v_lshlrev_b64_e64 v[2:3], v2, -1
	v_lshlrev_b64_e64 v[10:11], v9, 1
	s_delay_alu instid0(VALU_DEP_2) | instskip(SKIP_1) | instid1(VALU_DEP_4)
	v_bfi_b32 v2, v2, 0, v0
	v_lshrrev_b64 v[0:1], v8, v[0:1]
	v_bfi_b32 v3, v3, 0, 0
	s_delay_alu instid0(VALU_DEP_1) | instskip(NEXT) | instid1(VALU_DEP_3)
	v_cmp_eq_u64_e64 s13, v[2:3], v[10:11]
	v_mov_b64_e32 v[2:3], v[0:1]
	s_and_saveexec_b32 s77, s13
; %bb.3488:                             ;   in Loop: Header=BB6_136 Depth=3
	v_bfe_u32 v2, v0, 21, 1
	v_mov_b32_e32 v3, v113
	s_delay_alu instid0(VALU_DEP_1) | instskip(NEXT) | instid1(VALU_DEP_1)
	v_add_nc_u64_e32 v[2:3], v[0:1], v[2:3]
	v_add_nc_u64_e32 v[2:3], -1, v[2:3]
; %bb.3489:                             ;   in Loop: Header=BB6_136 Depth=3
	s_or_b32 exec_lo, exec_lo, s77
	v_add_nc_u32_e32 v1, 0xffffff81, v5
	v_lshrrev_b32_e32 v3, 23, v0
	s_mov_b32 s13, exec_lo
	s_delay_alu instid0(VALU_DEP_2) | instskip(NEXT) | instid1(VALU_DEP_1)
	v_cndmask_b32_e64 v1, v1, 0xffffff82, vcc_lo
	v_add3_u32 v5, v8, v1, v3
	v_and_b32_e32 v1, 0x1fffff, v2
                                        ; implicit-def: $vgpr2
	s_delay_alu instid0(VALU_DEP_1) | instskip(SKIP_1) | instid1(VALU_DEP_2)
	v_dual_add_nc_u32 v3, 14, v5 :: v_dual_add_nc_u32 v0, v1, v0
	v_mov_b32_e32 v1, v113
	v_cmpx_ne_u32_e32 0, v3
	s_xor_b32 s13, exec_lo, s13
; %bb.3490:                             ;   in Loop: Header=BB6_136 Depth=3
	s_delay_alu instid0(VALU_DEP_2) | instskip(SKIP_1) | instid1(VALU_DEP_1)
	v_cmp_lt_u64_e32 vcc_lo, 0xffffff, v[0:1]
	v_add_nc_u32_e32 v2, 15, v5
	v_cndmask_b32_e32 v2, v3, v2, vcc_lo
	v_cndmask_b32_e64 v3, 0, 1, vcc_lo
	s_delay_alu instid0(VALU_DEP_1)
	v_lshrrev_b64 v[0:1], v3, v[0:1]
; %bb.3491:                             ;   in Loop: Header=BB6_136 Depth=3
	s_and_not1_saveexec_b32 s13, s13
; %bb.3492:                             ;   in Loop: Header=BB6_136 Depth=3
	s_delay_alu instid0(VALU_DEP_1)
	v_bfe_u32 v2, v0, 23, 1
; %bb.3493:                             ;   in Loop: Header=BB6_136 Depth=3
	s_or_b32 exec_lo, exec_lo, s13
	s_delay_alu instid0(VALU_DEP_2) | instskip(NEXT) | instid1(VALU_DEP_2)
	v_lshrrev_b64 v[0:1], 21, v[0:1]
	v_cmp_gt_i32_e32 vcc_lo, 32, v2
	v_min_i32_e32 v3, 31, v2
	v_cmp_eq_u32_e64 s13, 0, v2
	s_delay_alu instid0(VALU_DEP_2) | instskip(SKIP_1) | instid1(VALU_DEP_2)
	v_dual_cndmask_b32 v1, 0, v1, vcc_lo :: v_dual_lshlrev_b32 v3, 2, v3
	v_cndmask_b32_e32 v0, 3, v0, vcc_lo
	v_and_b32_e32 v3, 0xfc, v3
	s_delay_alu instid0(VALU_DEP_2) | instskip(NEXT) | instid1(VALU_DEP_2)
	v_cmp_eq_u64_e32 vcc_lo, 0, v[0:1]
	v_and_or_b32 v0, v0, 3, v3
	s_and_b32 s13, s13, vcc_lo
	s_delay_alu instid0(VALU_DEP_1) | instid1(SALU_CYCLE_1)
	v_cndmask_b32_e64 v0, v0, 0, s13
	s_delay_alu instid0(VALU_DEP_1)
	v_or_b32_e32 v34, v0, v4
.LBB6_3494:                             ;   in Loop: Header=BB6_136 Depth=3
	s_or_b32 exec_lo, exec_lo, s76
                                        ; implicit-def: $vgpr4
.LBB6_3495:                             ;   in Loop: Header=BB6_136 Depth=3
	s_and_not1_saveexec_b32 s13, s75
; %bb.3496:                             ;   in Loop: Header=BB6_136 Depth=3
	v_or_b32_e32 v34, 0x7b, v4
; %bb.3497:                             ;   in Loop: Header=BB6_136 Depth=3
	s_or_b32 exec_lo, exec_lo, s13
                                        ; implicit-def: $vgpr2
                                        ; implicit-def: $vgpr0_vgpr1
                                        ; implicit-def: $vgpr3
.LBB6_3498:                             ;   in Loop: Header=BB6_136 Depth=3
	s_and_not1_saveexec_b32 s13, s74
	s_cbranch_execz .LBB6_3504
; %bb.3499:                             ;   in Loop: Header=BB6_136 Depth=3
	s_mov_b32 s74, exec_lo
                                        ; implicit-def: $vgpr34
	v_cmpx_ne_u64_e32 0, v[0:1]
	s_xor_b32 s74, exec_lo, s74
; %bb.3500:                             ;   in Loop: Header=BB6_136 Depth=3
	v_or_b32_e32 v34, 0x7f, v3
                                        ; implicit-def: $vgpr2
; %bb.3501:                             ;   in Loop: Header=BB6_136 Depth=3
	s_and_not1_saveexec_b32 s74, s74
; %bb.3502:                             ;   in Loop: Header=BB6_136 Depth=3
	v_cmp_lt_i32_e32 vcc_lo, -1, v2
	v_mov_b32_e32 v0, 0x7c
	s_delay_alu instid0(VALU_DEP_1)
	v_cndmask_b32_e32 v34, 0xfc, v0, vcc_lo
; %bb.3503:                             ;   in Loop: Header=BB6_136 Depth=3
	s_or_b32 exec_lo, exec_lo, s74
.LBB6_3504:                             ;   in Loop: Header=BB6_136 Depth=3
	s_delay_alu instid0(SALU_CYCLE_1) | instskip(SKIP_3) | instid1(VALU_DEP_1)
	s_or_b32 exec_lo, exec_lo, s13
	global_load_b128 v[8:11], v[12:13], off offset:3584 th:TH_LOAD_NT
	s_wait_loadcnt 0x0
	v_and_b32_e32 v0, 0xff, v8
	v_cmp_ne_u16_e32 vcc_lo, 0, v0
	v_mov_b32_e32 v0, 0
	s_wait_xcnt 0x0
	s_and_saveexec_b32 s74, vcc_lo
	s_cbranch_execz .LBB6_3514
; %bb.3505:                             ;   in Loop: Header=BB6_136 Depth=3
	v_bfe_i32 v2, v8, 0, 8
	v_bfrev_b32_e32 v0, 1
	s_mov_b32 s75, exec_lo
	s_delay_alu instid0(VALU_DEP_2)
	v_cmpx_ne_u16_e32 0xff80, v2
	s_cbranch_execz .LBB6_3513
; %bb.3506:                             ;   in Loop: Header=BB6_136 Depth=3
	v_and_b32_e32 v0, 0x7c, v8
	v_and_b32_e32 v1, 3, v8
	s_delay_alu instid0(VALU_DEP_2) | instskip(SKIP_1) | instid1(SALU_CYCLE_1)
	v_cmp_ne_u32_e32 vcc_lo, 0x7c, v0
                                        ; implicit-def: $vgpr0
	s_and_saveexec_b32 s13, vcc_lo
	s_xor_b32 s13, exec_lo, s13
	s_cbranch_execz .LBB6_3510
; %bb.3507:                             ;   in Loop: Header=BB6_136 Depth=3
	v_bfe_u32 v0, v8, 2, 5
	s_mov_b32 s76, exec_lo
	s_delay_alu instid0(VALU_DEP_1)
	v_cmpx_eq_u32_e32 0, v0
; %bb.3508:                             ;   in Loop: Header=BB6_136 Depth=3
	v_clz_i32_u32_e32 v0, v1
	s_delay_alu instid0(VALU_DEP_1) | instskip(NEXT) | instid1(VALU_DEP_1)
	v_min_u32_e32 v0, 32, v0
	v_subrev_nc_u32_e32 v1, 29, v0
	s_delay_alu instid0(VALU_DEP_1) | instskip(NEXT) | instid1(VALU_DEP_1)
	v_lshlrev_b64_e32 v[2:3], v1, v[8:9]
	v_dual_sub_nc_u32 v0, 30, v0 :: v_dual_bitop2_b32 v1, 3, v2 bitop3:0x40
; %bb.3509:                             ;   in Loop: Header=BB6_136 Depth=3
	s_or_b32 exec_lo, exec_lo, s76
	v_lshlrev_b32_e32 v2, 24, v8
	s_delay_alu instid0(VALU_DEP_1) | instskip(NEXT) | instid1(VALU_DEP_1)
	v_and_b32_e32 v2, 0x80000000, v2
	v_lshl_add_u32 v0, v0, 23, v2
                                        ; implicit-def: $vgpr2
	s_delay_alu instid0(VALU_DEP_1) | instskip(NEXT) | instid1(VALU_DEP_1)
	v_lshl_or_b32 v0, v1, 21, v0
                                        ; implicit-def: $vgpr1
	v_add_nc_u32_e32 v0, 0x38000000, v0
.LBB6_3510:                             ;   in Loop: Header=BB6_136 Depth=3
	s_and_not1_saveexec_b32 s76, s13
; %bb.3511:                             ;   in Loop: Header=BB6_136 Depth=3
	v_cmp_lt_i16_e64 s13, -1, v2
	v_mov_b32_e32 v0, 0x7f800000
	v_cmp_eq_u32_e32 vcc_lo, 0, v1
	s_delay_alu instid0(VALU_DEP_2) | instskip(NEXT) | instid1(VALU_DEP_1)
	v_cndmask_b32_e64 v0, 0xff800000, v0, s13
	v_cndmask_b32_e32 v0, 0x7f800001, v0, vcc_lo
; %bb.3512:                             ;   in Loop: Header=BB6_136 Depth=3
	s_or_b32 exec_lo, exec_lo, s76
.LBB6_3513:                             ;   in Loop: Header=BB6_136 Depth=3
	s_delay_alu instid0(SALU_CYCLE_1)
	s_or_b32 exec_lo, exec_lo, s75
.LBB6_3514:                             ;   in Loop: Header=BB6_136 Depth=3
	s_delay_alu instid0(SALU_CYCLE_1) | instskip(NEXT) | instid1(VALU_DEP_1)
	s_or_b32 exec_lo, exec_lo, s74
	v_dual_mul_f32 v2, s73, v0 :: v_dual_mov_b32 v5, v113
	v_mov_b32_e32 v1, v113
                                        ; implicit-def: $vgpr35
	s_mov_b32 s13, exec_lo
	s_delay_alu instid0(VALU_DEP_2) | instskip(SKIP_2) | instid1(VALU_DEP_3)
	v_and_b32_e32 v4, 0x7f800000, v2
	v_and_b32_e32 v0, 0x7fffff, v2
	v_lshrrev_b32_e32 v3, 24, v2
	v_cmpx_ne_u64_e32 0x7f800000, v[4:5]
	s_xor_b32 s74, exec_lo, s13
	s_cbranch_execz .LBB6_3528
; %bb.3515:                             ;   in Loop: Header=BB6_136 Depth=3
	v_and_b32_e32 v4, 0x7fffffff, v2
	v_mov_b32_e32 v5, v113
                                        ; implicit-def: $vgpr35
	s_delay_alu instid0(VALU_DEP_1) | instskip(SKIP_2) | instid1(SALU_CYCLE_1)
	v_cmp_gt_u64_e32 vcc_lo, 0x47600001, v[4:5]
	v_and_b32_e32 v4, 0x80, v3
	s_and_saveexec_b32 s13, vcc_lo
	s_xor_b32 s75, exec_lo, s13
	s_cbranch_execz .LBB6_3525
; %bb.3516:                             ;   in Loop: Header=BB6_136 Depth=3
	v_mov_b32_e32 v35, 0
	s_mov_b32 s76, exec_lo
	v_cmpx_ne_u32_e32 0, v2
	s_cbranch_execz .LBB6_3524
; %bb.3517:                             ;   in Loop: Header=BB6_136 Depth=3
	v_bfe_u32 v5, v2, 23, 8
	v_or_b32_e32 v3, 0x800000, v0
	s_delay_alu instid0(VALU_DEP_2) | instskip(SKIP_2) | instid1(VALU_DEP_2)
	v_cmp_gt_u32_e64 s13, 0x72, v5
	v_sub_nc_u32_e32 v2, 0x71, v5
	v_cmp_eq_u32_e32 vcc_lo, 0, v5
	v_dual_cndmask_b32 v2, 0, v2, s13 :: v_dual_cndmask_b32 v0, v3, v0, vcc_lo
	s_delay_alu instid0(VALU_DEP_1) | instskip(NEXT) | instid1(VALU_DEP_1)
	v_cndmask_b32_e64 v12, v2, 0x70, vcc_lo
	v_dual_add_nc_u32 v2, 21, v12 :: v_dual_add_nc_u32 v13, 20, v12
	s_delay_alu instid0(VALU_DEP_1) | instskip(NEXT) | instid1(VALU_DEP_2)
	v_lshlrev_b64_e64 v[2:3], v2, -1
	v_lshlrev_b64_e64 v[36:37], v13, 1
	s_delay_alu instid0(VALU_DEP_2) | instskip(SKIP_1) | instid1(VALU_DEP_4)
	v_bfi_b32 v2, v2, 0, v0
	v_lshrrev_b64 v[0:1], v12, v[0:1]
	v_bfi_b32 v3, v3, 0, 0
	s_delay_alu instid0(VALU_DEP_1) | instskip(NEXT) | instid1(VALU_DEP_3)
	v_cmp_eq_u64_e64 s13, v[2:3], v[36:37]
	v_mov_b64_e32 v[2:3], v[0:1]
	s_and_saveexec_b32 s77, s13
; %bb.3518:                             ;   in Loop: Header=BB6_136 Depth=3
	v_bfe_u32 v2, v0, 21, 1
	v_mov_b32_e32 v3, v113
	s_delay_alu instid0(VALU_DEP_1) | instskip(NEXT) | instid1(VALU_DEP_1)
	v_add_nc_u64_e32 v[2:3], v[0:1], v[2:3]
	v_add_nc_u64_e32 v[2:3], -1, v[2:3]
; %bb.3519:                             ;   in Loop: Header=BB6_136 Depth=3
	s_or_b32 exec_lo, exec_lo, s77
	v_add_nc_u32_e32 v1, 0xffffff81, v5
	v_lshrrev_b32_e32 v3, 23, v0
	s_mov_b32 s13, exec_lo
	s_delay_alu instid0(VALU_DEP_2) | instskip(NEXT) | instid1(VALU_DEP_1)
	v_cndmask_b32_e64 v1, v1, 0xffffff82, vcc_lo
	v_add3_u32 v5, v12, v1, v3
	v_and_b32_e32 v1, 0x1fffff, v2
                                        ; implicit-def: $vgpr2
	s_delay_alu instid0(VALU_DEP_1) | instskip(SKIP_1) | instid1(VALU_DEP_2)
	v_dual_add_nc_u32 v3, 14, v5 :: v_dual_add_nc_u32 v0, v1, v0
	v_mov_b32_e32 v1, v113
	v_cmpx_ne_u32_e32 0, v3
	s_xor_b32 s13, exec_lo, s13
; %bb.3520:                             ;   in Loop: Header=BB6_136 Depth=3
	s_delay_alu instid0(VALU_DEP_2) | instskip(SKIP_1) | instid1(VALU_DEP_1)
	v_cmp_lt_u64_e32 vcc_lo, 0xffffff, v[0:1]
	v_add_nc_u32_e32 v2, 15, v5
	v_cndmask_b32_e32 v2, v3, v2, vcc_lo
	v_cndmask_b32_e64 v3, 0, 1, vcc_lo
	s_delay_alu instid0(VALU_DEP_1)
	v_lshrrev_b64 v[0:1], v3, v[0:1]
; %bb.3521:                             ;   in Loop: Header=BB6_136 Depth=3
	s_and_not1_saveexec_b32 s13, s13
; %bb.3522:                             ;   in Loop: Header=BB6_136 Depth=3
	s_delay_alu instid0(VALU_DEP_1)
	v_bfe_u32 v2, v0, 23, 1
; %bb.3523:                             ;   in Loop: Header=BB6_136 Depth=3
	s_or_b32 exec_lo, exec_lo, s13
	s_delay_alu instid0(VALU_DEP_2) | instskip(NEXT) | instid1(VALU_DEP_2)
	v_lshrrev_b64 v[0:1], 21, v[0:1]
	v_cmp_gt_i32_e32 vcc_lo, 32, v2
	v_min_i32_e32 v3, 31, v2
	v_cmp_eq_u32_e64 s13, 0, v2
	s_delay_alu instid0(VALU_DEP_2) | instskip(SKIP_1) | instid1(VALU_DEP_2)
	v_dual_cndmask_b32 v1, 0, v1, vcc_lo :: v_dual_lshlrev_b32 v3, 2, v3
	v_cndmask_b32_e32 v0, 3, v0, vcc_lo
	v_and_b32_e32 v3, 0xfc, v3
	s_delay_alu instid0(VALU_DEP_2) | instskip(NEXT) | instid1(VALU_DEP_2)
	v_cmp_eq_u64_e32 vcc_lo, 0, v[0:1]
	v_and_or_b32 v0, v0, 3, v3
	s_and_b32 s13, s13, vcc_lo
	s_delay_alu instid0(VALU_DEP_1) | instid1(SALU_CYCLE_1)
	v_cndmask_b32_e64 v0, v0, 0, s13
	s_delay_alu instid0(VALU_DEP_1)
	v_or_b32_e32 v35, v0, v4
.LBB6_3524:                             ;   in Loop: Header=BB6_136 Depth=3
	s_or_b32 exec_lo, exec_lo, s76
                                        ; implicit-def: $vgpr4
.LBB6_3525:                             ;   in Loop: Header=BB6_136 Depth=3
	s_and_not1_saveexec_b32 s13, s75
; %bb.3526:                             ;   in Loop: Header=BB6_136 Depth=3
	v_or_b32_e32 v35, 0x7b, v4
; %bb.3527:                             ;   in Loop: Header=BB6_136 Depth=3
	s_or_b32 exec_lo, exec_lo, s13
                                        ; implicit-def: $vgpr2
                                        ; implicit-def: $vgpr0_vgpr1
                                        ; implicit-def: $vgpr3
.LBB6_3528:                             ;   in Loop: Header=BB6_136 Depth=3
	s_and_not1_saveexec_b32 s13, s74
	s_cbranch_execz .LBB6_3534
; %bb.3529:                             ;   in Loop: Header=BB6_136 Depth=3
	s_mov_b32 s74, exec_lo
                                        ; implicit-def: $vgpr35
	v_cmpx_ne_u64_e32 0, v[0:1]
	s_xor_b32 s74, exec_lo, s74
; %bb.3530:                             ;   in Loop: Header=BB6_136 Depth=3
	v_or_b32_e32 v35, 0x7f, v3
                                        ; implicit-def: $vgpr2
; %bb.3531:                             ;   in Loop: Header=BB6_136 Depth=3
	s_and_not1_saveexec_b32 s74, s74
; %bb.3532:                             ;   in Loop: Header=BB6_136 Depth=3
	v_cmp_lt_i32_e32 vcc_lo, -1, v2
	v_mov_b32_e32 v0, 0x7c
	s_delay_alu instid0(VALU_DEP_1)
	v_cndmask_b32_e32 v35, 0xfc, v0, vcc_lo
; %bb.3533:                             ;   in Loop: Header=BB6_136 Depth=3
	s_or_b32 exec_lo, exec_lo, s74
.LBB6_3534:                             ;   in Loop: Header=BB6_136 Depth=3
	s_delay_alu instid0(SALU_CYCLE_1) | instskip(SKIP_3) | instid1(VALU_DEP_2)
	s_or_b32 exec_lo, exec_lo, s13
	v_lshrrev_b16 v0, 8, v8
	v_mov_b32_e32 v1, 0
	s_mov_b32 s74, exec_lo
	v_cmpx_ne_u16_e32 0, v0
	s_cbranch_execz .LBB6_3544
; %bb.3535:                             ;   in Loop: Header=BB6_136 Depth=3
	v_bfrev_b32_e32 v1, 1
	s_mov_b32 s75, exec_lo
	v_cmpx_ne_u16_e32 0x80, v0
	s_cbranch_execz .LBB6_3543
; %bb.3536:                             ;   in Loop: Header=BB6_136 Depth=3
	v_and_b32_e32 v3, 0xffff, v0
	s_delay_alu instid0(VALU_DEP_1) | instskip(SKIP_1) | instid1(VALU_DEP_2)
	v_and_b32_e32 v1, 0x7c, v3
	v_and_b32_e32 v2, 3, v3
	v_cmp_ne_u32_e32 vcc_lo, 0x7c, v1
                                        ; implicit-def: $vgpr1
	s_and_saveexec_b32 s13, vcc_lo
	s_delay_alu instid0(SALU_CYCLE_1)
	s_xor_b32 s13, exec_lo, s13
	s_cbranch_execz .LBB6_3540
; %bb.3537:                             ;   in Loop: Header=BB6_136 Depth=3
	v_bfe_u32 v1, v3, 2, 5
	s_mov_b32 s76, exec_lo
	s_delay_alu instid0(VALU_DEP_1)
	v_cmpx_eq_u32_e32 0, v1
; %bb.3538:                             ;   in Loop: Header=BB6_136 Depth=3
	v_clz_i32_u32_e32 v1, v2
	s_delay_alu instid0(VALU_DEP_1) | instskip(SKIP_1) | instid1(VALU_DEP_2)
	v_min_u32_e32 v2, 32, v1
	v_mov_b32_e32 v1, v113
	v_subrev_nc_u32_e32 v3, 29, v2
	s_delay_alu instid0(VALU_DEP_1) | instskip(NEXT) | instid1(VALU_DEP_1)
	v_lshlrev_b64_e32 v[0:1], v3, v[0:1]
	v_dual_sub_nc_u32 v1, 30, v2 :: v_dual_bitop2_b32 v2, 3, v0 bitop3:0x40
; %bb.3539:                             ;   in Loop: Header=BB6_136 Depth=3
	s_or_b32 exec_lo, exec_lo, s76
	v_lshlrev_b32_e32 v0, 16, v8
	s_delay_alu instid0(VALU_DEP_1) | instskip(NEXT) | instid1(VALU_DEP_1)
	v_and_b32_e32 v0, 0x80000000, v0
	v_lshl_add_u32 v0, v1, 23, v0
	s_delay_alu instid0(VALU_DEP_1) | instskip(NEXT) | instid1(VALU_DEP_1)
	v_lshl_or_b32 v0, v2, 21, v0
                                        ; implicit-def: $vgpr2
	v_add_nc_u32_e32 v1, 0x38000000, v0
.LBB6_3540:                             ;   in Loop: Header=BB6_136 Depth=3
	s_and_not1_saveexec_b32 s76, s13
; %bb.3541:                             ;   in Loop: Header=BB6_136 Depth=3
	v_cmp_lt_i16_e64 s13, -1, v8
	v_mov_b32_e32 v0, 0x7f800000
	v_cmp_eq_u32_e32 vcc_lo, 0, v2
	s_delay_alu instid0(VALU_DEP_2) | instskip(NEXT) | instid1(VALU_DEP_1)
	v_cndmask_b32_e64 v0, 0xff800000, v0, s13
	v_cndmask_b32_e32 v1, 0x7f800001, v0, vcc_lo
; %bb.3542:                             ;   in Loop: Header=BB6_136 Depth=3
	s_or_b32 exec_lo, exec_lo, s76
.LBB6_3543:                             ;   in Loop: Header=BB6_136 Depth=3
	s_delay_alu instid0(SALU_CYCLE_1)
	s_or_b32 exec_lo, exec_lo, s75
.LBB6_3544:                             ;   in Loop: Header=BB6_136 Depth=3
	s_delay_alu instid0(SALU_CYCLE_1) | instskip(NEXT) | instid1(VALU_DEP_1)
	s_or_b32 exec_lo, exec_lo, s74
	v_dual_mul_f32 v2, s73, v1 :: v_dual_mov_b32 v5, v113
	v_mov_b32_e32 v1, v113
                                        ; implicit-def: $vgpr36
	s_mov_b32 s13, exec_lo
	s_delay_alu instid0(VALU_DEP_2) | instskip(SKIP_2) | instid1(VALU_DEP_3)
	v_and_b32_e32 v4, 0x7f800000, v2
	v_and_b32_e32 v0, 0x7fffff, v2
	v_lshrrev_b32_e32 v3, 24, v2
	v_cmpx_ne_u64_e32 0x7f800000, v[4:5]
	s_xor_b32 s74, exec_lo, s13
	s_cbranch_execz .LBB6_3558
; %bb.3545:                             ;   in Loop: Header=BB6_136 Depth=3
	v_and_b32_e32 v4, 0x7fffffff, v2
	v_mov_b32_e32 v5, v113
                                        ; implicit-def: $vgpr36
	s_delay_alu instid0(VALU_DEP_1) | instskip(SKIP_2) | instid1(SALU_CYCLE_1)
	v_cmp_gt_u64_e32 vcc_lo, 0x47600001, v[4:5]
	v_and_b32_e32 v4, 0x80, v3
	s_and_saveexec_b32 s13, vcc_lo
	s_xor_b32 s75, exec_lo, s13
	s_cbranch_execz .LBB6_3555
; %bb.3546:                             ;   in Loop: Header=BB6_136 Depth=3
	v_mov_b32_e32 v36, 0
	s_mov_b32 s76, exec_lo
	v_cmpx_ne_u32_e32 0, v2
	s_cbranch_execz .LBB6_3554
; %bb.3547:                             ;   in Loop: Header=BB6_136 Depth=3
	v_bfe_u32 v5, v2, 23, 8
	v_or_b32_e32 v3, 0x800000, v0
	s_delay_alu instid0(VALU_DEP_2) | instskip(SKIP_2) | instid1(VALU_DEP_2)
	v_cmp_gt_u32_e64 s13, 0x72, v5
	v_sub_nc_u32_e32 v2, 0x71, v5
	v_cmp_eq_u32_e32 vcc_lo, 0, v5
	v_dual_cndmask_b32 v2, 0, v2, s13 :: v_dual_cndmask_b32 v0, v3, v0, vcc_lo
	s_delay_alu instid0(VALU_DEP_1) | instskip(NEXT) | instid1(VALU_DEP_1)
	v_cndmask_b32_e64 v12, v2, 0x70, vcc_lo
	v_dual_add_nc_u32 v2, 21, v12 :: v_dual_add_nc_u32 v13, 20, v12
	s_delay_alu instid0(VALU_DEP_1) | instskip(NEXT) | instid1(VALU_DEP_2)
	v_lshlrev_b64_e64 v[2:3], v2, -1
	v_lshlrev_b64_e64 v[36:37], v13, 1
	s_delay_alu instid0(VALU_DEP_2) | instskip(SKIP_1) | instid1(VALU_DEP_4)
	v_bfi_b32 v2, v2, 0, v0
	v_lshrrev_b64 v[0:1], v12, v[0:1]
	v_bfi_b32 v3, v3, 0, 0
	s_delay_alu instid0(VALU_DEP_1) | instskip(NEXT) | instid1(VALU_DEP_3)
	v_cmp_eq_u64_e64 s13, v[2:3], v[36:37]
	v_mov_b64_e32 v[2:3], v[0:1]
	s_and_saveexec_b32 s77, s13
; %bb.3548:                             ;   in Loop: Header=BB6_136 Depth=3
	v_bfe_u32 v2, v0, 21, 1
	v_mov_b32_e32 v3, v113
	s_delay_alu instid0(VALU_DEP_1) | instskip(NEXT) | instid1(VALU_DEP_1)
	v_add_nc_u64_e32 v[2:3], v[0:1], v[2:3]
	v_add_nc_u64_e32 v[2:3], -1, v[2:3]
; %bb.3549:                             ;   in Loop: Header=BB6_136 Depth=3
	s_or_b32 exec_lo, exec_lo, s77
	v_add_nc_u32_e32 v1, 0xffffff81, v5
	v_lshrrev_b32_e32 v3, 23, v0
	s_mov_b32 s13, exec_lo
	s_delay_alu instid0(VALU_DEP_2) | instskip(NEXT) | instid1(VALU_DEP_1)
	v_cndmask_b32_e64 v1, v1, 0xffffff82, vcc_lo
	v_add3_u32 v5, v12, v1, v3
	v_and_b32_e32 v1, 0x1fffff, v2
                                        ; implicit-def: $vgpr2
	s_delay_alu instid0(VALU_DEP_1) | instskip(SKIP_1) | instid1(VALU_DEP_2)
	v_dual_add_nc_u32 v3, 14, v5 :: v_dual_add_nc_u32 v0, v1, v0
	v_mov_b32_e32 v1, v113
	v_cmpx_ne_u32_e32 0, v3
	s_xor_b32 s13, exec_lo, s13
; %bb.3550:                             ;   in Loop: Header=BB6_136 Depth=3
	s_delay_alu instid0(VALU_DEP_2) | instskip(SKIP_1) | instid1(VALU_DEP_1)
	v_cmp_lt_u64_e32 vcc_lo, 0xffffff, v[0:1]
	v_add_nc_u32_e32 v2, 15, v5
	v_cndmask_b32_e32 v2, v3, v2, vcc_lo
	v_cndmask_b32_e64 v3, 0, 1, vcc_lo
	s_delay_alu instid0(VALU_DEP_1)
	v_lshrrev_b64 v[0:1], v3, v[0:1]
; %bb.3551:                             ;   in Loop: Header=BB6_136 Depth=3
	s_and_not1_saveexec_b32 s13, s13
; %bb.3552:                             ;   in Loop: Header=BB6_136 Depth=3
	s_delay_alu instid0(VALU_DEP_1)
	v_bfe_u32 v2, v0, 23, 1
; %bb.3553:                             ;   in Loop: Header=BB6_136 Depth=3
	s_or_b32 exec_lo, exec_lo, s13
	s_delay_alu instid0(VALU_DEP_2) | instskip(NEXT) | instid1(VALU_DEP_2)
	v_lshrrev_b64 v[0:1], 21, v[0:1]
	v_cmp_gt_i32_e32 vcc_lo, 32, v2
	v_min_i32_e32 v3, 31, v2
	v_cmp_eq_u32_e64 s13, 0, v2
	s_delay_alu instid0(VALU_DEP_2) | instskip(SKIP_1) | instid1(VALU_DEP_2)
	v_dual_cndmask_b32 v1, 0, v1, vcc_lo :: v_dual_lshlrev_b32 v3, 2, v3
	v_cndmask_b32_e32 v0, 3, v0, vcc_lo
	v_and_b32_e32 v3, 0xfc, v3
	s_delay_alu instid0(VALU_DEP_2) | instskip(NEXT) | instid1(VALU_DEP_2)
	v_cmp_eq_u64_e32 vcc_lo, 0, v[0:1]
	v_and_or_b32 v0, v0, 3, v3
	s_and_b32 s13, s13, vcc_lo
	s_delay_alu instid0(VALU_DEP_1) | instid1(SALU_CYCLE_1)
	v_cndmask_b32_e64 v0, v0, 0, s13
	s_delay_alu instid0(VALU_DEP_1)
	v_or_b32_e32 v36, v0, v4
.LBB6_3554:                             ;   in Loop: Header=BB6_136 Depth=3
	s_or_b32 exec_lo, exec_lo, s76
                                        ; implicit-def: $vgpr4
.LBB6_3555:                             ;   in Loop: Header=BB6_136 Depth=3
	s_and_not1_saveexec_b32 s13, s75
; %bb.3556:                             ;   in Loop: Header=BB6_136 Depth=3
	v_or_b32_e32 v36, 0x7b, v4
; %bb.3557:                             ;   in Loop: Header=BB6_136 Depth=3
	s_or_b32 exec_lo, exec_lo, s13
                                        ; implicit-def: $vgpr2
                                        ; implicit-def: $vgpr0_vgpr1
                                        ; implicit-def: $vgpr3
.LBB6_3558:                             ;   in Loop: Header=BB6_136 Depth=3
	s_and_not1_saveexec_b32 s13, s74
	s_cbranch_execz .LBB6_3564
; %bb.3559:                             ;   in Loop: Header=BB6_136 Depth=3
	s_mov_b32 s74, exec_lo
                                        ; implicit-def: $vgpr36
	v_cmpx_ne_u64_e32 0, v[0:1]
	s_xor_b32 s74, exec_lo, s74
; %bb.3560:                             ;   in Loop: Header=BB6_136 Depth=3
	v_or_b32_e32 v36, 0x7f, v3
                                        ; implicit-def: $vgpr2
; %bb.3561:                             ;   in Loop: Header=BB6_136 Depth=3
	s_and_not1_saveexec_b32 s74, s74
; %bb.3562:                             ;   in Loop: Header=BB6_136 Depth=3
	v_cmp_lt_i32_e32 vcc_lo, -1, v2
	v_mov_b32_e32 v0, 0x7c
	s_delay_alu instid0(VALU_DEP_1)
	v_cndmask_b32_e32 v36, 0xfc, v0, vcc_lo
; %bb.3563:                             ;   in Loop: Header=BB6_136 Depth=3
	s_or_b32 exec_lo, exec_lo, s74
.LBB6_3564:                             ;   in Loop: Header=BB6_136 Depth=3
	s_delay_alu instid0(SALU_CYCLE_1) | instskip(SKIP_2) | instid1(VALU_DEP_1)
	s_or_b32 exec_lo, exec_lo, s13
	v_dual_mov_b32 v1, 0 :: v_dual_lshrrev_b32 v0, 16, v8
	s_mov_b32 s74, exec_lo
	v_and_b32_e32 v2, 0xff, v0
	s_delay_alu instid0(VALU_DEP_1)
	v_cmpx_ne_u16_e32 0, v2
	s_cbranch_execz .LBB6_3574
; %bb.3565:                             ;   in Loop: Header=BB6_136 Depth=3
	v_bfrev_b32_e32 v1, 1
	s_mov_b32 s75, exec_lo
	v_cmpx_ne_u16_e32 0x80, v2
	s_cbranch_execz .LBB6_3573
; %bb.3566:                             ;   in Loop: Header=BB6_136 Depth=3
	v_and_b32_e32 v1, 0x7c0000, v8
	v_bfe_u32 v2, v8, 16, 2
	s_delay_alu instid0(VALU_DEP_2) | instskip(SKIP_1) | instid1(SALU_CYCLE_1)
	v_cmp_ne_u32_e32 vcc_lo, 0x7c0000, v1
                                        ; implicit-def: $vgpr1
	s_and_saveexec_b32 s13, vcc_lo
	s_xor_b32 s13, exec_lo, s13
	s_cbranch_execz .LBB6_3570
; %bb.3567:                             ;   in Loop: Header=BB6_136 Depth=3
	v_bfe_u32 v1, v8, 18, 5
	s_mov_b32 s76, exec_lo
	s_delay_alu instid0(VALU_DEP_1)
	v_cmpx_eq_u32_e32 0, v1
; %bb.3568:                             ;   in Loop: Header=BB6_136 Depth=3
	v_clz_i32_u32_e32 v1, v2
	s_delay_alu instid0(VALU_DEP_1) | instskip(NEXT) | instid1(VALU_DEP_1)
	v_min_u32_e32 v1, 32, v1
	v_subrev_nc_u32_e32 v2, 29, v1
	s_delay_alu instid0(VALU_DEP_1) | instskip(NEXT) | instid1(VALU_DEP_1)
	v_lshlrev_b64_e32 v[2:3], v2, v[0:1]
	v_dual_sub_nc_u32 v1, 30, v1 :: v_dual_bitop2_b32 v2, 3, v2 bitop3:0x40
; %bb.3569:                             ;   in Loop: Header=BB6_136 Depth=3
	s_or_b32 exec_lo, exec_lo, s76
	v_lshlrev_b32_e32 v0, 24, v0
	s_delay_alu instid0(VALU_DEP_1) | instskip(NEXT) | instid1(VALU_DEP_1)
	v_and_b32_e32 v0, 0x80000000, v0
	v_lshl_add_u32 v0, v1, 23, v0
	s_delay_alu instid0(VALU_DEP_1) | instskip(NEXT) | instid1(VALU_DEP_1)
	v_lshl_or_b32 v0, v2, 21, v0
                                        ; implicit-def: $vgpr2
	v_add_nc_u32_e32 v1, 0x38000000, v0
                                        ; implicit-def: $vgpr0
.LBB6_3570:                             ;   in Loop: Header=BB6_136 Depth=3
	s_and_not1_saveexec_b32 s76, s13
; %bb.3571:                             ;   in Loop: Header=BB6_136 Depth=3
	v_bfe_i32 v0, v0, 0, 8
	v_cmp_eq_u32_e32 vcc_lo, 0, v2
	s_delay_alu instid0(VALU_DEP_2) | instskip(SKIP_1) | instid1(VALU_DEP_1)
	v_cmp_lt_i16_e64 s13, -1, v0
	v_mov_b32_e32 v0, 0x7f800000
	v_cndmask_b32_e64 v0, 0xff800000, v0, s13
	s_delay_alu instid0(VALU_DEP_1)
	v_cndmask_b32_e32 v1, 0x7f800001, v0, vcc_lo
; %bb.3572:                             ;   in Loop: Header=BB6_136 Depth=3
	s_or_b32 exec_lo, exec_lo, s76
.LBB6_3573:                             ;   in Loop: Header=BB6_136 Depth=3
	s_delay_alu instid0(SALU_CYCLE_1)
	s_or_b32 exec_lo, exec_lo, s75
.LBB6_3574:                             ;   in Loop: Header=BB6_136 Depth=3
	s_delay_alu instid0(SALU_CYCLE_1) | instskip(NEXT) | instid1(VALU_DEP_1)
	s_or_b32 exec_lo, exec_lo, s74
	v_dual_mul_f32 v2, s73, v1 :: v_dual_mov_b32 v5, v113
	v_mov_b32_e32 v1, v113
                                        ; implicit-def: $vgpr37
	s_mov_b32 s13, exec_lo
	s_delay_alu instid0(VALU_DEP_2) | instskip(SKIP_2) | instid1(VALU_DEP_3)
	v_and_b32_e32 v4, 0x7f800000, v2
	v_and_b32_e32 v0, 0x7fffff, v2
	v_lshrrev_b32_e32 v3, 24, v2
	v_cmpx_ne_u64_e32 0x7f800000, v[4:5]
	s_xor_b32 s74, exec_lo, s13
	s_cbranch_execz .LBB6_3588
; %bb.3575:                             ;   in Loop: Header=BB6_136 Depth=3
	v_and_b32_e32 v4, 0x7fffffff, v2
	v_mov_b32_e32 v5, v113
                                        ; implicit-def: $vgpr37
	s_delay_alu instid0(VALU_DEP_1) | instskip(SKIP_2) | instid1(SALU_CYCLE_1)
	v_cmp_gt_u64_e32 vcc_lo, 0x47600001, v[4:5]
	v_and_b32_e32 v4, 0x80, v3
	s_and_saveexec_b32 s13, vcc_lo
	s_xor_b32 s75, exec_lo, s13
	s_cbranch_execz .LBB6_3585
; %bb.3576:                             ;   in Loop: Header=BB6_136 Depth=3
	v_mov_b32_e32 v37, 0
	s_mov_b32 s76, exec_lo
	v_cmpx_ne_u32_e32 0, v2
	s_cbranch_execz .LBB6_3584
; %bb.3577:                             ;   in Loop: Header=BB6_136 Depth=3
	v_bfe_u32 v5, v2, 23, 8
	v_or_b32_e32 v3, 0x800000, v0
	s_delay_alu instid0(VALU_DEP_2) | instskip(SKIP_2) | instid1(VALU_DEP_2)
	v_cmp_gt_u32_e64 s13, 0x72, v5
	v_sub_nc_u32_e32 v2, 0x71, v5
	v_cmp_eq_u32_e32 vcc_lo, 0, v5
	v_dual_cndmask_b32 v2, 0, v2, s13 :: v_dual_cndmask_b32 v0, v3, v0, vcc_lo
	s_delay_alu instid0(VALU_DEP_1) | instskip(NEXT) | instid1(VALU_DEP_1)
	v_cndmask_b32_e64 v12, v2, 0x70, vcc_lo
	v_dual_add_nc_u32 v2, 21, v12 :: v_dual_add_nc_u32 v13, 20, v12
	s_delay_alu instid0(VALU_DEP_1) | instskip(NEXT) | instid1(VALU_DEP_2)
	v_lshlrev_b64_e64 v[2:3], v2, -1
	v_lshlrev_b64_e64 v[38:39], v13, 1
	s_delay_alu instid0(VALU_DEP_2) | instskip(SKIP_1) | instid1(VALU_DEP_4)
	v_bfi_b32 v2, v2, 0, v0
	v_lshrrev_b64 v[0:1], v12, v[0:1]
	v_bfi_b32 v3, v3, 0, 0
	s_delay_alu instid0(VALU_DEP_1) | instskip(NEXT) | instid1(VALU_DEP_3)
	v_cmp_eq_u64_e64 s13, v[2:3], v[38:39]
	v_mov_b64_e32 v[2:3], v[0:1]
	s_and_saveexec_b32 s77, s13
; %bb.3578:                             ;   in Loop: Header=BB6_136 Depth=3
	v_bfe_u32 v2, v0, 21, 1
	v_mov_b32_e32 v3, v113
	s_delay_alu instid0(VALU_DEP_1) | instskip(NEXT) | instid1(VALU_DEP_1)
	v_add_nc_u64_e32 v[2:3], v[0:1], v[2:3]
	v_add_nc_u64_e32 v[2:3], -1, v[2:3]
; %bb.3579:                             ;   in Loop: Header=BB6_136 Depth=3
	s_or_b32 exec_lo, exec_lo, s77
	v_add_nc_u32_e32 v1, 0xffffff81, v5
	v_lshrrev_b32_e32 v3, 23, v0
	s_mov_b32 s13, exec_lo
	s_delay_alu instid0(VALU_DEP_2) | instskip(NEXT) | instid1(VALU_DEP_1)
	v_cndmask_b32_e64 v1, v1, 0xffffff82, vcc_lo
	v_add3_u32 v5, v12, v1, v3
	v_and_b32_e32 v1, 0x1fffff, v2
                                        ; implicit-def: $vgpr2
	s_delay_alu instid0(VALU_DEP_1) | instskip(SKIP_1) | instid1(VALU_DEP_2)
	v_dual_add_nc_u32 v3, 14, v5 :: v_dual_add_nc_u32 v0, v1, v0
	v_mov_b32_e32 v1, v113
	v_cmpx_ne_u32_e32 0, v3
	s_xor_b32 s13, exec_lo, s13
; %bb.3580:                             ;   in Loop: Header=BB6_136 Depth=3
	s_delay_alu instid0(VALU_DEP_2) | instskip(SKIP_1) | instid1(VALU_DEP_1)
	v_cmp_lt_u64_e32 vcc_lo, 0xffffff, v[0:1]
	v_add_nc_u32_e32 v2, 15, v5
	v_cndmask_b32_e32 v2, v3, v2, vcc_lo
	v_cndmask_b32_e64 v3, 0, 1, vcc_lo
	s_delay_alu instid0(VALU_DEP_1)
	v_lshrrev_b64 v[0:1], v3, v[0:1]
; %bb.3581:                             ;   in Loop: Header=BB6_136 Depth=3
	s_and_not1_saveexec_b32 s13, s13
; %bb.3582:                             ;   in Loop: Header=BB6_136 Depth=3
	s_delay_alu instid0(VALU_DEP_1)
	v_bfe_u32 v2, v0, 23, 1
; %bb.3583:                             ;   in Loop: Header=BB6_136 Depth=3
	s_or_b32 exec_lo, exec_lo, s13
	s_delay_alu instid0(VALU_DEP_2) | instskip(NEXT) | instid1(VALU_DEP_2)
	v_lshrrev_b64 v[0:1], 21, v[0:1]
	v_cmp_gt_i32_e32 vcc_lo, 32, v2
	v_min_i32_e32 v3, 31, v2
	v_cmp_eq_u32_e64 s13, 0, v2
	s_delay_alu instid0(VALU_DEP_2) | instskip(SKIP_1) | instid1(VALU_DEP_2)
	v_dual_cndmask_b32 v1, 0, v1, vcc_lo :: v_dual_lshlrev_b32 v3, 2, v3
	v_cndmask_b32_e32 v0, 3, v0, vcc_lo
	v_and_b32_e32 v3, 0xfc, v3
	s_delay_alu instid0(VALU_DEP_2) | instskip(NEXT) | instid1(VALU_DEP_2)
	v_cmp_eq_u64_e32 vcc_lo, 0, v[0:1]
	v_and_or_b32 v0, v0, 3, v3
	s_and_b32 s13, s13, vcc_lo
	s_delay_alu instid0(VALU_DEP_1) | instid1(SALU_CYCLE_1)
	v_cndmask_b32_e64 v0, v0, 0, s13
	s_delay_alu instid0(VALU_DEP_1)
	v_or_b32_e32 v37, v0, v4
.LBB6_3584:                             ;   in Loop: Header=BB6_136 Depth=3
	s_or_b32 exec_lo, exec_lo, s76
                                        ; implicit-def: $vgpr4
.LBB6_3585:                             ;   in Loop: Header=BB6_136 Depth=3
	s_and_not1_saveexec_b32 s13, s75
; %bb.3586:                             ;   in Loop: Header=BB6_136 Depth=3
	v_or_b32_e32 v37, 0x7b, v4
; %bb.3587:                             ;   in Loop: Header=BB6_136 Depth=3
	s_or_b32 exec_lo, exec_lo, s13
                                        ; implicit-def: $vgpr2
                                        ; implicit-def: $vgpr0_vgpr1
                                        ; implicit-def: $vgpr3
.LBB6_3588:                             ;   in Loop: Header=BB6_136 Depth=3
	s_and_not1_saveexec_b32 s13, s74
	s_cbranch_execz .LBB6_3594
; %bb.3589:                             ;   in Loop: Header=BB6_136 Depth=3
	s_mov_b32 s74, exec_lo
                                        ; implicit-def: $vgpr37
	v_cmpx_ne_u64_e32 0, v[0:1]
	s_xor_b32 s74, exec_lo, s74
; %bb.3590:                             ;   in Loop: Header=BB6_136 Depth=3
	v_or_b32_e32 v37, 0x7f, v3
                                        ; implicit-def: $vgpr2
; %bb.3591:                             ;   in Loop: Header=BB6_136 Depth=3
	s_and_not1_saveexec_b32 s74, s74
; %bb.3592:                             ;   in Loop: Header=BB6_136 Depth=3
	v_cmp_lt_i32_e32 vcc_lo, -1, v2
	v_mov_b32_e32 v0, 0x7c
	s_delay_alu instid0(VALU_DEP_1)
	v_cndmask_b32_e32 v37, 0xfc, v0, vcc_lo
; %bb.3593:                             ;   in Loop: Header=BB6_136 Depth=3
	s_or_b32 exec_lo, exec_lo, s74
.LBB6_3594:                             ;   in Loop: Header=BB6_136 Depth=3
	s_delay_alu instid0(SALU_CYCLE_1)
	s_or_b32 exec_lo, exec_lo, s13
	v_mov_b32_e32 v1, 0
	s_mov_b32 s74, exec_lo
	v_cmpx_lt_u32_e32 0xffffff, v8
	s_cbranch_execz .LBB6_3604
; %bb.3595:                             ;   in Loop: Header=BB6_136 Depth=3
	v_lshrrev_b32_e32 v0, 24, v8
	v_bfrev_b32_e32 v1, 1
	s_mov_b32 s75, exec_lo
	s_delay_alu instid0(VALU_DEP_2)
	v_cmpx_ne_u32_e32 0x80, v0
	s_cbranch_execz .LBB6_3603
; %bb.3596:                             ;   in Loop: Header=BB6_136 Depth=3
	v_and_b32_e32 v1, 0x7c000000, v8
	v_bfe_u32 v2, v8, 24, 2
	s_delay_alu instid0(VALU_DEP_2) | instskip(SKIP_1) | instid1(SALU_CYCLE_1)
	v_cmp_ne_u32_e32 vcc_lo, 0x7c000000, v1
                                        ; implicit-def: $vgpr1
	s_and_saveexec_b32 s13, vcc_lo
	s_xor_b32 s13, exec_lo, s13
	s_cbranch_execz .LBB6_3600
; %bb.3597:                             ;   in Loop: Header=BB6_136 Depth=3
	v_bfe_u32 v1, v8, 26, 5
	s_mov_b32 s76, exec_lo
	s_delay_alu instid0(VALU_DEP_1)
	v_cmpx_eq_u32_e32 0, v1
; %bb.3598:                             ;   in Loop: Header=BB6_136 Depth=3
	v_clz_i32_u32_e32 v1, v2
	s_delay_alu instid0(VALU_DEP_1) | instskip(NEXT) | instid1(VALU_DEP_1)
	v_min_u32_e32 v2, 32, v1
	v_subrev_nc_u32_e32 v1, 29, v2
	s_delay_alu instid0(VALU_DEP_1) | instskip(NEXT) | instid1(VALU_DEP_1)
	v_lshlrev_b64_e32 v[0:1], v1, v[0:1]
	v_dual_sub_nc_u32 v1, 30, v2 :: v_dual_bitop2_b32 v2, 3, v0 bitop3:0x40
; %bb.3599:                             ;   in Loop: Header=BB6_136 Depth=3
	s_or_b32 exec_lo, exec_lo, s76
	v_and_b32_e32 v0, 0x80000000, v8
	s_delay_alu instid0(VALU_DEP_1) | instskip(NEXT) | instid1(VALU_DEP_1)
	v_lshl_add_u32 v0, v1, 23, v0
	v_lshl_or_b32 v0, v2, 21, v0
                                        ; implicit-def: $vgpr2
	s_delay_alu instid0(VALU_DEP_1)
	v_add_nc_u32_e32 v1, 0x38000000, v0
.LBB6_3600:                             ;   in Loop: Header=BB6_136 Depth=3
	s_and_not1_saveexec_b32 s76, s13
; %bb.3601:                             ;   in Loop: Header=BB6_136 Depth=3
	v_cmp_lt_i32_e64 s13, -1, v8
	v_mov_b32_e32 v0, 0x7f800000
	v_cmp_eq_u32_e32 vcc_lo, 0, v2
	s_delay_alu instid0(VALU_DEP_2) | instskip(NEXT) | instid1(VALU_DEP_1)
	v_cndmask_b32_e64 v0, 0xff800000, v0, s13
	v_cndmask_b32_e32 v1, 0x7f800001, v0, vcc_lo
; %bb.3602:                             ;   in Loop: Header=BB6_136 Depth=3
	s_or_b32 exec_lo, exec_lo, s76
.LBB6_3603:                             ;   in Loop: Header=BB6_136 Depth=3
	s_delay_alu instid0(SALU_CYCLE_1)
	s_or_b32 exec_lo, exec_lo, s75
.LBB6_3604:                             ;   in Loop: Header=BB6_136 Depth=3
	s_delay_alu instid0(SALU_CYCLE_1) | instskip(NEXT) | instid1(VALU_DEP_1)
	s_or_b32 exec_lo, exec_lo, s74
	v_dual_mul_f32 v2, s73, v1 :: v_dual_mov_b32 v5, v113
	v_mov_b32_e32 v1, v113
                                        ; implicit-def: $vgpr38
	s_mov_b32 s13, exec_lo
	s_delay_alu instid0(VALU_DEP_2) | instskip(SKIP_2) | instid1(VALU_DEP_3)
	v_and_b32_e32 v4, 0x7f800000, v2
	v_and_b32_e32 v0, 0x7fffff, v2
	v_lshrrev_b32_e32 v3, 24, v2
	v_cmpx_ne_u64_e32 0x7f800000, v[4:5]
	s_xor_b32 s74, exec_lo, s13
	s_cbranch_execz .LBB6_3618
; %bb.3605:                             ;   in Loop: Header=BB6_136 Depth=3
	v_and_b32_e32 v4, 0x7fffffff, v2
	v_mov_b32_e32 v5, v113
                                        ; implicit-def: $vgpr38
	s_delay_alu instid0(VALU_DEP_1) | instskip(SKIP_2) | instid1(SALU_CYCLE_1)
	v_cmp_gt_u64_e32 vcc_lo, 0x47600001, v[4:5]
	v_and_b32_e32 v4, 0x80, v3
	s_and_saveexec_b32 s13, vcc_lo
	s_xor_b32 s75, exec_lo, s13
	s_cbranch_execz .LBB6_3615
; %bb.3606:                             ;   in Loop: Header=BB6_136 Depth=3
	v_mov_b32_e32 v38, 0
	s_mov_b32 s76, exec_lo
	v_cmpx_ne_u32_e32 0, v2
	s_cbranch_execz .LBB6_3614
; %bb.3607:                             ;   in Loop: Header=BB6_136 Depth=3
	v_bfe_u32 v5, v2, 23, 8
	v_or_b32_e32 v3, 0x800000, v0
	s_delay_alu instid0(VALU_DEP_2) | instskip(SKIP_2) | instid1(VALU_DEP_2)
	v_cmp_gt_u32_e64 s13, 0x72, v5
	v_sub_nc_u32_e32 v2, 0x71, v5
	v_cmp_eq_u32_e32 vcc_lo, 0, v5
	v_dual_cndmask_b32 v2, 0, v2, s13 :: v_dual_cndmask_b32 v0, v3, v0, vcc_lo
	s_delay_alu instid0(VALU_DEP_1) | instskip(NEXT) | instid1(VALU_DEP_1)
	v_cndmask_b32_e64 v12, v2, 0x70, vcc_lo
	v_dual_add_nc_u32 v2, 21, v12 :: v_dual_add_nc_u32 v13, 20, v12
	s_delay_alu instid0(VALU_DEP_1) | instskip(NEXT) | instid1(VALU_DEP_2)
	v_lshlrev_b64_e64 v[2:3], v2, -1
	v_lshlrev_b64_e64 v[38:39], v13, 1
	s_delay_alu instid0(VALU_DEP_2) | instskip(SKIP_1) | instid1(VALU_DEP_4)
	v_bfi_b32 v2, v2, 0, v0
	v_lshrrev_b64 v[0:1], v12, v[0:1]
	v_bfi_b32 v3, v3, 0, 0
	s_delay_alu instid0(VALU_DEP_1) | instskip(NEXT) | instid1(VALU_DEP_3)
	v_cmp_eq_u64_e64 s13, v[2:3], v[38:39]
	v_mov_b64_e32 v[2:3], v[0:1]
	s_and_saveexec_b32 s77, s13
; %bb.3608:                             ;   in Loop: Header=BB6_136 Depth=3
	v_bfe_u32 v2, v0, 21, 1
	v_mov_b32_e32 v3, v113
	s_delay_alu instid0(VALU_DEP_1) | instskip(NEXT) | instid1(VALU_DEP_1)
	v_add_nc_u64_e32 v[2:3], v[0:1], v[2:3]
	v_add_nc_u64_e32 v[2:3], -1, v[2:3]
; %bb.3609:                             ;   in Loop: Header=BB6_136 Depth=3
	s_or_b32 exec_lo, exec_lo, s77
	v_add_nc_u32_e32 v1, 0xffffff81, v5
	v_lshrrev_b32_e32 v3, 23, v0
	s_mov_b32 s13, exec_lo
	s_delay_alu instid0(VALU_DEP_2) | instskip(NEXT) | instid1(VALU_DEP_1)
	v_cndmask_b32_e64 v1, v1, 0xffffff82, vcc_lo
	v_add3_u32 v5, v12, v1, v3
	v_and_b32_e32 v1, 0x1fffff, v2
                                        ; implicit-def: $vgpr2
	s_delay_alu instid0(VALU_DEP_1) | instskip(SKIP_1) | instid1(VALU_DEP_2)
	v_dual_add_nc_u32 v3, 14, v5 :: v_dual_add_nc_u32 v0, v1, v0
	v_mov_b32_e32 v1, v113
	v_cmpx_ne_u32_e32 0, v3
	s_xor_b32 s13, exec_lo, s13
; %bb.3610:                             ;   in Loop: Header=BB6_136 Depth=3
	s_delay_alu instid0(VALU_DEP_2) | instskip(SKIP_1) | instid1(VALU_DEP_1)
	v_cmp_lt_u64_e32 vcc_lo, 0xffffff, v[0:1]
	v_add_nc_u32_e32 v2, 15, v5
	v_cndmask_b32_e32 v2, v3, v2, vcc_lo
	v_cndmask_b32_e64 v3, 0, 1, vcc_lo
	s_delay_alu instid0(VALU_DEP_1)
	v_lshrrev_b64 v[0:1], v3, v[0:1]
; %bb.3611:                             ;   in Loop: Header=BB6_136 Depth=3
	s_and_not1_saveexec_b32 s13, s13
; %bb.3612:                             ;   in Loop: Header=BB6_136 Depth=3
	s_delay_alu instid0(VALU_DEP_1)
	v_bfe_u32 v2, v0, 23, 1
; %bb.3613:                             ;   in Loop: Header=BB6_136 Depth=3
	s_or_b32 exec_lo, exec_lo, s13
	s_delay_alu instid0(VALU_DEP_2) | instskip(NEXT) | instid1(VALU_DEP_2)
	v_lshrrev_b64 v[0:1], 21, v[0:1]
	v_cmp_gt_i32_e32 vcc_lo, 32, v2
	v_min_i32_e32 v3, 31, v2
	v_cmp_eq_u32_e64 s13, 0, v2
	s_delay_alu instid0(VALU_DEP_2) | instskip(SKIP_1) | instid1(VALU_DEP_2)
	v_dual_cndmask_b32 v1, 0, v1, vcc_lo :: v_dual_lshlrev_b32 v3, 2, v3
	v_cndmask_b32_e32 v0, 3, v0, vcc_lo
	v_and_b32_e32 v3, 0xfc, v3
	s_delay_alu instid0(VALU_DEP_2) | instskip(NEXT) | instid1(VALU_DEP_2)
	v_cmp_eq_u64_e32 vcc_lo, 0, v[0:1]
	v_and_or_b32 v0, v0, 3, v3
	s_and_b32 s13, s13, vcc_lo
	s_delay_alu instid0(VALU_DEP_1) | instid1(SALU_CYCLE_1)
	v_cndmask_b32_e64 v0, v0, 0, s13
	s_delay_alu instid0(VALU_DEP_1)
	v_or_b32_e32 v38, v0, v4
.LBB6_3614:                             ;   in Loop: Header=BB6_136 Depth=3
	s_or_b32 exec_lo, exec_lo, s76
                                        ; implicit-def: $vgpr4
.LBB6_3615:                             ;   in Loop: Header=BB6_136 Depth=3
	s_and_not1_saveexec_b32 s13, s75
; %bb.3616:                             ;   in Loop: Header=BB6_136 Depth=3
	v_or_b32_e32 v38, 0x7b, v4
; %bb.3617:                             ;   in Loop: Header=BB6_136 Depth=3
	s_or_b32 exec_lo, exec_lo, s13
                                        ; implicit-def: $vgpr2
                                        ; implicit-def: $vgpr0_vgpr1
                                        ; implicit-def: $vgpr3
.LBB6_3618:                             ;   in Loop: Header=BB6_136 Depth=3
	s_and_not1_saveexec_b32 s13, s74
	s_cbranch_execz .LBB6_3624
; %bb.3619:                             ;   in Loop: Header=BB6_136 Depth=3
	s_mov_b32 s74, exec_lo
                                        ; implicit-def: $vgpr38
	v_cmpx_ne_u64_e32 0, v[0:1]
	s_xor_b32 s74, exec_lo, s74
; %bb.3620:                             ;   in Loop: Header=BB6_136 Depth=3
	v_or_b32_e32 v38, 0x7f, v3
                                        ; implicit-def: $vgpr2
; %bb.3621:                             ;   in Loop: Header=BB6_136 Depth=3
	s_and_not1_saveexec_b32 s74, s74
; %bb.3622:                             ;   in Loop: Header=BB6_136 Depth=3
	v_cmp_lt_i32_e32 vcc_lo, -1, v2
	v_mov_b32_e32 v0, 0x7c
	s_delay_alu instid0(VALU_DEP_1)
	v_cndmask_b32_e32 v38, 0xfc, v0, vcc_lo
; %bb.3623:                             ;   in Loop: Header=BB6_136 Depth=3
	s_or_b32 exec_lo, exec_lo, s74
.LBB6_3624:                             ;   in Loop: Header=BB6_136 Depth=3
	s_delay_alu instid0(SALU_CYCLE_1) | instskip(SKIP_4) | instid1(VALU_DEP_3)
	s_or_b32 exec_lo, exec_lo, s13
	v_and_b32_e32 v3, 0xff, v9
	v_dual_mov_b32 v0, v9 :: v_dual_mov_b32 v1, v113
	v_mov_b32_e32 v2, 0
	s_mov_b32 s74, exec_lo
	v_cmpx_ne_u16_e32 0, v3
	s_cbranch_execz .LBB6_3634
; %bb.3625:                             ;   in Loop: Header=BB6_136 Depth=3
	v_bfrev_b32_e32 v2, 1
	s_mov_b32 s75, exec_lo
	v_cmpx_ne_u16_e32 0x80, v3
	s_cbranch_execz .LBB6_3633
; %bb.3626:                             ;   in Loop: Header=BB6_136 Depth=3
	v_and_b32_e32 v2, 0x7c, v9
	v_and_b32_e32 v3, 3, v9
	s_delay_alu instid0(VALU_DEP_2) | instskip(SKIP_1) | instid1(SALU_CYCLE_1)
	v_cmp_ne_u32_e32 vcc_lo, 0x7c, v2
                                        ; implicit-def: $vgpr2
	s_and_saveexec_b32 s13, vcc_lo
	s_xor_b32 s13, exec_lo, s13
	s_cbranch_execz .LBB6_3630
; %bb.3627:                             ;   in Loop: Header=BB6_136 Depth=3
	v_bfe_u32 v2, v9, 2, 5
	s_mov_b32 s76, exec_lo
	s_delay_alu instid0(VALU_DEP_1)
	v_cmpx_eq_u32_e32 0, v2
; %bb.3628:                             ;   in Loop: Header=BB6_136 Depth=3
	v_clz_i32_u32_e32 v2, v3
	s_delay_alu instid0(VALU_DEP_1) | instskip(NEXT) | instid1(VALU_DEP_1)
	v_min_u32_e32 v2, 32, v2
	v_subrev_nc_u32_e32 v3, 29, v2
	s_delay_alu instid0(VALU_DEP_1) | instskip(NEXT) | instid1(VALU_DEP_1)
	v_lshlrev_b64_e32 v[4:5], v3, v[0:1]
	v_dual_sub_nc_u32 v2, 30, v2 :: v_dual_bitop2_b32 v3, 3, v4 bitop3:0x40
; %bb.3629:                             ;   in Loop: Header=BB6_136 Depth=3
	s_or_b32 exec_lo, exec_lo, s76
	v_lshlrev_b32_e32 v1, 24, v9
	s_delay_alu instid0(VALU_DEP_1) | instskip(NEXT) | instid1(VALU_DEP_1)
	v_and_b32_e32 v1, 0x80000000, v1
	v_lshl_add_u32 v1, v2, 23, v1
	s_delay_alu instid0(VALU_DEP_1) | instskip(NEXT) | instid1(VALU_DEP_1)
	v_lshl_or_b32 v1, v3, 21, v1
                                        ; implicit-def: $vgpr3
	v_add_nc_u32_e32 v2, 0x38000000, v1
.LBB6_3630:                             ;   in Loop: Header=BB6_136 Depth=3
	s_and_not1_saveexec_b32 s76, s13
; %bb.3631:                             ;   in Loop: Header=BB6_136 Depth=3
	v_bfe_i32 v1, v9, 0, 8
	v_cmp_eq_u32_e32 vcc_lo, 0, v3
	s_delay_alu instid0(VALU_DEP_2) | instskip(SKIP_1) | instid1(VALU_DEP_1)
	v_cmp_lt_i16_e64 s13, -1, v1
	v_mov_b32_e32 v1, 0x7f800000
	v_cndmask_b32_e64 v1, 0xff800000, v1, s13
	s_delay_alu instid0(VALU_DEP_1)
	v_cndmask_b32_e32 v2, 0x7f800001, v1, vcc_lo
; %bb.3632:                             ;   in Loop: Header=BB6_136 Depth=3
	s_or_b32 exec_lo, exec_lo, s76
.LBB6_3633:                             ;   in Loop: Header=BB6_136 Depth=3
	s_delay_alu instid0(SALU_CYCLE_1)
	s_or_b32 exec_lo, exec_lo, s75
.LBB6_3634:                             ;   in Loop: Header=BB6_136 Depth=3
	s_delay_alu instid0(SALU_CYCLE_1) | instskip(NEXT) | instid1(VALU_DEP_1)
	s_or_b32 exec_lo, exec_lo, s74
	v_dual_mul_f32 v4, s73, v2 :: v_dual_mov_b32 v13, v113
	v_mov_b32_e32 v3, v113
                                        ; implicit-def: $vgpr39
	s_mov_b32 s13, exec_lo
	s_delay_alu instid0(VALU_DEP_2) | instskip(SKIP_2) | instid1(VALU_DEP_3)
	v_and_b32_e32 v12, 0x7f800000, v4
	v_and_b32_e32 v2, 0x7fffff, v4
	v_lshrrev_b32_e32 v1, 24, v4
	v_cmpx_ne_u64_e32 0x7f800000, v[12:13]
	s_xor_b32 s74, exec_lo, s13
	s_cbranch_execz .LBB6_3648
; %bb.3635:                             ;   in Loop: Header=BB6_136 Depth=3
	v_and_b32_e32 v12, 0x7fffffff, v4
	v_mov_b32_e32 v13, v113
	v_and_b32_e32 v1, 0x80, v1
                                        ; implicit-def: $vgpr39
	s_mov_b32 s13, exec_lo
	s_delay_alu instid0(VALU_DEP_2)
	v_cmpx_gt_u64_e32 0x47600001, v[12:13]
	s_xor_b32 s75, exec_lo, s13
	s_cbranch_execz .LBB6_3645
; %bb.3636:                             ;   in Loop: Header=BB6_136 Depth=3
	v_mov_b32_e32 v39, 0
	s_mov_b32 s76, exec_lo
	v_cmpx_ne_u32_e32 0, v4
	s_cbranch_execz .LBB6_3644
; %bb.3637:                             ;   in Loop: Header=BB6_136 Depth=3
	v_bfe_u32 v12, v4, 23, 8
	v_or_b32_e32 v5, 0x800000, v2
	s_delay_alu instid0(VALU_DEP_2) | instskip(SKIP_2) | instid1(VALU_DEP_2)
	v_cmp_gt_u32_e64 s13, 0x72, v12
	v_sub_nc_u32_e32 v4, 0x71, v12
	v_cmp_eq_u32_e32 vcc_lo, 0, v12
	v_dual_cndmask_b32 v4, 0, v4, s13 :: v_dual_cndmask_b32 v2, v5, v2, vcc_lo
	s_delay_alu instid0(VALU_DEP_1) | instskip(NEXT) | instid1(VALU_DEP_1)
	v_cndmask_b32_e64 v13, v4, 0x70, vcc_lo
	v_dual_add_nc_u32 v4, 21, v13 :: v_dual_add_nc_u32 v39, 20, v13
	s_delay_alu instid0(VALU_DEP_1) | instskip(NEXT) | instid1(VALU_DEP_2)
	v_lshlrev_b64_e64 v[4:5], v4, -1
	v_lshlrev_b64_e64 v[48:49], v39, 1
	s_delay_alu instid0(VALU_DEP_2) | instskip(SKIP_1) | instid1(VALU_DEP_4)
	v_bfi_b32 v4, v4, 0, v2
	v_lshrrev_b64 v[2:3], v13, v[2:3]
	v_bfi_b32 v5, v5, 0, 0
	s_delay_alu instid0(VALU_DEP_1) | instskip(NEXT) | instid1(VALU_DEP_3)
	v_cmp_eq_u64_e64 s13, v[4:5], v[48:49]
	v_mov_b64_e32 v[4:5], v[2:3]
	s_and_saveexec_b32 s77, s13
; %bb.3638:                             ;   in Loop: Header=BB6_136 Depth=3
	v_bfe_u32 v4, v2, 21, 1
	v_mov_b32_e32 v5, v113
	s_delay_alu instid0(VALU_DEP_1) | instskip(NEXT) | instid1(VALU_DEP_1)
	v_add_nc_u64_e32 v[4:5], v[2:3], v[4:5]
	v_add_nc_u64_e32 v[4:5], -1, v[4:5]
; %bb.3639:                             ;   in Loop: Header=BB6_136 Depth=3
	s_or_b32 exec_lo, exec_lo, s77
	v_add_nc_u32_e32 v3, 0xffffff81, v12
	v_lshrrev_b32_e32 v5, 23, v2
	s_mov_b32 s13, exec_lo
	s_delay_alu instid0(VALU_DEP_2) | instskip(NEXT) | instid1(VALU_DEP_1)
	v_cndmask_b32_e64 v3, v3, 0xffffff82, vcc_lo
	v_add3_u32 v12, v13, v3, v5
	v_and_b32_e32 v3, 0x1fffff, v4
                                        ; implicit-def: $vgpr4
	s_delay_alu instid0(VALU_DEP_1) | instskip(SKIP_1) | instid1(VALU_DEP_2)
	v_dual_add_nc_u32 v5, 14, v12 :: v_dual_add_nc_u32 v2, v3, v2
	v_mov_b32_e32 v3, v113
	v_cmpx_ne_u32_e32 0, v5
	s_xor_b32 s13, exec_lo, s13
; %bb.3640:                             ;   in Loop: Header=BB6_136 Depth=3
	s_delay_alu instid0(VALU_DEP_2) | instskip(SKIP_1) | instid1(VALU_DEP_1)
	v_cmp_lt_u64_e32 vcc_lo, 0xffffff, v[2:3]
	v_add_nc_u32_e32 v4, 15, v12
	v_cndmask_b32_e32 v4, v5, v4, vcc_lo
	v_cndmask_b32_e64 v5, 0, 1, vcc_lo
	s_delay_alu instid0(VALU_DEP_1)
	v_lshrrev_b64 v[2:3], v5, v[2:3]
; %bb.3641:                             ;   in Loop: Header=BB6_136 Depth=3
	s_and_not1_saveexec_b32 s13, s13
; %bb.3642:                             ;   in Loop: Header=BB6_136 Depth=3
	s_delay_alu instid0(VALU_DEP_1)
	v_bfe_u32 v4, v2, 23, 1
; %bb.3643:                             ;   in Loop: Header=BB6_136 Depth=3
	s_or_b32 exec_lo, exec_lo, s13
	s_delay_alu instid0(VALU_DEP_2) | instskip(NEXT) | instid1(VALU_DEP_2)
	v_lshrrev_b64 v[2:3], 21, v[2:3]
	v_cmp_gt_i32_e32 vcc_lo, 32, v4
	v_min_i32_e32 v5, 31, v4
	v_cmp_eq_u32_e64 s13, 0, v4
	s_delay_alu instid0(VALU_DEP_2) | instskip(SKIP_1) | instid1(VALU_DEP_2)
	v_dual_cndmask_b32 v3, 0, v3, vcc_lo :: v_dual_lshlrev_b32 v5, 2, v5
	v_cndmask_b32_e32 v2, 3, v2, vcc_lo
	v_and_b32_e32 v5, 0xfc, v5
	s_delay_alu instid0(VALU_DEP_2) | instskip(NEXT) | instid1(VALU_DEP_2)
	v_cmp_eq_u64_e32 vcc_lo, 0, v[2:3]
	v_and_or_b32 v2, v2, 3, v5
	s_and_b32 s13, s13, vcc_lo
	s_delay_alu instid0(VALU_DEP_1) | instid1(SALU_CYCLE_1)
	v_cndmask_b32_e64 v2, v2, 0, s13
	s_delay_alu instid0(VALU_DEP_1)
	v_or_b32_e32 v39, v2, v1
.LBB6_3644:                             ;   in Loop: Header=BB6_136 Depth=3
	s_or_b32 exec_lo, exec_lo, s76
                                        ; implicit-def: $vgpr1
.LBB6_3645:                             ;   in Loop: Header=BB6_136 Depth=3
	s_and_not1_saveexec_b32 s13, s75
; %bb.3646:                             ;   in Loop: Header=BB6_136 Depth=3
	v_or_b32_e32 v39, 0x7b, v1
; %bb.3647:                             ;   in Loop: Header=BB6_136 Depth=3
	s_or_b32 exec_lo, exec_lo, s13
                                        ; implicit-def: $vgpr4
                                        ; implicit-def: $vgpr2_vgpr3
                                        ; implicit-def: $vgpr1
.LBB6_3648:                             ;   in Loop: Header=BB6_136 Depth=3
	s_and_not1_saveexec_b32 s13, s74
	s_cbranch_execz .LBB6_3654
; %bb.3649:                             ;   in Loop: Header=BB6_136 Depth=3
	s_mov_b32 s74, exec_lo
                                        ; implicit-def: $vgpr39
	v_cmpx_ne_u64_e32 0, v[2:3]
	s_xor_b32 s74, exec_lo, s74
; %bb.3650:                             ;   in Loop: Header=BB6_136 Depth=3
	v_or_b32_e32 v39, 0x7f, v1
                                        ; implicit-def: $vgpr4
; %bb.3651:                             ;   in Loop: Header=BB6_136 Depth=3
	s_and_not1_saveexec_b32 s74, s74
; %bb.3652:                             ;   in Loop: Header=BB6_136 Depth=3
	v_cmp_lt_i32_e32 vcc_lo, -1, v4
	v_mov_b32_e32 v1, 0x7c
	s_delay_alu instid0(VALU_DEP_1)
	v_cndmask_b32_e32 v39, 0xfc, v1, vcc_lo
; %bb.3653:                             ;   in Loop: Header=BB6_136 Depth=3
	s_or_b32 exec_lo, exec_lo, s74
.LBB6_3654:                             ;   in Loop: Header=BB6_136 Depth=3
	s_delay_alu instid0(SALU_CYCLE_1) | instskip(SKIP_3) | instid1(VALU_DEP_2)
	s_or_b32 exec_lo, exec_lo, s13
	v_lshrrev_b16 v2, 8, v0
	v_mov_b32_e32 v3, 0
	s_mov_b32 s74, exec_lo
	v_cmpx_ne_u16_e32 0, v2
	s_cbranch_execz .LBB6_3664
; %bb.3655:                             ;   in Loop: Header=BB6_136 Depth=3
	v_bfrev_b32_e32 v3, 1
	s_mov_b32 s75, exec_lo
	v_cmpx_ne_u16_e32 0x80, v2
	s_cbranch_execz .LBB6_3663
; %bb.3656:                             ;   in Loop: Header=BB6_136 Depth=3
	v_and_b32_e32 v1, 0xffff, v2
	s_delay_alu instid0(VALU_DEP_1) | instskip(SKIP_1) | instid1(VALU_DEP_2)
	v_and_b32_e32 v3, 0x7c, v1
	v_and_b32_e32 v4, 3, v1
	v_cmp_ne_u32_e32 vcc_lo, 0x7c, v3
                                        ; implicit-def: $vgpr3
	s_and_saveexec_b32 s13, vcc_lo
	s_delay_alu instid0(SALU_CYCLE_1)
	s_xor_b32 s13, exec_lo, s13
	s_cbranch_execz .LBB6_3660
; %bb.3657:                             ;   in Loop: Header=BB6_136 Depth=3
	v_bfe_u32 v1, v1, 2, 5
	s_mov_b32 s76, exec_lo
	s_delay_alu instid0(VALU_DEP_1)
	v_cmpx_eq_u32_e32 0, v1
	s_cbranch_execz .LBB6_3659
; %bb.3658:                             ;   in Loop: Header=BB6_136 Depth=3
	v_clz_i32_u32_e32 v1, v4
	s_delay_alu instid0(VALU_DEP_1) | instskip(SKIP_1) | instid1(VALU_DEP_2)
	v_min_u32_e32 v1, 32, v1
	v_mov_b32_e32 v3, v113
	v_subrev_nc_u32_e32 v4, 29, v1
	v_sub_nc_u32_e32 v1, 30, v1
	s_delay_alu instid0(VALU_DEP_2) | instskip(NEXT) | instid1(VALU_DEP_1)
	v_lshlrev_b64_e32 v[2:3], v4, v[2:3]
	v_and_b32_e32 v4, 3, v2
.LBB6_3659:                             ;   in Loop: Header=BB6_136 Depth=3
	s_or_b32 exec_lo, exec_lo, s76
	v_lshlrev_b32_e32 v0, 16, v0
	s_delay_alu instid0(VALU_DEP_1) | instskip(NEXT) | instid1(VALU_DEP_1)
	v_and_b32_e32 v0, 0x80000000, v0
	v_lshl_add_u32 v0, v1, 23, v0
	s_delay_alu instid0(VALU_DEP_1) | instskip(NEXT) | instid1(VALU_DEP_1)
	v_lshl_or_b32 v0, v4, 21, v0
                                        ; implicit-def: $vgpr4
	v_add_nc_u32_e32 v3, 0x38000000, v0
                                        ; implicit-def: $vgpr0_vgpr1
.LBB6_3660:                             ;   in Loop: Header=BB6_136 Depth=3
	s_and_not1_saveexec_b32 s76, s13
; %bb.3661:                             ;   in Loop: Header=BB6_136 Depth=3
	v_cmp_lt_i16_e64 s13, -1, v0
	v_mov_b32_e32 v0, 0x7f800000
	v_cmp_eq_u32_e32 vcc_lo, 0, v4
	s_delay_alu instid0(VALU_DEP_2) | instskip(NEXT) | instid1(VALU_DEP_1)
	v_cndmask_b32_e64 v0, 0xff800000, v0, s13
	v_cndmask_b32_e32 v3, 0x7f800001, v0, vcc_lo
; %bb.3662:                             ;   in Loop: Header=BB6_136 Depth=3
	s_or_b32 exec_lo, exec_lo, s76
.LBB6_3663:                             ;   in Loop: Header=BB6_136 Depth=3
	s_delay_alu instid0(SALU_CYCLE_1)
	s_or_b32 exec_lo, exec_lo, s75
.LBB6_3664:                             ;   in Loop: Header=BB6_136 Depth=3
	s_delay_alu instid0(SALU_CYCLE_1) | instskip(NEXT) | instid1(VALU_DEP_1)
	s_or_b32 exec_lo, exec_lo, s74
	v_dual_mul_f32 v2, s73, v3 :: v_dual_mov_b32 v5, v113
	v_mov_b32_e32 v1, v113
                                        ; implicit-def: $vgpr48
	s_mov_b32 s13, exec_lo
	s_delay_alu instid0(VALU_DEP_2) | instskip(SKIP_2) | instid1(VALU_DEP_3)
	v_and_b32_e32 v4, 0x7f800000, v2
	v_and_b32_e32 v0, 0x7fffff, v2
	v_lshrrev_b32_e32 v3, 24, v2
	v_cmpx_ne_u64_e32 0x7f800000, v[4:5]
	s_xor_b32 s74, exec_lo, s13
	s_cbranch_execz .LBB6_3678
; %bb.3665:                             ;   in Loop: Header=BB6_136 Depth=3
	v_and_b32_e32 v4, 0x7fffffff, v2
	v_mov_b32_e32 v5, v113
                                        ; implicit-def: $vgpr48
	s_delay_alu instid0(VALU_DEP_1) | instskip(SKIP_2) | instid1(SALU_CYCLE_1)
	v_cmp_gt_u64_e32 vcc_lo, 0x47600001, v[4:5]
	v_and_b32_e32 v4, 0x80, v3
	s_and_saveexec_b32 s13, vcc_lo
	s_xor_b32 s75, exec_lo, s13
	s_cbranch_execz .LBB6_3675
; %bb.3666:                             ;   in Loop: Header=BB6_136 Depth=3
	v_mov_b32_e32 v48, 0
	s_mov_b32 s76, exec_lo
	v_cmpx_ne_u32_e32 0, v2
	s_cbranch_execz .LBB6_3674
; %bb.3667:                             ;   in Loop: Header=BB6_136 Depth=3
	v_bfe_u32 v5, v2, 23, 8
	v_or_b32_e32 v3, 0x800000, v0
	s_delay_alu instid0(VALU_DEP_2) | instskip(SKIP_2) | instid1(VALU_DEP_2)
	v_cmp_gt_u32_e64 s13, 0x72, v5
	v_sub_nc_u32_e32 v2, 0x71, v5
	v_cmp_eq_u32_e32 vcc_lo, 0, v5
	v_dual_cndmask_b32 v2, 0, v2, s13 :: v_dual_cndmask_b32 v0, v3, v0, vcc_lo
	s_delay_alu instid0(VALU_DEP_1) | instskip(NEXT) | instid1(VALU_DEP_1)
	v_cndmask_b32_e64 v12, v2, 0x70, vcc_lo
	v_dual_add_nc_u32 v2, 21, v12 :: v_dual_add_nc_u32 v13, 20, v12
	s_delay_alu instid0(VALU_DEP_1) | instskip(NEXT) | instid1(VALU_DEP_2)
	v_lshlrev_b64_e64 v[2:3], v2, -1
	v_lshlrev_b64_e64 v[48:49], v13, 1
	s_delay_alu instid0(VALU_DEP_2) | instskip(SKIP_1) | instid1(VALU_DEP_4)
	v_bfi_b32 v2, v2, 0, v0
	v_lshrrev_b64 v[0:1], v12, v[0:1]
	v_bfi_b32 v3, v3, 0, 0
	s_delay_alu instid0(VALU_DEP_1) | instskip(NEXT) | instid1(VALU_DEP_3)
	v_cmp_eq_u64_e64 s13, v[2:3], v[48:49]
	v_mov_b64_e32 v[2:3], v[0:1]
	s_and_saveexec_b32 s77, s13
; %bb.3668:                             ;   in Loop: Header=BB6_136 Depth=3
	v_bfe_u32 v2, v0, 21, 1
	v_mov_b32_e32 v3, v113
	s_delay_alu instid0(VALU_DEP_1) | instskip(NEXT) | instid1(VALU_DEP_1)
	v_add_nc_u64_e32 v[2:3], v[0:1], v[2:3]
	v_add_nc_u64_e32 v[2:3], -1, v[2:3]
; %bb.3669:                             ;   in Loop: Header=BB6_136 Depth=3
	s_or_b32 exec_lo, exec_lo, s77
	v_add_nc_u32_e32 v1, 0xffffff81, v5
	v_lshrrev_b32_e32 v3, 23, v0
	s_mov_b32 s13, exec_lo
	s_delay_alu instid0(VALU_DEP_2) | instskip(NEXT) | instid1(VALU_DEP_1)
	v_cndmask_b32_e64 v1, v1, 0xffffff82, vcc_lo
	v_add3_u32 v5, v12, v1, v3
	v_and_b32_e32 v1, 0x1fffff, v2
                                        ; implicit-def: $vgpr2
	s_delay_alu instid0(VALU_DEP_1) | instskip(SKIP_1) | instid1(VALU_DEP_2)
	v_dual_add_nc_u32 v3, 14, v5 :: v_dual_add_nc_u32 v0, v1, v0
	v_mov_b32_e32 v1, v113
	v_cmpx_ne_u32_e32 0, v3
	s_xor_b32 s13, exec_lo, s13
; %bb.3670:                             ;   in Loop: Header=BB6_136 Depth=3
	s_delay_alu instid0(VALU_DEP_2) | instskip(SKIP_1) | instid1(VALU_DEP_1)
	v_cmp_lt_u64_e32 vcc_lo, 0xffffff, v[0:1]
	v_add_nc_u32_e32 v2, 15, v5
	v_cndmask_b32_e32 v2, v3, v2, vcc_lo
	v_cndmask_b32_e64 v3, 0, 1, vcc_lo
	s_delay_alu instid0(VALU_DEP_1)
	v_lshrrev_b64 v[0:1], v3, v[0:1]
; %bb.3671:                             ;   in Loop: Header=BB6_136 Depth=3
	s_and_not1_saveexec_b32 s13, s13
; %bb.3672:                             ;   in Loop: Header=BB6_136 Depth=3
	s_delay_alu instid0(VALU_DEP_1)
	v_bfe_u32 v2, v0, 23, 1
; %bb.3673:                             ;   in Loop: Header=BB6_136 Depth=3
	s_or_b32 exec_lo, exec_lo, s13
	s_delay_alu instid0(VALU_DEP_2) | instskip(NEXT) | instid1(VALU_DEP_2)
	v_lshrrev_b64 v[0:1], 21, v[0:1]
	v_cmp_gt_i32_e32 vcc_lo, 32, v2
	v_min_i32_e32 v3, 31, v2
	v_cmp_eq_u32_e64 s13, 0, v2
	s_delay_alu instid0(VALU_DEP_2) | instskip(SKIP_1) | instid1(VALU_DEP_2)
	v_dual_cndmask_b32 v1, 0, v1, vcc_lo :: v_dual_lshlrev_b32 v3, 2, v3
	v_cndmask_b32_e32 v0, 3, v0, vcc_lo
	v_and_b32_e32 v3, 0xfc, v3
	s_delay_alu instid0(VALU_DEP_2) | instskip(NEXT) | instid1(VALU_DEP_2)
	v_cmp_eq_u64_e32 vcc_lo, 0, v[0:1]
	v_and_or_b32 v0, v0, 3, v3
	s_and_b32 s13, s13, vcc_lo
	s_delay_alu instid0(VALU_DEP_1) | instid1(SALU_CYCLE_1)
	v_cndmask_b32_e64 v0, v0, 0, s13
	s_delay_alu instid0(VALU_DEP_1)
	v_or_b32_e32 v48, v0, v4
.LBB6_3674:                             ;   in Loop: Header=BB6_136 Depth=3
	s_or_b32 exec_lo, exec_lo, s76
                                        ; implicit-def: $vgpr4
.LBB6_3675:                             ;   in Loop: Header=BB6_136 Depth=3
	s_and_not1_saveexec_b32 s13, s75
; %bb.3676:                             ;   in Loop: Header=BB6_136 Depth=3
	v_or_b32_e32 v48, 0x7b, v4
; %bb.3677:                             ;   in Loop: Header=BB6_136 Depth=3
	s_or_b32 exec_lo, exec_lo, s13
                                        ; implicit-def: $vgpr2
                                        ; implicit-def: $vgpr0_vgpr1
                                        ; implicit-def: $vgpr3
.LBB6_3678:                             ;   in Loop: Header=BB6_136 Depth=3
	s_and_not1_saveexec_b32 s13, s74
	s_cbranch_execz .LBB6_3684
; %bb.3679:                             ;   in Loop: Header=BB6_136 Depth=3
	s_mov_b32 s74, exec_lo
                                        ; implicit-def: $vgpr48
	v_cmpx_ne_u64_e32 0, v[0:1]
	s_xor_b32 s74, exec_lo, s74
; %bb.3680:                             ;   in Loop: Header=BB6_136 Depth=3
	v_or_b32_e32 v48, 0x7f, v3
                                        ; implicit-def: $vgpr2
; %bb.3681:                             ;   in Loop: Header=BB6_136 Depth=3
	s_and_not1_saveexec_b32 s74, s74
; %bb.3682:                             ;   in Loop: Header=BB6_136 Depth=3
	v_cmp_lt_i32_e32 vcc_lo, -1, v2
	v_mov_b32_e32 v0, 0x7c
	s_delay_alu instid0(VALU_DEP_1)
	v_cndmask_b32_e32 v48, 0xfc, v0, vcc_lo
; %bb.3683:                             ;   in Loop: Header=BB6_136 Depth=3
	s_or_b32 exec_lo, exec_lo, s74
.LBB6_3684:                             ;   in Loop: Header=BB6_136 Depth=3
	s_delay_alu instid0(SALU_CYCLE_1) | instskip(SKIP_2) | instid1(VALU_DEP_1)
	s_or_b32 exec_lo, exec_lo, s13
	v_dual_mov_b32 v1, 0 :: v_dual_lshrrev_b32 v0, 16, v9
	s_mov_b32 s74, exec_lo
	v_and_b32_e32 v2, 0xff, v0
	s_delay_alu instid0(VALU_DEP_1)
	v_cmpx_ne_u16_e32 0, v2
	s_cbranch_execz .LBB6_3694
; %bb.3685:                             ;   in Loop: Header=BB6_136 Depth=3
	v_bfrev_b32_e32 v1, 1
	s_mov_b32 s75, exec_lo
	v_cmpx_ne_u16_e32 0x80, v2
	s_cbranch_execz .LBB6_3693
; %bb.3686:                             ;   in Loop: Header=BB6_136 Depth=3
	v_and_b32_e32 v1, 0x7c0000, v9
	v_bfe_u32 v2, v9, 16, 2
	s_delay_alu instid0(VALU_DEP_2) | instskip(SKIP_1) | instid1(SALU_CYCLE_1)
	v_cmp_ne_u32_e32 vcc_lo, 0x7c0000, v1
                                        ; implicit-def: $vgpr1
	s_and_saveexec_b32 s13, vcc_lo
	s_xor_b32 s13, exec_lo, s13
	s_cbranch_execz .LBB6_3690
; %bb.3687:                             ;   in Loop: Header=BB6_136 Depth=3
	v_bfe_u32 v1, v9, 18, 5
	s_mov_b32 s76, exec_lo
	s_delay_alu instid0(VALU_DEP_1)
	v_cmpx_eq_u32_e32 0, v1
; %bb.3688:                             ;   in Loop: Header=BB6_136 Depth=3
	v_clz_i32_u32_e32 v1, v2
	s_delay_alu instid0(VALU_DEP_1) | instskip(NEXT) | instid1(VALU_DEP_1)
	v_min_u32_e32 v1, 32, v1
	v_subrev_nc_u32_e32 v2, 29, v1
	s_delay_alu instid0(VALU_DEP_1) | instskip(NEXT) | instid1(VALU_DEP_1)
	v_lshlrev_b64_e32 v[2:3], v2, v[0:1]
	v_dual_sub_nc_u32 v1, 30, v1 :: v_dual_bitop2_b32 v2, 3, v2 bitop3:0x40
; %bb.3689:                             ;   in Loop: Header=BB6_136 Depth=3
	s_or_b32 exec_lo, exec_lo, s76
	v_lshlrev_b32_e32 v0, 24, v0
	s_delay_alu instid0(VALU_DEP_1) | instskip(NEXT) | instid1(VALU_DEP_1)
	v_and_b32_e32 v0, 0x80000000, v0
	v_lshl_add_u32 v0, v1, 23, v0
	s_delay_alu instid0(VALU_DEP_1) | instskip(NEXT) | instid1(VALU_DEP_1)
	v_lshl_or_b32 v0, v2, 21, v0
                                        ; implicit-def: $vgpr2
	v_add_nc_u32_e32 v1, 0x38000000, v0
                                        ; implicit-def: $vgpr0
.LBB6_3690:                             ;   in Loop: Header=BB6_136 Depth=3
	s_and_not1_saveexec_b32 s76, s13
; %bb.3691:                             ;   in Loop: Header=BB6_136 Depth=3
	v_bfe_i32 v0, v0, 0, 8
	v_cmp_eq_u32_e32 vcc_lo, 0, v2
	s_delay_alu instid0(VALU_DEP_2) | instskip(SKIP_1) | instid1(VALU_DEP_1)
	v_cmp_lt_i16_e64 s13, -1, v0
	v_mov_b32_e32 v0, 0x7f800000
	v_cndmask_b32_e64 v0, 0xff800000, v0, s13
	s_delay_alu instid0(VALU_DEP_1)
	v_cndmask_b32_e32 v1, 0x7f800001, v0, vcc_lo
; %bb.3692:                             ;   in Loop: Header=BB6_136 Depth=3
	s_or_b32 exec_lo, exec_lo, s76
.LBB6_3693:                             ;   in Loop: Header=BB6_136 Depth=3
	s_delay_alu instid0(SALU_CYCLE_1)
	s_or_b32 exec_lo, exec_lo, s75
.LBB6_3694:                             ;   in Loop: Header=BB6_136 Depth=3
	s_delay_alu instid0(SALU_CYCLE_1) | instskip(NEXT) | instid1(VALU_DEP_1)
	s_or_b32 exec_lo, exec_lo, s74
	v_dual_mul_f32 v2, s73, v1 :: v_dual_mov_b32 v5, v113
	v_mov_b32_e32 v1, v113
                                        ; implicit-def: $vgpr49
	s_mov_b32 s13, exec_lo
	s_delay_alu instid0(VALU_DEP_2) | instskip(SKIP_2) | instid1(VALU_DEP_3)
	v_and_b32_e32 v4, 0x7f800000, v2
	v_and_b32_e32 v0, 0x7fffff, v2
	v_lshrrev_b32_e32 v3, 24, v2
	v_cmpx_ne_u64_e32 0x7f800000, v[4:5]
	s_xor_b32 s74, exec_lo, s13
	s_cbranch_execz .LBB6_3708
; %bb.3695:                             ;   in Loop: Header=BB6_136 Depth=3
	v_and_b32_e32 v4, 0x7fffffff, v2
	v_mov_b32_e32 v5, v113
                                        ; implicit-def: $vgpr49
	s_delay_alu instid0(VALU_DEP_1) | instskip(SKIP_2) | instid1(SALU_CYCLE_1)
	v_cmp_gt_u64_e32 vcc_lo, 0x47600001, v[4:5]
	v_and_b32_e32 v4, 0x80, v3
	s_and_saveexec_b32 s13, vcc_lo
	s_xor_b32 s75, exec_lo, s13
	s_cbranch_execz .LBB6_3705
; %bb.3696:                             ;   in Loop: Header=BB6_136 Depth=3
	v_mov_b32_e32 v49, 0
	s_mov_b32 s76, exec_lo
	v_cmpx_ne_u32_e32 0, v2
	s_cbranch_execz .LBB6_3704
; %bb.3697:                             ;   in Loop: Header=BB6_136 Depth=3
	v_bfe_u32 v5, v2, 23, 8
	v_or_b32_e32 v3, 0x800000, v0
	s_delay_alu instid0(VALU_DEP_2) | instskip(SKIP_2) | instid1(VALU_DEP_2)
	v_cmp_gt_u32_e64 s13, 0x72, v5
	v_sub_nc_u32_e32 v2, 0x71, v5
	v_cmp_eq_u32_e32 vcc_lo, 0, v5
	v_dual_cndmask_b32 v2, 0, v2, s13 :: v_dual_cndmask_b32 v0, v3, v0, vcc_lo
	s_delay_alu instid0(VALU_DEP_1) | instskip(NEXT) | instid1(VALU_DEP_1)
	v_cndmask_b32_e64 v12, v2, 0x70, vcc_lo
	v_dual_add_nc_u32 v2, 21, v12 :: v_dual_add_nc_u32 v13, 20, v12
	s_delay_alu instid0(VALU_DEP_1) | instskip(NEXT) | instid1(VALU_DEP_2)
	v_lshlrev_b64_e64 v[2:3], v2, -1
	v_lshlrev_b64_e64 v[50:51], v13, 1
	s_delay_alu instid0(VALU_DEP_2) | instskip(SKIP_1) | instid1(VALU_DEP_4)
	v_bfi_b32 v2, v2, 0, v0
	v_lshrrev_b64 v[0:1], v12, v[0:1]
	v_bfi_b32 v3, v3, 0, 0
	s_delay_alu instid0(VALU_DEP_1) | instskip(NEXT) | instid1(VALU_DEP_3)
	v_cmp_eq_u64_e64 s13, v[2:3], v[50:51]
	v_mov_b64_e32 v[2:3], v[0:1]
	s_and_saveexec_b32 s77, s13
; %bb.3698:                             ;   in Loop: Header=BB6_136 Depth=3
	v_bfe_u32 v2, v0, 21, 1
	v_mov_b32_e32 v3, v113
	s_delay_alu instid0(VALU_DEP_1) | instskip(NEXT) | instid1(VALU_DEP_1)
	v_add_nc_u64_e32 v[2:3], v[0:1], v[2:3]
	v_add_nc_u64_e32 v[2:3], -1, v[2:3]
; %bb.3699:                             ;   in Loop: Header=BB6_136 Depth=3
	s_or_b32 exec_lo, exec_lo, s77
	v_add_nc_u32_e32 v1, 0xffffff81, v5
	v_lshrrev_b32_e32 v3, 23, v0
	s_mov_b32 s13, exec_lo
	s_delay_alu instid0(VALU_DEP_2) | instskip(NEXT) | instid1(VALU_DEP_1)
	v_cndmask_b32_e64 v1, v1, 0xffffff82, vcc_lo
	v_add3_u32 v5, v12, v1, v3
	v_and_b32_e32 v1, 0x1fffff, v2
                                        ; implicit-def: $vgpr2
	s_delay_alu instid0(VALU_DEP_1) | instskip(SKIP_1) | instid1(VALU_DEP_2)
	v_dual_add_nc_u32 v3, 14, v5 :: v_dual_add_nc_u32 v0, v1, v0
	v_mov_b32_e32 v1, v113
	v_cmpx_ne_u32_e32 0, v3
	s_xor_b32 s13, exec_lo, s13
; %bb.3700:                             ;   in Loop: Header=BB6_136 Depth=3
	s_delay_alu instid0(VALU_DEP_2) | instskip(SKIP_1) | instid1(VALU_DEP_1)
	v_cmp_lt_u64_e32 vcc_lo, 0xffffff, v[0:1]
	v_add_nc_u32_e32 v2, 15, v5
	v_cndmask_b32_e32 v2, v3, v2, vcc_lo
	v_cndmask_b32_e64 v3, 0, 1, vcc_lo
	s_delay_alu instid0(VALU_DEP_1)
	v_lshrrev_b64 v[0:1], v3, v[0:1]
; %bb.3701:                             ;   in Loop: Header=BB6_136 Depth=3
	s_and_not1_saveexec_b32 s13, s13
; %bb.3702:                             ;   in Loop: Header=BB6_136 Depth=3
	s_delay_alu instid0(VALU_DEP_1)
	v_bfe_u32 v2, v0, 23, 1
; %bb.3703:                             ;   in Loop: Header=BB6_136 Depth=3
	s_or_b32 exec_lo, exec_lo, s13
	s_delay_alu instid0(VALU_DEP_2) | instskip(NEXT) | instid1(VALU_DEP_2)
	v_lshrrev_b64 v[0:1], 21, v[0:1]
	v_cmp_gt_i32_e32 vcc_lo, 32, v2
	v_min_i32_e32 v3, 31, v2
	v_cmp_eq_u32_e64 s13, 0, v2
	s_delay_alu instid0(VALU_DEP_2) | instskip(SKIP_1) | instid1(VALU_DEP_2)
	v_dual_cndmask_b32 v1, 0, v1, vcc_lo :: v_dual_lshlrev_b32 v3, 2, v3
	v_cndmask_b32_e32 v0, 3, v0, vcc_lo
	v_and_b32_e32 v3, 0xfc, v3
	s_delay_alu instid0(VALU_DEP_2) | instskip(NEXT) | instid1(VALU_DEP_2)
	v_cmp_eq_u64_e32 vcc_lo, 0, v[0:1]
	v_and_or_b32 v0, v0, 3, v3
	s_and_b32 s13, s13, vcc_lo
	s_delay_alu instid0(VALU_DEP_1) | instid1(SALU_CYCLE_1)
	v_cndmask_b32_e64 v0, v0, 0, s13
	s_delay_alu instid0(VALU_DEP_1)
	v_or_b32_e32 v49, v0, v4
.LBB6_3704:                             ;   in Loop: Header=BB6_136 Depth=3
	s_or_b32 exec_lo, exec_lo, s76
                                        ; implicit-def: $vgpr4
.LBB6_3705:                             ;   in Loop: Header=BB6_136 Depth=3
	s_and_not1_saveexec_b32 s13, s75
; %bb.3706:                             ;   in Loop: Header=BB6_136 Depth=3
	v_or_b32_e32 v49, 0x7b, v4
; %bb.3707:                             ;   in Loop: Header=BB6_136 Depth=3
	s_or_b32 exec_lo, exec_lo, s13
                                        ; implicit-def: $vgpr2
                                        ; implicit-def: $vgpr0_vgpr1
                                        ; implicit-def: $vgpr3
.LBB6_3708:                             ;   in Loop: Header=BB6_136 Depth=3
	s_and_not1_saveexec_b32 s13, s74
	s_cbranch_execz .LBB6_3714
; %bb.3709:                             ;   in Loop: Header=BB6_136 Depth=3
	s_mov_b32 s74, exec_lo
                                        ; implicit-def: $vgpr49
	v_cmpx_ne_u64_e32 0, v[0:1]
	s_xor_b32 s74, exec_lo, s74
; %bb.3710:                             ;   in Loop: Header=BB6_136 Depth=3
	v_or_b32_e32 v49, 0x7f, v3
                                        ; implicit-def: $vgpr2
; %bb.3711:                             ;   in Loop: Header=BB6_136 Depth=3
	s_and_not1_saveexec_b32 s74, s74
; %bb.3712:                             ;   in Loop: Header=BB6_136 Depth=3
	v_cmp_lt_i32_e32 vcc_lo, -1, v2
	v_mov_b32_e32 v0, 0x7c
	s_delay_alu instid0(VALU_DEP_1)
	v_cndmask_b32_e32 v49, 0xfc, v0, vcc_lo
; %bb.3713:                             ;   in Loop: Header=BB6_136 Depth=3
	s_or_b32 exec_lo, exec_lo, s74
.LBB6_3714:                             ;   in Loop: Header=BB6_136 Depth=3
	s_delay_alu instid0(SALU_CYCLE_1)
	s_or_b32 exec_lo, exec_lo, s13
	v_mov_b32_e32 v1, 0
	s_mov_b32 s74, exec_lo
	v_cmpx_lt_u64_e64 s[22:23], v[8:9]
	s_cbranch_execz .LBB6_3724
; %bb.3715:                             ;   in Loop: Header=BB6_136 Depth=3
	v_lshrrev_b32_e32 v0, 24, v9
	v_bfrev_b32_e32 v1, 1
	s_mov_b32 s75, exec_lo
	s_delay_alu instid0(VALU_DEP_2)
	v_cmpx_ne_u32_e32 0x80, v0
	s_cbranch_execz .LBB6_3723
; %bb.3716:                             ;   in Loop: Header=BB6_136 Depth=3
	v_and_b32_e32 v1, 0x7c000000, v9
	v_bfe_u32 v2, v9, 24, 2
	s_delay_alu instid0(VALU_DEP_2) | instskip(SKIP_1) | instid1(SALU_CYCLE_1)
	v_cmp_ne_u32_e32 vcc_lo, 0x7c000000, v1
                                        ; implicit-def: $vgpr1
	s_and_saveexec_b32 s13, vcc_lo
	s_xor_b32 s13, exec_lo, s13
	s_cbranch_execz .LBB6_3720
; %bb.3717:                             ;   in Loop: Header=BB6_136 Depth=3
	v_bfe_u32 v1, v9, 26, 5
	s_mov_b32 s76, exec_lo
	s_delay_alu instid0(VALU_DEP_1)
	v_cmpx_eq_u32_e32 0, v1
; %bb.3718:                             ;   in Loop: Header=BB6_136 Depth=3
	v_clz_i32_u32_e32 v1, v2
	s_delay_alu instid0(VALU_DEP_1) | instskip(NEXT) | instid1(VALU_DEP_1)
	v_min_u32_e32 v2, 32, v1
	v_subrev_nc_u32_e32 v1, 29, v2
	s_delay_alu instid0(VALU_DEP_1) | instskip(NEXT) | instid1(VALU_DEP_1)
	v_lshlrev_b64_e32 v[0:1], v1, v[0:1]
	v_dual_sub_nc_u32 v1, 30, v2 :: v_dual_bitop2_b32 v2, 3, v0 bitop3:0x40
; %bb.3719:                             ;   in Loop: Header=BB6_136 Depth=3
	s_or_b32 exec_lo, exec_lo, s76
	v_and_b32_e32 v0, 0x80000000, v9
	s_delay_alu instid0(VALU_DEP_1) | instskip(NEXT) | instid1(VALU_DEP_1)
	v_lshl_add_u32 v0, v1, 23, v0
	v_lshl_or_b32 v0, v2, 21, v0
                                        ; implicit-def: $vgpr2
	s_delay_alu instid0(VALU_DEP_1)
	v_add_nc_u32_e32 v1, 0x38000000, v0
.LBB6_3720:                             ;   in Loop: Header=BB6_136 Depth=3
	s_and_not1_saveexec_b32 s76, s13
; %bb.3721:                             ;   in Loop: Header=BB6_136 Depth=3
	v_cmp_lt_i64_e64 s13, -1, v[8:9]
	v_mov_b32_e32 v0, 0x7f800000
	v_cmp_eq_u32_e32 vcc_lo, 0, v2
	s_delay_alu instid0(VALU_DEP_2) | instskip(NEXT) | instid1(VALU_DEP_1)
	v_cndmask_b32_e64 v0, 0xff800000, v0, s13
	v_cndmask_b32_e32 v1, 0x7f800001, v0, vcc_lo
; %bb.3722:                             ;   in Loop: Header=BB6_136 Depth=3
	s_or_b32 exec_lo, exec_lo, s76
.LBB6_3723:                             ;   in Loop: Header=BB6_136 Depth=3
	s_delay_alu instid0(SALU_CYCLE_1)
	s_or_b32 exec_lo, exec_lo, s75
.LBB6_3724:                             ;   in Loop: Header=BB6_136 Depth=3
	s_delay_alu instid0(SALU_CYCLE_1) | instskip(NEXT) | instid1(VALU_DEP_1)
	s_or_b32 exec_lo, exec_lo, s74
	v_dual_mul_f32 v2, s73, v1 :: v_dual_mov_b32 v5, v113
	v_mov_b32_e32 v1, v113
                                        ; implicit-def: $vgpr50
	s_mov_b32 s13, exec_lo
	s_delay_alu instid0(VALU_DEP_2) | instskip(SKIP_2) | instid1(VALU_DEP_3)
	v_and_b32_e32 v4, 0x7f800000, v2
	v_and_b32_e32 v0, 0x7fffff, v2
	v_lshrrev_b32_e32 v3, 24, v2
	v_cmpx_ne_u64_e32 0x7f800000, v[4:5]
	s_xor_b32 s74, exec_lo, s13
	s_cbranch_execz .LBB6_3738
; %bb.3725:                             ;   in Loop: Header=BB6_136 Depth=3
	v_and_b32_e32 v4, 0x7fffffff, v2
	v_mov_b32_e32 v5, v113
                                        ; implicit-def: $vgpr50
	s_delay_alu instid0(VALU_DEP_1) | instskip(SKIP_2) | instid1(SALU_CYCLE_1)
	v_cmp_gt_u64_e32 vcc_lo, 0x47600001, v[4:5]
	v_and_b32_e32 v4, 0x80, v3
	s_and_saveexec_b32 s13, vcc_lo
	s_xor_b32 s75, exec_lo, s13
	s_cbranch_execz .LBB6_3735
; %bb.3726:                             ;   in Loop: Header=BB6_136 Depth=3
	v_mov_b32_e32 v50, 0
	s_mov_b32 s76, exec_lo
	v_cmpx_ne_u32_e32 0, v2
	s_cbranch_execz .LBB6_3734
; %bb.3727:                             ;   in Loop: Header=BB6_136 Depth=3
	v_bfe_u32 v5, v2, 23, 8
	v_or_b32_e32 v3, 0x800000, v0
	s_delay_alu instid0(VALU_DEP_2) | instskip(SKIP_2) | instid1(VALU_DEP_2)
	v_cmp_gt_u32_e64 s13, 0x72, v5
	v_sub_nc_u32_e32 v2, 0x71, v5
	v_cmp_eq_u32_e32 vcc_lo, 0, v5
	v_dual_cndmask_b32 v2, 0, v2, s13 :: v_dual_cndmask_b32 v0, v3, v0, vcc_lo
	s_delay_alu instid0(VALU_DEP_1) | instskip(NEXT) | instid1(VALU_DEP_1)
	v_cndmask_b32_e64 v8, v2, 0x70, vcc_lo
	v_dual_add_nc_u32 v2, 21, v8 :: v_dual_add_nc_u32 v9, 20, v8
	s_delay_alu instid0(VALU_DEP_1) | instskip(NEXT) | instid1(VALU_DEP_2)
	v_lshlrev_b64_e64 v[2:3], v2, -1
	v_lshlrev_b64_e64 v[12:13], v9, 1
	s_delay_alu instid0(VALU_DEP_2) | instskip(SKIP_1) | instid1(VALU_DEP_4)
	v_bfi_b32 v2, v2, 0, v0
	v_lshrrev_b64 v[0:1], v8, v[0:1]
	v_bfi_b32 v3, v3, 0, 0
	s_delay_alu instid0(VALU_DEP_1) | instskip(NEXT) | instid1(VALU_DEP_3)
	v_cmp_eq_u64_e64 s13, v[2:3], v[12:13]
	v_mov_b64_e32 v[2:3], v[0:1]
	s_and_saveexec_b32 s77, s13
; %bb.3728:                             ;   in Loop: Header=BB6_136 Depth=3
	v_bfe_u32 v2, v0, 21, 1
	v_mov_b32_e32 v3, v113
	s_delay_alu instid0(VALU_DEP_1) | instskip(NEXT) | instid1(VALU_DEP_1)
	v_add_nc_u64_e32 v[2:3], v[0:1], v[2:3]
	v_add_nc_u64_e32 v[2:3], -1, v[2:3]
; %bb.3729:                             ;   in Loop: Header=BB6_136 Depth=3
	s_or_b32 exec_lo, exec_lo, s77
	v_add_nc_u32_e32 v1, 0xffffff81, v5
	v_lshrrev_b32_e32 v3, 23, v0
	s_mov_b32 s13, exec_lo
	s_delay_alu instid0(VALU_DEP_2) | instskip(NEXT) | instid1(VALU_DEP_1)
	v_cndmask_b32_e64 v1, v1, 0xffffff82, vcc_lo
	v_add3_u32 v5, v8, v1, v3
	v_and_b32_e32 v1, 0x1fffff, v2
                                        ; implicit-def: $vgpr2
	s_delay_alu instid0(VALU_DEP_1) | instskip(SKIP_1) | instid1(VALU_DEP_2)
	v_dual_add_nc_u32 v3, 14, v5 :: v_dual_add_nc_u32 v0, v1, v0
	v_mov_b32_e32 v1, v113
	v_cmpx_ne_u32_e32 0, v3
	s_xor_b32 s13, exec_lo, s13
; %bb.3730:                             ;   in Loop: Header=BB6_136 Depth=3
	s_delay_alu instid0(VALU_DEP_2) | instskip(SKIP_1) | instid1(VALU_DEP_1)
	v_cmp_lt_u64_e32 vcc_lo, 0xffffff, v[0:1]
	v_add_nc_u32_e32 v2, 15, v5
	v_cndmask_b32_e32 v2, v3, v2, vcc_lo
	v_cndmask_b32_e64 v3, 0, 1, vcc_lo
	s_delay_alu instid0(VALU_DEP_1)
	v_lshrrev_b64 v[0:1], v3, v[0:1]
; %bb.3731:                             ;   in Loop: Header=BB6_136 Depth=3
	s_and_not1_saveexec_b32 s13, s13
; %bb.3732:                             ;   in Loop: Header=BB6_136 Depth=3
	s_delay_alu instid0(VALU_DEP_1)
	v_bfe_u32 v2, v0, 23, 1
; %bb.3733:                             ;   in Loop: Header=BB6_136 Depth=3
	s_or_b32 exec_lo, exec_lo, s13
	s_delay_alu instid0(VALU_DEP_2) | instskip(NEXT) | instid1(VALU_DEP_2)
	v_lshrrev_b64 v[0:1], 21, v[0:1]
	v_cmp_gt_i32_e32 vcc_lo, 32, v2
	v_min_i32_e32 v3, 31, v2
	v_cmp_eq_u32_e64 s13, 0, v2
	s_delay_alu instid0(VALU_DEP_2) | instskip(SKIP_1) | instid1(VALU_DEP_2)
	v_dual_cndmask_b32 v1, 0, v1, vcc_lo :: v_dual_lshlrev_b32 v3, 2, v3
	v_cndmask_b32_e32 v0, 3, v0, vcc_lo
	v_and_b32_e32 v3, 0xfc, v3
	s_delay_alu instid0(VALU_DEP_2) | instskip(NEXT) | instid1(VALU_DEP_2)
	v_cmp_eq_u64_e32 vcc_lo, 0, v[0:1]
	v_and_or_b32 v0, v0, 3, v3
	s_and_b32 s13, s13, vcc_lo
	s_delay_alu instid0(VALU_DEP_1) | instid1(SALU_CYCLE_1)
	v_cndmask_b32_e64 v0, v0, 0, s13
	s_delay_alu instid0(VALU_DEP_1)
	v_or_b32_e32 v50, v0, v4
.LBB6_3734:                             ;   in Loop: Header=BB6_136 Depth=3
	s_or_b32 exec_lo, exec_lo, s76
                                        ; implicit-def: $vgpr4
.LBB6_3735:                             ;   in Loop: Header=BB6_136 Depth=3
	s_and_not1_saveexec_b32 s13, s75
; %bb.3736:                             ;   in Loop: Header=BB6_136 Depth=3
	v_or_b32_e32 v50, 0x7b, v4
; %bb.3737:                             ;   in Loop: Header=BB6_136 Depth=3
	s_or_b32 exec_lo, exec_lo, s13
                                        ; implicit-def: $vgpr2
                                        ; implicit-def: $vgpr0_vgpr1
                                        ; implicit-def: $vgpr3
.LBB6_3738:                             ;   in Loop: Header=BB6_136 Depth=3
	s_and_not1_saveexec_b32 s13, s74
	s_cbranch_execz .LBB6_3744
; %bb.3739:                             ;   in Loop: Header=BB6_136 Depth=3
	s_mov_b32 s74, exec_lo
                                        ; implicit-def: $vgpr50
	v_cmpx_ne_u64_e32 0, v[0:1]
	s_xor_b32 s74, exec_lo, s74
; %bb.3740:                             ;   in Loop: Header=BB6_136 Depth=3
	v_or_b32_e32 v50, 0x7f, v3
                                        ; implicit-def: $vgpr2
; %bb.3741:                             ;   in Loop: Header=BB6_136 Depth=3
	s_and_not1_saveexec_b32 s74, s74
; %bb.3742:                             ;   in Loop: Header=BB6_136 Depth=3
	v_cmp_lt_i32_e32 vcc_lo, -1, v2
	v_mov_b32_e32 v0, 0x7c
	s_delay_alu instid0(VALU_DEP_1)
	v_cndmask_b32_e32 v50, 0xfc, v0, vcc_lo
; %bb.3743:                             ;   in Loop: Header=BB6_136 Depth=3
	s_or_b32 exec_lo, exec_lo, s74
.LBB6_3744:                             ;   in Loop: Header=BB6_136 Depth=3
	s_delay_alu instid0(SALU_CYCLE_1) | instskip(SKIP_1) | instid1(VALU_DEP_1)
	s_or_b32 exec_lo, exec_lo, s13
	v_and_b32_e32 v0, 0xff, v10
	v_cmp_ne_u16_e32 vcc_lo, 0, v0
	v_mov_b32_e32 v0, 0
	s_and_saveexec_b32 s74, vcc_lo
	s_cbranch_execz .LBB6_3754
; %bb.3745:                             ;   in Loop: Header=BB6_136 Depth=3
	v_bfe_i32 v2, v10, 0, 8
	v_bfrev_b32_e32 v0, 1
	s_mov_b32 s75, exec_lo
	s_delay_alu instid0(VALU_DEP_2)
	v_cmpx_ne_u16_e32 0xff80, v2
	s_cbranch_execz .LBB6_3753
; %bb.3746:                             ;   in Loop: Header=BB6_136 Depth=3
	v_and_b32_e32 v0, 0x7c, v10
	v_and_b32_e32 v1, 3, v10
	s_delay_alu instid0(VALU_DEP_2) | instskip(SKIP_1) | instid1(SALU_CYCLE_1)
	v_cmp_ne_u32_e32 vcc_lo, 0x7c, v0
                                        ; implicit-def: $vgpr0
	s_and_saveexec_b32 s13, vcc_lo
	s_xor_b32 s13, exec_lo, s13
	s_cbranch_execz .LBB6_3750
; %bb.3747:                             ;   in Loop: Header=BB6_136 Depth=3
	v_bfe_u32 v0, v10, 2, 5
	s_mov_b32 s76, exec_lo
	s_delay_alu instid0(VALU_DEP_1)
	v_cmpx_eq_u32_e32 0, v0
; %bb.3748:                             ;   in Loop: Header=BB6_136 Depth=3
	v_clz_i32_u32_e32 v0, v1
	s_delay_alu instid0(VALU_DEP_1) | instskip(NEXT) | instid1(VALU_DEP_1)
	v_min_u32_e32 v0, 32, v0
	v_subrev_nc_u32_e32 v1, 29, v0
	s_delay_alu instid0(VALU_DEP_1) | instskip(NEXT) | instid1(VALU_DEP_1)
	v_lshlrev_b64_e32 v[2:3], v1, v[10:11]
	v_dual_sub_nc_u32 v0, 30, v0 :: v_dual_bitop2_b32 v1, 3, v2 bitop3:0x40
; %bb.3749:                             ;   in Loop: Header=BB6_136 Depth=3
	s_or_b32 exec_lo, exec_lo, s76
	v_lshlrev_b32_e32 v2, 24, v10
	s_delay_alu instid0(VALU_DEP_1) | instskip(NEXT) | instid1(VALU_DEP_1)
	v_and_b32_e32 v2, 0x80000000, v2
	v_lshl_add_u32 v0, v0, 23, v2
                                        ; implicit-def: $vgpr2
	s_delay_alu instid0(VALU_DEP_1) | instskip(NEXT) | instid1(VALU_DEP_1)
	v_lshl_or_b32 v0, v1, 21, v0
                                        ; implicit-def: $vgpr1
	v_add_nc_u32_e32 v0, 0x38000000, v0
.LBB6_3750:                             ;   in Loop: Header=BB6_136 Depth=3
	s_and_not1_saveexec_b32 s76, s13
; %bb.3751:                             ;   in Loop: Header=BB6_136 Depth=3
	v_cmp_lt_i16_e64 s13, -1, v2
	v_mov_b32_e32 v0, 0x7f800000
	v_cmp_eq_u32_e32 vcc_lo, 0, v1
	s_delay_alu instid0(VALU_DEP_2) | instskip(NEXT) | instid1(VALU_DEP_1)
	v_cndmask_b32_e64 v0, 0xff800000, v0, s13
	v_cndmask_b32_e32 v0, 0x7f800001, v0, vcc_lo
; %bb.3752:                             ;   in Loop: Header=BB6_136 Depth=3
	s_or_b32 exec_lo, exec_lo, s76
.LBB6_3753:                             ;   in Loop: Header=BB6_136 Depth=3
	s_delay_alu instid0(SALU_CYCLE_1)
	s_or_b32 exec_lo, exec_lo, s75
.LBB6_3754:                             ;   in Loop: Header=BB6_136 Depth=3
	s_delay_alu instid0(SALU_CYCLE_1) | instskip(NEXT) | instid1(VALU_DEP_1)
	s_or_b32 exec_lo, exec_lo, s74
	v_dual_mul_f32 v2, s73, v0 :: v_dual_mov_b32 v5, v113
	v_mov_b32_e32 v1, v113
                                        ; implicit-def: $vgpr51
	s_mov_b32 s13, exec_lo
	s_delay_alu instid0(VALU_DEP_2) | instskip(SKIP_2) | instid1(VALU_DEP_3)
	v_and_b32_e32 v4, 0x7f800000, v2
	v_and_b32_e32 v0, 0x7fffff, v2
	v_lshrrev_b32_e32 v3, 24, v2
	v_cmpx_ne_u64_e32 0x7f800000, v[4:5]
	s_xor_b32 s74, exec_lo, s13
	s_cbranch_execz .LBB6_3768
; %bb.3755:                             ;   in Loop: Header=BB6_136 Depth=3
	v_and_b32_e32 v4, 0x7fffffff, v2
	v_mov_b32_e32 v5, v113
                                        ; implicit-def: $vgpr51
	s_delay_alu instid0(VALU_DEP_1) | instskip(SKIP_2) | instid1(SALU_CYCLE_1)
	v_cmp_gt_u64_e32 vcc_lo, 0x47600001, v[4:5]
	v_and_b32_e32 v4, 0x80, v3
	s_and_saveexec_b32 s13, vcc_lo
	s_xor_b32 s75, exec_lo, s13
	s_cbranch_execz .LBB6_3765
; %bb.3756:                             ;   in Loop: Header=BB6_136 Depth=3
	v_mov_b32_e32 v51, 0
	s_mov_b32 s76, exec_lo
	v_cmpx_ne_u32_e32 0, v2
	s_cbranch_execz .LBB6_3764
; %bb.3757:                             ;   in Loop: Header=BB6_136 Depth=3
	v_bfe_u32 v5, v2, 23, 8
	v_or_b32_e32 v3, 0x800000, v0
	s_delay_alu instid0(VALU_DEP_2) | instskip(SKIP_2) | instid1(VALU_DEP_2)
	v_cmp_gt_u32_e64 s13, 0x72, v5
	v_sub_nc_u32_e32 v2, 0x71, v5
	v_cmp_eq_u32_e32 vcc_lo, 0, v5
	v_dual_cndmask_b32 v2, 0, v2, s13 :: v_dual_cndmask_b32 v0, v3, v0, vcc_lo
	s_delay_alu instid0(VALU_DEP_1) | instskip(NEXT) | instid1(VALU_DEP_1)
	v_cndmask_b32_e64 v8, v2, 0x70, vcc_lo
	v_dual_add_nc_u32 v2, 21, v8 :: v_dual_add_nc_u32 v9, 20, v8
	s_delay_alu instid0(VALU_DEP_1) | instskip(NEXT) | instid1(VALU_DEP_2)
	v_lshlrev_b64_e64 v[2:3], v2, -1
	v_lshlrev_b64_e64 v[12:13], v9, 1
	s_delay_alu instid0(VALU_DEP_2) | instskip(SKIP_1) | instid1(VALU_DEP_4)
	v_bfi_b32 v2, v2, 0, v0
	v_lshrrev_b64 v[0:1], v8, v[0:1]
	v_bfi_b32 v3, v3, 0, 0
	s_delay_alu instid0(VALU_DEP_1) | instskip(NEXT) | instid1(VALU_DEP_3)
	v_cmp_eq_u64_e64 s13, v[2:3], v[12:13]
	v_mov_b64_e32 v[2:3], v[0:1]
	s_and_saveexec_b32 s77, s13
; %bb.3758:                             ;   in Loop: Header=BB6_136 Depth=3
	v_bfe_u32 v2, v0, 21, 1
	v_mov_b32_e32 v3, v113
	s_delay_alu instid0(VALU_DEP_1) | instskip(NEXT) | instid1(VALU_DEP_1)
	v_add_nc_u64_e32 v[2:3], v[0:1], v[2:3]
	v_add_nc_u64_e32 v[2:3], -1, v[2:3]
; %bb.3759:                             ;   in Loop: Header=BB6_136 Depth=3
	s_or_b32 exec_lo, exec_lo, s77
	v_add_nc_u32_e32 v1, 0xffffff81, v5
	v_lshrrev_b32_e32 v3, 23, v0
	s_mov_b32 s13, exec_lo
	s_delay_alu instid0(VALU_DEP_2) | instskip(NEXT) | instid1(VALU_DEP_1)
	v_cndmask_b32_e64 v1, v1, 0xffffff82, vcc_lo
	v_add3_u32 v5, v8, v1, v3
	v_and_b32_e32 v1, 0x1fffff, v2
                                        ; implicit-def: $vgpr2
	s_delay_alu instid0(VALU_DEP_1) | instskip(SKIP_1) | instid1(VALU_DEP_2)
	v_dual_add_nc_u32 v3, 14, v5 :: v_dual_add_nc_u32 v0, v1, v0
	v_mov_b32_e32 v1, v113
	v_cmpx_ne_u32_e32 0, v3
	s_xor_b32 s13, exec_lo, s13
; %bb.3760:                             ;   in Loop: Header=BB6_136 Depth=3
	s_delay_alu instid0(VALU_DEP_2) | instskip(SKIP_1) | instid1(VALU_DEP_1)
	v_cmp_lt_u64_e32 vcc_lo, 0xffffff, v[0:1]
	v_add_nc_u32_e32 v2, 15, v5
	v_cndmask_b32_e32 v2, v3, v2, vcc_lo
	v_cndmask_b32_e64 v3, 0, 1, vcc_lo
	s_delay_alu instid0(VALU_DEP_1)
	v_lshrrev_b64 v[0:1], v3, v[0:1]
; %bb.3761:                             ;   in Loop: Header=BB6_136 Depth=3
	s_and_not1_saveexec_b32 s13, s13
; %bb.3762:                             ;   in Loop: Header=BB6_136 Depth=3
	s_delay_alu instid0(VALU_DEP_1)
	v_bfe_u32 v2, v0, 23, 1
; %bb.3763:                             ;   in Loop: Header=BB6_136 Depth=3
	s_or_b32 exec_lo, exec_lo, s13
	s_delay_alu instid0(VALU_DEP_2) | instskip(NEXT) | instid1(VALU_DEP_2)
	v_lshrrev_b64 v[0:1], 21, v[0:1]
	v_cmp_gt_i32_e32 vcc_lo, 32, v2
	v_min_i32_e32 v3, 31, v2
	v_cmp_eq_u32_e64 s13, 0, v2
	s_delay_alu instid0(VALU_DEP_2) | instskip(SKIP_1) | instid1(VALU_DEP_2)
	v_dual_cndmask_b32 v1, 0, v1, vcc_lo :: v_dual_lshlrev_b32 v3, 2, v3
	v_cndmask_b32_e32 v0, 3, v0, vcc_lo
	v_and_b32_e32 v3, 0xfc, v3
	s_delay_alu instid0(VALU_DEP_2) | instskip(NEXT) | instid1(VALU_DEP_2)
	v_cmp_eq_u64_e32 vcc_lo, 0, v[0:1]
	v_and_or_b32 v0, v0, 3, v3
	s_and_b32 s13, s13, vcc_lo
	s_delay_alu instid0(VALU_DEP_1) | instid1(SALU_CYCLE_1)
	v_cndmask_b32_e64 v0, v0, 0, s13
	s_delay_alu instid0(VALU_DEP_1)
	v_or_b32_e32 v51, v0, v4
.LBB6_3764:                             ;   in Loop: Header=BB6_136 Depth=3
	s_or_b32 exec_lo, exec_lo, s76
                                        ; implicit-def: $vgpr4
.LBB6_3765:                             ;   in Loop: Header=BB6_136 Depth=3
	s_and_not1_saveexec_b32 s13, s75
; %bb.3766:                             ;   in Loop: Header=BB6_136 Depth=3
	v_or_b32_e32 v51, 0x7b, v4
; %bb.3767:                             ;   in Loop: Header=BB6_136 Depth=3
	s_or_b32 exec_lo, exec_lo, s13
                                        ; implicit-def: $vgpr2
                                        ; implicit-def: $vgpr0_vgpr1
                                        ; implicit-def: $vgpr3
.LBB6_3768:                             ;   in Loop: Header=BB6_136 Depth=3
	s_and_not1_saveexec_b32 s13, s74
	s_cbranch_execz .LBB6_3774
; %bb.3769:                             ;   in Loop: Header=BB6_136 Depth=3
	s_mov_b32 s74, exec_lo
                                        ; implicit-def: $vgpr51
	v_cmpx_ne_u64_e32 0, v[0:1]
	s_xor_b32 s74, exec_lo, s74
; %bb.3770:                             ;   in Loop: Header=BB6_136 Depth=3
	v_or_b32_e32 v51, 0x7f, v3
                                        ; implicit-def: $vgpr2
; %bb.3771:                             ;   in Loop: Header=BB6_136 Depth=3
	s_and_not1_saveexec_b32 s74, s74
; %bb.3772:                             ;   in Loop: Header=BB6_136 Depth=3
	v_cmp_lt_i32_e32 vcc_lo, -1, v2
	v_mov_b32_e32 v0, 0x7c
	s_delay_alu instid0(VALU_DEP_1)
	v_cndmask_b32_e32 v51, 0xfc, v0, vcc_lo
; %bb.3773:                             ;   in Loop: Header=BB6_136 Depth=3
	s_or_b32 exec_lo, exec_lo, s74
.LBB6_3774:                             ;   in Loop: Header=BB6_136 Depth=3
	s_delay_alu instid0(SALU_CYCLE_1) | instskip(SKIP_3) | instid1(VALU_DEP_2)
	s_or_b32 exec_lo, exec_lo, s13
	v_lshrrev_b16 v0, 8, v10
	v_mov_b32_e32 v1, 0
	s_mov_b32 s74, exec_lo
	v_cmpx_ne_u16_e32 0, v0
	s_cbranch_execz .LBB6_3784
; %bb.3775:                             ;   in Loop: Header=BB6_136 Depth=3
	v_bfrev_b32_e32 v1, 1
	s_mov_b32 s75, exec_lo
	v_cmpx_ne_u16_e32 0x80, v0
	s_cbranch_execz .LBB6_3783
; %bb.3776:                             ;   in Loop: Header=BB6_136 Depth=3
	v_and_b32_e32 v3, 0xffff, v0
	s_delay_alu instid0(VALU_DEP_1) | instskip(SKIP_1) | instid1(VALU_DEP_2)
	v_and_b32_e32 v1, 0x7c, v3
	v_and_b32_e32 v2, 3, v3
	v_cmp_ne_u32_e32 vcc_lo, 0x7c, v1
                                        ; implicit-def: $vgpr1
	s_and_saveexec_b32 s13, vcc_lo
	s_delay_alu instid0(SALU_CYCLE_1)
	s_xor_b32 s13, exec_lo, s13
	s_cbranch_execz .LBB6_3780
; %bb.3777:                             ;   in Loop: Header=BB6_136 Depth=3
	v_bfe_u32 v1, v3, 2, 5
	s_mov_b32 s76, exec_lo
	s_delay_alu instid0(VALU_DEP_1)
	v_cmpx_eq_u32_e32 0, v1
; %bb.3778:                             ;   in Loop: Header=BB6_136 Depth=3
	v_clz_i32_u32_e32 v1, v2
	s_delay_alu instid0(VALU_DEP_1) | instskip(SKIP_1) | instid1(VALU_DEP_2)
	v_min_u32_e32 v2, 32, v1
	v_mov_b32_e32 v1, v113
	v_subrev_nc_u32_e32 v3, 29, v2
	s_delay_alu instid0(VALU_DEP_1) | instskip(NEXT) | instid1(VALU_DEP_1)
	v_lshlrev_b64_e32 v[0:1], v3, v[0:1]
	v_dual_sub_nc_u32 v1, 30, v2 :: v_dual_bitop2_b32 v2, 3, v0 bitop3:0x40
; %bb.3779:                             ;   in Loop: Header=BB6_136 Depth=3
	s_or_b32 exec_lo, exec_lo, s76
	v_lshlrev_b32_e32 v0, 16, v10
	s_delay_alu instid0(VALU_DEP_1) | instskip(NEXT) | instid1(VALU_DEP_1)
	v_and_b32_e32 v0, 0x80000000, v0
	v_lshl_add_u32 v0, v1, 23, v0
	s_delay_alu instid0(VALU_DEP_1) | instskip(NEXT) | instid1(VALU_DEP_1)
	v_lshl_or_b32 v0, v2, 21, v0
                                        ; implicit-def: $vgpr2
	v_add_nc_u32_e32 v1, 0x38000000, v0
.LBB6_3780:                             ;   in Loop: Header=BB6_136 Depth=3
	s_and_not1_saveexec_b32 s76, s13
; %bb.3781:                             ;   in Loop: Header=BB6_136 Depth=3
	v_cmp_lt_i16_e64 s13, -1, v10
	v_mov_b32_e32 v0, 0x7f800000
	v_cmp_eq_u32_e32 vcc_lo, 0, v2
	s_delay_alu instid0(VALU_DEP_2) | instskip(NEXT) | instid1(VALU_DEP_1)
	v_cndmask_b32_e64 v0, 0xff800000, v0, s13
	v_cndmask_b32_e32 v1, 0x7f800001, v0, vcc_lo
; %bb.3782:                             ;   in Loop: Header=BB6_136 Depth=3
	s_or_b32 exec_lo, exec_lo, s76
.LBB6_3783:                             ;   in Loop: Header=BB6_136 Depth=3
	s_delay_alu instid0(SALU_CYCLE_1)
	s_or_b32 exec_lo, exec_lo, s75
.LBB6_3784:                             ;   in Loop: Header=BB6_136 Depth=3
	s_delay_alu instid0(SALU_CYCLE_1) | instskip(NEXT) | instid1(VALU_DEP_1)
	s_or_b32 exec_lo, exec_lo, s74
	v_dual_mul_f32 v2, s73, v1 :: v_dual_mov_b32 v5, v113
	v_mov_b32_e32 v1, v113
                                        ; implicit-def: $vgpr52
	s_mov_b32 s13, exec_lo
	s_delay_alu instid0(VALU_DEP_2) | instskip(SKIP_2) | instid1(VALU_DEP_3)
	v_and_b32_e32 v4, 0x7f800000, v2
	v_and_b32_e32 v0, 0x7fffff, v2
	v_lshrrev_b32_e32 v3, 24, v2
	v_cmpx_ne_u64_e32 0x7f800000, v[4:5]
	s_xor_b32 s74, exec_lo, s13
	s_cbranch_execz .LBB6_3798
; %bb.3785:                             ;   in Loop: Header=BB6_136 Depth=3
	v_and_b32_e32 v4, 0x7fffffff, v2
	v_mov_b32_e32 v5, v113
                                        ; implicit-def: $vgpr52
	s_delay_alu instid0(VALU_DEP_1) | instskip(SKIP_2) | instid1(SALU_CYCLE_1)
	v_cmp_gt_u64_e32 vcc_lo, 0x47600001, v[4:5]
	v_and_b32_e32 v4, 0x80, v3
	s_and_saveexec_b32 s13, vcc_lo
	s_xor_b32 s75, exec_lo, s13
	s_cbranch_execz .LBB6_3795
; %bb.3786:                             ;   in Loop: Header=BB6_136 Depth=3
	v_mov_b32_e32 v52, 0
	s_mov_b32 s76, exec_lo
	v_cmpx_ne_u32_e32 0, v2
	s_cbranch_execz .LBB6_3794
; %bb.3787:                             ;   in Loop: Header=BB6_136 Depth=3
	v_bfe_u32 v5, v2, 23, 8
	v_or_b32_e32 v3, 0x800000, v0
	s_delay_alu instid0(VALU_DEP_2) | instskip(SKIP_2) | instid1(VALU_DEP_2)
	v_cmp_gt_u32_e64 s13, 0x72, v5
	v_sub_nc_u32_e32 v2, 0x71, v5
	v_cmp_eq_u32_e32 vcc_lo, 0, v5
	v_dual_cndmask_b32 v2, 0, v2, s13 :: v_dual_cndmask_b32 v0, v3, v0, vcc_lo
	s_delay_alu instid0(VALU_DEP_1) | instskip(NEXT) | instid1(VALU_DEP_1)
	v_cndmask_b32_e64 v8, v2, 0x70, vcc_lo
	v_dual_add_nc_u32 v2, 21, v8 :: v_dual_add_nc_u32 v9, 20, v8
	s_delay_alu instid0(VALU_DEP_1) | instskip(NEXT) | instid1(VALU_DEP_2)
	v_lshlrev_b64_e64 v[2:3], v2, -1
	v_lshlrev_b64_e64 v[12:13], v9, 1
	s_delay_alu instid0(VALU_DEP_2) | instskip(SKIP_1) | instid1(VALU_DEP_4)
	v_bfi_b32 v2, v2, 0, v0
	v_lshrrev_b64 v[0:1], v8, v[0:1]
	v_bfi_b32 v3, v3, 0, 0
	s_delay_alu instid0(VALU_DEP_1) | instskip(NEXT) | instid1(VALU_DEP_3)
	v_cmp_eq_u64_e64 s13, v[2:3], v[12:13]
	v_mov_b64_e32 v[2:3], v[0:1]
	s_and_saveexec_b32 s77, s13
; %bb.3788:                             ;   in Loop: Header=BB6_136 Depth=3
	v_bfe_u32 v2, v0, 21, 1
	v_mov_b32_e32 v3, v113
	s_delay_alu instid0(VALU_DEP_1) | instskip(NEXT) | instid1(VALU_DEP_1)
	v_add_nc_u64_e32 v[2:3], v[0:1], v[2:3]
	v_add_nc_u64_e32 v[2:3], -1, v[2:3]
; %bb.3789:                             ;   in Loop: Header=BB6_136 Depth=3
	s_or_b32 exec_lo, exec_lo, s77
	v_add_nc_u32_e32 v1, 0xffffff81, v5
	v_lshrrev_b32_e32 v3, 23, v0
	s_mov_b32 s13, exec_lo
	s_delay_alu instid0(VALU_DEP_2) | instskip(NEXT) | instid1(VALU_DEP_1)
	v_cndmask_b32_e64 v1, v1, 0xffffff82, vcc_lo
	v_add3_u32 v5, v8, v1, v3
	v_and_b32_e32 v1, 0x1fffff, v2
                                        ; implicit-def: $vgpr2
	s_delay_alu instid0(VALU_DEP_1) | instskip(SKIP_1) | instid1(VALU_DEP_2)
	v_dual_add_nc_u32 v3, 14, v5 :: v_dual_add_nc_u32 v0, v1, v0
	v_mov_b32_e32 v1, v113
	v_cmpx_ne_u32_e32 0, v3
	s_xor_b32 s13, exec_lo, s13
; %bb.3790:                             ;   in Loop: Header=BB6_136 Depth=3
	s_delay_alu instid0(VALU_DEP_2) | instskip(SKIP_1) | instid1(VALU_DEP_1)
	v_cmp_lt_u64_e32 vcc_lo, 0xffffff, v[0:1]
	v_add_nc_u32_e32 v2, 15, v5
	v_cndmask_b32_e32 v2, v3, v2, vcc_lo
	v_cndmask_b32_e64 v3, 0, 1, vcc_lo
	s_delay_alu instid0(VALU_DEP_1)
	v_lshrrev_b64 v[0:1], v3, v[0:1]
; %bb.3791:                             ;   in Loop: Header=BB6_136 Depth=3
	s_and_not1_saveexec_b32 s13, s13
; %bb.3792:                             ;   in Loop: Header=BB6_136 Depth=3
	s_delay_alu instid0(VALU_DEP_1)
	v_bfe_u32 v2, v0, 23, 1
; %bb.3793:                             ;   in Loop: Header=BB6_136 Depth=3
	s_or_b32 exec_lo, exec_lo, s13
	s_delay_alu instid0(VALU_DEP_2) | instskip(NEXT) | instid1(VALU_DEP_2)
	v_lshrrev_b64 v[0:1], 21, v[0:1]
	v_cmp_gt_i32_e32 vcc_lo, 32, v2
	v_min_i32_e32 v3, 31, v2
	v_cmp_eq_u32_e64 s13, 0, v2
	s_delay_alu instid0(VALU_DEP_2) | instskip(SKIP_1) | instid1(VALU_DEP_2)
	v_dual_cndmask_b32 v1, 0, v1, vcc_lo :: v_dual_lshlrev_b32 v3, 2, v3
	v_cndmask_b32_e32 v0, 3, v0, vcc_lo
	v_and_b32_e32 v3, 0xfc, v3
	s_delay_alu instid0(VALU_DEP_2) | instskip(NEXT) | instid1(VALU_DEP_2)
	v_cmp_eq_u64_e32 vcc_lo, 0, v[0:1]
	v_and_or_b32 v0, v0, 3, v3
	s_and_b32 s13, s13, vcc_lo
	s_delay_alu instid0(VALU_DEP_1) | instid1(SALU_CYCLE_1)
	v_cndmask_b32_e64 v0, v0, 0, s13
	s_delay_alu instid0(VALU_DEP_1)
	v_or_b32_e32 v52, v0, v4
.LBB6_3794:                             ;   in Loop: Header=BB6_136 Depth=3
	s_or_b32 exec_lo, exec_lo, s76
                                        ; implicit-def: $vgpr4
.LBB6_3795:                             ;   in Loop: Header=BB6_136 Depth=3
	s_and_not1_saveexec_b32 s13, s75
; %bb.3796:                             ;   in Loop: Header=BB6_136 Depth=3
	v_or_b32_e32 v52, 0x7b, v4
; %bb.3797:                             ;   in Loop: Header=BB6_136 Depth=3
	s_or_b32 exec_lo, exec_lo, s13
                                        ; implicit-def: $vgpr2
                                        ; implicit-def: $vgpr0_vgpr1
                                        ; implicit-def: $vgpr3
.LBB6_3798:                             ;   in Loop: Header=BB6_136 Depth=3
	s_and_not1_saveexec_b32 s13, s74
	s_cbranch_execz .LBB6_3804
; %bb.3799:                             ;   in Loop: Header=BB6_136 Depth=3
	s_mov_b32 s74, exec_lo
                                        ; implicit-def: $vgpr52
	v_cmpx_ne_u64_e32 0, v[0:1]
	s_xor_b32 s74, exec_lo, s74
; %bb.3800:                             ;   in Loop: Header=BB6_136 Depth=3
	v_or_b32_e32 v52, 0x7f, v3
                                        ; implicit-def: $vgpr2
; %bb.3801:                             ;   in Loop: Header=BB6_136 Depth=3
	s_and_not1_saveexec_b32 s74, s74
; %bb.3802:                             ;   in Loop: Header=BB6_136 Depth=3
	v_cmp_lt_i32_e32 vcc_lo, -1, v2
	v_mov_b32_e32 v0, 0x7c
	s_delay_alu instid0(VALU_DEP_1)
	v_cndmask_b32_e32 v52, 0xfc, v0, vcc_lo
; %bb.3803:                             ;   in Loop: Header=BB6_136 Depth=3
	s_or_b32 exec_lo, exec_lo, s74
.LBB6_3804:                             ;   in Loop: Header=BB6_136 Depth=3
	s_delay_alu instid0(SALU_CYCLE_1) | instskip(SKIP_2) | instid1(VALU_DEP_1)
	s_or_b32 exec_lo, exec_lo, s13
	v_dual_mov_b32 v1, 0 :: v_dual_lshrrev_b32 v0, 16, v10
	s_mov_b32 s74, exec_lo
	v_and_b32_e32 v2, 0xff, v0
	s_delay_alu instid0(VALU_DEP_1)
	v_cmpx_ne_u16_e32 0, v2
	s_cbranch_execz .LBB6_3814
; %bb.3805:                             ;   in Loop: Header=BB6_136 Depth=3
	v_bfrev_b32_e32 v1, 1
	s_mov_b32 s75, exec_lo
	v_cmpx_ne_u16_e32 0x80, v2
	s_cbranch_execz .LBB6_3813
; %bb.3806:                             ;   in Loop: Header=BB6_136 Depth=3
	v_and_b32_e32 v1, 0x7c0000, v10
	v_bfe_u32 v2, v10, 16, 2
	s_delay_alu instid0(VALU_DEP_2) | instskip(SKIP_1) | instid1(SALU_CYCLE_1)
	v_cmp_ne_u32_e32 vcc_lo, 0x7c0000, v1
                                        ; implicit-def: $vgpr1
	s_and_saveexec_b32 s13, vcc_lo
	s_xor_b32 s13, exec_lo, s13
	s_cbranch_execz .LBB6_3810
; %bb.3807:                             ;   in Loop: Header=BB6_136 Depth=3
	v_bfe_u32 v1, v10, 18, 5
	s_mov_b32 s76, exec_lo
	s_delay_alu instid0(VALU_DEP_1)
	v_cmpx_eq_u32_e32 0, v1
; %bb.3808:                             ;   in Loop: Header=BB6_136 Depth=3
	v_clz_i32_u32_e32 v1, v2
	s_delay_alu instid0(VALU_DEP_1) | instskip(NEXT) | instid1(VALU_DEP_1)
	v_min_u32_e32 v1, 32, v1
	v_subrev_nc_u32_e32 v2, 29, v1
	s_delay_alu instid0(VALU_DEP_1) | instskip(NEXT) | instid1(VALU_DEP_1)
	v_lshlrev_b64_e32 v[2:3], v2, v[0:1]
	v_dual_sub_nc_u32 v1, 30, v1 :: v_dual_bitop2_b32 v2, 3, v2 bitop3:0x40
; %bb.3809:                             ;   in Loop: Header=BB6_136 Depth=3
	s_or_b32 exec_lo, exec_lo, s76
	v_lshlrev_b32_e32 v0, 24, v0
	s_delay_alu instid0(VALU_DEP_1) | instskip(NEXT) | instid1(VALU_DEP_1)
	v_and_b32_e32 v0, 0x80000000, v0
	v_lshl_add_u32 v0, v1, 23, v0
	s_delay_alu instid0(VALU_DEP_1) | instskip(NEXT) | instid1(VALU_DEP_1)
	v_lshl_or_b32 v0, v2, 21, v0
                                        ; implicit-def: $vgpr2
	v_add_nc_u32_e32 v1, 0x38000000, v0
                                        ; implicit-def: $vgpr0
.LBB6_3810:                             ;   in Loop: Header=BB6_136 Depth=3
	s_and_not1_saveexec_b32 s76, s13
; %bb.3811:                             ;   in Loop: Header=BB6_136 Depth=3
	v_bfe_i32 v0, v0, 0, 8
	v_cmp_eq_u32_e32 vcc_lo, 0, v2
	s_delay_alu instid0(VALU_DEP_2) | instskip(SKIP_1) | instid1(VALU_DEP_1)
	v_cmp_lt_i16_e64 s13, -1, v0
	v_mov_b32_e32 v0, 0x7f800000
	v_cndmask_b32_e64 v0, 0xff800000, v0, s13
	s_delay_alu instid0(VALU_DEP_1)
	v_cndmask_b32_e32 v1, 0x7f800001, v0, vcc_lo
; %bb.3812:                             ;   in Loop: Header=BB6_136 Depth=3
	s_or_b32 exec_lo, exec_lo, s76
.LBB6_3813:                             ;   in Loop: Header=BB6_136 Depth=3
	s_delay_alu instid0(SALU_CYCLE_1)
	s_or_b32 exec_lo, exec_lo, s75
.LBB6_3814:                             ;   in Loop: Header=BB6_136 Depth=3
	s_delay_alu instid0(SALU_CYCLE_1) | instskip(NEXT) | instid1(VALU_DEP_1)
	s_or_b32 exec_lo, exec_lo, s74
	v_dual_mul_f32 v2, s73, v1 :: v_dual_mov_b32 v5, v113
	v_mov_b32_e32 v1, v113
                                        ; implicit-def: $vgpr53
	s_mov_b32 s13, exec_lo
	s_delay_alu instid0(VALU_DEP_2) | instskip(SKIP_2) | instid1(VALU_DEP_3)
	v_and_b32_e32 v4, 0x7f800000, v2
	v_and_b32_e32 v0, 0x7fffff, v2
	v_lshrrev_b32_e32 v3, 24, v2
	v_cmpx_ne_u64_e32 0x7f800000, v[4:5]
	s_xor_b32 s74, exec_lo, s13
	s_cbranch_execz .LBB6_3828
; %bb.3815:                             ;   in Loop: Header=BB6_136 Depth=3
	v_and_b32_e32 v4, 0x7fffffff, v2
	v_mov_b32_e32 v5, v113
                                        ; implicit-def: $vgpr53
	s_delay_alu instid0(VALU_DEP_1) | instskip(SKIP_2) | instid1(SALU_CYCLE_1)
	v_cmp_gt_u64_e32 vcc_lo, 0x47600001, v[4:5]
	v_and_b32_e32 v4, 0x80, v3
	s_and_saveexec_b32 s13, vcc_lo
	s_xor_b32 s75, exec_lo, s13
	s_cbranch_execz .LBB6_3825
; %bb.3816:                             ;   in Loop: Header=BB6_136 Depth=3
	v_mov_b32_e32 v53, 0
	s_mov_b32 s76, exec_lo
	v_cmpx_ne_u32_e32 0, v2
	s_cbranch_execz .LBB6_3824
; %bb.3817:                             ;   in Loop: Header=BB6_136 Depth=3
	v_bfe_u32 v5, v2, 23, 8
	v_or_b32_e32 v3, 0x800000, v0
	s_delay_alu instid0(VALU_DEP_2) | instskip(SKIP_2) | instid1(VALU_DEP_2)
	v_cmp_gt_u32_e64 s13, 0x72, v5
	v_sub_nc_u32_e32 v2, 0x71, v5
	v_cmp_eq_u32_e32 vcc_lo, 0, v5
	v_dual_cndmask_b32 v2, 0, v2, s13 :: v_dual_cndmask_b32 v0, v3, v0, vcc_lo
	s_delay_alu instid0(VALU_DEP_1) | instskip(NEXT) | instid1(VALU_DEP_1)
	v_cndmask_b32_e64 v8, v2, 0x70, vcc_lo
	v_dual_add_nc_u32 v2, 21, v8 :: v_dual_add_nc_u32 v9, 20, v8
	s_delay_alu instid0(VALU_DEP_1) | instskip(NEXT) | instid1(VALU_DEP_2)
	v_lshlrev_b64_e64 v[2:3], v2, -1
	v_lshlrev_b64_e64 v[12:13], v9, 1
	s_delay_alu instid0(VALU_DEP_2) | instskip(SKIP_1) | instid1(VALU_DEP_4)
	v_bfi_b32 v2, v2, 0, v0
	v_lshrrev_b64 v[0:1], v8, v[0:1]
	v_bfi_b32 v3, v3, 0, 0
	s_delay_alu instid0(VALU_DEP_1) | instskip(NEXT) | instid1(VALU_DEP_3)
	v_cmp_eq_u64_e64 s13, v[2:3], v[12:13]
	v_mov_b64_e32 v[2:3], v[0:1]
	s_and_saveexec_b32 s77, s13
; %bb.3818:                             ;   in Loop: Header=BB6_136 Depth=3
	v_bfe_u32 v2, v0, 21, 1
	v_mov_b32_e32 v3, v113
	s_delay_alu instid0(VALU_DEP_1) | instskip(NEXT) | instid1(VALU_DEP_1)
	v_add_nc_u64_e32 v[2:3], v[0:1], v[2:3]
	v_add_nc_u64_e32 v[2:3], -1, v[2:3]
; %bb.3819:                             ;   in Loop: Header=BB6_136 Depth=3
	s_or_b32 exec_lo, exec_lo, s77
	v_add_nc_u32_e32 v1, 0xffffff81, v5
	v_lshrrev_b32_e32 v3, 23, v0
	s_mov_b32 s13, exec_lo
	s_delay_alu instid0(VALU_DEP_2) | instskip(NEXT) | instid1(VALU_DEP_1)
	v_cndmask_b32_e64 v1, v1, 0xffffff82, vcc_lo
	v_add3_u32 v5, v8, v1, v3
	v_and_b32_e32 v1, 0x1fffff, v2
                                        ; implicit-def: $vgpr2
	s_delay_alu instid0(VALU_DEP_1) | instskip(SKIP_1) | instid1(VALU_DEP_2)
	v_dual_add_nc_u32 v3, 14, v5 :: v_dual_add_nc_u32 v0, v1, v0
	v_mov_b32_e32 v1, v113
	v_cmpx_ne_u32_e32 0, v3
	s_xor_b32 s13, exec_lo, s13
; %bb.3820:                             ;   in Loop: Header=BB6_136 Depth=3
	s_delay_alu instid0(VALU_DEP_2) | instskip(SKIP_1) | instid1(VALU_DEP_1)
	v_cmp_lt_u64_e32 vcc_lo, 0xffffff, v[0:1]
	v_add_nc_u32_e32 v2, 15, v5
	v_cndmask_b32_e32 v2, v3, v2, vcc_lo
	v_cndmask_b32_e64 v3, 0, 1, vcc_lo
	s_delay_alu instid0(VALU_DEP_1)
	v_lshrrev_b64 v[0:1], v3, v[0:1]
; %bb.3821:                             ;   in Loop: Header=BB6_136 Depth=3
	s_and_not1_saveexec_b32 s13, s13
; %bb.3822:                             ;   in Loop: Header=BB6_136 Depth=3
	s_delay_alu instid0(VALU_DEP_1)
	v_bfe_u32 v2, v0, 23, 1
; %bb.3823:                             ;   in Loop: Header=BB6_136 Depth=3
	s_or_b32 exec_lo, exec_lo, s13
	s_delay_alu instid0(VALU_DEP_2) | instskip(NEXT) | instid1(VALU_DEP_2)
	v_lshrrev_b64 v[0:1], 21, v[0:1]
	v_cmp_gt_i32_e32 vcc_lo, 32, v2
	v_min_i32_e32 v3, 31, v2
	v_cmp_eq_u32_e64 s13, 0, v2
	s_delay_alu instid0(VALU_DEP_2) | instskip(SKIP_1) | instid1(VALU_DEP_2)
	v_dual_cndmask_b32 v1, 0, v1, vcc_lo :: v_dual_lshlrev_b32 v3, 2, v3
	v_cndmask_b32_e32 v0, 3, v0, vcc_lo
	v_and_b32_e32 v3, 0xfc, v3
	s_delay_alu instid0(VALU_DEP_2) | instskip(NEXT) | instid1(VALU_DEP_2)
	v_cmp_eq_u64_e32 vcc_lo, 0, v[0:1]
	v_and_or_b32 v0, v0, 3, v3
	s_and_b32 s13, s13, vcc_lo
	s_delay_alu instid0(VALU_DEP_1) | instid1(SALU_CYCLE_1)
	v_cndmask_b32_e64 v0, v0, 0, s13
	s_delay_alu instid0(VALU_DEP_1)
	v_or_b32_e32 v53, v0, v4
.LBB6_3824:                             ;   in Loop: Header=BB6_136 Depth=3
	s_or_b32 exec_lo, exec_lo, s76
                                        ; implicit-def: $vgpr4
.LBB6_3825:                             ;   in Loop: Header=BB6_136 Depth=3
	s_and_not1_saveexec_b32 s13, s75
; %bb.3826:                             ;   in Loop: Header=BB6_136 Depth=3
	v_or_b32_e32 v53, 0x7b, v4
; %bb.3827:                             ;   in Loop: Header=BB6_136 Depth=3
	s_or_b32 exec_lo, exec_lo, s13
                                        ; implicit-def: $vgpr2
                                        ; implicit-def: $vgpr0_vgpr1
                                        ; implicit-def: $vgpr3
.LBB6_3828:                             ;   in Loop: Header=BB6_136 Depth=3
	s_and_not1_saveexec_b32 s13, s74
	s_cbranch_execz .LBB6_3834
; %bb.3829:                             ;   in Loop: Header=BB6_136 Depth=3
	s_mov_b32 s74, exec_lo
                                        ; implicit-def: $vgpr53
	v_cmpx_ne_u64_e32 0, v[0:1]
	s_xor_b32 s74, exec_lo, s74
; %bb.3830:                             ;   in Loop: Header=BB6_136 Depth=3
	v_or_b32_e32 v53, 0x7f, v3
                                        ; implicit-def: $vgpr2
; %bb.3831:                             ;   in Loop: Header=BB6_136 Depth=3
	s_and_not1_saveexec_b32 s74, s74
; %bb.3832:                             ;   in Loop: Header=BB6_136 Depth=3
	v_cmp_lt_i32_e32 vcc_lo, -1, v2
	v_mov_b32_e32 v0, 0x7c
	s_delay_alu instid0(VALU_DEP_1)
	v_cndmask_b32_e32 v53, 0xfc, v0, vcc_lo
; %bb.3833:                             ;   in Loop: Header=BB6_136 Depth=3
	s_or_b32 exec_lo, exec_lo, s74
.LBB6_3834:                             ;   in Loop: Header=BB6_136 Depth=3
	s_delay_alu instid0(SALU_CYCLE_1)
	s_or_b32 exec_lo, exec_lo, s13
	v_mov_b32_e32 v1, 0
	s_mov_b32 s74, exec_lo
	v_cmpx_lt_u32_e32 0xffffff, v10
	s_cbranch_execz .LBB6_3844
; %bb.3835:                             ;   in Loop: Header=BB6_136 Depth=3
	v_lshrrev_b32_e32 v0, 24, v10
	v_bfrev_b32_e32 v1, 1
	s_mov_b32 s75, exec_lo
	s_delay_alu instid0(VALU_DEP_2)
	v_cmpx_ne_u32_e32 0x80, v0
	s_cbranch_execz .LBB6_3843
; %bb.3836:                             ;   in Loop: Header=BB6_136 Depth=3
	v_and_b32_e32 v1, 0x7c000000, v10
	v_bfe_u32 v2, v10, 24, 2
	s_delay_alu instid0(VALU_DEP_2) | instskip(SKIP_1) | instid1(SALU_CYCLE_1)
	v_cmp_ne_u32_e32 vcc_lo, 0x7c000000, v1
                                        ; implicit-def: $vgpr1
	s_and_saveexec_b32 s13, vcc_lo
	s_xor_b32 s13, exec_lo, s13
	s_cbranch_execz .LBB6_3840
; %bb.3837:                             ;   in Loop: Header=BB6_136 Depth=3
	v_bfe_u32 v1, v10, 26, 5
	s_mov_b32 s76, exec_lo
	s_delay_alu instid0(VALU_DEP_1)
	v_cmpx_eq_u32_e32 0, v1
; %bb.3838:                             ;   in Loop: Header=BB6_136 Depth=3
	v_clz_i32_u32_e32 v1, v2
	s_delay_alu instid0(VALU_DEP_1) | instskip(NEXT) | instid1(VALU_DEP_1)
	v_min_u32_e32 v2, 32, v1
	v_subrev_nc_u32_e32 v1, 29, v2
	s_delay_alu instid0(VALU_DEP_1) | instskip(NEXT) | instid1(VALU_DEP_1)
	v_lshlrev_b64_e32 v[0:1], v1, v[0:1]
	v_dual_sub_nc_u32 v1, 30, v2 :: v_dual_bitop2_b32 v2, 3, v0 bitop3:0x40
; %bb.3839:                             ;   in Loop: Header=BB6_136 Depth=3
	s_or_b32 exec_lo, exec_lo, s76
	v_and_b32_e32 v0, 0x80000000, v10
	s_delay_alu instid0(VALU_DEP_1) | instskip(NEXT) | instid1(VALU_DEP_1)
	v_lshl_add_u32 v0, v1, 23, v0
	v_lshl_or_b32 v0, v2, 21, v0
                                        ; implicit-def: $vgpr2
	s_delay_alu instid0(VALU_DEP_1)
	v_add_nc_u32_e32 v1, 0x38000000, v0
.LBB6_3840:                             ;   in Loop: Header=BB6_136 Depth=3
	s_and_not1_saveexec_b32 s76, s13
; %bb.3841:                             ;   in Loop: Header=BB6_136 Depth=3
	v_cmp_lt_i32_e64 s13, -1, v10
	v_mov_b32_e32 v0, 0x7f800000
	v_cmp_eq_u32_e32 vcc_lo, 0, v2
	s_delay_alu instid0(VALU_DEP_2) | instskip(NEXT) | instid1(VALU_DEP_1)
	v_cndmask_b32_e64 v0, 0xff800000, v0, s13
	v_cndmask_b32_e32 v1, 0x7f800001, v0, vcc_lo
; %bb.3842:                             ;   in Loop: Header=BB6_136 Depth=3
	s_or_b32 exec_lo, exec_lo, s76
.LBB6_3843:                             ;   in Loop: Header=BB6_136 Depth=3
	s_delay_alu instid0(SALU_CYCLE_1)
	s_or_b32 exec_lo, exec_lo, s75
.LBB6_3844:                             ;   in Loop: Header=BB6_136 Depth=3
	s_delay_alu instid0(SALU_CYCLE_1) | instskip(NEXT) | instid1(VALU_DEP_1)
	s_or_b32 exec_lo, exec_lo, s74
	v_dual_mul_f32 v2, s73, v1 :: v_dual_mov_b32 v5, v113
	v_mov_b32_e32 v1, v113
                                        ; implicit-def: $vgpr54
	s_mov_b32 s13, exec_lo
	s_delay_alu instid0(VALU_DEP_2) | instskip(SKIP_2) | instid1(VALU_DEP_3)
	v_and_b32_e32 v4, 0x7f800000, v2
	v_and_b32_e32 v0, 0x7fffff, v2
	v_lshrrev_b32_e32 v3, 24, v2
	v_cmpx_ne_u64_e32 0x7f800000, v[4:5]
	s_xor_b32 s74, exec_lo, s13
	s_cbranch_execz .LBB6_3858
; %bb.3845:                             ;   in Loop: Header=BB6_136 Depth=3
	v_and_b32_e32 v4, 0x7fffffff, v2
	v_mov_b32_e32 v5, v113
                                        ; implicit-def: $vgpr54
	s_delay_alu instid0(VALU_DEP_1) | instskip(SKIP_2) | instid1(SALU_CYCLE_1)
	v_cmp_gt_u64_e32 vcc_lo, 0x47600001, v[4:5]
	v_and_b32_e32 v4, 0x80, v3
	s_and_saveexec_b32 s13, vcc_lo
	s_xor_b32 s75, exec_lo, s13
	s_cbranch_execz .LBB6_3855
; %bb.3846:                             ;   in Loop: Header=BB6_136 Depth=3
	v_mov_b32_e32 v54, 0
	s_mov_b32 s76, exec_lo
	v_cmpx_ne_u32_e32 0, v2
	s_cbranch_execz .LBB6_3854
; %bb.3847:                             ;   in Loop: Header=BB6_136 Depth=3
	v_bfe_u32 v5, v2, 23, 8
	v_or_b32_e32 v3, 0x800000, v0
	s_delay_alu instid0(VALU_DEP_2) | instskip(SKIP_2) | instid1(VALU_DEP_2)
	v_cmp_gt_u32_e64 s13, 0x72, v5
	v_sub_nc_u32_e32 v2, 0x71, v5
	v_cmp_eq_u32_e32 vcc_lo, 0, v5
	v_dual_cndmask_b32 v2, 0, v2, s13 :: v_dual_cndmask_b32 v0, v3, v0, vcc_lo
	s_delay_alu instid0(VALU_DEP_1) | instskip(NEXT) | instid1(VALU_DEP_1)
	v_cndmask_b32_e64 v8, v2, 0x70, vcc_lo
	v_dual_add_nc_u32 v2, 21, v8 :: v_dual_add_nc_u32 v9, 20, v8
	s_delay_alu instid0(VALU_DEP_1) | instskip(NEXT) | instid1(VALU_DEP_2)
	v_lshlrev_b64_e64 v[2:3], v2, -1
	v_lshlrev_b64_e64 v[12:13], v9, 1
	s_delay_alu instid0(VALU_DEP_2) | instskip(SKIP_1) | instid1(VALU_DEP_4)
	v_bfi_b32 v2, v2, 0, v0
	v_lshrrev_b64 v[0:1], v8, v[0:1]
	v_bfi_b32 v3, v3, 0, 0
	s_delay_alu instid0(VALU_DEP_1) | instskip(NEXT) | instid1(VALU_DEP_3)
	v_cmp_eq_u64_e64 s13, v[2:3], v[12:13]
	v_mov_b64_e32 v[2:3], v[0:1]
	s_and_saveexec_b32 s77, s13
; %bb.3848:                             ;   in Loop: Header=BB6_136 Depth=3
	v_bfe_u32 v2, v0, 21, 1
	v_mov_b32_e32 v3, v113
	s_delay_alu instid0(VALU_DEP_1) | instskip(NEXT) | instid1(VALU_DEP_1)
	v_add_nc_u64_e32 v[2:3], v[0:1], v[2:3]
	v_add_nc_u64_e32 v[2:3], -1, v[2:3]
; %bb.3849:                             ;   in Loop: Header=BB6_136 Depth=3
	s_or_b32 exec_lo, exec_lo, s77
	v_add_nc_u32_e32 v1, 0xffffff81, v5
	v_lshrrev_b32_e32 v3, 23, v0
	s_mov_b32 s13, exec_lo
	s_delay_alu instid0(VALU_DEP_2) | instskip(NEXT) | instid1(VALU_DEP_1)
	v_cndmask_b32_e64 v1, v1, 0xffffff82, vcc_lo
	v_add3_u32 v5, v8, v1, v3
	v_and_b32_e32 v1, 0x1fffff, v2
                                        ; implicit-def: $vgpr2
	s_delay_alu instid0(VALU_DEP_1) | instskip(SKIP_1) | instid1(VALU_DEP_2)
	v_dual_add_nc_u32 v3, 14, v5 :: v_dual_add_nc_u32 v0, v1, v0
	v_mov_b32_e32 v1, v113
	v_cmpx_ne_u32_e32 0, v3
	s_xor_b32 s13, exec_lo, s13
; %bb.3850:                             ;   in Loop: Header=BB6_136 Depth=3
	s_delay_alu instid0(VALU_DEP_2) | instskip(SKIP_1) | instid1(VALU_DEP_1)
	v_cmp_lt_u64_e32 vcc_lo, 0xffffff, v[0:1]
	v_add_nc_u32_e32 v2, 15, v5
	v_cndmask_b32_e32 v2, v3, v2, vcc_lo
	v_cndmask_b32_e64 v3, 0, 1, vcc_lo
	s_delay_alu instid0(VALU_DEP_1)
	v_lshrrev_b64 v[0:1], v3, v[0:1]
; %bb.3851:                             ;   in Loop: Header=BB6_136 Depth=3
	s_and_not1_saveexec_b32 s13, s13
; %bb.3852:                             ;   in Loop: Header=BB6_136 Depth=3
	s_delay_alu instid0(VALU_DEP_1)
	v_bfe_u32 v2, v0, 23, 1
; %bb.3853:                             ;   in Loop: Header=BB6_136 Depth=3
	s_or_b32 exec_lo, exec_lo, s13
	s_delay_alu instid0(VALU_DEP_2) | instskip(NEXT) | instid1(VALU_DEP_2)
	v_lshrrev_b64 v[0:1], 21, v[0:1]
	v_cmp_gt_i32_e32 vcc_lo, 32, v2
	v_min_i32_e32 v3, 31, v2
	v_cmp_eq_u32_e64 s13, 0, v2
	s_delay_alu instid0(VALU_DEP_2) | instskip(SKIP_1) | instid1(VALU_DEP_2)
	v_dual_cndmask_b32 v1, 0, v1, vcc_lo :: v_dual_lshlrev_b32 v3, 2, v3
	v_cndmask_b32_e32 v0, 3, v0, vcc_lo
	v_and_b32_e32 v3, 0xfc, v3
	s_delay_alu instid0(VALU_DEP_2) | instskip(NEXT) | instid1(VALU_DEP_2)
	v_cmp_eq_u64_e32 vcc_lo, 0, v[0:1]
	v_and_or_b32 v0, v0, 3, v3
	s_and_b32 s13, s13, vcc_lo
	s_delay_alu instid0(VALU_DEP_1) | instid1(SALU_CYCLE_1)
	v_cndmask_b32_e64 v0, v0, 0, s13
	s_delay_alu instid0(VALU_DEP_1)
	v_or_b32_e32 v54, v0, v4
.LBB6_3854:                             ;   in Loop: Header=BB6_136 Depth=3
	s_or_b32 exec_lo, exec_lo, s76
                                        ; implicit-def: $vgpr4
.LBB6_3855:                             ;   in Loop: Header=BB6_136 Depth=3
	s_and_not1_saveexec_b32 s13, s75
; %bb.3856:                             ;   in Loop: Header=BB6_136 Depth=3
	v_or_b32_e32 v54, 0x7b, v4
; %bb.3857:                             ;   in Loop: Header=BB6_136 Depth=3
	s_or_b32 exec_lo, exec_lo, s13
                                        ; implicit-def: $vgpr2
                                        ; implicit-def: $vgpr0_vgpr1
                                        ; implicit-def: $vgpr3
.LBB6_3858:                             ;   in Loop: Header=BB6_136 Depth=3
	s_and_not1_saveexec_b32 s13, s74
	s_cbranch_execz .LBB6_3864
; %bb.3859:                             ;   in Loop: Header=BB6_136 Depth=3
	s_mov_b32 s74, exec_lo
                                        ; implicit-def: $vgpr54
	v_cmpx_ne_u64_e32 0, v[0:1]
	s_xor_b32 s74, exec_lo, s74
; %bb.3860:                             ;   in Loop: Header=BB6_136 Depth=3
	v_or_b32_e32 v54, 0x7f, v3
                                        ; implicit-def: $vgpr2
; %bb.3861:                             ;   in Loop: Header=BB6_136 Depth=3
	s_and_not1_saveexec_b32 s74, s74
; %bb.3862:                             ;   in Loop: Header=BB6_136 Depth=3
	v_cmp_lt_i32_e32 vcc_lo, -1, v2
	v_mov_b32_e32 v0, 0x7c
	s_delay_alu instid0(VALU_DEP_1)
	v_cndmask_b32_e32 v54, 0xfc, v0, vcc_lo
; %bb.3863:                             ;   in Loop: Header=BB6_136 Depth=3
	s_or_b32 exec_lo, exec_lo, s74
.LBB6_3864:                             ;   in Loop: Header=BB6_136 Depth=3
	s_delay_alu instid0(SALU_CYCLE_1) | instskip(SKIP_4) | instid1(VALU_DEP_3)
	s_or_b32 exec_lo, exec_lo, s13
	v_and_b32_e32 v3, 0xff, v11
	v_dual_mov_b32 v0, v11 :: v_dual_mov_b32 v1, v113
	v_mov_b32_e32 v2, 0
	s_mov_b32 s74, exec_lo
	v_cmpx_ne_u16_e32 0, v3
	s_cbranch_execz .LBB6_3874
; %bb.3865:                             ;   in Loop: Header=BB6_136 Depth=3
	v_bfrev_b32_e32 v2, 1
	s_mov_b32 s75, exec_lo
	v_cmpx_ne_u16_e32 0x80, v3
	s_cbranch_execz .LBB6_3873
; %bb.3866:                             ;   in Loop: Header=BB6_136 Depth=3
	v_and_b32_e32 v2, 0x7c, v11
	v_and_b32_e32 v3, 3, v11
	s_delay_alu instid0(VALU_DEP_2) | instskip(SKIP_1) | instid1(SALU_CYCLE_1)
	v_cmp_ne_u32_e32 vcc_lo, 0x7c, v2
                                        ; implicit-def: $vgpr2
	s_and_saveexec_b32 s13, vcc_lo
	s_xor_b32 s13, exec_lo, s13
	s_cbranch_execz .LBB6_3870
; %bb.3867:                             ;   in Loop: Header=BB6_136 Depth=3
	v_bfe_u32 v2, v11, 2, 5
	s_mov_b32 s76, exec_lo
	s_delay_alu instid0(VALU_DEP_1)
	v_cmpx_eq_u32_e32 0, v2
; %bb.3868:                             ;   in Loop: Header=BB6_136 Depth=3
	v_clz_i32_u32_e32 v2, v3
	s_delay_alu instid0(VALU_DEP_1) | instskip(NEXT) | instid1(VALU_DEP_1)
	v_min_u32_e32 v2, 32, v2
	v_subrev_nc_u32_e32 v3, 29, v2
	s_delay_alu instid0(VALU_DEP_1) | instskip(NEXT) | instid1(VALU_DEP_1)
	v_lshlrev_b64_e32 v[4:5], v3, v[0:1]
	v_dual_sub_nc_u32 v2, 30, v2 :: v_dual_bitop2_b32 v3, 3, v4 bitop3:0x40
; %bb.3869:                             ;   in Loop: Header=BB6_136 Depth=3
	s_or_b32 exec_lo, exec_lo, s76
	v_lshlrev_b32_e32 v1, 24, v11
	s_delay_alu instid0(VALU_DEP_1) | instskip(NEXT) | instid1(VALU_DEP_1)
	v_and_b32_e32 v1, 0x80000000, v1
	v_lshl_add_u32 v1, v2, 23, v1
	s_delay_alu instid0(VALU_DEP_1) | instskip(NEXT) | instid1(VALU_DEP_1)
	v_lshl_or_b32 v1, v3, 21, v1
                                        ; implicit-def: $vgpr3
	v_add_nc_u32_e32 v2, 0x38000000, v1
.LBB6_3870:                             ;   in Loop: Header=BB6_136 Depth=3
	s_and_not1_saveexec_b32 s76, s13
; %bb.3871:                             ;   in Loop: Header=BB6_136 Depth=3
	v_bfe_i32 v1, v11, 0, 8
	v_cmp_eq_u32_e32 vcc_lo, 0, v3
	s_delay_alu instid0(VALU_DEP_2) | instskip(SKIP_1) | instid1(VALU_DEP_1)
	v_cmp_lt_i16_e64 s13, -1, v1
	v_mov_b32_e32 v1, 0x7f800000
	v_cndmask_b32_e64 v1, 0xff800000, v1, s13
	s_delay_alu instid0(VALU_DEP_1)
	v_cndmask_b32_e32 v2, 0x7f800001, v1, vcc_lo
; %bb.3872:                             ;   in Loop: Header=BB6_136 Depth=3
	s_or_b32 exec_lo, exec_lo, s76
.LBB6_3873:                             ;   in Loop: Header=BB6_136 Depth=3
	s_delay_alu instid0(SALU_CYCLE_1)
	s_or_b32 exec_lo, exec_lo, s75
.LBB6_3874:                             ;   in Loop: Header=BB6_136 Depth=3
	s_delay_alu instid0(SALU_CYCLE_1) | instskip(NEXT) | instid1(VALU_DEP_1)
	s_or_b32 exec_lo, exec_lo, s74
	v_dual_mul_f32 v5, s73, v2 :: v_dual_mov_b32 v9, v113
	v_mov_b32_e32 v3, v113
                                        ; implicit-def: $vgpr4
	s_mov_b32 s13, exec_lo
	s_delay_alu instid0(VALU_DEP_2) | instskip(SKIP_2) | instid1(VALU_DEP_3)
	v_and_b32_e32 v8, 0x7f800000, v5
	v_and_b32_e32 v2, 0x7fffff, v5
	v_lshrrev_b32_e32 v1, 24, v5
	v_cmpx_ne_u64_e32 0x7f800000, v[8:9]
	s_xor_b32 s74, exec_lo, s13
	s_cbranch_execz .LBB6_3888
; %bb.3875:                             ;   in Loop: Header=BB6_136 Depth=3
	v_and_b32_e32 v8, 0x7fffffff, v5
	v_mov_b32_e32 v9, v113
	v_and_b32_e32 v1, 0x80, v1
                                        ; implicit-def: $vgpr4
	s_mov_b32 s13, exec_lo
	s_delay_alu instid0(VALU_DEP_2)
	v_cmpx_gt_u64_e32 0x47600001, v[8:9]
	s_xor_b32 s75, exec_lo, s13
	s_cbranch_execz .LBB6_3885
; %bb.3876:                             ;   in Loop: Header=BB6_136 Depth=3
	v_mov_b32_e32 v4, 0
	s_mov_b32 s76, exec_lo
	v_cmpx_ne_u32_e32 0, v5
	s_cbranch_execz .LBB6_3884
; %bb.3877:                             ;   in Loop: Header=BB6_136 Depth=3
	v_bfe_u32 v8, v5, 23, 8
	v_or_b32_e32 v5, 0x800000, v2
	s_delay_alu instid0(VALU_DEP_2) | instskip(SKIP_2) | instid1(VALU_DEP_2)
	v_cmp_gt_u32_e64 s13, 0x72, v8
	v_sub_nc_u32_e32 v4, 0x71, v8
	v_cmp_eq_u32_e32 vcc_lo, 0, v8
	v_dual_cndmask_b32 v4, 0, v4, s13 :: v_dual_cndmask_b32 v2, v5, v2, vcc_lo
	s_delay_alu instid0(VALU_DEP_1) | instskip(NEXT) | instid1(VALU_DEP_1)
	v_cndmask_b32_e64 v9, v4, 0x70, vcc_lo
	v_dual_add_nc_u32 v4, 21, v9 :: v_dual_add_nc_u32 v12, 20, v9
	s_delay_alu instid0(VALU_DEP_1) | instskip(NEXT) | instid1(VALU_DEP_2)
	v_lshlrev_b64_e64 v[4:5], v4, -1
	v_lshlrev_b64_e64 v[12:13], v12, 1
	s_delay_alu instid0(VALU_DEP_2) | instskip(SKIP_1) | instid1(VALU_DEP_4)
	v_bfi_b32 v4, v4, 0, v2
	v_lshrrev_b64 v[2:3], v9, v[2:3]
	v_bfi_b32 v5, v5, 0, 0
	s_delay_alu instid0(VALU_DEP_1) | instskip(NEXT) | instid1(VALU_DEP_3)
	v_cmp_eq_u64_e64 s13, v[4:5], v[12:13]
	v_mov_b64_e32 v[4:5], v[2:3]
	s_and_saveexec_b32 s77, s13
; %bb.3878:                             ;   in Loop: Header=BB6_136 Depth=3
	v_bfe_u32 v4, v2, 21, 1
	v_mov_b32_e32 v5, v113
	s_delay_alu instid0(VALU_DEP_1) | instskip(NEXT) | instid1(VALU_DEP_1)
	v_add_nc_u64_e32 v[4:5], v[2:3], v[4:5]
	v_add_nc_u64_e32 v[4:5], -1, v[4:5]
; %bb.3879:                             ;   in Loop: Header=BB6_136 Depth=3
	s_or_b32 exec_lo, exec_lo, s77
	v_add_nc_u32_e32 v3, 0xffffff81, v8
	v_lshrrev_b32_e32 v5, 23, v2
	s_mov_b32 s13, exec_lo
	s_delay_alu instid0(VALU_DEP_2) | instskip(NEXT) | instid1(VALU_DEP_1)
	v_cndmask_b32_e64 v3, v3, 0xffffff82, vcc_lo
	v_add3_u32 v8, v9, v3, v5
	v_and_b32_e32 v3, 0x1fffff, v4
                                        ; implicit-def: $vgpr4
	s_delay_alu instid0(VALU_DEP_1) | instskip(SKIP_1) | instid1(VALU_DEP_2)
	v_dual_add_nc_u32 v5, 14, v8 :: v_dual_add_nc_u32 v2, v3, v2
	v_mov_b32_e32 v3, v113
	v_cmpx_ne_u32_e32 0, v5
	s_xor_b32 s13, exec_lo, s13
; %bb.3880:                             ;   in Loop: Header=BB6_136 Depth=3
	s_delay_alu instid0(VALU_DEP_2) | instskip(SKIP_1) | instid1(VALU_DEP_1)
	v_cmp_lt_u64_e32 vcc_lo, 0xffffff, v[2:3]
	v_add_nc_u32_e32 v4, 15, v8
	v_cndmask_b32_e32 v4, v5, v4, vcc_lo
	v_cndmask_b32_e64 v5, 0, 1, vcc_lo
	s_delay_alu instid0(VALU_DEP_1)
	v_lshrrev_b64 v[2:3], v5, v[2:3]
; %bb.3881:                             ;   in Loop: Header=BB6_136 Depth=3
	s_and_not1_saveexec_b32 s13, s13
; %bb.3882:                             ;   in Loop: Header=BB6_136 Depth=3
	s_delay_alu instid0(VALU_DEP_1)
	v_bfe_u32 v4, v2, 23, 1
; %bb.3883:                             ;   in Loop: Header=BB6_136 Depth=3
	s_or_b32 exec_lo, exec_lo, s13
	s_delay_alu instid0(VALU_DEP_2) | instskip(NEXT) | instid1(VALU_DEP_2)
	v_lshrrev_b64 v[2:3], 21, v[2:3]
	v_cmp_gt_i32_e32 vcc_lo, 32, v4
	v_min_i32_e32 v5, 31, v4
	v_cmp_eq_u32_e64 s13, 0, v4
	s_delay_alu instid0(VALU_DEP_2) | instskip(SKIP_1) | instid1(VALU_DEP_2)
	v_dual_cndmask_b32 v3, 0, v3, vcc_lo :: v_dual_lshlrev_b32 v5, 2, v5
	v_cndmask_b32_e32 v2, 3, v2, vcc_lo
	v_and_b32_e32 v5, 0xfc, v5
	s_delay_alu instid0(VALU_DEP_2) | instskip(NEXT) | instid1(VALU_DEP_2)
	v_cmp_eq_u64_e32 vcc_lo, 0, v[2:3]
	v_and_or_b32 v2, v2, 3, v5
	s_and_b32 s13, s13, vcc_lo
	s_delay_alu instid0(VALU_DEP_1) | instid1(SALU_CYCLE_1)
	v_cndmask_b32_e64 v2, v2, 0, s13
	s_delay_alu instid0(VALU_DEP_1)
	v_or_b32_e32 v4, v2, v1
.LBB6_3884:                             ;   in Loop: Header=BB6_136 Depth=3
	s_or_b32 exec_lo, exec_lo, s76
                                        ; implicit-def: $vgpr1
.LBB6_3885:                             ;   in Loop: Header=BB6_136 Depth=3
	s_and_not1_saveexec_b32 s13, s75
; %bb.3886:                             ;   in Loop: Header=BB6_136 Depth=3
	v_or_b32_e32 v4, 0x7b, v1
; %bb.3887:                             ;   in Loop: Header=BB6_136 Depth=3
	s_or_b32 exec_lo, exec_lo, s13
                                        ; implicit-def: $vgpr5
                                        ; implicit-def: $vgpr2_vgpr3
                                        ; implicit-def: $vgpr1
.LBB6_3888:                             ;   in Loop: Header=BB6_136 Depth=3
	s_and_not1_saveexec_b32 s13, s74
	s_cbranch_execz .LBB6_3894
; %bb.3889:                             ;   in Loop: Header=BB6_136 Depth=3
	s_mov_b32 s74, exec_lo
                                        ; implicit-def: $vgpr4
	v_cmpx_ne_u64_e32 0, v[2:3]
	s_xor_b32 s74, exec_lo, s74
; %bb.3890:                             ;   in Loop: Header=BB6_136 Depth=3
	v_or_b32_e32 v4, 0x7f, v1
                                        ; implicit-def: $vgpr5
; %bb.3891:                             ;   in Loop: Header=BB6_136 Depth=3
	s_and_not1_saveexec_b32 s74, s74
; %bb.3892:                             ;   in Loop: Header=BB6_136 Depth=3
	v_cmp_lt_i32_e32 vcc_lo, -1, v5
	v_mov_b32_e32 v1, 0x7c
	s_delay_alu instid0(VALU_DEP_1)
	v_cndmask_b32_e32 v4, 0xfc, v1, vcc_lo
; %bb.3893:                             ;   in Loop: Header=BB6_136 Depth=3
	s_or_b32 exec_lo, exec_lo, s74
.LBB6_3894:                             ;   in Loop: Header=BB6_136 Depth=3
	s_delay_alu instid0(SALU_CYCLE_1) | instskip(SKIP_3) | instid1(VALU_DEP_2)
	s_or_b32 exec_lo, exec_lo, s13
	v_lshrrev_b16 v2, 8, v0
	v_mov_b32_e32 v3, 0
	s_mov_b32 s74, exec_lo
	v_cmpx_ne_u16_e32 0, v2
	s_cbranch_execz .LBB6_3904
; %bb.3895:                             ;   in Loop: Header=BB6_136 Depth=3
	v_bfrev_b32_e32 v3, 1
	s_mov_b32 s75, exec_lo
	v_cmpx_ne_u16_e32 0x80, v2
	s_cbranch_execz .LBB6_3903
; %bb.3896:                             ;   in Loop: Header=BB6_136 Depth=3
	v_and_b32_e32 v1, 0xffff, v2
	s_delay_alu instid0(VALU_DEP_1) | instskip(SKIP_1) | instid1(VALU_DEP_2)
	v_and_b32_e32 v3, 0x7c, v1
	v_and_b32_e32 v5, 3, v1
	v_cmp_ne_u32_e32 vcc_lo, 0x7c, v3
                                        ; implicit-def: $vgpr3
	s_and_saveexec_b32 s13, vcc_lo
	s_delay_alu instid0(SALU_CYCLE_1)
	s_xor_b32 s13, exec_lo, s13
	s_cbranch_execz .LBB6_3900
; %bb.3897:                             ;   in Loop: Header=BB6_136 Depth=3
	v_bfe_u32 v1, v1, 2, 5
	s_mov_b32 s76, exec_lo
	s_delay_alu instid0(VALU_DEP_1)
	v_cmpx_eq_u32_e32 0, v1
	s_cbranch_execz .LBB6_3899
; %bb.3898:                             ;   in Loop: Header=BB6_136 Depth=3
	v_clz_i32_u32_e32 v1, v5
	s_delay_alu instid0(VALU_DEP_1) | instskip(SKIP_1) | instid1(VALU_DEP_2)
	v_min_u32_e32 v1, 32, v1
	v_mov_b32_e32 v3, v113
	v_subrev_nc_u32_e32 v5, 29, v1
	v_sub_nc_u32_e32 v1, 30, v1
	s_delay_alu instid0(VALU_DEP_2) | instskip(NEXT) | instid1(VALU_DEP_1)
	v_lshlrev_b64_e32 v[2:3], v5, v[2:3]
	v_and_b32_e32 v5, 3, v2
.LBB6_3899:                             ;   in Loop: Header=BB6_136 Depth=3
	s_or_b32 exec_lo, exec_lo, s76
	v_lshlrev_b32_e32 v0, 16, v0
	s_delay_alu instid0(VALU_DEP_1) | instskip(NEXT) | instid1(VALU_DEP_1)
	v_and_b32_e32 v0, 0x80000000, v0
	v_lshl_add_u32 v0, v1, 23, v0
	s_delay_alu instid0(VALU_DEP_1) | instskip(NEXT) | instid1(VALU_DEP_1)
	v_lshl_or_b32 v0, v5, 21, v0
                                        ; implicit-def: $vgpr5
	v_add_nc_u32_e32 v3, 0x38000000, v0
                                        ; implicit-def: $vgpr0_vgpr1
.LBB6_3900:                             ;   in Loop: Header=BB6_136 Depth=3
	s_and_not1_saveexec_b32 s76, s13
; %bb.3901:                             ;   in Loop: Header=BB6_136 Depth=3
	v_cmp_lt_i16_e64 s13, -1, v0
	v_mov_b32_e32 v0, 0x7f800000
	v_cmp_eq_u32_e32 vcc_lo, 0, v5
	s_delay_alu instid0(VALU_DEP_2) | instskip(NEXT) | instid1(VALU_DEP_1)
	v_cndmask_b32_e64 v0, 0xff800000, v0, s13
	v_cndmask_b32_e32 v3, 0x7f800001, v0, vcc_lo
; %bb.3902:                             ;   in Loop: Header=BB6_136 Depth=3
	s_or_b32 exec_lo, exec_lo, s76
.LBB6_3903:                             ;   in Loop: Header=BB6_136 Depth=3
	s_delay_alu instid0(SALU_CYCLE_1)
	s_or_b32 exec_lo, exec_lo, s75
.LBB6_3904:                             ;   in Loop: Header=BB6_136 Depth=3
	s_delay_alu instid0(SALU_CYCLE_1) | instskip(NEXT) | instid1(VALU_DEP_1)
	s_or_b32 exec_lo, exec_lo, s74
	v_dual_mul_f32 v2, s73, v3 :: v_dual_mov_b32 v9, v113
	v_mov_b32_e32 v1, v113
                                        ; implicit-def: $vgpr5
	s_mov_b32 s13, exec_lo
	s_delay_alu instid0(VALU_DEP_2) | instskip(SKIP_2) | instid1(VALU_DEP_3)
	v_and_b32_e32 v8, 0x7f800000, v2
	v_and_b32_e32 v0, 0x7fffff, v2
	v_lshrrev_b32_e32 v3, 24, v2
	v_cmpx_ne_u64_e32 0x7f800000, v[8:9]
	s_xor_b32 s74, exec_lo, s13
	s_cbranch_execz .LBB6_3918
; %bb.3905:                             ;   in Loop: Header=BB6_136 Depth=3
	v_and_b32_e32 v8, 0x7fffffff, v2
	v_mov_b32_e32 v9, v113
                                        ; implicit-def: $vgpr5
	s_delay_alu instid0(VALU_DEP_1) | instskip(SKIP_2) | instid1(SALU_CYCLE_1)
	v_cmp_gt_u64_e32 vcc_lo, 0x47600001, v[8:9]
	v_and_b32_e32 v8, 0x80, v3
	s_and_saveexec_b32 s13, vcc_lo
	s_xor_b32 s75, exec_lo, s13
	s_cbranch_execz .LBB6_3915
; %bb.3906:                             ;   in Loop: Header=BB6_136 Depth=3
	v_mov_b32_e32 v5, 0
	s_mov_b32 s76, exec_lo
	v_cmpx_ne_u32_e32 0, v2
	s_cbranch_execz .LBB6_3914
; %bb.3907:                             ;   in Loop: Header=BB6_136 Depth=3
	v_bfe_u32 v5, v2, 23, 8
	v_or_b32_e32 v3, 0x800000, v0
	s_delay_alu instid0(VALU_DEP_2) | instskip(SKIP_2) | instid1(VALU_DEP_2)
	v_cmp_gt_u32_e64 s13, 0x72, v5
	v_sub_nc_u32_e32 v2, 0x71, v5
	v_cmp_eq_u32_e32 vcc_lo, 0, v5
	v_dual_cndmask_b32 v2, 0, v2, s13 :: v_dual_cndmask_b32 v0, v3, v0, vcc_lo
	s_delay_alu instid0(VALU_DEP_1) | instskip(NEXT) | instid1(VALU_DEP_1)
	v_cndmask_b32_e64 v9, v2, 0x70, vcc_lo
	v_dual_add_nc_u32 v2, 21, v9 :: v_dual_add_nc_u32 v12, 20, v9
	s_delay_alu instid0(VALU_DEP_1) | instskip(NEXT) | instid1(VALU_DEP_2)
	v_lshlrev_b64_e64 v[2:3], v2, -1
	v_lshlrev_b64_e64 v[12:13], v12, 1
	s_delay_alu instid0(VALU_DEP_2) | instskip(SKIP_1) | instid1(VALU_DEP_4)
	v_bfi_b32 v2, v2, 0, v0
	v_lshrrev_b64 v[0:1], v9, v[0:1]
	v_bfi_b32 v3, v3, 0, 0
	s_delay_alu instid0(VALU_DEP_1) | instskip(NEXT) | instid1(VALU_DEP_3)
	v_cmp_eq_u64_e64 s13, v[2:3], v[12:13]
	v_mov_b64_e32 v[2:3], v[0:1]
	s_and_saveexec_b32 s77, s13
; %bb.3908:                             ;   in Loop: Header=BB6_136 Depth=3
	v_bfe_u32 v2, v0, 21, 1
	v_mov_b32_e32 v3, v113
	s_delay_alu instid0(VALU_DEP_1) | instskip(NEXT) | instid1(VALU_DEP_1)
	v_add_nc_u64_e32 v[2:3], v[0:1], v[2:3]
	v_add_nc_u64_e32 v[2:3], -1, v[2:3]
; %bb.3909:                             ;   in Loop: Header=BB6_136 Depth=3
	s_or_b32 exec_lo, exec_lo, s77
	v_add_nc_u32_e32 v1, 0xffffff81, v5
	v_lshrrev_b32_e32 v3, 23, v0
	s_mov_b32 s13, exec_lo
	s_delay_alu instid0(VALU_DEP_2) | instskip(NEXT) | instid1(VALU_DEP_1)
	v_cndmask_b32_e64 v1, v1, 0xffffff82, vcc_lo
	v_add3_u32 v5, v9, v1, v3
	v_and_b32_e32 v1, 0x1fffff, v2
                                        ; implicit-def: $vgpr2
	s_delay_alu instid0(VALU_DEP_1) | instskip(SKIP_1) | instid1(VALU_DEP_2)
	v_dual_add_nc_u32 v3, 14, v5 :: v_dual_add_nc_u32 v0, v1, v0
	v_mov_b32_e32 v1, v113
	v_cmpx_ne_u32_e32 0, v3
	s_xor_b32 s13, exec_lo, s13
; %bb.3910:                             ;   in Loop: Header=BB6_136 Depth=3
	s_delay_alu instid0(VALU_DEP_2) | instskip(SKIP_1) | instid1(VALU_DEP_1)
	v_cmp_lt_u64_e32 vcc_lo, 0xffffff, v[0:1]
	v_add_nc_u32_e32 v2, 15, v5
	v_cndmask_b32_e32 v2, v3, v2, vcc_lo
	v_cndmask_b32_e64 v3, 0, 1, vcc_lo
	s_delay_alu instid0(VALU_DEP_1)
	v_lshrrev_b64 v[0:1], v3, v[0:1]
; %bb.3911:                             ;   in Loop: Header=BB6_136 Depth=3
	s_and_not1_saveexec_b32 s13, s13
; %bb.3912:                             ;   in Loop: Header=BB6_136 Depth=3
	s_delay_alu instid0(VALU_DEP_1)
	v_bfe_u32 v2, v0, 23, 1
; %bb.3913:                             ;   in Loop: Header=BB6_136 Depth=3
	s_or_b32 exec_lo, exec_lo, s13
	s_delay_alu instid0(VALU_DEP_2) | instskip(NEXT) | instid1(VALU_DEP_2)
	v_lshrrev_b64 v[0:1], 21, v[0:1]
	v_cmp_gt_i32_e32 vcc_lo, 32, v2
	v_min_i32_e32 v3, 31, v2
	v_cmp_eq_u32_e64 s13, 0, v2
	s_delay_alu instid0(VALU_DEP_2) | instskip(SKIP_1) | instid1(VALU_DEP_2)
	v_dual_cndmask_b32 v1, 0, v1, vcc_lo :: v_dual_lshlrev_b32 v3, 2, v3
	v_cndmask_b32_e32 v0, 3, v0, vcc_lo
	v_and_b32_e32 v3, 0xfc, v3
	s_delay_alu instid0(VALU_DEP_2) | instskip(NEXT) | instid1(VALU_DEP_2)
	v_cmp_eq_u64_e32 vcc_lo, 0, v[0:1]
	v_and_or_b32 v0, v0, 3, v3
	s_and_b32 s13, s13, vcc_lo
	s_delay_alu instid0(VALU_DEP_1) | instid1(SALU_CYCLE_1)
	v_cndmask_b32_e64 v0, v0, 0, s13
	s_delay_alu instid0(VALU_DEP_1)
	v_or_b32_e32 v5, v0, v8
.LBB6_3914:                             ;   in Loop: Header=BB6_136 Depth=3
	s_or_b32 exec_lo, exec_lo, s76
                                        ; implicit-def: $vgpr8
.LBB6_3915:                             ;   in Loop: Header=BB6_136 Depth=3
	s_and_not1_saveexec_b32 s13, s75
; %bb.3916:                             ;   in Loop: Header=BB6_136 Depth=3
	v_or_b32_e32 v5, 0x7b, v8
; %bb.3917:                             ;   in Loop: Header=BB6_136 Depth=3
	s_or_b32 exec_lo, exec_lo, s13
                                        ; implicit-def: $vgpr2
                                        ; implicit-def: $vgpr0_vgpr1
                                        ; implicit-def: $vgpr3
.LBB6_3918:                             ;   in Loop: Header=BB6_136 Depth=3
	s_and_not1_saveexec_b32 s13, s74
	s_cbranch_execz .LBB6_3924
; %bb.3919:                             ;   in Loop: Header=BB6_136 Depth=3
	s_mov_b32 s74, exec_lo
                                        ; implicit-def: $vgpr5
	v_cmpx_ne_u64_e32 0, v[0:1]
	s_xor_b32 s74, exec_lo, s74
; %bb.3920:                             ;   in Loop: Header=BB6_136 Depth=3
	v_or_b32_e32 v5, 0x7f, v3
                                        ; implicit-def: $vgpr2
; %bb.3921:                             ;   in Loop: Header=BB6_136 Depth=3
	s_and_not1_saveexec_b32 s74, s74
; %bb.3922:                             ;   in Loop: Header=BB6_136 Depth=3
	v_cmp_lt_i32_e32 vcc_lo, -1, v2
	v_mov_b32_e32 v0, 0x7c
	s_delay_alu instid0(VALU_DEP_1)
	v_cndmask_b32_e32 v5, 0xfc, v0, vcc_lo
; %bb.3923:                             ;   in Loop: Header=BB6_136 Depth=3
	s_or_b32 exec_lo, exec_lo, s74
.LBB6_3924:                             ;   in Loop: Header=BB6_136 Depth=3
	s_delay_alu instid0(SALU_CYCLE_1) | instskip(SKIP_2) | instid1(VALU_DEP_1)
	s_or_b32 exec_lo, exec_lo, s13
	v_dual_mov_b32 v1, 0 :: v_dual_lshrrev_b32 v0, 16, v11
	s_mov_b32 s74, exec_lo
	v_and_b32_e32 v2, 0xff, v0
	s_delay_alu instid0(VALU_DEP_1)
	v_cmpx_ne_u16_e32 0, v2
	s_cbranch_execz .LBB6_3934
; %bb.3925:                             ;   in Loop: Header=BB6_136 Depth=3
	v_bfrev_b32_e32 v1, 1
	s_mov_b32 s75, exec_lo
	v_cmpx_ne_u16_e32 0x80, v2
	s_cbranch_execz .LBB6_3933
; %bb.3926:                             ;   in Loop: Header=BB6_136 Depth=3
	v_and_b32_e32 v1, 0x7c0000, v11
	v_bfe_u32 v2, v11, 16, 2
	s_delay_alu instid0(VALU_DEP_2) | instskip(SKIP_1) | instid1(SALU_CYCLE_1)
	v_cmp_ne_u32_e32 vcc_lo, 0x7c0000, v1
                                        ; implicit-def: $vgpr1
	s_and_saveexec_b32 s13, vcc_lo
	s_xor_b32 s13, exec_lo, s13
	s_cbranch_execz .LBB6_3930
; %bb.3927:                             ;   in Loop: Header=BB6_136 Depth=3
	v_bfe_u32 v1, v11, 18, 5
	s_mov_b32 s76, exec_lo
	s_delay_alu instid0(VALU_DEP_1)
	v_cmpx_eq_u32_e32 0, v1
; %bb.3928:                             ;   in Loop: Header=BB6_136 Depth=3
	v_clz_i32_u32_e32 v1, v2
	s_delay_alu instid0(VALU_DEP_1) | instskip(NEXT) | instid1(VALU_DEP_1)
	v_min_u32_e32 v1, 32, v1
	v_subrev_nc_u32_e32 v2, 29, v1
	s_delay_alu instid0(VALU_DEP_1) | instskip(NEXT) | instid1(VALU_DEP_1)
	v_lshlrev_b64_e32 v[2:3], v2, v[0:1]
	v_dual_sub_nc_u32 v1, 30, v1 :: v_dual_bitop2_b32 v2, 3, v2 bitop3:0x40
; %bb.3929:                             ;   in Loop: Header=BB6_136 Depth=3
	s_or_b32 exec_lo, exec_lo, s76
	v_lshlrev_b32_e32 v0, 24, v0
	s_delay_alu instid0(VALU_DEP_1) | instskip(NEXT) | instid1(VALU_DEP_1)
	v_and_b32_e32 v0, 0x80000000, v0
	v_lshl_add_u32 v0, v1, 23, v0
	s_delay_alu instid0(VALU_DEP_1) | instskip(NEXT) | instid1(VALU_DEP_1)
	v_lshl_or_b32 v0, v2, 21, v0
                                        ; implicit-def: $vgpr2
	v_add_nc_u32_e32 v1, 0x38000000, v0
                                        ; implicit-def: $vgpr0
.LBB6_3930:                             ;   in Loop: Header=BB6_136 Depth=3
	s_and_not1_saveexec_b32 s76, s13
; %bb.3931:                             ;   in Loop: Header=BB6_136 Depth=3
	v_bfe_i32 v0, v0, 0, 8
	v_cmp_eq_u32_e32 vcc_lo, 0, v2
	s_delay_alu instid0(VALU_DEP_2) | instskip(SKIP_1) | instid1(VALU_DEP_1)
	v_cmp_lt_i16_e64 s13, -1, v0
	v_mov_b32_e32 v0, 0x7f800000
	v_cndmask_b32_e64 v0, 0xff800000, v0, s13
	s_delay_alu instid0(VALU_DEP_1)
	v_cndmask_b32_e32 v1, 0x7f800001, v0, vcc_lo
; %bb.3932:                             ;   in Loop: Header=BB6_136 Depth=3
	s_or_b32 exec_lo, exec_lo, s76
.LBB6_3933:                             ;   in Loop: Header=BB6_136 Depth=3
	s_delay_alu instid0(SALU_CYCLE_1)
	s_or_b32 exec_lo, exec_lo, s75
.LBB6_3934:                             ;   in Loop: Header=BB6_136 Depth=3
	s_delay_alu instid0(SALU_CYCLE_1) | instskip(NEXT) | instid1(VALU_DEP_1)
	s_or_b32 exec_lo, exec_lo, s74
	v_dual_mul_f32 v2, s73, v1 :: v_dual_mov_b32 v9, v113
	v_mov_b32_e32 v1, v113
                                        ; implicit-def: $vgpr55
	s_mov_b32 s13, exec_lo
	s_delay_alu instid0(VALU_DEP_2) | instskip(SKIP_2) | instid1(VALU_DEP_3)
	v_and_b32_e32 v8, 0x7f800000, v2
	v_and_b32_e32 v0, 0x7fffff, v2
	v_lshrrev_b32_e32 v3, 24, v2
	v_cmpx_ne_u64_e32 0x7f800000, v[8:9]
	s_xor_b32 s74, exec_lo, s13
	s_cbranch_execz .LBB6_3948
; %bb.3935:                             ;   in Loop: Header=BB6_136 Depth=3
	v_and_b32_e32 v8, 0x7fffffff, v2
	v_mov_b32_e32 v9, v113
                                        ; implicit-def: $vgpr55
	s_delay_alu instid0(VALU_DEP_1) | instskip(SKIP_2) | instid1(SALU_CYCLE_1)
	v_cmp_gt_u64_e32 vcc_lo, 0x47600001, v[8:9]
	v_and_b32_e32 v8, 0x80, v3
	s_and_saveexec_b32 s13, vcc_lo
	s_xor_b32 s75, exec_lo, s13
	s_cbranch_execz .LBB6_3945
; %bb.3936:                             ;   in Loop: Header=BB6_136 Depth=3
	v_mov_b32_e32 v55, 0
	s_mov_b32 s76, exec_lo
	v_cmpx_ne_u32_e32 0, v2
	s_cbranch_execz .LBB6_3944
; %bb.3937:                             ;   in Loop: Header=BB6_136 Depth=3
	v_bfe_u32 v9, v2, 23, 8
	v_mov_b32_e32 v55, v64
	v_or_b32_e32 v3, 0x800000, v0
	s_delay_alu instid0(VALU_DEP_3) | instskip(SKIP_2) | instid1(VALU_DEP_2)
	v_cmp_gt_u32_e64 s13, 0x72, v9
	v_sub_nc_u32_e32 v2, 0x71, v9
	v_cmp_eq_u32_e32 vcc_lo, 0, v9
	v_dual_cndmask_b32 v2, 0, v2, s13 :: v_dual_cndmask_b32 v0, v3, v0, vcc_lo
	s_delay_alu instid0(VALU_DEP_1) | instskip(NEXT) | instid1(VALU_DEP_1)
	v_cndmask_b32_e64 v12, v2, 0x70, vcc_lo
	v_dual_add_nc_u32 v2, 21, v12 :: v_dual_add_nc_u32 v13, 20, v12
	s_delay_alu instid0(VALU_DEP_1) | instskip(NEXT) | instid1(VALU_DEP_2)
	v_lshlrev_b64_e64 v[2:3], v2, -1
	v_lshlrev_b64_e64 v[64:65], v13, 1
	s_delay_alu instid0(VALU_DEP_2) | instskip(SKIP_1) | instid1(VALU_DEP_4)
	v_bfi_b32 v2, v2, 0, v0
	v_lshrrev_b64 v[0:1], v12, v[0:1]
	v_bfi_b32 v3, v3, 0, 0
	s_delay_alu instid0(VALU_DEP_1) | instskip(NEXT) | instid1(VALU_DEP_3)
	v_cmp_eq_u64_e64 s13, v[2:3], v[64:65]
	v_mov_b64_e32 v[2:3], v[0:1]
	s_and_saveexec_b32 s77, s13
; %bb.3938:                             ;   in Loop: Header=BB6_136 Depth=3
	v_bfe_u32 v2, v0, 21, 1
	v_mov_b32_e32 v3, v113
	s_delay_alu instid0(VALU_DEP_1) | instskip(NEXT) | instid1(VALU_DEP_1)
	v_add_nc_u64_e32 v[2:3], v[0:1], v[2:3]
	v_add_nc_u64_e32 v[2:3], -1, v[2:3]
; %bb.3939:                             ;   in Loop: Header=BB6_136 Depth=3
	s_or_b32 exec_lo, exec_lo, s77
	v_add_nc_u32_e32 v1, 0xffffff81, v9
	v_lshrrev_b32_e32 v3, 23, v0
	s_mov_b32 s13, exec_lo
	s_delay_alu instid0(VALU_DEP_2) | instskip(NEXT) | instid1(VALU_DEP_1)
	v_cndmask_b32_e64 v1, v1, 0xffffff82, vcc_lo
	v_add3_u32 v9, v12, v1, v3
	v_and_b32_e32 v1, 0x1fffff, v2
                                        ; implicit-def: $vgpr2
	s_delay_alu instid0(VALU_DEP_1) | instskip(SKIP_1) | instid1(VALU_DEP_2)
	v_dual_add_nc_u32 v3, 14, v9 :: v_dual_add_nc_u32 v0, v1, v0
	v_mov_b32_e32 v1, v113
	v_cmpx_ne_u32_e32 0, v3
	s_xor_b32 s13, exec_lo, s13
; %bb.3940:                             ;   in Loop: Header=BB6_136 Depth=3
	s_delay_alu instid0(VALU_DEP_2) | instskip(SKIP_1) | instid1(VALU_DEP_1)
	v_cmp_lt_u64_e32 vcc_lo, 0xffffff, v[0:1]
	v_add_nc_u32_e32 v2, 15, v9
	v_cndmask_b32_e32 v2, v3, v2, vcc_lo
	v_cndmask_b32_e64 v3, 0, 1, vcc_lo
	s_delay_alu instid0(VALU_DEP_1)
	v_lshrrev_b64 v[0:1], v3, v[0:1]
; %bb.3941:                             ;   in Loop: Header=BB6_136 Depth=3
	s_or_saveexec_b32 s13, s13
	v_mov_b32_e32 v64, v55
	s_xor_b32 exec_lo, exec_lo, s13
; %bb.3942:                             ;   in Loop: Header=BB6_136 Depth=3
	s_delay_alu instid0(VALU_DEP_2)
	v_bfe_u32 v2, v0, 23, 1
; %bb.3943:                             ;   in Loop: Header=BB6_136 Depth=3
	s_or_b32 exec_lo, exec_lo, s13
	s_delay_alu instid0(VALU_DEP_3) | instskip(NEXT) | instid1(VALU_DEP_2)
	v_lshrrev_b64 v[0:1], 21, v[0:1]
	v_cmp_gt_i32_e32 vcc_lo, 32, v2
	v_min_i32_e32 v3, 31, v2
	v_cmp_eq_u32_e64 s13, 0, v2
	s_delay_alu instid0(VALU_DEP_2) | instskip(SKIP_1) | instid1(VALU_DEP_2)
	v_dual_cndmask_b32 v1, 0, v1, vcc_lo :: v_dual_lshlrev_b32 v3, 2, v3
	v_cndmask_b32_e32 v0, 3, v0, vcc_lo
	v_and_b32_e32 v3, 0xfc, v3
	s_delay_alu instid0(VALU_DEP_2) | instskip(NEXT) | instid1(VALU_DEP_2)
	v_cmp_eq_u64_e32 vcc_lo, 0, v[0:1]
	v_and_or_b32 v0, v0, 3, v3
	s_and_b32 s13, s13, vcc_lo
	s_delay_alu instid0(VALU_DEP_1) | instid1(SALU_CYCLE_1)
	v_cndmask_b32_e64 v0, v0, 0, s13
	s_delay_alu instid0(VALU_DEP_1)
	v_or_b32_e32 v55, v0, v8
.LBB6_3944:                             ;   in Loop: Header=BB6_136 Depth=3
	s_or_b32 exec_lo, exec_lo, s76
                                        ; implicit-def: $vgpr8
.LBB6_3945:                             ;   in Loop: Header=BB6_136 Depth=3
	s_and_not1_saveexec_b32 s13, s75
; %bb.3946:                             ;   in Loop: Header=BB6_136 Depth=3
	v_or_b32_e32 v55, 0x7b, v8
; %bb.3947:                             ;   in Loop: Header=BB6_136 Depth=3
	s_or_b32 exec_lo, exec_lo, s13
                                        ; implicit-def: $vgpr2
                                        ; implicit-def: $vgpr0_vgpr1
                                        ; implicit-def: $vgpr3
.LBB6_3948:                             ;   in Loop: Header=BB6_136 Depth=3
	s_and_not1_saveexec_b32 s13, s74
	s_cbranch_execz .LBB6_3954
; %bb.3949:                             ;   in Loop: Header=BB6_136 Depth=3
	s_mov_b32 s74, exec_lo
                                        ; implicit-def: $vgpr55
	v_cmpx_ne_u64_e32 0, v[0:1]
	s_xor_b32 s74, exec_lo, s74
; %bb.3950:                             ;   in Loop: Header=BB6_136 Depth=3
	v_or_b32_e32 v55, 0x7f, v3
                                        ; implicit-def: $vgpr2
; %bb.3951:                             ;   in Loop: Header=BB6_136 Depth=3
	s_and_not1_saveexec_b32 s74, s74
; %bb.3952:                             ;   in Loop: Header=BB6_136 Depth=3
	v_cmp_lt_i32_e32 vcc_lo, -1, v2
	v_mov_b32_e32 v0, 0x7c
	s_delay_alu instid0(VALU_DEP_1)
	v_cndmask_b32_e32 v55, 0xfc, v0, vcc_lo
; %bb.3953:                             ;   in Loop: Header=BB6_136 Depth=3
	s_or_b32 exec_lo, exec_lo, s74
.LBB6_3954:                             ;   in Loop: Header=BB6_136 Depth=3
	s_delay_alu instid0(SALU_CYCLE_1)
	s_or_b32 exec_lo, exec_lo, s13
	v_mov_b32_e32 v1, 0
	s_mov_b32 s74, exec_lo
	v_cmpx_lt_u64_e64 s[22:23], v[10:11]
	s_cbranch_execz .LBB6_3964
; %bb.3955:                             ;   in Loop: Header=BB6_136 Depth=3
	v_lshrrev_b32_e32 v0, 24, v11
	v_bfrev_b32_e32 v1, 1
	s_mov_b32 s75, exec_lo
	s_delay_alu instid0(VALU_DEP_2)
	v_cmpx_ne_u32_e32 0x80, v0
	s_cbranch_execz .LBB6_3963
; %bb.3956:                             ;   in Loop: Header=BB6_136 Depth=3
	v_and_b32_e32 v1, 0x7c000000, v11
	v_bfe_u32 v2, v11, 24, 2
	s_delay_alu instid0(VALU_DEP_2) | instskip(SKIP_1) | instid1(SALU_CYCLE_1)
	v_cmp_ne_u32_e32 vcc_lo, 0x7c000000, v1
                                        ; implicit-def: $vgpr1
	s_and_saveexec_b32 s13, vcc_lo
	s_xor_b32 s13, exec_lo, s13
	s_cbranch_execz .LBB6_3960
; %bb.3957:                             ;   in Loop: Header=BB6_136 Depth=3
	v_bfe_u32 v1, v11, 26, 5
	s_mov_b32 s76, exec_lo
	s_delay_alu instid0(VALU_DEP_1)
	v_cmpx_eq_u32_e32 0, v1
; %bb.3958:                             ;   in Loop: Header=BB6_136 Depth=3
	v_clz_i32_u32_e32 v1, v2
	s_delay_alu instid0(VALU_DEP_1) | instskip(NEXT) | instid1(VALU_DEP_1)
	v_min_u32_e32 v2, 32, v1
	v_subrev_nc_u32_e32 v1, 29, v2
	s_delay_alu instid0(VALU_DEP_1) | instskip(NEXT) | instid1(VALU_DEP_1)
	v_lshlrev_b64_e32 v[0:1], v1, v[0:1]
	v_dual_sub_nc_u32 v1, 30, v2 :: v_dual_bitop2_b32 v2, 3, v0 bitop3:0x40
; %bb.3959:                             ;   in Loop: Header=BB6_136 Depth=3
	s_or_b32 exec_lo, exec_lo, s76
	v_and_b32_e32 v0, 0x80000000, v11
                                        ; implicit-def: $vgpr10_vgpr11
	s_delay_alu instid0(VALU_DEP_1) | instskip(NEXT) | instid1(VALU_DEP_1)
	v_lshl_add_u32 v0, v1, 23, v0
	v_lshl_or_b32 v0, v2, 21, v0
                                        ; implicit-def: $vgpr2
	s_delay_alu instid0(VALU_DEP_1)
	v_add_nc_u32_e32 v1, 0x38000000, v0
.LBB6_3960:                             ;   in Loop: Header=BB6_136 Depth=3
	s_and_not1_saveexec_b32 s76, s13
; %bb.3961:                             ;   in Loop: Header=BB6_136 Depth=3
	v_cmp_lt_i64_e64 s13, -1, v[10:11]
	v_mov_b32_e32 v0, 0x7f800000
	v_cmp_eq_u32_e32 vcc_lo, 0, v2
	s_delay_alu instid0(VALU_DEP_2) | instskip(NEXT) | instid1(VALU_DEP_1)
	v_cndmask_b32_e64 v0, 0xff800000, v0, s13
	v_cndmask_b32_e32 v1, 0x7f800001, v0, vcc_lo
; %bb.3962:                             ;   in Loop: Header=BB6_136 Depth=3
	s_or_b32 exec_lo, exec_lo, s76
.LBB6_3963:                             ;   in Loop: Header=BB6_136 Depth=3
	s_delay_alu instid0(SALU_CYCLE_1)
	s_or_b32 exec_lo, exec_lo, s75
.LBB6_3964:                             ;   in Loop: Header=BB6_136 Depth=3
	s_delay_alu instid0(SALU_CYCLE_1) | instskip(NEXT) | instid1(VALU_DEP_1)
	s_or_b32 exec_lo, exec_lo, s74
	v_dual_mul_f32 v3, s73, v1 :: v_dual_mov_b32 v9, v113
	v_mov_b32_e32 v1, v113
                                        ; implicit-def: $vgpr2
	s_delay_alu instid0(VALU_DEP_2) | instskip(SKIP_1) | instid1(VALU_DEP_2)
	v_and_b32_e32 v8, 0x7f800000, v3
	v_and_b32_e32 v0, 0x7fffff, v3
	v_cmp_ne_u64_e32 vcc_lo, 0x7f800000, v[8:9]
	v_lshrrev_b32_e32 v8, 24, v3
	s_and_saveexec_b32 s13, vcc_lo
	s_delay_alu instid0(SALU_CYCLE_1)
	s_xor_b32 s73, exec_lo, s13
	s_cbranch_execz .LBB6_3978
; %bb.3965:                             ;   in Loop: Header=BB6_136 Depth=3
	v_and_b32_e32 v10, 0x7fffffff, v3
	v_mov_b32_e32 v11, v113
	v_and_b32_e32 v8, 0x80, v8
                                        ; implicit-def: $vgpr2
	s_mov_b32 s13, exec_lo
	s_delay_alu instid0(VALU_DEP_2)
	v_cmpx_gt_u64_e32 0x47600001, v[10:11]
	s_xor_b32 s74, exec_lo, s13
	s_cbranch_execz .LBB6_3975
; %bb.3966:                             ;   in Loop: Header=BB6_136 Depth=3
	v_mov_b32_e32 v2, 0
	s_mov_b32 s75, exec_lo
	v_cmpx_ne_u32_e32 0, v3
	s_cbranch_execz .LBB6_3974
; %bb.3967:                             ;   in Loop: Header=BB6_136 Depth=3
	v_bfe_u32 v9, v3, 23, 8
	v_or_b32_e32 v3, 0x800000, v0
	s_delay_alu instid0(VALU_DEP_2) | instskip(SKIP_2) | instid1(VALU_DEP_2)
	v_cmp_gt_u32_e64 s13, 0x72, v9
	v_sub_nc_u32_e32 v2, 0x71, v9
	v_cmp_eq_u32_e32 vcc_lo, 0, v9
	v_dual_cndmask_b32 v2, 0, v2, s13 :: v_dual_cndmask_b32 v0, v3, v0, vcc_lo
	s_delay_alu instid0(VALU_DEP_1) | instskip(NEXT) | instid1(VALU_DEP_1)
	v_cndmask_b32_e64 v10, v2, 0x70, vcc_lo
	v_dual_add_nc_u32 v2, 21, v10 :: v_dual_add_nc_u32 v11, 20, v10
	s_delay_alu instid0(VALU_DEP_1) | instskip(NEXT) | instid1(VALU_DEP_2)
	v_lshlrev_b64_e64 v[2:3], v2, -1
	v_lshlrev_b64_e64 v[12:13], v11, 1
	s_delay_alu instid0(VALU_DEP_2) | instskip(SKIP_1) | instid1(VALU_DEP_4)
	v_bfi_b32 v2, v2, 0, v0
	v_lshrrev_b64 v[0:1], v10, v[0:1]
	v_bfi_b32 v3, v3, 0, 0
	s_delay_alu instid0(VALU_DEP_1) | instskip(NEXT) | instid1(VALU_DEP_3)
	v_cmp_eq_u64_e64 s13, v[2:3], v[12:13]
	v_mov_b64_e32 v[2:3], v[0:1]
	s_and_saveexec_b32 s76, s13
; %bb.3968:                             ;   in Loop: Header=BB6_136 Depth=3
	v_bfe_u32 v2, v0, 21, 1
	v_mov_b32_e32 v3, v113
	s_delay_alu instid0(VALU_DEP_1) | instskip(NEXT) | instid1(VALU_DEP_1)
	v_add_nc_u64_e32 v[2:3], v[0:1], v[2:3]
	v_add_nc_u64_e32 v[2:3], -1, v[2:3]
; %bb.3969:                             ;   in Loop: Header=BB6_136 Depth=3
	s_or_b32 exec_lo, exec_lo, s76
	v_add_nc_u32_e32 v1, 0xffffff81, v9
	v_lshrrev_b32_e32 v3, 23, v0
	s_mov_b32 s13, exec_lo
	s_delay_alu instid0(VALU_DEP_2) | instskip(NEXT) | instid1(VALU_DEP_1)
	v_cndmask_b32_e64 v1, v1, 0xffffff82, vcc_lo
	v_add3_u32 v9, v10, v1, v3
	v_and_b32_e32 v1, 0x1fffff, v2
                                        ; implicit-def: $vgpr2
	s_delay_alu instid0(VALU_DEP_1) | instskip(SKIP_1) | instid1(VALU_DEP_2)
	v_dual_add_nc_u32 v3, 14, v9 :: v_dual_add_nc_u32 v0, v1, v0
	v_mov_b32_e32 v1, v113
	v_cmpx_ne_u32_e32 0, v3
	s_xor_b32 s13, exec_lo, s13
; %bb.3970:                             ;   in Loop: Header=BB6_136 Depth=3
	s_delay_alu instid0(VALU_DEP_2) | instskip(SKIP_1) | instid1(VALU_DEP_1)
	v_cmp_lt_u64_e32 vcc_lo, 0xffffff, v[0:1]
	v_add_nc_u32_e32 v2, 15, v9
	v_cndmask_b32_e32 v2, v3, v2, vcc_lo
	v_cndmask_b32_e64 v3, 0, 1, vcc_lo
	s_delay_alu instid0(VALU_DEP_1)
	v_lshrrev_b64 v[0:1], v3, v[0:1]
; %bb.3971:                             ;   in Loop: Header=BB6_136 Depth=3
	s_and_not1_saveexec_b32 s13, s13
; %bb.3972:                             ;   in Loop: Header=BB6_136 Depth=3
	s_delay_alu instid0(VALU_DEP_1)
	v_bfe_u32 v2, v0, 23, 1
; %bb.3973:                             ;   in Loop: Header=BB6_136 Depth=3
	s_or_b32 exec_lo, exec_lo, s13
	s_delay_alu instid0(VALU_DEP_2) | instskip(NEXT) | instid1(VALU_DEP_2)
	v_lshrrev_b64 v[0:1], 21, v[0:1]
	v_cmp_gt_i32_e32 vcc_lo, 32, v2
	v_min_i32_e32 v3, 31, v2
	v_cmp_eq_u32_e64 s13, 0, v2
	s_delay_alu instid0(VALU_DEP_2) | instskip(SKIP_1) | instid1(VALU_DEP_2)
	v_dual_cndmask_b32 v1, 0, v1, vcc_lo :: v_dual_lshlrev_b32 v3, 2, v3
	v_cndmask_b32_e32 v0, 3, v0, vcc_lo
	v_and_b32_e32 v3, 0xfc, v3
	s_delay_alu instid0(VALU_DEP_2) | instskip(NEXT) | instid1(VALU_DEP_2)
	v_cmp_eq_u64_e32 vcc_lo, 0, v[0:1]
	v_and_or_b32 v0, v0, 3, v3
	s_and_b32 s13, s13, vcc_lo
	s_delay_alu instid0(VALU_DEP_1) | instid1(SALU_CYCLE_1)
	v_cndmask_b32_e64 v0, v0, 0, s13
	s_delay_alu instid0(VALU_DEP_1)
	v_or_b32_e32 v2, v0, v8
.LBB6_3974:                             ;   in Loop: Header=BB6_136 Depth=3
	s_or_b32 exec_lo, exec_lo, s75
                                        ; implicit-def: $vgpr8
.LBB6_3975:                             ;   in Loop: Header=BB6_136 Depth=3
	s_and_not1_saveexec_b32 s13, s74
; %bb.3976:                             ;   in Loop: Header=BB6_136 Depth=3
	v_or_b32_e32 v2, 0x7b, v8
; %bb.3977:                             ;   in Loop: Header=BB6_136 Depth=3
	s_or_b32 exec_lo, exec_lo, s13
                                        ; implicit-def: $vgpr3
                                        ; implicit-def: $vgpr0_vgpr1
                                        ; implicit-def: $vgpr8
.LBB6_3978:                             ;   in Loop: Header=BB6_136 Depth=3
	s_and_not1_saveexec_b32 s13, s73
	s_cbranch_execz .LBB6_135
; %bb.3979:                             ;   in Loop: Header=BB6_136 Depth=3
	s_mov_b32 s73, exec_lo
                                        ; implicit-def: $vgpr2
	v_cmpx_ne_u64_e32 0, v[0:1]
	s_xor_b32 s73, exec_lo, s73
; %bb.3980:                             ;   in Loop: Header=BB6_136 Depth=3
	v_or_b32_e32 v2, 0x7f, v8
                                        ; implicit-def: $vgpr3
; %bb.3981:                             ;   in Loop: Header=BB6_136 Depth=3
	s_and_not1_saveexec_b32 s73, s73
	s_cbranch_execz .LBB6_134
; %bb.3982:                             ;   in Loop: Header=BB6_136 Depth=3
	v_cmp_lt_i32_e32 vcc_lo, -1, v3
	v_mov_b32_e32 v0, 0x7c
	s_delay_alu instid0(VALU_DEP_1)
	v_cndmask_b32_e32 v2, 0xfc, v0, vcc_lo
	s_branch .LBB6_134
.LBB6_3983:                             ;   in Loop: Header=BB6_57 Depth=2
	s_or_b32 exec_lo, exec_lo, s15
	s_clause 0x4
	scratch_load_b32 v66, off, s33 offset:556
	scratch_load_b64 v[68:69], off, s33 offset:540
	scratch_load_b64 v[70:71], off, s33 offset:560
	scratch_load_b32 v67, off, s33 offset:548
	scratch_load_b32 v1, off, s33 offset:552
.LBB6_3984:                             ;   in Loop: Header=BB6_57 Depth=2
	s_wait_xcnt 0x0
	s_or_b32 exec_lo, exec_lo, s14
	s_wait_loadcnt 0x0
	v_dual_lshlrev_b32 v12, 12, v1 :: v_dual_mov_b32 v8, 0
	s_mov_b32 s13, 0
	s_mov_b32 s15, exec_lo
                                        ; implicit-def: $vgpr9
                                        ; implicit-def: $vgpr10
	s_delay_alu instid0(VALU_DEP_1)
	v_cmpx_ne_u32_e64 v67, v12
	s_cbranch_execz .LBB6_4478
; %bb.3985:                             ;   in Loop: Header=BB6_57 Depth=2
	scratch_load_b32 v1, off, s33 offset:504 ; 4-byte Folded Reload
	v_dual_lshlrev_b32 v0, 5, v6 :: v_dual_sub_nc_u32 v2, v67, v12
	s_mov_b32 s63, exec_lo
	s_delay_alu instid0(VALU_DEP_1) | instskip(SKIP_1) | instid1(VALU_DEP_1)
	v_ashrrev_i32_e32 v3, 31, v2
	s_wait_loadcnt 0x0
	v_dual_lshrrev_b32 v3, 23, v3 :: v_dual_sub_nc_u32 v0, v1, v0
	s_delay_alu instid0(VALU_DEP_1) | instskip(NEXT) | instid1(VALU_DEP_1)
	v_ashrrev_i32_e32 v1, 31, v0
	v_lshrrev_b32_e32 v1, 27, v1
	s_delay_alu instid0(VALU_DEP_1) | instskip(NEXT) | instid1(VALU_DEP_1)
	v_add_nc_u32_e32 v1, v0, v1
	v_and_b32_e32 v4, 0xffffffe0, v1
	s_delay_alu instid0(VALU_DEP_1) | instskip(NEXT) | instid1(VALU_DEP_1)
	v_dual_add_nc_u32 v3, v2, v3 :: v_dual_sub_nc_u32 v13, v0, v4
	v_and_b32_e32 v14, 0xfffffe00, v3
	v_dual_ashrrev_i32 v1, 5, v1 :: v_dual_ashrrev_i32 v3, 9, v3
	s_delay_alu instid0(VALU_DEP_2) | instskip(NEXT) | instid1(VALU_DEP_1)
	v_dual_lshlrev_b32 v0, 4, v13 :: v_dual_sub_nc_u32 v15, v2, v14
	v_lshl_add_u32 v0, v1, 9, v0
	s_delay_alu instid0(VALU_DEP_2) | instskip(NEXT) | instid1(VALU_DEP_1)
	v_cmp_lt_i32_e64 s13, 15, v15
	v_add_co_ci_u32_e64 v3, null, 0, v3, s13
	s_delay_alu instid0(VALU_DEP_1) | instskip(SKIP_1) | instid1(VALU_DEP_1)
	v_dual_sub_nc_u32 v17, v2, v0 :: v_dual_sub_nc_u32 v16, v3, v1
	s_wait_xcnt 0x0
	v_cmpx_lt_i32_e32 15, v17
	s_cbranch_execz .LBB6_4477
; %bb.3986:                             ;   in Loop: Header=BB6_57 Depth=2
	s_trap 2
	ds_load_b64 v[2:3], v0
	v_add_nc_u32_e32 v0, v0, v12
	s_delay_alu instid0(VALU_DEP_1)
	v_ashrrev_i32_e32 v1, 31, v0
	s_wait_dscnt 0x0
	v_readfirstlane_b32 s72, v2
	v_readfirstlane_b32 s73, v3
	s_and_b32 s74, s72, 3
	s_bfe_i32 s14, s72, 0x80000
	s_clz_i32_u32 s77, s74
	s_bfe_u32 s75, s72, 0x50002
	s_min_u32 s77, s77, 32
	s_and_b32 s76, s72, 0x7c
	s_sub_co_i32 s88, s77, 29
	s_lshl_b32 s78, s72, 24
	s_sext_i32_i8 s79, s72
	s_lshl_b64 s[72:73], s[72:73], s88
	s_and_b32 s78, s78, 0x80000000
	s_sub_co_i32 s73, 30, s77
	s_and_b32 s72, s72, 3
	s_cmp_gt_i32 s79, -1
	s_cselect_b32 s77, s47, 0xff800000
	s_cmp_eq_u32 s74, 0
	s_cselect_b32 s77, s77, 0x7f800001
	s_cmp_eq_u32 s75, 0
	s_cselect_b32 s73, s73, s75
	s_cselect_b32 s72, s72, s74
	s_lshl_b32 s73, s73, 23
	s_lshl_b32 s72, s72, 21
	s_add_co_i32 s73, s73, s78
	s_delay_alu instid0(SALU_CYCLE_1) | instskip(NEXT) | instid1(SALU_CYCLE_1)
	s_or_b32 s72, s73, s72
	s_add_co_i32 s73, s72, 0x38000000
	s_cmp_eq_u32 s76, 0x7c
	s_mov_b32 s72, 0
	s_cselect_b32 s73, s77, s73
	s_and_b32 s74, s14, 0xff
	s_branch .LBB6_3989
.LBB6_3987:                             ;   in Loop: Header=BB6_3989 Depth=3
	s_or_b32 exec_lo, exec_lo, s75
.LBB6_3988:                             ;   in Loop: Header=BB6_3989 Depth=3
	s_delay_alu instid0(SALU_CYCLE_1)
	s_or_b32 exec_lo, exec_lo, s14
	v_lshl_or_b32 v2, v23, 8, v22
	v_lshlrev_b32_e32 v3, 16, v24
	v_lshlrev_b32_e32 v5, 24, v8
	scratch_load_b64 v[22:23], off, s33 offset:336 ; 8-byte Folded Reload
	v_lshl_or_b32 v8, v19, 8, v18
	v_lshlrev_b32_e32 v18, 16, v26
	v_lshl_or_b32 v6, v7, 8, v6
	v_or3_b32 v3, v2, v3, v5
	v_dual_lshlrev_b32 v2, 16, v20 :: v_dual_lshlrev_b32 v19, 24, v27
	v_dual_lshlrev_b32 v5, 24, v21 :: v_dual_lshlrev_b32 v20, 24, v4
	v_lshlrev_b32_e32 v21, 16, v28
	v_lshl_or_b32 v9, v25, 8, v9
	v_add_nc_u64_e32 v[10:11], v[58:59], v[0:1]
	s_delay_alu instid0(VALU_DEP_4) | instskip(NEXT) | instid1(VALU_DEP_4)
	v_or3_b32 v2, v8, v2, v5
	v_or3_b32 v5, v6, v21, v20
	scratch_load_b64 v[6:7], off, s33 offset:272 ; 8-byte Folded Reload
	v_or3_b32 v4, v9, v18, v19
	global_store_b128 v[10:11], v[2:5], off th:TH_STORE_NT
	s_wait_loadcnt 0x1
	v_sub_nc_u32_e32 v17, v17, v22
	v_add_nc_u64_e32 v[0:1], v[0:1], v[22:23]
	s_delay_alu instid0(VALU_DEP_2)
	v_cmp_gt_i32_e32 vcc_lo, 16, v17
	s_or_b32 s72, vcc_lo, s72
	s_wait_loadcnt 0x0
	v_sub_nc_u32_e32 v16, v16, v6
	s_wait_xcnt 0x0
	s_and_not1_b32 exec_lo, exec_lo, s72
	s_cbranch_execz .LBB6_4476
.LBB6_3989:                             ;   Parent Loop BB6_47 Depth=1
                                        ;     Parent Loop BB6_57 Depth=2
                                        ; =>    This Inner Loop Header: Depth=3
	s_cmp_lt_i32 s74, 0x80
	s_cbranch_scc1 .LBB6_3993
; %bb.3990:                             ;   in Loop: Header=BB6_3989 Depth=3
	s_and_b32 s14, 0xffff, s74
	s_delay_alu instid0(SALU_CYCLE_1)
	s_cmp_eq_u32 s14, 0x80
	s_mov_b32 s14, -1
	s_cbranch_scc0 .LBB6_3992
; %bb.3991:                             ;   in Loop: Header=BB6_3989 Depth=3
	s_mov_b32 s14, 0
.LBB6_3992:                             ;   in Loop: Header=BB6_3989 Depth=3
	s_brev_b32 s75, 1
	s_branch .LBB6_3995
.LBB6_3993:                             ;   in Loop: Header=BB6_3989 Depth=3
	s_mov_b32 s14, 0
	s_brev_b32 s75, 1
	s_cbranch_execz .LBB6_3995
; %bb.3994:                             ;   in Loop: Header=BB6_3989 Depth=3
	s_and_b32 s14, 0xffff, s74
	s_mov_b32 s75, 0
	s_cmp_lg_u32 s14, 0
	s_cselect_b32 s14, -1, 0
.LBB6_3995:                             ;   in Loop: Header=BB6_3989 Depth=3
	s_delay_alu instid0(SALU_CYCLE_1)
	s_and_not1_b32 vcc_lo, exec_lo, s14
	s_cbranch_vccnz .LBB6_3997
; %bb.3996:                             ;   in Loop: Header=BB6_3989 Depth=3
	s_mov_b32 s75, s73
.LBB6_3997:                             ;   in Loop: Header=BB6_3989 Depth=3
	v_add_nc_u64_e32 v[2:3], v[56:57], v[0:1]
	global_load_b128 v[8:11], v[2:3], off th:TH_LOAD_NT
	s_wait_loadcnt 0x0
	s_wait_xcnt 0x0
	v_and_b32_e32 v2, 0xff, v8
	s_delay_alu instid0(VALU_DEP_1)
	v_cmp_ne_u16_e32 vcc_lo, 0, v2
	v_mov_b32_e32 v2, 0
	s_and_saveexec_b32 s14, vcc_lo
	s_cbranch_execz .LBB6_4007
; %bb.3998:                             ;   in Loop: Header=BB6_3989 Depth=3
	v_bfe_i32 v4, v8, 0, 8
	v_bfrev_b32_e32 v2, 1
	s_mov_b32 s76, exec_lo
	s_delay_alu instid0(VALU_DEP_2)
	v_cmpx_ne_u16_e32 0xff80, v4
	s_cbranch_execz .LBB6_4006
; %bb.3999:                             ;   in Loop: Header=BB6_3989 Depth=3
	v_and_b32_e32 v2, 0x7c, v8
	v_and_b32_e32 v3, 3, v8
	s_delay_alu instid0(VALU_DEP_2) | instskip(SKIP_1) | instid1(SALU_CYCLE_1)
	v_cmp_ne_u32_e32 vcc_lo, 0x7c, v2
                                        ; implicit-def: $vgpr2
	s_and_saveexec_b32 s77, vcc_lo
	s_xor_b32 s77, exec_lo, s77
	s_cbranch_execz .LBB6_4003
; %bb.4000:                             ;   in Loop: Header=BB6_3989 Depth=3
	v_bfe_u32 v2, v8, 2, 5
	s_mov_b32 s78, exec_lo
	s_delay_alu instid0(VALU_DEP_1)
	v_cmpx_eq_u32_e32 0, v2
; %bb.4001:                             ;   in Loop: Header=BB6_3989 Depth=3
	v_clz_i32_u32_e32 v2, v3
	s_delay_alu instid0(VALU_DEP_1) | instskip(NEXT) | instid1(VALU_DEP_1)
	v_min_u32_e32 v2, 32, v2
	v_subrev_nc_u32_e32 v3, 29, v2
	s_delay_alu instid0(VALU_DEP_1) | instskip(NEXT) | instid1(VALU_DEP_1)
	v_lshlrev_b64_e32 v[4:5], v3, v[8:9]
	v_dual_sub_nc_u32 v2, 30, v2 :: v_dual_bitop2_b32 v3, 3, v4 bitop3:0x40
; %bb.4002:                             ;   in Loop: Header=BB6_3989 Depth=3
	s_or_b32 exec_lo, exec_lo, s78
	v_lshlrev_b32_e32 v4, 24, v8
	s_delay_alu instid0(VALU_DEP_1) | instskip(NEXT) | instid1(VALU_DEP_1)
	v_and_b32_e32 v4, 0x80000000, v4
	v_lshl_add_u32 v2, v2, 23, v4
                                        ; implicit-def: $vgpr4
	s_delay_alu instid0(VALU_DEP_1) | instskip(NEXT) | instid1(VALU_DEP_1)
	v_lshl_or_b32 v2, v3, 21, v2
                                        ; implicit-def: $vgpr3
	v_add_nc_u32_e32 v2, 0x38000000, v2
.LBB6_4003:                             ;   in Loop: Header=BB6_3989 Depth=3
	s_and_not1_saveexec_b32 s77, s77
; %bb.4004:                             ;   in Loop: Header=BB6_3989 Depth=3
	v_cmp_lt_i16_e32 vcc_lo, -1, v4
	v_mov_b32_e32 v2, 0x7f800000
	s_delay_alu instid0(VALU_DEP_1) | instskip(SKIP_1) | instid1(VALU_DEP_2)
	v_cndmask_b32_e32 v2, 0xff800000, v2, vcc_lo
	v_cmp_eq_u32_e32 vcc_lo, 0, v3
	v_cndmask_b32_e32 v2, 0x7f800001, v2, vcc_lo
; %bb.4005:                             ;   in Loop: Header=BB6_3989 Depth=3
	s_or_b32 exec_lo, exec_lo, s77
.LBB6_4006:                             ;   in Loop: Header=BB6_3989 Depth=3
	s_delay_alu instid0(SALU_CYCLE_1)
	s_or_b32 exec_lo, exec_lo, s76
.LBB6_4007:                             ;   in Loop: Header=BB6_3989 Depth=3
	s_delay_alu instid0(SALU_CYCLE_1) | instskip(NEXT) | instid1(VALU_DEP_1)
	s_or_b32 exec_lo, exec_lo, s14
	v_dual_mul_f32 v4, s75, v2 :: v_dual_mov_b32 v7, v113
	v_mov_b32_e32 v3, v113
                                        ; implicit-def: $vgpr18
	s_mov_b32 s14, exec_lo
	s_delay_alu instid0(VALU_DEP_2) | instskip(SKIP_2) | instid1(VALU_DEP_3)
	v_and_b32_e32 v6, 0x7f800000, v4
	v_and_b32_e32 v2, 0x7fffff, v4
	v_lshrrev_b32_e32 v5, 24, v4
	v_cmpx_ne_u64_e32 0x7f800000, v[6:7]
	s_xor_b32 s76, exec_lo, s14
	s_cbranch_execz .LBB6_4021
; %bb.4008:                             ;   in Loop: Header=BB6_3989 Depth=3
	v_and_b32_e32 v6, 0x7fffffff, v4
	v_mov_b32_e32 v7, v113
                                        ; implicit-def: $vgpr18
	s_delay_alu instid0(VALU_DEP_1) | instskip(SKIP_2) | instid1(SALU_CYCLE_1)
	v_cmp_gt_u64_e32 vcc_lo, 0x47600001, v[6:7]
	v_and_b32_e32 v6, 0x80, v5
	s_and_saveexec_b32 s14, vcc_lo
	s_xor_b32 s77, exec_lo, s14
	s_cbranch_execz .LBB6_4018
; %bb.4009:                             ;   in Loop: Header=BB6_3989 Depth=3
	v_mov_b32_e32 v18, 0
	s_mov_b32 s78, exec_lo
	v_cmpx_ne_u32_e32 0, v4
	s_cbranch_execz .LBB6_4017
; %bb.4010:                             ;   in Loop: Header=BB6_3989 Depth=3
	v_bfe_u32 v7, v4, 23, 8
	v_or_b32_e32 v19, 0x800000, v2
	s_delay_alu instid0(VALU_DEP_2) | instskip(SKIP_1) | instid1(VALU_DEP_2)
	v_sub_nc_u32_e32 v4, 0x71, v7
	v_cmp_gt_u32_e32 vcc_lo, 0x72, v7
	v_cndmask_b32_e32 v4, 0, v4, vcc_lo
	v_cmp_eq_u32_e32 vcc_lo, 0, v7
	s_delay_alu instid0(VALU_DEP_2) | instskip(SKIP_1) | instid1(VALU_DEP_2)
	v_cndmask_b32_e64 v18, v4, 0x70, vcc_lo
	v_cndmask_b32_e32 v2, v19, v2, vcc_lo
	v_dual_add_nc_u32 v4, 21, v18 :: v_dual_add_nc_u32 v20, 20, v18
	s_delay_alu instid0(VALU_DEP_1) | instskip(NEXT) | instid1(VALU_DEP_2)
	v_lshlrev_b64_e64 v[4:5], v4, -1
	v_lshlrev_b64_e64 v[20:21], v20, 1
	s_delay_alu instid0(VALU_DEP_2) | instskip(SKIP_1) | instid1(VALU_DEP_4)
	v_bfi_b32 v4, v4, 0, v2
	v_lshrrev_b64 v[2:3], v18, v[2:3]
	v_bfi_b32 v5, v5, 0, 0
	s_delay_alu instid0(VALU_DEP_1) | instskip(NEXT) | instid1(VALU_DEP_3)
	v_cmp_eq_u64_e64 s14, v[4:5], v[20:21]
	v_mov_b64_e32 v[4:5], v[2:3]
	s_and_saveexec_b32 s79, s14
; %bb.4011:                             ;   in Loop: Header=BB6_3989 Depth=3
	v_bfe_u32 v4, v2, 21, 1
	v_mov_b32_e32 v5, v113
	s_delay_alu instid0(VALU_DEP_1) | instskip(NEXT) | instid1(VALU_DEP_1)
	v_add_nc_u64_e32 v[4:5], v[2:3], v[4:5]
	v_add_nc_u64_e32 v[4:5], -1, v[4:5]
; %bb.4012:                             ;   in Loop: Header=BB6_3989 Depth=3
	s_or_b32 exec_lo, exec_lo, s79
	v_add_nc_u32_e32 v3, 0xffffff81, v7
	v_lshrrev_b32_e32 v5, 23, v2
	s_mov_b32 s14, exec_lo
	s_delay_alu instid0(VALU_DEP_2) | instskip(NEXT) | instid1(VALU_DEP_1)
	v_cndmask_b32_e64 v3, v3, 0xffffff82, vcc_lo
	v_add3_u32 v5, v18, v3, v5
	v_and_b32_e32 v3, 0x1fffff, v4
                                        ; implicit-def: $vgpr4
	s_delay_alu instid0(VALU_DEP_1) | instskip(SKIP_1) | instid1(VALU_DEP_2)
	v_dual_add_nc_u32 v7, 14, v5 :: v_dual_add_nc_u32 v2, v3, v2
	v_mov_b32_e32 v3, v113
	v_cmpx_ne_u32_e32 0, v7
	s_xor_b32 s14, exec_lo, s14
; %bb.4013:                             ;   in Loop: Header=BB6_3989 Depth=3
	s_delay_alu instid0(VALU_DEP_2) | instskip(SKIP_2) | instid1(VALU_DEP_2)
	v_cmp_lt_u64_e32 vcc_lo, 0xffffff, v[2:3]
	v_add_nc_u32_e32 v4, 15, v5
	v_cndmask_b32_e64 v5, 0, 1, vcc_lo
	v_cndmask_b32_e32 v4, v7, v4, vcc_lo
	s_delay_alu instid0(VALU_DEP_2)
	v_lshrrev_b64 v[2:3], v5, v[2:3]
; %bb.4014:                             ;   in Loop: Header=BB6_3989 Depth=3
	s_and_not1_saveexec_b32 s14, s14
; %bb.4015:                             ;   in Loop: Header=BB6_3989 Depth=3
	s_delay_alu instid0(VALU_DEP_1)
	v_bfe_u32 v4, v2, 23, 1
; %bb.4016:                             ;   in Loop: Header=BB6_3989 Depth=3
	s_or_b32 exec_lo, exec_lo, s14
	s_delay_alu instid0(VALU_DEP_2) | instskip(NEXT) | instid1(VALU_DEP_2)
	v_lshrrev_b64 v[2:3], 21, v[2:3]
	v_cmp_gt_i32_e32 vcc_lo, 32, v4
	v_min_i32_e32 v5, 31, v4
	v_cmp_eq_u32_e64 s14, 0, v4
	s_delay_alu instid0(VALU_DEP_2) | instskip(SKIP_1) | instid1(VALU_DEP_2)
	v_dual_cndmask_b32 v3, 0, v3, vcc_lo :: v_dual_lshlrev_b32 v5, 2, v5
	v_cndmask_b32_e32 v2, 3, v2, vcc_lo
	v_and_b32_e32 v5, 0xfc, v5
	s_delay_alu instid0(VALU_DEP_2) | instskip(NEXT) | instid1(VALU_DEP_2)
	v_cmp_eq_u64_e32 vcc_lo, 0, v[2:3]
	v_and_or_b32 v2, v2, 3, v5
	s_and_b32 s14, s14, vcc_lo
	s_delay_alu instid0(VALU_DEP_1) | instid1(SALU_CYCLE_1)
	v_cndmask_b32_e64 v2, v2, 0, s14
	s_delay_alu instid0(VALU_DEP_1)
	v_or_b32_e32 v18, v2, v6
.LBB6_4017:                             ;   in Loop: Header=BB6_3989 Depth=3
	s_or_b32 exec_lo, exec_lo, s78
                                        ; implicit-def: $vgpr6
.LBB6_4018:                             ;   in Loop: Header=BB6_3989 Depth=3
	s_and_not1_saveexec_b32 s14, s77
; %bb.4019:                             ;   in Loop: Header=BB6_3989 Depth=3
	v_or_b32_e32 v18, 0x7b, v6
; %bb.4020:                             ;   in Loop: Header=BB6_3989 Depth=3
	s_or_b32 exec_lo, exec_lo, s14
                                        ; implicit-def: $vgpr4
                                        ; implicit-def: $vgpr2_vgpr3
                                        ; implicit-def: $vgpr5
.LBB6_4021:                             ;   in Loop: Header=BB6_3989 Depth=3
	s_and_not1_saveexec_b32 s14, s76
	s_cbranch_execz .LBB6_4027
; %bb.4022:                             ;   in Loop: Header=BB6_3989 Depth=3
	s_mov_b32 s76, exec_lo
                                        ; implicit-def: $vgpr18
	v_cmpx_ne_u64_e32 0, v[2:3]
	s_xor_b32 s76, exec_lo, s76
; %bb.4023:                             ;   in Loop: Header=BB6_3989 Depth=3
	v_or_b32_e32 v18, 0x7f, v5
                                        ; implicit-def: $vgpr4
; %bb.4024:                             ;   in Loop: Header=BB6_3989 Depth=3
	s_and_not1_saveexec_b32 s76, s76
; %bb.4025:                             ;   in Loop: Header=BB6_3989 Depth=3
	v_cmp_lt_i32_e32 vcc_lo, -1, v4
	v_mov_b32_e32 v2, 0x7c
	s_delay_alu instid0(VALU_DEP_1)
	v_cndmask_b32_e32 v18, 0xfc, v2, vcc_lo
; %bb.4026:                             ;   in Loop: Header=BB6_3989 Depth=3
	s_or_b32 exec_lo, exec_lo, s76
.LBB6_4027:                             ;   in Loop: Header=BB6_3989 Depth=3
	s_delay_alu instid0(SALU_CYCLE_1) | instskip(SKIP_3) | instid1(VALU_DEP_2)
	s_or_b32 exec_lo, exec_lo, s14
	v_lshrrev_b16 v2, 8, v8
	v_mov_b32_e32 v4, 0
	s_mov_b32 s14, exec_lo
	v_cmpx_ne_u16_e32 0, v2
	s_cbranch_execz .LBB6_4037
; %bb.4028:                             ;   in Loop: Header=BB6_3989 Depth=3
	v_bfrev_b32_e32 v4, 1
	s_mov_b32 s76, exec_lo
	v_cmpx_ne_u16_e32 0x80, v2
	s_cbranch_execz .LBB6_4036
; %bb.4029:                             ;   in Loop: Header=BB6_3989 Depth=3
	v_and_b32_e32 v5, 0xffff, v2
	s_delay_alu instid0(VALU_DEP_1) | instskip(SKIP_1) | instid1(VALU_DEP_2)
	v_and_b32_e32 v4, 0x7c, v5
	v_and_b32_e32 v3, 3, v5
	v_cmp_ne_u32_e32 vcc_lo, 0x7c, v4
                                        ; implicit-def: $vgpr4
	s_and_saveexec_b32 s77, vcc_lo
	s_delay_alu instid0(SALU_CYCLE_1)
	s_xor_b32 s77, exec_lo, s77
	s_cbranch_execz .LBB6_4033
; %bb.4030:                             ;   in Loop: Header=BB6_3989 Depth=3
	v_bfe_u32 v4, v5, 2, 5
	s_mov_b32 s78, exec_lo
	s_delay_alu instid0(VALU_DEP_1)
	v_cmpx_eq_u32_e32 0, v4
	s_cbranch_execz .LBB6_4032
; %bb.4031:                             ;   in Loop: Header=BB6_3989 Depth=3
	v_clz_i32_u32_e32 v3, v3
	s_delay_alu instid0(VALU_DEP_1) | instskip(SKIP_1) | instid1(VALU_DEP_2)
	v_min_u32_e32 v4, 32, v3
	v_mov_b32_e32 v3, v113
	v_subrev_nc_u32_e32 v5, 29, v4
	v_sub_nc_u32_e32 v4, 30, v4
	s_delay_alu instid0(VALU_DEP_2) | instskip(NEXT) | instid1(VALU_DEP_1)
	v_lshlrev_b64_e32 v[2:3], v5, v[2:3]
	v_and_b32_e32 v3, 3, v2
.LBB6_4032:                             ;   in Loop: Header=BB6_3989 Depth=3
	s_or_b32 exec_lo, exec_lo, s78
	v_lshlrev_b32_e32 v2, 16, v8
	s_delay_alu instid0(VALU_DEP_1) | instskip(NEXT) | instid1(VALU_DEP_1)
	v_and_b32_e32 v2, 0x80000000, v2
	v_lshl_add_u32 v2, v4, 23, v2
	s_delay_alu instid0(VALU_DEP_1) | instskip(NEXT) | instid1(VALU_DEP_1)
	v_lshl_or_b32 v2, v3, 21, v2
                                        ; implicit-def: $vgpr3
	v_add_nc_u32_e32 v4, 0x38000000, v2
.LBB6_4033:                             ;   in Loop: Header=BB6_3989 Depth=3
	s_and_not1_saveexec_b32 s77, s77
; %bb.4034:                             ;   in Loop: Header=BB6_3989 Depth=3
	v_cmp_lt_i16_e32 vcc_lo, -1, v8
	v_mov_b32_e32 v2, 0x7f800000
	s_delay_alu instid0(VALU_DEP_1) | instskip(SKIP_1) | instid1(VALU_DEP_2)
	v_cndmask_b32_e32 v2, 0xff800000, v2, vcc_lo
	v_cmp_eq_u32_e32 vcc_lo, 0, v3
	v_cndmask_b32_e32 v4, 0x7f800001, v2, vcc_lo
; %bb.4035:                             ;   in Loop: Header=BB6_3989 Depth=3
	s_or_b32 exec_lo, exec_lo, s77
.LBB6_4036:                             ;   in Loop: Header=BB6_3989 Depth=3
	s_delay_alu instid0(SALU_CYCLE_1)
	s_or_b32 exec_lo, exec_lo, s76
.LBB6_4037:                             ;   in Loop: Header=BB6_3989 Depth=3
	s_delay_alu instid0(SALU_CYCLE_1) | instskip(NEXT) | instid1(VALU_DEP_1)
	s_or_b32 exec_lo, exec_lo, s14
	v_dual_mul_f32 v4, s75, v4 :: v_dual_mov_b32 v7, v113
	v_mov_b32_e32 v3, v113
                                        ; implicit-def: $vgpr19
	s_mov_b32 s14, exec_lo
	s_delay_alu instid0(VALU_DEP_2) | instskip(SKIP_2) | instid1(VALU_DEP_3)
	v_and_b32_e32 v6, 0x7f800000, v4
	v_and_b32_e32 v2, 0x7fffff, v4
	v_lshrrev_b32_e32 v5, 24, v4
	v_cmpx_ne_u64_e32 0x7f800000, v[6:7]
	s_xor_b32 s76, exec_lo, s14
	s_cbranch_execz .LBB6_4051
; %bb.4038:                             ;   in Loop: Header=BB6_3989 Depth=3
	v_and_b32_e32 v6, 0x7fffffff, v4
	v_mov_b32_e32 v7, v113
                                        ; implicit-def: $vgpr19
	s_delay_alu instid0(VALU_DEP_1) | instskip(SKIP_2) | instid1(SALU_CYCLE_1)
	v_cmp_gt_u64_e32 vcc_lo, 0x47600001, v[6:7]
	v_and_b32_e32 v6, 0x80, v5
	s_and_saveexec_b32 s14, vcc_lo
	s_xor_b32 s77, exec_lo, s14
	s_cbranch_execz .LBB6_4048
; %bb.4039:                             ;   in Loop: Header=BB6_3989 Depth=3
	v_mov_b32_e32 v19, 0
	s_mov_b32 s78, exec_lo
	v_cmpx_ne_u32_e32 0, v4
	s_cbranch_execz .LBB6_4047
; %bb.4040:                             ;   in Loop: Header=BB6_3989 Depth=3
	v_bfe_u32 v7, v4, 23, 8
	v_or_b32_e32 v20, 0x800000, v2
	s_delay_alu instid0(VALU_DEP_2) | instskip(SKIP_1) | instid1(VALU_DEP_2)
	v_sub_nc_u32_e32 v4, 0x71, v7
	v_cmp_gt_u32_e32 vcc_lo, 0x72, v7
	v_cndmask_b32_e32 v4, 0, v4, vcc_lo
	v_cmp_eq_u32_e32 vcc_lo, 0, v7
	s_delay_alu instid0(VALU_DEP_2) | instskip(NEXT) | instid1(VALU_DEP_1)
	v_cndmask_b32_e64 v19, v4, 0x70, vcc_lo
	v_dual_cndmask_b32 v2, v20, v2, vcc_lo :: v_dual_add_nc_u32 v4, 21, v19
	v_add_nc_u32_e32 v21, 20, v19
	s_delay_alu instid0(VALU_DEP_2) | instskip(NEXT) | instid1(VALU_DEP_2)
	v_lshlrev_b64_e64 v[4:5], v4, -1
	v_lshlrev_b64_e64 v[20:21], v21, 1
	s_delay_alu instid0(VALU_DEP_2) | instskip(SKIP_1) | instid1(VALU_DEP_4)
	v_bfi_b32 v4, v4, 0, v2
	v_lshrrev_b64 v[2:3], v19, v[2:3]
	v_bfi_b32 v5, v5, 0, 0
	s_delay_alu instid0(VALU_DEP_1) | instskip(NEXT) | instid1(VALU_DEP_3)
	v_cmp_eq_u64_e64 s14, v[4:5], v[20:21]
	v_mov_b64_e32 v[4:5], v[2:3]
	s_and_saveexec_b32 s79, s14
; %bb.4041:                             ;   in Loop: Header=BB6_3989 Depth=3
	v_bfe_u32 v4, v2, 21, 1
	v_mov_b32_e32 v5, v113
	s_delay_alu instid0(VALU_DEP_1) | instskip(NEXT) | instid1(VALU_DEP_1)
	v_add_nc_u64_e32 v[4:5], v[2:3], v[4:5]
	v_add_nc_u64_e32 v[4:5], -1, v[4:5]
; %bb.4042:                             ;   in Loop: Header=BB6_3989 Depth=3
	s_or_b32 exec_lo, exec_lo, s79
	v_add_nc_u32_e32 v3, 0xffffff81, v7
	v_lshrrev_b32_e32 v5, 23, v2
	s_mov_b32 s14, exec_lo
	s_delay_alu instid0(VALU_DEP_2) | instskip(NEXT) | instid1(VALU_DEP_1)
	v_cndmask_b32_e64 v3, v3, 0xffffff82, vcc_lo
	v_add3_u32 v5, v19, v3, v5
	v_and_b32_e32 v3, 0x1fffff, v4
                                        ; implicit-def: $vgpr4
	s_delay_alu instid0(VALU_DEP_1) | instskip(SKIP_1) | instid1(VALU_DEP_2)
	v_dual_add_nc_u32 v7, 14, v5 :: v_dual_add_nc_u32 v2, v3, v2
	v_mov_b32_e32 v3, v113
	v_cmpx_ne_u32_e32 0, v7
	s_xor_b32 s14, exec_lo, s14
; %bb.4043:                             ;   in Loop: Header=BB6_3989 Depth=3
	s_delay_alu instid0(VALU_DEP_2) | instskip(SKIP_2) | instid1(VALU_DEP_2)
	v_cmp_lt_u64_e32 vcc_lo, 0xffffff, v[2:3]
	v_add_nc_u32_e32 v4, 15, v5
	v_cndmask_b32_e64 v5, 0, 1, vcc_lo
	v_cndmask_b32_e32 v4, v7, v4, vcc_lo
	s_delay_alu instid0(VALU_DEP_2)
	v_lshrrev_b64 v[2:3], v5, v[2:3]
; %bb.4044:                             ;   in Loop: Header=BB6_3989 Depth=3
	s_and_not1_saveexec_b32 s14, s14
; %bb.4045:                             ;   in Loop: Header=BB6_3989 Depth=3
	s_delay_alu instid0(VALU_DEP_1)
	v_bfe_u32 v4, v2, 23, 1
; %bb.4046:                             ;   in Loop: Header=BB6_3989 Depth=3
	s_or_b32 exec_lo, exec_lo, s14
	s_delay_alu instid0(VALU_DEP_2) | instskip(NEXT) | instid1(VALU_DEP_2)
	v_lshrrev_b64 v[2:3], 21, v[2:3]
	v_cmp_gt_i32_e32 vcc_lo, 32, v4
	v_min_i32_e32 v5, 31, v4
	v_cmp_eq_u32_e64 s14, 0, v4
	s_delay_alu instid0(VALU_DEP_2) | instskip(SKIP_1) | instid1(VALU_DEP_2)
	v_dual_cndmask_b32 v3, 0, v3, vcc_lo :: v_dual_lshlrev_b32 v5, 2, v5
	v_cndmask_b32_e32 v2, 3, v2, vcc_lo
	v_and_b32_e32 v5, 0xfc, v5
	s_delay_alu instid0(VALU_DEP_2) | instskip(NEXT) | instid1(VALU_DEP_2)
	v_cmp_eq_u64_e32 vcc_lo, 0, v[2:3]
	v_and_or_b32 v2, v2, 3, v5
	s_and_b32 s14, s14, vcc_lo
	s_delay_alu instid0(VALU_DEP_1) | instid1(SALU_CYCLE_1)
	v_cndmask_b32_e64 v2, v2, 0, s14
	s_delay_alu instid0(VALU_DEP_1)
	v_or_b32_e32 v19, v2, v6
.LBB6_4047:                             ;   in Loop: Header=BB6_3989 Depth=3
	s_or_b32 exec_lo, exec_lo, s78
                                        ; implicit-def: $vgpr6
.LBB6_4048:                             ;   in Loop: Header=BB6_3989 Depth=3
	s_and_not1_saveexec_b32 s14, s77
; %bb.4049:                             ;   in Loop: Header=BB6_3989 Depth=3
	v_or_b32_e32 v19, 0x7b, v6
; %bb.4050:                             ;   in Loop: Header=BB6_3989 Depth=3
	s_or_b32 exec_lo, exec_lo, s14
                                        ; implicit-def: $vgpr4
                                        ; implicit-def: $vgpr2_vgpr3
                                        ; implicit-def: $vgpr5
.LBB6_4051:                             ;   in Loop: Header=BB6_3989 Depth=3
	s_and_not1_saveexec_b32 s14, s76
	s_cbranch_execz .LBB6_4057
; %bb.4052:                             ;   in Loop: Header=BB6_3989 Depth=3
	s_mov_b32 s76, exec_lo
                                        ; implicit-def: $vgpr19
	v_cmpx_ne_u64_e32 0, v[2:3]
	s_xor_b32 s76, exec_lo, s76
; %bb.4053:                             ;   in Loop: Header=BB6_3989 Depth=3
	v_or_b32_e32 v19, 0x7f, v5
                                        ; implicit-def: $vgpr4
; %bb.4054:                             ;   in Loop: Header=BB6_3989 Depth=3
	s_and_not1_saveexec_b32 s76, s76
; %bb.4055:                             ;   in Loop: Header=BB6_3989 Depth=3
	v_cmp_lt_i32_e32 vcc_lo, -1, v4
	v_mov_b32_e32 v2, 0x7c
	s_delay_alu instid0(VALU_DEP_1)
	v_cndmask_b32_e32 v19, 0xfc, v2, vcc_lo
; %bb.4056:                             ;   in Loop: Header=BB6_3989 Depth=3
	s_or_b32 exec_lo, exec_lo, s76
.LBB6_4057:                             ;   in Loop: Header=BB6_3989 Depth=3
	s_delay_alu instid0(SALU_CYCLE_1) | instskip(SKIP_2) | instid1(VALU_DEP_1)
	s_or_b32 exec_lo, exec_lo, s14
	v_dual_mov_b32 v3, 0 :: v_dual_lshrrev_b32 v2, 16, v8
	s_mov_b32 s14, exec_lo
	v_and_b32_e32 v4, 0xff, v2
	s_delay_alu instid0(VALU_DEP_1)
	v_cmpx_ne_u16_e32 0, v4
	s_cbranch_execz .LBB6_4067
; %bb.4058:                             ;   in Loop: Header=BB6_3989 Depth=3
	v_bfrev_b32_e32 v3, 1
	s_mov_b32 s76, exec_lo
	v_cmpx_ne_u16_e32 0x80, v4
	s_cbranch_execz .LBB6_4066
; %bb.4059:                             ;   in Loop: Header=BB6_3989 Depth=3
	v_and_b32_e32 v3, 0x7c0000, v8
	v_bfe_u32 v4, v8, 16, 2
	s_delay_alu instid0(VALU_DEP_2) | instskip(SKIP_1) | instid1(SALU_CYCLE_1)
	v_cmp_ne_u32_e32 vcc_lo, 0x7c0000, v3
                                        ; implicit-def: $vgpr3
	s_and_saveexec_b32 s77, vcc_lo
	s_xor_b32 s77, exec_lo, s77
	s_cbranch_execz .LBB6_4063
; %bb.4060:                             ;   in Loop: Header=BB6_3989 Depth=3
	v_bfe_u32 v3, v8, 18, 5
	s_mov_b32 s78, exec_lo
	s_delay_alu instid0(VALU_DEP_1)
	v_cmpx_eq_u32_e32 0, v3
; %bb.4061:                             ;   in Loop: Header=BB6_3989 Depth=3
	v_clz_i32_u32_e32 v3, v4
	s_delay_alu instid0(VALU_DEP_1) | instskip(NEXT) | instid1(VALU_DEP_1)
	v_min_u32_e32 v3, 32, v3
	v_subrev_nc_u32_e32 v4, 29, v3
	s_delay_alu instid0(VALU_DEP_1) | instskip(NEXT) | instid1(VALU_DEP_1)
	v_lshlrev_b64_e32 v[4:5], v4, v[2:3]
	v_dual_sub_nc_u32 v3, 30, v3 :: v_dual_bitop2_b32 v4, 3, v4 bitop3:0x40
; %bb.4062:                             ;   in Loop: Header=BB6_3989 Depth=3
	s_or_b32 exec_lo, exec_lo, s78
	v_lshlrev_b32_e32 v2, 24, v2
	s_delay_alu instid0(VALU_DEP_1) | instskip(NEXT) | instid1(VALU_DEP_1)
	v_and_b32_e32 v2, 0x80000000, v2
	v_lshl_add_u32 v2, v3, 23, v2
	s_delay_alu instid0(VALU_DEP_1) | instskip(NEXT) | instid1(VALU_DEP_1)
	v_lshl_or_b32 v2, v4, 21, v2
                                        ; implicit-def: $vgpr4
	v_add_nc_u32_e32 v3, 0x38000000, v2
                                        ; implicit-def: $vgpr2
.LBB6_4063:                             ;   in Loop: Header=BB6_3989 Depth=3
	s_and_not1_saveexec_b32 s77, s77
; %bb.4064:                             ;   in Loop: Header=BB6_3989 Depth=3
	v_bfe_i32 v2, v2, 0, 8
	s_delay_alu instid0(VALU_DEP_1) | instskip(SKIP_1) | instid1(VALU_DEP_1)
	v_cmp_lt_i16_e32 vcc_lo, -1, v2
	v_mov_b32_e32 v2, 0x7f800000
	v_cndmask_b32_e32 v2, 0xff800000, v2, vcc_lo
	v_cmp_eq_u32_e32 vcc_lo, 0, v4
	s_delay_alu instid0(VALU_DEP_2)
	v_cndmask_b32_e32 v3, 0x7f800001, v2, vcc_lo
; %bb.4065:                             ;   in Loop: Header=BB6_3989 Depth=3
	s_or_b32 exec_lo, exec_lo, s77
.LBB6_4066:                             ;   in Loop: Header=BB6_3989 Depth=3
	s_delay_alu instid0(SALU_CYCLE_1)
	s_or_b32 exec_lo, exec_lo, s76
.LBB6_4067:                             ;   in Loop: Header=BB6_3989 Depth=3
	s_delay_alu instid0(SALU_CYCLE_1) | instskip(NEXT) | instid1(VALU_DEP_1)
	s_or_b32 exec_lo, exec_lo, s14
	v_dual_mul_f32 v4, s75, v3 :: v_dual_mov_b32 v7, v113
	v_mov_b32_e32 v3, v113
                                        ; implicit-def: $vgpr20
	s_mov_b32 s14, exec_lo
	s_delay_alu instid0(VALU_DEP_2) | instskip(SKIP_2) | instid1(VALU_DEP_3)
	v_and_b32_e32 v6, 0x7f800000, v4
	v_and_b32_e32 v2, 0x7fffff, v4
	v_lshrrev_b32_e32 v5, 24, v4
	v_cmpx_ne_u64_e32 0x7f800000, v[6:7]
	s_xor_b32 s76, exec_lo, s14
	s_cbranch_execz .LBB6_4081
; %bb.4068:                             ;   in Loop: Header=BB6_3989 Depth=3
	v_and_b32_e32 v6, 0x7fffffff, v4
	v_mov_b32_e32 v7, v113
                                        ; implicit-def: $vgpr20
	s_delay_alu instid0(VALU_DEP_1) | instskip(SKIP_2) | instid1(SALU_CYCLE_1)
	v_cmp_gt_u64_e32 vcc_lo, 0x47600001, v[6:7]
	v_and_b32_e32 v6, 0x80, v5
	s_and_saveexec_b32 s14, vcc_lo
	s_xor_b32 s77, exec_lo, s14
	s_cbranch_execz .LBB6_4078
; %bb.4069:                             ;   in Loop: Header=BB6_3989 Depth=3
	v_mov_b32_e32 v20, 0
	s_mov_b32 s78, exec_lo
	v_cmpx_ne_u32_e32 0, v4
	s_cbranch_execz .LBB6_4077
; %bb.4070:                             ;   in Loop: Header=BB6_3989 Depth=3
	v_bfe_u32 v7, v4, 23, 8
	v_or_b32_e32 v21, 0x800000, v2
	s_delay_alu instid0(VALU_DEP_2) | instskip(SKIP_1) | instid1(VALU_DEP_2)
	v_sub_nc_u32_e32 v4, 0x71, v7
	v_cmp_gt_u32_e32 vcc_lo, 0x72, v7
	v_cndmask_b32_e32 v4, 0, v4, vcc_lo
	v_cmp_eq_u32_e32 vcc_lo, 0, v7
	v_cndmask_b32_e32 v2, v21, v2, vcc_lo
	s_delay_alu instid0(VALU_DEP_3) | instskip(NEXT) | instid1(VALU_DEP_1)
	v_cndmask_b32_e64 v20, v4, 0x70, vcc_lo
	v_dual_add_nc_u32 v4, 21, v20 :: v_dual_add_nc_u32 v22, 20, v20
	s_delay_alu instid0(VALU_DEP_1) | instskip(NEXT) | instid1(VALU_DEP_2)
	v_lshlrev_b64_e64 v[4:5], v4, -1
	v_lshlrev_b64_e64 v[22:23], v22, 1
	s_delay_alu instid0(VALU_DEP_2) | instskip(SKIP_1) | instid1(VALU_DEP_4)
	v_bfi_b32 v4, v4, 0, v2
	v_lshrrev_b64 v[2:3], v20, v[2:3]
	v_bfi_b32 v5, v5, 0, 0
	s_delay_alu instid0(VALU_DEP_1) | instskip(NEXT) | instid1(VALU_DEP_3)
	v_cmp_eq_u64_e64 s14, v[4:5], v[22:23]
	v_mov_b64_e32 v[4:5], v[2:3]
	s_and_saveexec_b32 s79, s14
; %bb.4071:                             ;   in Loop: Header=BB6_3989 Depth=3
	v_bfe_u32 v4, v2, 21, 1
	v_mov_b32_e32 v5, v113
	s_delay_alu instid0(VALU_DEP_1) | instskip(NEXT) | instid1(VALU_DEP_1)
	v_add_nc_u64_e32 v[4:5], v[2:3], v[4:5]
	v_add_nc_u64_e32 v[4:5], -1, v[4:5]
; %bb.4072:                             ;   in Loop: Header=BB6_3989 Depth=3
	s_or_b32 exec_lo, exec_lo, s79
	v_add_nc_u32_e32 v3, 0xffffff81, v7
	v_lshrrev_b32_e32 v5, 23, v2
	s_mov_b32 s14, exec_lo
	s_delay_alu instid0(VALU_DEP_2) | instskip(NEXT) | instid1(VALU_DEP_1)
	v_cndmask_b32_e64 v3, v3, 0xffffff82, vcc_lo
	v_add3_u32 v5, v20, v3, v5
	v_and_b32_e32 v3, 0x1fffff, v4
                                        ; implicit-def: $vgpr4
	s_delay_alu instid0(VALU_DEP_1) | instskip(SKIP_1) | instid1(VALU_DEP_2)
	v_dual_add_nc_u32 v7, 14, v5 :: v_dual_add_nc_u32 v2, v3, v2
	v_mov_b32_e32 v3, v113
	v_cmpx_ne_u32_e32 0, v7
	s_xor_b32 s14, exec_lo, s14
; %bb.4073:                             ;   in Loop: Header=BB6_3989 Depth=3
	s_delay_alu instid0(VALU_DEP_2) | instskip(SKIP_2) | instid1(VALU_DEP_2)
	v_cmp_lt_u64_e32 vcc_lo, 0xffffff, v[2:3]
	v_add_nc_u32_e32 v4, 15, v5
	v_cndmask_b32_e64 v5, 0, 1, vcc_lo
	v_cndmask_b32_e32 v4, v7, v4, vcc_lo
	s_delay_alu instid0(VALU_DEP_2)
	v_lshrrev_b64 v[2:3], v5, v[2:3]
; %bb.4074:                             ;   in Loop: Header=BB6_3989 Depth=3
	s_and_not1_saveexec_b32 s14, s14
; %bb.4075:                             ;   in Loop: Header=BB6_3989 Depth=3
	s_delay_alu instid0(VALU_DEP_1)
	v_bfe_u32 v4, v2, 23, 1
; %bb.4076:                             ;   in Loop: Header=BB6_3989 Depth=3
	s_or_b32 exec_lo, exec_lo, s14
	s_delay_alu instid0(VALU_DEP_2) | instskip(NEXT) | instid1(VALU_DEP_2)
	v_lshrrev_b64 v[2:3], 21, v[2:3]
	v_cmp_gt_i32_e32 vcc_lo, 32, v4
	v_min_i32_e32 v5, 31, v4
	v_cmp_eq_u32_e64 s14, 0, v4
	s_delay_alu instid0(VALU_DEP_2) | instskip(SKIP_1) | instid1(VALU_DEP_2)
	v_dual_cndmask_b32 v3, 0, v3, vcc_lo :: v_dual_lshlrev_b32 v5, 2, v5
	v_cndmask_b32_e32 v2, 3, v2, vcc_lo
	v_and_b32_e32 v5, 0xfc, v5
	s_delay_alu instid0(VALU_DEP_2) | instskip(NEXT) | instid1(VALU_DEP_2)
	v_cmp_eq_u64_e32 vcc_lo, 0, v[2:3]
	v_and_or_b32 v2, v2, 3, v5
	s_and_b32 s14, s14, vcc_lo
	s_delay_alu instid0(VALU_DEP_1) | instid1(SALU_CYCLE_1)
	v_cndmask_b32_e64 v2, v2, 0, s14
	s_delay_alu instid0(VALU_DEP_1)
	v_or_b32_e32 v20, v2, v6
.LBB6_4077:                             ;   in Loop: Header=BB6_3989 Depth=3
	s_or_b32 exec_lo, exec_lo, s78
                                        ; implicit-def: $vgpr6
.LBB6_4078:                             ;   in Loop: Header=BB6_3989 Depth=3
	s_and_not1_saveexec_b32 s14, s77
; %bb.4079:                             ;   in Loop: Header=BB6_3989 Depth=3
	v_or_b32_e32 v20, 0x7b, v6
; %bb.4080:                             ;   in Loop: Header=BB6_3989 Depth=3
	s_or_b32 exec_lo, exec_lo, s14
                                        ; implicit-def: $vgpr4
                                        ; implicit-def: $vgpr2_vgpr3
                                        ; implicit-def: $vgpr5
.LBB6_4081:                             ;   in Loop: Header=BB6_3989 Depth=3
	s_and_not1_saveexec_b32 s14, s76
	s_cbranch_execz .LBB6_4087
; %bb.4082:                             ;   in Loop: Header=BB6_3989 Depth=3
	s_mov_b32 s76, exec_lo
                                        ; implicit-def: $vgpr20
	v_cmpx_ne_u64_e32 0, v[2:3]
	s_xor_b32 s76, exec_lo, s76
; %bb.4083:                             ;   in Loop: Header=BB6_3989 Depth=3
	v_or_b32_e32 v20, 0x7f, v5
                                        ; implicit-def: $vgpr4
; %bb.4084:                             ;   in Loop: Header=BB6_3989 Depth=3
	s_and_not1_saveexec_b32 s76, s76
; %bb.4085:                             ;   in Loop: Header=BB6_3989 Depth=3
	v_cmp_lt_i32_e32 vcc_lo, -1, v4
	v_mov_b32_e32 v2, 0x7c
	s_delay_alu instid0(VALU_DEP_1)
	v_cndmask_b32_e32 v20, 0xfc, v2, vcc_lo
; %bb.4086:                             ;   in Loop: Header=BB6_3989 Depth=3
	s_or_b32 exec_lo, exec_lo, s76
.LBB6_4087:                             ;   in Loop: Header=BB6_3989 Depth=3
	s_delay_alu instid0(SALU_CYCLE_1)
	s_or_b32 exec_lo, exec_lo, s14
	v_mov_b32_e32 v3, 0
	s_mov_b32 s14, exec_lo
	v_cmpx_lt_u32_e32 0xffffff, v8
	s_cbranch_execz .LBB6_4097
; %bb.4088:                             ;   in Loop: Header=BB6_3989 Depth=3
	v_lshrrev_b32_e32 v2, 24, v8
	v_bfrev_b32_e32 v3, 1
	s_mov_b32 s76, exec_lo
	s_delay_alu instid0(VALU_DEP_2)
	v_cmpx_ne_u32_e32 0x80, v2
	s_cbranch_execz .LBB6_4096
; %bb.4089:                             ;   in Loop: Header=BB6_3989 Depth=3
	v_and_b32_e32 v3, 0x7c000000, v8
	v_bfe_u32 v4, v8, 24, 2
	s_delay_alu instid0(VALU_DEP_2) | instskip(SKIP_1) | instid1(SALU_CYCLE_1)
	v_cmp_ne_u32_e32 vcc_lo, 0x7c000000, v3
                                        ; implicit-def: $vgpr3
	s_and_saveexec_b32 s77, vcc_lo
	s_xor_b32 s77, exec_lo, s77
	s_cbranch_execz .LBB6_4093
; %bb.4090:                             ;   in Loop: Header=BB6_3989 Depth=3
	v_bfe_u32 v3, v8, 26, 5
	s_mov_b32 s78, exec_lo
	s_delay_alu instid0(VALU_DEP_1)
	v_cmpx_eq_u32_e32 0, v3
; %bb.4091:                             ;   in Loop: Header=BB6_3989 Depth=3
	v_clz_i32_u32_e32 v3, v4
	s_delay_alu instid0(VALU_DEP_1) | instskip(NEXT) | instid1(VALU_DEP_1)
	v_min_u32_e32 v4, 32, v3
	v_subrev_nc_u32_e32 v3, 29, v4
	s_delay_alu instid0(VALU_DEP_1) | instskip(NEXT) | instid1(VALU_DEP_1)
	v_lshlrev_b64_e32 v[2:3], v3, v[2:3]
	v_dual_sub_nc_u32 v3, 30, v4 :: v_dual_bitop2_b32 v4, 3, v2 bitop3:0x40
; %bb.4092:                             ;   in Loop: Header=BB6_3989 Depth=3
	s_or_b32 exec_lo, exec_lo, s78
	v_and_b32_e32 v2, 0x80000000, v8
	s_delay_alu instid0(VALU_DEP_1) | instskip(NEXT) | instid1(VALU_DEP_1)
	v_lshl_add_u32 v2, v3, 23, v2
	v_lshl_or_b32 v2, v4, 21, v2
                                        ; implicit-def: $vgpr4
	s_delay_alu instid0(VALU_DEP_1)
	v_add_nc_u32_e32 v3, 0x38000000, v2
.LBB6_4093:                             ;   in Loop: Header=BB6_3989 Depth=3
	s_and_not1_saveexec_b32 s77, s77
; %bb.4094:                             ;   in Loop: Header=BB6_3989 Depth=3
	v_cmp_lt_i32_e32 vcc_lo, -1, v8
	v_mov_b32_e32 v2, 0x7f800000
	s_delay_alu instid0(VALU_DEP_1) | instskip(SKIP_1) | instid1(VALU_DEP_2)
	v_cndmask_b32_e32 v2, 0xff800000, v2, vcc_lo
	v_cmp_eq_u32_e32 vcc_lo, 0, v4
	v_cndmask_b32_e32 v3, 0x7f800001, v2, vcc_lo
; %bb.4095:                             ;   in Loop: Header=BB6_3989 Depth=3
	s_or_b32 exec_lo, exec_lo, s77
.LBB6_4096:                             ;   in Loop: Header=BB6_3989 Depth=3
	s_delay_alu instid0(SALU_CYCLE_1)
	s_or_b32 exec_lo, exec_lo, s76
.LBB6_4097:                             ;   in Loop: Header=BB6_3989 Depth=3
	s_delay_alu instid0(SALU_CYCLE_1) | instskip(NEXT) | instid1(VALU_DEP_1)
	s_or_b32 exec_lo, exec_lo, s14
	v_dual_mul_f32 v4, s75, v3 :: v_dual_mov_b32 v7, v113
	v_mov_b32_e32 v3, v113
                                        ; implicit-def: $vgpr21
	s_mov_b32 s14, exec_lo
	s_delay_alu instid0(VALU_DEP_2) | instskip(SKIP_2) | instid1(VALU_DEP_3)
	v_and_b32_e32 v6, 0x7f800000, v4
	v_and_b32_e32 v2, 0x7fffff, v4
	v_lshrrev_b32_e32 v5, 24, v4
	v_cmpx_ne_u64_e32 0x7f800000, v[6:7]
	s_xor_b32 s76, exec_lo, s14
	s_cbranch_execz .LBB6_4111
; %bb.4098:                             ;   in Loop: Header=BB6_3989 Depth=3
	v_and_b32_e32 v6, 0x7fffffff, v4
	v_mov_b32_e32 v7, v113
                                        ; implicit-def: $vgpr21
	s_delay_alu instid0(VALU_DEP_1) | instskip(SKIP_2) | instid1(SALU_CYCLE_1)
	v_cmp_gt_u64_e32 vcc_lo, 0x47600001, v[6:7]
	v_and_b32_e32 v6, 0x80, v5
	s_and_saveexec_b32 s14, vcc_lo
	s_xor_b32 s77, exec_lo, s14
	s_cbranch_execz .LBB6_4108
; %bb.4099:                             ;   in Loop: Header=BB6_3989 Depth=3
	v_mov_b32_e32 v21, 0
	s_mov_b32 s78, exec_lo
	v_cmpx_ne_u32_e32 0, v4
	s_cbranch_execz .LBB6_4107
; %bb.4100:                             ;   in Loop: Header=BB6_3989 Depth=3
	v_bfe_u32 v7, v4, 23, 8
	v_or_b32_e32 v22, 0x800000, v2
	s_delay_alu instid0(VALU_DEP_2) | instskip(SKIP_1) | instid1(VALU_DEP_2)
	v_sub_nc_u32_e32 v4, 0x71, v7
	v_cmp_gt_u32_e32 vcc_lo, 0x72, v7
	v_cndmask_b32_e32 v4, 0, v4, vcc_lo
	v_cmp_eq_u32_e32 vcc_lo, 0, v7
	s_delay_alu instid0(VALU_DEP_2) | instskip(NEXT) | instid1(VALU_DEP_1)
	v_cndmask_b32_e64 v21, v4, 0x70, vcc_lo
	v_dual_cndmask_b32 v2, v22, v2, vcc_lo :: v_dual_add_nc_u32 v4, 21, v21
	v_add_nc_u32_e32 v23, 20, v21
	s_delay_alu instid0(VALU_DEP_2) | instskip(NEXT) | instid1(VALU_DEP_2)
	v_lshlrev_b64_e64 v[4:5], v4, -1
	v_lshlrev_b64_e64 v[22:23], v23, 1
	s_delay_alu instid0(VALU_DEP_2) | instskip(SKIP_1) | instid1(VALU_DEP_4)
	v_bfi_b32 v4, v4, 0, v2
	v_lshrrev_b64 v[2:3], v21, v[2:3]
	v_bfi_b32 v5, v5, 0, 0
	s_delay_alu instid0(VALU_DEP_1) | instskip(NEXT) | instid1(VALU_DEP_3)
	v_cmp_eq_u64_e64 s14, v[4:5], v[22:23]
	v_mov_b64_e32 v[4:5], v[2:3]
	s_and_saveexec_b32 s79, s14
; %bb.4101:                             ;   in Loop: Header=BB6_3989 Depth=3
	v_bfe_u32 v4, v2, 21, 1
	v_mov_b32_e32 v5, v113
	s_delay_alu instid0(VALU_DEP_1) | instskip(NEXT) | instid1(VALU_DEP_1)
	v_add_nc_u64_e32 v[4:5], v[2:3], v[4:5]
	v_add_nc_u64_e32 v[4:5], -1, v[4:5]
; %bb.4102:                             ;   in Loop: Header=BB6_3989 Depth=3
	s_or_b32 exec_lo, exec_lo, s79
	v_add_nc_u32_e32 v3, 0xffffff81, v7
	v_lshrrev_b32_e32 v5, 23, v2
	s_mov_b32 s14, exec_lo
	s_delay_alu instid0(VALU_DEP_2) | instskip(NEXT) | instid1(VALU_DEP_1)
	v_cndmask_b32_e64 v3, v3, 0xffffff82, vcc_lo
	v_add3_u32 v5, v21, v3, v5
	v_and_b32_e32 v3, 0x1fffff, v4
                                        ; implicit-def: $vgpr4
	s_delay_alu instid0(VALU_DEP_1) | instskip(SKIP_1) | instid1(VALU_DEP_2)
	v_dual_add_nc_u32 v7, 14, v5 :: v_dual_add_nc_u32 v2, v3, v2
	v_mov_b32_e32 v3, v113
	v_cmpx_ne_u32_e32 0, v7
	s_xor_b32 s14, exec_lo, s14
; %bb.4103:                             ;   in Loop: Header=BB6_3989 Depth=3
	s_delay_alu instid0(VALU_DEP_2) | instskip(SKIP_2) | instid1(VALU_DEP_2)
	v_cmp_lt_u64_e32 vcc_lo, 0xffffff, v[2:3]
	v_add_nc_u32_e32 v4, 15, v5
	v_cndmask_b32_e64 v5, 0, 1, vcc_lo
	v_cndmask_b32_e32 v4, v7, v4, vcc_lo
	s_delay_alu instid0(VALU_DEP_2)
	v_lshrrev_b64 v[2:3], v5, v[2:3]
; %bb.4104:                             ;   in Loop: Header=BB6_3989 Depth=3
	s_and_not1_saveexec_b32 s14, s14
; %bb.4105:                             ;   in Loop: Header=BB6_3989 Depth=3
	s_delay_alu instid0(VALU_DEP_1)
	v_bfe_u32 v4, v2, 23, 1
; %bb.4106:                             ;   in Loop: Header=BB6_3989 Depth=3
	s_or_b32 exec_lo, exec_lo, s14
	s_delay_alu instid0(VALU_DEP_2) | instskip(NEXT) | instid1(VALU_DEP_2)
	v_lshrrev_b64 v[2:3], 21, v[2:3]
	v_cmp_gt_i32_e32 vcc_lo, 32, v4
	v_min_i32_e32 v5, 31, v4
	v_cmp_eq_u32_e64 s14, 0, v4
	s_delay_alu instid0(VALU_DEP_2) | instskip(SKIP_1) | instid1(VALU_DEP_2)
	v_dual_cndmask_b32 v3, 0, v3, vcc_lo :: v_dual_lshlrev_b32 v5, 2, v5
	v_cndmask_b32_e32 v2, 3, v2, vcc_lo
	v_and_b32_e32 v5, 0xfc, v5
	s_delay_alu instid0(VALU_DEP_2) | instskip(NEXT) | instid1(VALU_DEP_2)
	v_cmp_eq_u64_e32 vcc_lo, 0, v[2:3]
	v_and_or_b32 v2, v2, 3, v5
	s_and_b32 s14, s14, vcc_lo
	s_delay_alu instid0(VALU_DEP_1) | instid1(SALU_CYCLE_1)
	v_cndmask_b32_e64 v2, v2, 0, s14
	s_delay_alu instid0(VALU_DEP_1)
	v_or_b32_e32 v21, v2, v6
.LBB6_4107:                             ;   in Loop: Header=BB6_3989 Depth=3
	s_or_b32 exec_lo, exec_lo, s78
                                        ; implicit-def: $vgpr6
.LBB6_4108:                             ;   in Loop: Header=BB6_3989 Depth=3
	s_and_not1_saveexec_b32 s14, s77
; %bb.4109:                             ;   in Loop: Header=BB6_3989 Depth=3
	v_or_b32_e32 v21, 0x7b, v6
; %bb.4110:                             ;   in Loop: Header=BB6_3989 Depth=3
	s_or_b32 exec_lo, exec_lo, s14
                                        ; implicit-def: $vgpr4
                                        ; implicit-def: $vgpr2_vgpr3
                                        ; implicit-def: $vgpr5
.LBB6_4111:                             ;   in Loop: Header=BB6_3989 Depth=3
	s_and_not1_saveexec_b32 s14, s76
	s_cbranch_execz .LBB6_4117
; %bb.4112:                             ;   in Loop: Header=BB6_3989 Depth=3
	s_mov_b32 s76, exec_lo
                                        ; implicit-def: $vgpr21
	v_cmpx_ne_u64_e32 0, v[2:3]
	s_xor_b32 s76, exec_lo, s76
; %bb.4113:                             ;   in Loop: Header=BB6_3989 Depth=3
	v_or_b32_e32 v21, 0x7f, v5
                                        ; implicit-def: $vgpr4
; %bb.4114:                             ;   in Loop: Header=BB6_3989 Depth=3
	s_and_not1_saveexec_b32 s76, s76
; %bb.4115:                             ;   in Loop: Header=BB6_3989 Depth=3
	v_cmp_lt_i32_e32 vcc_lo, -1, v4
	v_mov_b32_e32 v2, 0x7c
	s_delay_alu instid0(VALU_DEP_1)
	v_cndmask_b32_e32 v21, 0xfc, v2, vcc_lo
; %bb.4116:                             ;   in Loop: Header=BB6_3989 Depth=3
	s_or_b32 exec_lo, exec_lo, s76
.LBB6_4117:                             ;   in Loop: Header=BB6_3989 Depth=3
	s_delay_alu instid0(SALU_CYCLE_1) | instskip(SKIP_4) | instid1(VALU_DEP_3)
	s_or_b32 exec_lo, exec_lo, s14
	v_and_b32_e32 v5, 0xff, v9
	v_dual_mov_b32 v2, v9 :: v_dual_mov_b32 v3, v113
	v_mov_b32_e32 v4, 0
	s_mov_b32 s14, exec_lo
	v_cmpx_ne_u16_e32 0, v5
	s_cbranch_execz .LBB6_4127
; %bb.4118:                             ;   in Loop: Header=BB6_3989 Depth=3
	v_bfrev_b32_e32 v4, 1
	s_mov_b32 s76, exec_lo
	v_cmpx_ne_u16_e32 0x80, v5
	s_cbranch_execz .LBB6_4126
; %bb.4119:                             ;   in Loop: Header=BB6_3989 Depth=3
	v_and_b32_e32 v4, 0x7c, v9
	v_and_b32_e32 v5, 3, v9
	s_delay_alu instid0(VALU_DEP_2) | instskip(SKIP_1) | instid1(SALU_CYCLE_1)
	v_cmp_ne_u32_e32 vcc_lo, 0x7c, v4
                                        ; implicit-def: $vgpr4
	s_and_saveexec_b32 s77, vcc_lo
	s_xor_b32 s77, exec_lo, s77
	s_cbranch_execz .LBB6_4123
; %bb.4120:                             ;   in Loop: Header=BB6_3989 Depth=3
	v_bfe_u32 v4, v9, 2, 5
	s_mov_b32 s78, exec_lo
	s_delay_alu instid0(VALU_DEP_1)
	v_cmpx_eq_u32_e32 0, v4
; %bb.4121:                             ;   in Loop: Header=BB6_3989 Depth=3
	v_clz_i32_u32_e32 v4, v5
	s_delay_alu instid0(VALU_DEP_1) | instskip(NEXT) | instid1(VALU_DEP_1)
	v_min_u32_e32 v4, 32, v4
	v_subrev_nc_u32_e32 v5, 29, v4
	s_delay_alu instid0(VALU_DEP_1) | instskip(NEXT) | instid1(VALU_DEP_1)
	v_lshlrev_b64_e32 v[6:7], v5, v[2:3]
	v_dual_sub_nc_u32 v4, 30, v4 :: v_dual_bitop2_b32 v5, 3, v6 bitop3:0x40
; %bb.4122:                             ;   in Loop: Header=BB6_3989 Depth=3
	s_or_b32 exec_lo, exec_lo, s78
	v_lshlrev_b32_e32 v3, 24, v9
	s_delay_alu instid0(VALU_DEP_1) | instskip(NEXT) | instid1(VALU_DEP_1)
	v_and_b32_e32 v3, 0x80000000, v3
	v_lshl_add_u32 v3, v4, 23, v3
	s_delay_alu instid0(VALU_DEP_1) | instskip(NEXT) | instid1(VALU_DEP_1)
	v_lshl_or_b32 v3, v5, 21, v3
                                        ; implicit-def: $vgpr5
	v_add_nc_u32_e32 v4, 0x38000000, v3
.LBB6_4123:                             ;   in Loop: Header=BB6_3989 Depth=3
	s_and_not1_saveexec_b32 s77, s77
; %bb.4124:                             ;   in Loop: Header=BB6_3989 Depth=3
	v_bfe_i32 v3, v9, 0, 8
	s_delay_alu instid0(VALU_DEP_1) | instskip(SKIP_1) | instid1(VALU_DEP_1)
	v_cmp_lt_i16_e32 vcc_lo, -1, v3
	v_mov_b32_e32 v3, 0x7f800000
	v_cndmask_b32_e32 v3, 0xff800000, v3, vcc_lo
	v_cmp_eq_u32_e32 vcc_lo, 0, v5
	s_delay_alu instid0(VALU_DEP_2)
	v_cndmask_b32_e32 v4, 0x7f800001, v3, vcc_lo
; %bb.4125:                             ;   in Loop: Header=BB6_3989 Depth=3
	s_or_b32 exec_lo, exec_lo, s77
.LBB6_4126:                             ;   in Loop: Header=BB6_3989 Depth=3
	s_delay_alu instid0(SALU_CYCLE_1)
	s_or_b32 exec_lo, exec_lo, s76
.LBB6_4127:                             ;   in Loop: Header=BB6_3989 Depth=3
	s_delay_alu instid0(SALU_CYCLE_1) | instskip(NEXT) | instid1(VALU_DEP_1)
	s_or_b32 exec_lo, exec_lo, s14
	v_dual_mul_f32 v6, s75, v4 :: v_dual_mov_b32 v23, v113
	s_delay_alu instid0(VALU_DEP_1) | instskip(SKIP_2) | instid1(VALU_DEP_2)
	v_dual_mov_b32 v5, v113 :: v_dual_lshrrev_b32 v3, 24, v6
	v_and_b32_e32 v22, 0x7f800000, v6
	v_and_b32_e32 v4, 0x7fffff, v6
	v_cmp_ne_u64_e32 vcc_lo, 0x7f800000, v[22:23]
                                        ; implicit-def: $vgpr22
	s_and_saveexec_b32 s14, vcc_lo
	s_delay_alu instid0(SALU_CYCLE_1)
	s_xor_b32 s76, exec_lo, s14
	s_cbranch_execz .LBB6_4141
; %bb.4128:                             ;   in Loop: Header=BB6_3989 Depth=3
	v_and_b32_e32 v22, 0x7fffffff, v6
	v_mov_b32_e32 v23, v113
	v_and_b32_e32 v3, 0x80, v3
	s_delay_alu instid0(VALU_DEP_2) | instskip(SKIP_1) | instid1(SALU_CYCLE_1)
	v_cmp_gt_u64_e32 vcc_lo, 0x47600001, v[22:23]
                                        ; implicit-def: $vgpr22
	s_and_saveexec_b32 s14, vcc_lo
	s_xor_b32 s77, exec_lo, s14
	s_cbranch_execz .LBB6_4138
; %bb.4129:                             ;   in Loop: Header=BB6_3989 Depth=3
	v_mov_b32_e32 v22, 0
	s_mov_b32 s78, exec_lo
	v_cmpx_ne_u32_e32 0, v6
	s_cbranch_execz .LBB6_4137
; %bb.4130:                             ;   in Loop: Header=BB6_3989 Depth=3
	v_bfe_u32 v22, v6, 23, 8
	v_or_b32_e32 v24, 0x800000, v4
	s_delay_alu instid0(VALU_DEP_2) | instskip(SKIP_1) | instid1(VALU_DEP_2)
	v_sub_nc_u32_e32 v6, 0x71, v22
	v_cmp_gt_u32_e32 vcc_lo, 0x72, v22
	v_cndmask_b32_e32 v6, 0, v6, vcc_lo
	v_cmp_eq_u32_e32 vcc_lo, 0, v22
	s_delay_alu instid0(VALU_DEP_2) | instskip(NEXT) | instid1(VALU_DEP_1)
	v_cndmask_b32_e64 v23, v6, 0x70, vcc_lo
	v_dual_cndmask_b32 v4, v24, v4, vcc_lo :: v_dual_add_nc_u32 v6, 21, v23
	v_add_nc_u32_e32 v25, 20, v23
	s_delay_alu instid0(VALU_DEP_2) | instskip(NEXT) | instid1(VALU_DEP_2)
	v_lshlrev_b64_e64 v[6:7], v6, -1
	v_lshlrev_b64_e64 v[24:25], v25, 1
	s_delay_alu instid0(VALU_DEP_2) | instskip(SKIP_1) | instid1(VALU_DEP_4)
	v_bfi_b32 v6, v6, 0, v4
	v_lshrrev_b64 v[4:5], v23, v[4:5]
	v_bfi_b32 v7, v7, 0, 0
	s_delay_alu instid0(VALU_DEP_1) | instskip(NEXT) | instid1(VALU_DEP_3)
	v_cmp_eq_u64_e64 s14, v[6:7], v[24:25]
	v_mov_b64_e32 v[6:7], v[4:5]
	s_and_saveexec_b32 s79, s14
; %bb.4131:                             ;   in Loop: Header=BB6_3989 Depth=3
	v_bfe_u32 v6, v4, 21, 1
	v_mov_b32_e32 v7, v113
	s_delay_alu instid0(VALU_DEP_1) | instskip(NEXT) | instid1(VALU_DEP_1)
	v_add_nc_u64_e32 v[6:7], v[4:5], v[6:7]
	v_add_nc_u64_e32 v[6:7], -1, v[6:7]
; %bb.4132:                             ;   in Loop: Header=BB6_3989 Depth=3
	s_or_b32 exec_lo, exec_lo, s79
	v_add_nc_u32_e32 v5, 0xffffff81, v22
	v_lshrrev_b32_e32 v7, 23, v4
	s_mov_b32 s14, exec_lo
	s_delay_alu instid0(VALU_DEP_2) | instskip(NEXT) | instid1(VALU_DEP_1)
	v_cndmask_b32_e64 v5, v5, 0xffffff82, vcc_lo
	v_add3_u32 v7, v23, v5, v7
	v_and_b32_e32 v5, 0x1fffff, v6
                                        ; implicit-def: $vgpr6
	s_delay_alu instid0(VALU_DEP_1) | instskip(SKIP_1) | instid1(VALU_DEP_2)
	v_dual_add_nc_u32 v22, 14, v7 :: v_dual_add_nc_u32 v4, v5, v4
	v_mov_b32_e32 v5, v113
	v_cmpx_ne_u32_e32 0, v22
	s_xor_b32 s14, exec_lo, s14
; %bb.4133:                             ;   in Loop: Header=BB6_3989 Depth=3
	s_delay_alu instid0(VALU_DEP_2) | instskip(SKIP_2) | instid1(VALU_DEP_2)
	v_cmp_lt_u64_e32 vcc_lo, 0xffffff, v[4:5]
	v_add_nc_u32_e32 v6, 15, v7
	v_cndmask_b32_e64 v7, 0, 1, vcc_lo
	v_cndmask_b32_e32 v6, v22, v6, vcc_lo
	s_delay_alu instid0(VALU_DEP_2)
	v_lshrrev_b64 v[4:5], v7, v[4:5]
; %bb.4134:                             ;   in Loop: Header=BB6_3989 Depth=3
	s_and_not1_saveexec_b32 s14, s14
; %bb.4135:                             ;   in Loop: Header=BB6_3989 Depth=3
	s_delay_alu instid0(VALU_DEP_1)
	v_bfe_u32 v6, v4, 23, 1
; %bb.4136:                             ;   in Loop: Header=BB6_3989 Depth=3
	s_or_b32 exec_lo, exec_lo, s14
	s_delay_alu instid0(VALU_DEP_2) | instskip(NEXT) | instid1(VALU_DEP_2)
	v_lshrrev_b64 v[4:5], 21, v[4:5]
	v_cmp_gt_i32_e32 vcc_lo, 32, v6
	v_min_i32_e32 v7, 31, v6
	v_cmp_eq_u32_e64 s14, 0, v6
	s_delay_alu instid0(VALU_DEP_2) | instskip(SKIP_1) | instid1(VALU_DEP_2)
	v_dual_cndmask_b32 v5, 0, v5, vcc_lo :: v_dual_lshlrev_b32 v7, 2, v7
	v_cndmask_b32_e32 v4, 3, v4, vcc_lo
	v_and_b32_e32 v7, 0xfc, v7
	s_delay_alu instid0(VALU_DEP_2) | instskip(NEXT) | instid1(VALU_DEP_2)
	v_cmp_eq_u64_e32 vcc_lo, 0, v[4:5]
	v_and_or_b32 v4, v4, 3, v7
	s_and_b32 s14, s14, vcc_lo
	s_delay_alu instid0(VALU_DEP_1) | instid1(SALU_CYCLE_1)
	v_cndmask_b32_e64 v4, v4, 0, s14
	s_delay_alu instid0(VALU_DEP_1)
	v_or_b32_e32 v22, v4, v3
.LBB6_4137:                             ;   in Loop: Header=BB6_3989 Depth=3
	s_or_b32 exec_lo, exec_lo, s78
                                        ; implicit-def: $vgpr3
.LBB6_4138:                             ;   in Loop: Header=BB6_3989 Depth=3
	s_and_not1_saveexec_b32 s14, s77
; %bb.4139:                             ;   in Loop: Header=BB6_3989 Depth=3
	v_or_b32_e32 v22, 0x7b, v3
; %bb.4140:                             ;   in Loop: Header=BB6_3989 Depth=3
	s_or_b32 exec_lo, exec_lo, s14
                                        ; implicit-def: $vgpr6
                                        ; implicit-def: $vgpr4_vgpr5
                                        ; implicit-def: $vgpr3
.LBB6_4141:                             ;   in Loop: Header=BB6_3989 Depth=3
	s_and_not1_saveexec_b32 s14, s76
	s_cbranch_execz .LBB6_4147
; %bb.4142:                             ;   in Loop: Header=BB6_3989 Depth=3
	s_mov_b32 s76, exec_lo
                                        ; implicit-def: $vgpr22
	v_cmpx_ne_u64_e32 0, v[4:5]
	s_xor_b32 s76, exec_lo, s76
; %bb.4143:                             ;   in Loop: Header=BB6_3989 Depth=3
	v_or_b32_e32 v22, 0x7f, v3
                                        ; implicit-def: $vgpr6
; %bb.4144:                             ;   in Loop: Header=BB6_3989 Depth=3
	s_and_not1_saveexec_b32 s76, s76
; %bb.4145:                             ;   in Loop: Header=BB6_3989 Depth=3
	v_cmp_lt_i32_e32 vcc_lo, -1, v6
	v_mov_b32_e32 v3, 0x7c
	s_delay_alu instid0(VALU_DEP_1)
	v_cndmask_b32_e32 v22, 0xfc, v3, vcc_lo
; %bb.4146:                             ;   in Loop: Header=BB6_3989 Depth=3
	s_or_b32 exec_lo, exec_lo, s76
.LBB6_4147:                             ;   in Loop: Header=BB6_3989 Depth=3
	s_delay_alu instid0(SALU_CYCLE_1) | instskip(SKIP_3) | instid1(VALU_DEP_2)
	s_or_b32 exec_lo, exec_lo, s14
	v_lshrrev_b16 v4, 8, v2
	v_mov_b32_e32 v6, 0
	s_mov_b32 s14, exec_lo
	v_cmpx_ne_u16_e32 0, v4
	s_cbranch_execz .LBB6_4157
; %bb.4148:                             ;   in Loop: Header=BB6_3989 Depth=3
	v_bfrev_b32_e32 v6, 1
	s_mov_b32 s76, exec_lo
	v_cmpx_ne_u16_e32 0x80, v4
	s_cbranch_execz .LBB6_4156
; %bb.4149:                             ;   in Loop: Header=BB6_3989 Depth=3
	v_and_b32_e32 v3, 0xffff, v4
	s_delay_alu instid0(VALU_DEP_1) | instskip(SKIP_1) | instid1(VALU_DEP_2)
	v_and_b32_e32 v6, 0x7c, v3
	v_and_b32_e32 v5, 3, v3
	v_cmp_ne_u32_e32 vcc_lo, 0x7c, v6
                                        ; implicit-def: $vgpr6
	s_and_saveexec_b32 s77, vcc_lo
	s_delay_alu instid0(SALU_CYCLE_1)
	s_xor_b32 s77, exec_lo, s77
	s_cbranch_execz .LBB6_4153
; %bb.4150:                             ;   in Loop: Header=BB6_3989 Depth=3
	v_bfe_u32 v3, v3, 2, 5
	s_mov_b32 s78, exec_lo
	s_delay_alu instid0(VALU_DEP_1)
	v_cmpx_eq_u32_e32 0, v3
	s_cbranch_execz .LBB6_4152
; %bb.4151:                             ;   in Loop: Header=BB6_3989 Depth=3
	v_clz_i32_u32_e32 v3, v5
	s_delay_alu instid0(VALU_DEP_1) | instskip(SKIP_1) | instid1(VALU_DEP_2)
	v_min_u32_e32 v3, 32, v3
	v_mov_b32_e32 v5, v113
	v_subrev_nc_u32_e32 v6, 29, v3
	v_sub_nc_u32_e32 v3, 30, v3
	s_delay_alu instid0(VALU_DEP_2) | instskip(NEXT) | instid1(VALU_DEP_1)
	v_lshlrev_b64_e32 v[4:5], v6, v[4:5]
	v_and_b32_e32 v5, 3, v4
.LBB6_4152:                             ;   in Loop: Header=BB6_3989 Depth=3
	s_or_b32 exec_lo, exec_lo, s78
	v_lshlrev_b32_e32 v2, 16, v2
	s_delay_alu instid0(VALU_DEP_1) | instskip(NEXT) | instid1(VALU_DEP_1)
	v_and_b32_e32 v2, 0x80000000, v2
	v_lshl_add_u32 v2, v3, 23, v2
	s_delay_alu instid0(VALU_DEP_1) | instskip(NEXT) | instid1(VALU_DEP_1)
	v_lshl_or_b32 v2, v5, 21, v2
                                        ; implicit-def: $vgpr5
	v_add_nc_u32_e32 v6, 0x38000000, v2
                                        ; implicit-def: $vgpr2_vgpr3
.LBB6_4153:                             ;   in Loop: Header=BB6_3989 Depth=3
	s_and_not1_saveexec_b32 s77, s77
; %bb.4154:                             ;   in Loop: Header=BB6_3989 Depth=3
	v_cmp_lt_i16_e32 vcc_lo, -1, v2
	v_mov_b32_e32 v2, 0x7f800000
	s_delay_alu instid0(VALU_DEP_1) | instskip(SKIP_1) | instid1(VALU_DEP_2)
	v_cndmask_b32_e32 v2, 0xff800000, v2, vcc_lo
	v_cmp_eq_u32_e32 vcc_lo, 0, v5
	v_cndmask_b32_e32 v6, 0x7f800001, v2, vcc_lo
; %bb.4155:                             ;   in Loop: Header=BB6_3989 Depth=3
	s_or_b32 exec_lo, exec_lo, s77
.LBB6_4156:                             ;   in Loop: Header=BB6_3989 Depth=3
	s_delay_alu instid0(SALU_CYCLE_1)
	s_or_b32 exec_lo, exec_lo, s76
.LBB6_4157:                             ;   in Loop: Header=BB6_3989 Depth=3
	s_delay_alu instid0(SALU_CYCLE_1) | instskip(NEXT) | instid1(VALU_DEP_1)
	s_or_b32 exec_lo, exec_lo, s14
	v_dual_mul_f32 v4, s75, v6 :: v_dual_mov_b32 v7, v113
	v_mov_b32_e32 v3, v113
                                        ; implicit-def: $vgpr23
	s_mov_b32 s14, exec_lo
	s_delay_alu instid0(VALU_DEP_2) | instskip(SKIP_2) | instid1(VALU_DEP_3)
	v_and_b32_e32 v6, 0x7f800000, v4
	v_and_b32_e32 v2, 0x7fffff, v4
	v_lshrrev_b32_e32 v5, 24, v4
	v_cmpx_ne_u64_e32 0x7f800000, v[6:7]
	s_xor_b32 s76, exec_lo, s14
	s_cbranch_execz .LBB6_4171
; %bb.4158:                             ;   in Loop: Header=BB6_3989 Depth=3
	v_and_b32_e32 v6, 0x7fffffff, v4
	v_mov_b32_e32 v7, v113
                                        ; implicit-def: $vgpr23
	s_delay_alu instid0(VALU_DEP_1) | instskip(SKIP_2) | instid1(SALU_CYCLE_1)
	v_cmp_gt_u64_e32 vcc_lo, 0x47600001, v[6:7]
	v_and_b32_e32 v6, 0x80, v5
	s_and_saveexec_b32 s14, vcc_lo
	s_xor_b32 s77, exec_lo, s14
	s_cbranch_execz .LBB6_4168
; %bb.4159:                             ;   in Loop: Header=BB6_3989 Depth=3
	v_mov_b32_e32 v23, 0
	s_mov_b32 s78, exec_lo
	v_cmpx_ne_u32_e32 0, v4
	s_cbranch_execz .LBB6_4167
; %bb.4160:                             ;   in Loop: Header=BB6_3989 Depth=3
	v_bfe_u32 v7, v4, 23, 8
	v_or_b32_e32 v24, 0x800000, v2
	s_delay_alu instid0(VALU_DEP_2) | instskip(SKIP_1) | instid1(VALU_DEP_2)
	v_sub_nc_u32_e32 v4, 0x71, v7
	v_cmp_gt_u32_e32 vcc_lo, 0x72, v7
	v_cndmask_b32_e32 v4, 0, v4, vcc_lo
	v_cmp_eq_u32_e32 vcc_lo, 0, v7
	s_delay_alu instid0(VALU_DEP_2) | instskip(NEXT) | instid1(VALU_DEP_1)
	v_cndmask_b32_e64 v23, v4, 0x70, vcc_lo
	v_dual_cndmask_b32 v2, v24, v2, vcc_lo :: v_dual_add_nc_u32 v4, 21, v23
	v_add_nc_u32_e32 v25, 20, v23
	s_delay_alu instid0(VALU_DEP_2) | instskip(NEXT) | instid1(VALU_DEP_2)
	v_lshlrev_b64_e64 v[4:5], v4, -1
	v_lshlrev_b64_e64 v[24:25], v25, 1
	s_delay_alu instid0(VALU_DEP_2) | instskip(SKIP_1) | instid1(VALU_DEP_4)
	v_bfi_b32 v4, v4, 0, v2
	v_lshrrev_b64 v[2:3], v23, v[2:3]
	v_bfi_b32 v5, v5, 0, 0
	s_delay_alu instid0(VALU_DEP_1) | instskip(NEXT) | instid1(VALU_DEP_3)
	v_cmp_eq_u64_e64 s14, v[4:5], v[24:25]
	v_mov_b64_e32 v[4:5], v[2:3]
	s_and_saveexec_b32 s79, s14
; %bb.4161:                             ;   in Loop: Header=BB6_3989 Depth=3
	v_bfe_u32 v4, v2, 21, 1
	v_mov_b32_e32 v5, v113
	s_delay_alu instid0(VALU_DEP_1) | instskip(NEXT) | instid1(VALU_DEP_1)
	v_add_nc_u64_e32 v[4:5], v[2:3], v[4:5]
	v_add_nc_u64_e32 v[4:5], -1, v[4:5]
; %bb.4162:                             ;   in Loop: Header=BB6_3989 Depth=3
	s_or_b32 exec_lo, exec_lo, s79
	v_add_nc_u32_e32 v3, 0xffffff81, v7
	v_lshrrev_b32_e32 v5, 23, v2
	s_mov_b32 s14, exec_lo
	s_delay_alu instid0(VALU_DEP_2) | instskip(NEXT) | instid1(VALU_DEP_1)
	v_cndmask_b32_e64 v3, v3, 0xffffff82, vcc_lo
	v_add3_u32 v5, v23, v3, v5
	v_and_b32_e32 v3, 0x1fffff, v4
                                        ; implicit-def: $vgpr4
	s_delay_alu instid0(VALU_DEP_1) | instskip(SKIP_1) | instid1(VALU_DEP_2)
	v_dual_add_nc_u32 v7, 14, v5 :: v_dual_add_nc_u32 v2, v3, v2
	v_mov_b32_e32 v3, v113
	v_cmpx_ne_u32_e32 0, v7
	s_xor_b32 s14, exec_lo, s14
; %bb.4163:                             ;   in Loop: Header=BB6_3989 Depth=3
	s_delay_alu instid0(VALU_DEP_2) | instskip(SKIP_2) | instid1(VALU_DEP_2)
	v_cmp_lt_u64_e32 vcc_lo, 0xffffff, v[2:3]
	v_add_nc_u32_e32 v4, 15, v5
	v_cndmask_b32_e64 v5, 0, 1, vcc_lo
	v_cndmask_b32_e32 v4, v7, v4, vcc_lo
	s_delay_alu instid0(VALU_DEP_2)
	v_lshrrev_b64 v[2:3], v5, v[2:3]
; %bb.4164:                             ;   in Loop: Header=BB6_3989 Depth=3
	s_and_not1_saveexec_b32 s14, s14
; %bb.4165:                             ;   in Loop: Header=BB6_3989 Depth=3
	s_delay_alu instid0(VALU_DEP_1)
	v_bfe_u32 v4, v2, 23, 1
; %bb.4166:                             ;   in Loop: Header=BB6_3989 Depth=3
	s_or_b32 exec_lo, exec_lo, s14
	s_delay_alu instid0(VALU_DEP_2) | instskip(NEXT) | instid1(VALU_DEP_2)
	v_lshrrev_b64 v[2:3], 21, v[2:3]
	v_cmp_gt_i32_e32 vcc_lo, 32, v4
	v_min_i32_e32 v5, 31, v4
	v_cmp_eq_u32_e64 s14, 0, v4
	s_delay_alu instid0(VALU_DEP_2) | instskip(SKIP_1) | instid1(VALU_DEP_2)
	v_dual_cndmask_b32 v3, 0, v3, vcc_lo :: v_dual_lshlrev_b32 v5, 2, v5
	v_cndmask_b32_e32 v2, 3, v2, vcc_lo
	v_and_b32_e32 v5, 0xfc, v5
	s_delay_alu instid0(VALU_DEP_2) | instskip(NEXT) | instid1(VALU_DEP_2)
	v_cmp_eq_u64_e32 vcc_lo, 0, v[2:3]
	v_and_or_b32 v2, v2, 3, v5
	s_and_b32 s14, s14, vcc_lo
	s_delay_alu instid0(VALU_DEP_1) | instid1(SALU_CYCLE_1)
	v_cndmask_b32_e64 v2, v2, 0, s14
	s_delay_alu instid0(VALU_DEP_1)
	v_or_b32_e32 v23, v2, v6
.LBB6_4167:                             ;   in Loop: Header=BB6_3989 Depth=3
	s_or_b32 exec_lo, exec_lo, s78
                                        ; implicit-def: $vgpr6
.LBB6_4168:                             ;   in Loop: Header=BB6_3989 Depth=3
	s_and_not1_saveexec_b32 s14, s77
; %bb.4169:                             ;   in Loop: Header=BB6_3989 Depth=3
	v_or_b32_e32 v23, 0x7b, v6
; %bb.4170:                             ;   in Loop: Header=BB6_3989 Depth=3
	s_or_b32 exec_lo, exec_lo, s14
                                        ; implicit-def: $vgpr4
                                        ; implicit-def: $vgpr2_vgpr3
                                        ; implicit-def: $vgpr5
.LBB6_4171:                             ;   in Loop: Header=BB6_3989 Depth=3
	s_and_not1_saveexec_b32 s14, s76
	s_cbranch_execz .LBB6_4177
; %bb.4172:                             ;   in Loop: Header=BB6_3989 Depth=3
	s_mov_b32 s76, exec_lo
                                        ; implicit-def: $vgpr23
	v_cmpx_ne_u64_e32 0, v[2:3]
	s_xor_b32 s76, exec_lo, s76
; %bb.4173:                             ;   in Loop: Header=BB6_3989 Depth=3
	v_or_b32_e32 v23, 0x7f, v5
                                        ; implicit-def: $vgpr4
; %bb.4174:                             ;   in Loop: Header=BB6_3989 Depth=3
	s_and_not1_saveexec_b32 s76, s76
; %bb.4175:                             ;   in Loop: Header=BB6_3989 Depth=3
	v_cmp_lt_i32_e32 vcc_lo, -1, v4
	v_mov_b32_e32 v2, 0x7c
	s_delay_alu instid0(VALU_DEP_1)
	v_cndmask_b32_e32 v23, 0xfc, v2, vcc_lo
; %bb.4176:                             ;   in Loop: Header=BB6_3989 Depth=3
	s_or_b32 exec_lo, exec_lo, s76
.LBB6_4177:                             ;   in Loop: Header=BB6_3989 Depth=3
	s_delay_alu instid0(SALU_CYCLE_1) | instskip(SKIP_2) | instid1(VALU_DEP_1)
	s_or_b32 exec_lo, exec_lo, s14
	v_dual_mov_b32 v3, 0 :: v_dual_lshrrev_b32 v2, 16, v9
	s_mov_b32 s14, exec_lo
	v_and_b32_e32 v4, 0xff, v2
	s_delay_alu instid0(VALU_DEP_1)
	v_cmpx_ne_u16_e32 0, v4
	s_cbranch_execz .LBB6_4187
; %bb.4178:                             ;   in Loop: Header=BB6_3989 Depth=3
	v_bfrev_b32_e32 v3, 1
	s_mov_b32 s76, exec_lo
	v_cmpx_ne_u16_e32 0x80, v4
	s_cbranch_execz .LBB6_4186
; %bb.4179:                             ;   in Loop: Header=BB6_3989 Depth=3
	v_and_b32_e32 v3, 0x7c0000, v9
	v_bfe_u32 v4, v9, 16, 2
	s_delay_alu instid0(VALU_DEP_2) | instskip(SKIP_1) | instid1(SALU_CYCLE_1)
	v_cmp_ne_u32_e32 vcc_lo, 0x7c0000, v3
                                        ; implicit-def: $vgpr3
	s_and_saveexec_b32 s77, vcc_lo
	s_xor_b32 s77, exec_lo, s77
	s_cbranch_execz .LBB6_4183
; %bb.4180:                             ;   in Loop: Header=BB6_3989 Depth=3
	v_bfe_u32 v3, v9, 18, 5
	s_mov_b32 s78, exec_lo
	s_delay_alu instid0(VALU_DEP_1)
	v_cmpx_eq_u32_e32 0, v3
; %bb.4181:                             ;   in Loop: Header=BB6_3989 Depth=3
	v_clz_i32_u32_e32 v3, v4
	s_delay_alu instid0(VALU_DEP_1) | instskip(NEXT) | instid1(VALU_DEP_1)
	v_min_u32_e32 v3, 32, v3
	v_subrev_nc_u32_e32 v4, 29, v3
	s_delay_alu instid0(VALU_DEP_1) | instskip(NEXT) | instid1(VALU_DEP_1)
	v_lshlrev_b64_e32 v[4:5], v4, v[2:3]
	v_dual_sub_nc_u32 v3, 30, v3 :: v_dual_bitop2_b32 v4, 3, v4 bitop3:0x40
; %bb.4182:                             ;   in Loop: Header=BB6_3989 Depth=3
	s_or_b32 exec_lo, exec_lo, s78
	v_lshlrev_b32_e32 v2, 24, v2
	s_delay_alu instid0(VALU_DEP_1) | instskip(NEXT) | instid1(VALU_DEP_1)
	v_and_b32_e32 v2, 0x80000000, v2
	v_lshl_add_u32 v2, v3, 23, v2
	s_delay_alu instid0(VALU_DEP_1) | instskip(NEXT) | instid1(VALU_DEP_1)
	v_lshl_or_b32 v2, v4, 21, v2
                                        ; implicit-def: $vgpr4
	v_add_nc_u32_e32 v3, 0x38000000, v2
                                        ; implicit-def: $vgpr2
.LBB6_4183:                             ;   in Loop: Header=BB6_3989 Depth=3
	s_and_not1_saveexec_b32 s77, s77
; %bb.4184:                             ;   in Loop: Header=BB6_3989 Depth=3
	v_bfe_i32 v2, v2, 0, 8
	s_delay_alu instid0(VALU_DEP_1) | instskip(SKIP_1) | instid1(VALU_DEP_1)
	v_cmp_lt_i16_e32 vcc_lo, -1, v2
	v_mov_b32_e32 v2, 0x7f800000
	v_cndmask_b32_e32 v2, 0xff800000, v2, vcc_lo
	v_cmp_eq_u32_e32 vcc_lo, 0, v4
	s_delay_alu instid0(VALU_DEP_2)
	v_cndmask_b32_e32 v3, 0x7f800001, v2, vcc_lo
; %bb.4185:                             ;   in Loop: Header=BB6_3989 Depth=3
	s_or_b32 exec_lo, exec_lo, s77
.LBB6_4186:                             ;   in Loop: Header=BB6_3989 Depth=3
	s_delay_alu instid0(SALU_CYCLE_1)
	s_or_b32 exec_lo, exec_lo, s76
.LBB6_4187:                             ;   in Loop: Header=BB6_3989 Depth=3
	s_delay_alu instid0(SALU_CYCLE_1) | instskip(NEXT) | instid1(VALU_DEP_1)
	s_or_b32 exec_lo, exec_lo, s14
	v_dual_mul_f32 v4, s75, v3 :: v_dual_mov_b32 v7, v113
	v_mov_b32_e32 v3, v113
                                        ; implicit-def: $vgpr24
	s_mov_b32 s14, exec_lo
	s_delay_alu instid0(VALU_DEP_2) | instskip(SKIP_2) | instid1(VALU_DEP_3)
	v_and_b32_e32 v6, 0x7f800000, v4
	v_and_b32_e32 v2, 0x7fffff, v4
	v_lshrrev_b32_e32 v5, 24, v4
	v_cmpx_ne_u64_e32 0x7f800000, v[6:7]
	s_xor_b32 s76, exec_lo, s14
	s_cbranch_execz .LBB6_4201
; %bb.4188:                             ;   in Loop: Header=BB6_3989 Depth=3
	v_and_b32_e32 v6, 0x7fffffff, v4
	v_mov_b32_e32 v7, v113
                                        ; implicit-def: $vgpr24
	s_delay_alu instid0(VALU_DEP_1) | instskip(SKIP_2) | instid1(SALU_CYCLE_1)
	v_cmp_gt_u64_e32 vcc_lo, 0x47600001, v[6:7]
	v_and_b32_e32 v6, 0x80, v5
	s_and_saveexec_b32 s14, vcc_lo
	s_xor_b32 s77, exec_lo, s14
	s_cbranch_execz .LBB6_4198
; %bb.4189:                             ;   in Loop: Header=BB6_3989 Depth=3
	v_mov_b32_e32 v24, 0
	s_mov_b32 s78, exec_lo
	v_cmpx_ne_u32_e32 0, v4
	s_cbranch_execz .LBB6_4197
; %bb.4190:                             ;   in Loop: Header=BB6_3989 Depth=3
	v_bfe_u32 v7, v4, 23, 8
	v_or_b32_e32 v25, 0x800000, v2
	s_delay_alu instid0(VALU_DEP_2) | instskip(SKIP_1) | instid1(VALU_DEP_2)
	v_sub_nc_u32_e32 v4, 0x71, v7
	v_cmp_gt_u32_e32 vcc_lo, 0x72, v7
	v_cndmask_b32_e32 v4, 0, v4, vcc_lo
	v_cmp_eq_u32_e32 vcc_lo, 0, v7
	v_cndmask_b32_e32 v2, v25, v2, vcc_lo
	s_delay_alu instid0(VALU_DEP_3) | instskip(NEXT) | instid1(VALU_DEP_1)
	v_cndmask_b32_e64 v24, v4, 0x70, vcc_lo
	v_dual_add_nc_u32 v4, 21, v24 :: v_dual_add_nc_u32 v26, 20, v24
	s_delay_alu instid0(VALU_DEP_1) | instskip(NEXT) | instid1(VALU_DEP_2)
	v_lshlrev_b64_e64 v[4:5], v4, -1
	v_lshlrev_b64_e64 v[26:27], v26, 1
	s_delay_alu instid0(VALU_DEP_2) | instskip(SKIP_1) | instid1(VALU_DEP_4)
	v_bfi_b32 v4, v4, 0, v2
	v_lshrrev_b64 v[2:3], v24, v[2:3]
	v_bfi_b32 v5, v5, 0, 0
	s_delay_alu instid0(VALU_DEP_1) | instskip(NEXT) | instid1(VALU_DEP_3)
	v_cmp_eq_u64_e64 s14, v[4:5], v[26:27]
	v_mov_b64_e32 v[4:5], v[2:3]
	s_and_saveexec_b32 s79, s14
; %bb.4191:                             ;   in Loop: Header=BB6_3989 Depth=3
	v_bfe_u32 v4, v2, 21, 1
	v_mov_b32_e32 v5, v113
	s_delay_alu instid0(VALU_DEP_1) | instskip(NEXT) | instid1(VALU_DEP_1)
	v_add_nc_u64_e32 v[4:5], v[2:3], v[4:5]
	v_add_nc_u64_e32 v[4:5], -1, v[4:5]
; %bb.4192:                             ;   in Loop: Header=BB6_3989 Depth=3
	s_or_b32 exec_lo, exec_lo, s79
	v_add_nc_u32_e32 v3, 0xffffff81, v7
	v_lshrrev_b32_e32 v5, 23, v2
	s_mov_b32 s14, exec_lo
	s_delay_alu instid0(VALU_DEP_2) | instskip(NEXT) | instid1(VALU_DEP_1)
	v_cndmask_b32_e64 v3, v3, 0xffffff82, vcc_lo
	v_add3_u32 v5, v24, v3, v5
	v_and_b32_e32 v3, 0x1fffff, v4
                                        ; implicit-def: $vgpr4
	s_delay_alu instid0(VALU_DEP_1) | instskip(SKIP_1) | instid1(VALU_DEP_2)
	v_dual_add_nc_u32 v7, 14, v5 :: v_dual_add_nc_u32 v2, v3, v2
	v_mov_b32_e32 v3, v113
	v_cmpx_ne_u32_e32 0, v7
	s_xor_b32 s14, exec_lo, s14
; %bb.4193:                             ;   in Loop: Header=BB6_3989 Depth=3
	s_delay_alu instid0(VALU_DEP_2) | instskip(SKIP_2) | instid1(VALU_DEP_2)
	v_cmp_lt_u64_e32 vcc_lo, 0xffffff, v[2:3]
	v_add_nc_u32_e32 v4, 15, v5
	v_cndmask_b32_e64 v5, 0, 1, vcc_lo
	v_cndmask_b32_e32 v4, v7, v4, vcc_lo
	s_delay_alu instid0(VALU_DEP_2)
	v_lshrrev_b64 v[2:3], v5, v[2:3]
; %bb.4194:                             ;   in Loop: Header=BB6_3989 Depth=3
	s_and_not1_saveexec_b32 s14, s14
; %bb.4195:                             ;   in Loop: Header=BB6_3989 Depth=3
	s_delay_alu instid0(VALU_DEP_1)
	v_bfe_u32 v4, v2, 23, 1
; %bb.4196:                             ;   in Loop: Header=BB6_3989 Depth=3
	s_or_b32 exec_lo, exec_lo, s14
	s_delay_alu instid0(VALU_DEP_2) | instskip(NEXT) | instid1(VALU_DEP_2)
	v_lshrrev_b64 v[2:3], 21, v[2:3]
	v_cmp_gt_i32_e32 vcc_lo, 32, v4
	v_min_i32_e32 v5, 31, v4
	v_cmp_eq_u32_e64 s14, 0, v4
	s_delay_alu instid0(VALU_DEP_2) | instskip(SKIP_1) | instid1(VALU_DEP_2)
	v_dual_cndmask_b32 v3, 0, v3, vcc_lo :: v_dual_lshlrev_b32 v5, 2, v5
	v_cndmask_b32_e32 v2, 3, v2, vcc_lo
	v_and_b32_e32 v5, 0xfc, v5
	s_delay_alu instid0(VALU_DEP_2) | instskip(NEXT) | instid1(VALU_DEP_2)
	v_cmp_eq_u64_e32 vcc_lo, 0, v[2:3]
	v_and_or_b32 v2, v2, 3, v5
	s_and_b32 s14, s14, vcc_lo
	s_delay_alu instid0(VALU_DEP_1) | instid1(SALU_CYCLE_1)
	v_cndmask_b32_e64 v2, v2, 0, s14
	s_delay_alu instid0(VALU_DEP_1)
	v_or_b32_e32 v24, v2, v6
.LBB6_4197:                             ;   in Loop: Header=BB6_3989 Depth=3
	s_or_b32 exec_lo, exec_lo, s78
                                        ; implicit-def: $vgpr6
.LBB6_4198:                             ;   in Loop: Header=BB6_3989 Depth=3
	s_and_not1_saveexec_b32 s14, s77
; %bb.4199:                             ;   in Loop: Header=BB6_3989 Depth=3
	v_or_b32_e32 v24, 0x7b, v6
; %bb.4200:                             ;   in Loop: Header=BB6_3989 Depth=3
	s_or_b32 exec_lo, exec_lo, s14
                                        ; implicit-def: $vgpr4
                                        ; implicit-def: $vgpr2_vgpr3
                                        ; implicit-def: $vgpr5
.LBB6_4201:                             ;   in Loop: Header=BB6_3989 Depth=3
	s_and_not1_saveexec_b32 s14, s76
	s_cbranch_execz .LBB6_4207
; %bb.4202:                             ;   in Loop: Header=BB6_3989 Depth=3
	s_mov_b32 s76, exec_lo
                                        ; implicit-def: $vgpr24
	v_cmpx_ne_u64_e32 0, v[2:3]
	s_xor_b32 s76, exec_lo, s76
; %bb.4203:                             ;   in Loop: Header=BB6_3989 Depth=3
	v_or_b32_e32 v24, 0x7f, v5
                                        ; implicit-def: $vgpr4
; %bb.4204:                             ;   in Loop: Header=BB6_3989 Depth=3
	s_and_not1_saveexec_b32 s76, s76
; %bb.4205:                             ;   in Loop: Header=BB6_3989 Depth=3
	v_cmp_lt_i32_e32 vcc_lo, -1, v4
	v_mov_b32_e32 v2, 0x7c
	s_delay_alu instid0(VALU_DEP_1)
	v_cndmask_b32_e32 v24, 0xfc, v2, vcc_lo
; %bb.4206:                             ;   in Loop: Header=BB6_3989 Depth=3
	s_or_b32 exec_lo, exec_lo, s76
.LBB6_4207:                             ;   in Loop: Header=BB6_3989 Depth=3
	s_delay_alu instid0(SALU_CYCLE_1)
	s_or_b32 exec_lo, exec_lo, s14
	v_mov_b32_e32 v3, 0
	s_mov_b32 s14, exec_lo
	v_cmpx_lt_u64_e64 s[22:23], v[8:9]
	s_cbranch_execz .LBB6_4217
; %bb.4208:                             ;   in Loop: Header=BB6_3989 Depth=3
	v_lshrrev_b32_e32 v2, 24, v9
	v_bfrev_b32_e32 v3, 1
	s_mov_b32 s76, exec_lo
	s_delay_alu instid0(VALU_DEP_2)
	v_cmpx_ne_u32_e32 0x80, v2
	s_cbranch_execz .LBB6_4216
; %bb.4209:                             ;   in Loop: Header=BB6_3989 Depth=3
	v_and_b32_e32 v3, 0x7c000000, v9
	v_bfe_u32 v4, v9, 24, 2
	s_delay_alu instid0(VALU_DEP_2) | instskip(SKIP_1) | instid1(SALU_CYCLE_1)
	v_cmp_ne_u32_e32 vcc_lo, 0x7c000000, v3
                                        ; implicit-def: $vgpr3
	s_and_saveexec_b32 s77, vcc_lo
	s_xor_b32 s77, exec_lo, s77
	s_cbranch_execz .LBB6_4213
; %bb.4210:                             ;   in Loop: Header=BB6_3989 Depth=3
	v_bfe_u32 v3, v9, 26, 5
	s_mov_b32 s78, exec_lo
	s_delay_alu instid0(VALU_DEP_1)
	v_cmpx_eq_u32_e32 0, v3
; %bb.4211:                             ;   in Loop: Header=BB6_3989 Depth=3
	v_clz_i32_u32_e32 v3, v4
	s_delay_alu instid0(VALU_DEP_1) | instskip(NEXT) | instid1(VALU_DEP_1)
	v_min_u32_e32 v4, 32, v3
	v_subrev_nc_u32_e32 v3, 29, v4
	s_delay_alu instid0(VALU_DEP_1) | instskip(NEXT) | instid1(VALU_DEP_1)
	v_lshlrev_b64_e32 v[2:3], v3, v[2:3]
	v_dual_sub_nc_u32 v3, 30, v4 :: v_dual_bitop2_b32 v4, 3, v2 bitop3:0x40
; %bb.4212:                             ;   in Loop: Header=BB6_3989 Depth=3
	s_or_b32 exec_lo, exec_lo, s78
	v_and_b32_e32 v2, 0x80000000, v9
	s_delay_alu instid0(VALU_DEP_1) | instskip(NEXT) | instid1(VALU_DEP_1)
	v_lshl_add_u32 v2, v3, 23, v2
	v_lshl_or_b32 v2, v4, 21, v2
                                        ; implicit-def: $vgpr4
	s_delay_alu instid0(VALU_DEP_1)
	v_add_nc_u32_e32 v3, 0x38000000, v2
.LBB6_4213:                             ;   in Loop: Header=BB6_3989 Depth=3
	s_and_not1_saveexec_b32 s77, s77
; %bb.4214:                             ;   in Loop: Header=BB6_3989 Depth=3
	v_cmp_lt_i64_e32 vcc_lo, -1, v[8:9]
	v_mov_b32_e32 v2, 0x7f800000
	s_delay_alu instid0(VALU_DEP_1) | instskip(SKIP_1) | instid1(VALU_DEP_2)
	v_cndmask_b32_e32 v2, 0xff800000, v2, vcc_lo
	v_cmp_eq_u32_e32 vcc_lo, 0, v4
	v_cndmask_b32_e32 v3, 0x7f800001, v2, vcc_lo
; %bb.4215:                             ;   in Loop: Header=BB6_3989 Depth=3
	s_or_b32 exec_lo, exec_lo, s77
.LBB6_4216:                             ;   in Loop: Header=BB6_3989 Depth=3
	s_delay_alu instid0(SALU_CYCLE_1)
	s_or_b32 exec_lo, exec_lo, s76
.LBB6_4217:                             ;   in Loop: Header=BB6_3989 Depth=3
	s_delay_alu instid0(SALU_CYCLE_1) | instskip(NEXT) | instid1(VALU_DEP_1)
	s_or_b32 exec_lo, exec_lo, s14
	v_dual_mul_f32 v4, s75, v3 :: v_dual_mov_b32 v7, v113
	v_mov_b32_e32 v3, v113
                                        ; implicit-def: $vgpr8
	s_mov_b32 s14, exec_lo
	s_delay_alu instid0(VALU_DEP_2) | instskip(SKIP_2) | instid1(VALU_DEP_3)
	v_and_b32_e32 v6, 0x7f800000, v4
	v_and_b32_e32 v2, 0x7fffff, v4
	v_lshrrev_b32_e32 v5, 24, v4
	v_cmpx_ne_u64_e32 0x7f800000, v[6:7]
	s_xor_b32 s76, exec_lo, s14
	s_cbranch_execz .LBB6_4231
; %bb.4218:                             ;   in Loop: Header=BB6_3989 Depth=3
	v_and_b32_e32 v6, 0x7fffffff, v4
	v_mov_b32_e32 v7, v113
                                        ; implicit-def: $vgpr8
	s_delay_alu instid0(VALU_DEP_1) | instskip(SKIP_2) | instid1(SALU_CYCLE_1)
	v_cmp_gt_u64_e32 vcc_lo, 0x47600001, v[6:7]
	v_and_b32_e32 v6, 0x80, v5
	s_and_saveexec_b32 s14, vcc_lo
	s_xor_b32 s77, exec_lo, s14
	s_cbranch_execz .LBB6_4228
; %bb.4219:                             ;   in Loop: Header=BB6_3989 Depth=3
	v_mov_b32_e32 v8, 0
	s_mov_b32 s78, exec_lo
	v_cmpx_ne_u32_e32 0, v4
	s_cbranch_execz .LBB6_4227
; %bb.4220:                             ;   in Loop: Header=BB6_3989 Depth=3
	v_bfe_u32 v7, v4, 23, 8
	v_or_b32_e32 v9, 0x800000, v2
	s_delay_alu instid0(VALU_DEP_2) | instskip(SKIP_1) | instid1(VALU_DEP_2)
	v_sub_nc_u32_e32 v4, 0x71, v7
	v_cmp_gt_u32_e32 vcc_lo, 0x72, v7
	v_cndmask_b32_e32 v4, 0, v4, vcc_lo
	v_cmp_eq_u32_e32 vcc_lo, 0, v7
	v_cndmask_b32_e32 v2, v9, v2, vcc_lo
	s_delay_alu instid0(VALU_DEP_3) | instskip(NEXT) | instid1(VALU_DEP_1)
	v_cndmask_b32_e64 v8, v4, 0x70, vcc_lo
	v_dual_add_nc_u32 v4, 21, v8 :: v_dual_add_nc_u32 v25, 20, v8
	s_delay_alu instid0(VALU_DEP_1) | instskip(NEXT) | instid1(VALU_DEP_2)
	v_lshlrev_b64_e64 v[4:5], v4, -1
	v_lshlrev_b64_e64 v[26:27], v25, 1
	s_delay_alu instid0(VALU_DEP_2) | instskip(SKIP_1) | instid1(VALU_DEP_4)
	v_bfi_b32 v4, v4, 0, v2
	v_lshrrev_b64 v[2:3], v8, v[2:3]
	v_bfi_b32 v5, v5, 0, 0
	s_delay_alu instid0(VALU_DEP_1) | instskip(NEXT) | instid1(VALU_DEP_3)
	v_cmp_eq_u64_e64 s14, v[4:5], v[26:27]
	v_mov_b64_e32 v[4:5], v[2:3]
	s_and_saveexec_b32 s79, s14
; %bb.4221:                             ;   in Loop: Header=BB6_3989 Depth=3
	v_bfe_u32 v4, v2, 21, 1
	v_mov_b32_e32 v5, v113
	s_delay_alu instid0(VALU_DEP_1) | instskip(NEXT) | instid1(VALU_DEP_1)
	v_add_nc_u64_e32 v[4:5], v[2:3], v[4:5]
	v_add_nc_u64_e32 v[4:5], -1, v[4:5]
; %bb.4222:                             ;   in Loop: Header=BB6_3989 Depth=3
	s_or_b32 exec_lo, exec_lo, s79
	v_add_nc_u32_e32 v3, 0xffffff81, v7
	v_lshrrev_b32_e32 v5, 23, v2
	s_mov_b32 s14, exec_lo
	s_delay_alu instid0(VALU_DEP_2) | instskip(NEXT) | instid1(VALU_DEP_1)
	v_cndmask_b32_e64 v3, v3, 0xffffff82, vcc_lo
	v_add3_u32 v5, v8, v3, v5
	v_and_b32_e32 v3, 0x1fffff, v4
                                        ; implicit-def: $vgpr4
	s_delay_alu instid0(VALU_DEP_1) | instskip(SKIP_1) | instid1(VALU_DEP_2)
	v_dual_add_nc_u32 v7, 14, v5 :: v_dual_add_nc_u32 v2, v3, v2
	v_mov_b32_e32 v3, v113
	v_cmpx_ne_u32_e32 0, v7
	s_xor_b32 s14, exec_lo, s14
; %bb.4223:                             ;   in Loop: Header=BB6_3989 Depth=3
	s_delay_alu instid0(VALU_DEP_2) | instskip(SKIP_2) | instid1(VALU_DEP_2)
	v_cmp_lt_u64_e32 vcc_lo, 0xffffff, v[2:3]
	v_add_nc_u32_e32 v4, 15, v5
	v_cndmask_b32_e64 v5, 0, 1, vcc_lo
	v_cndmask_b32_e32 v4, v7, v4, vcc_lo
	s_delay_alu instid0(VALU_DEP_2)
	v_lshrrev_b64 v[2:3], v5, v[2:3]
; %bb.4224:                             ;   in Loop: Header=BB6_3989 Depth=3
	s_and_not1_saveexec_b32 s14, s14
; %bb.4225:                             ;   in Loop: Header=BB6_3989 Depth=3
	s_delay_alu instid0(VALU_DEP_1)
	v_bfe_u32 v4, v2, 23, 1
; %bb.4226:                             ;   in Loop: Header=BB6_3989 Depth=3
	s_or_b32 exec_lo, exec_lo, s14
	s_delay_alu instid0(VALU_DEP_2) | instskip(NEXT) | instid1(VALU_DEP_2)
	v_lshrrev_b64 v[2:3], 21, v[2:3]
	v_cmp_gt_i32_e32 vcc_lo, 32, v4
	v_min_i32_e32 v5, 31, v4
	v_cmp_eq_u32_e64 s14, 0, v4
	s_delay_alu instid0(VALU_DEP_2) | instskip(SKIP_1) | instid1(VALU_DEP_2)
	v_dual_cndmask_b32 v3, 0, v3, vcc_lo :: v_dual_lshlrev_b32 v5, 2, v5
	v_cndmask_b32_e32 v2, 3, v2, vcc_lo
	v_and_b32_e32 v5, 0xfc, v5
	s_delay_alu instid0(VALU_DEP_2) | instskip(NEXT) | instid1(VALU_DEP_2)
	v_cmp_eq_u64_e32 vcc_lo, 0, v[2:3]
	v_and_or_b32 v2, v2, 3, v5
	s_and_b32 s14, s14, vcc_lo
	s_delay_alu instid0(VALU_DEP_1) | instid1(SALU_CYCLE_1)
	v_cndmask_b32_e64 v2, v2, 0, s14
	s_delay_alu instid0(VALU_DEP_1)
	v_or_b32_e32 v8, v2, v6
.LBB6_4227:                             ;   in Loop: Header=BB6_3989 Depth=3
	s_or_b32 exec_lo, exec_lo, s78
                                        ; implicit-def: $vgpr6
.LBB6_4228:                             ;   in Loop: Header=BB6_3989 Depth=3
	s_and_not1_saveexec_b32 s14, s77
; %bb.4229:                             ;   in Loop: Header=BB6_3989 Depth=3
	v_or_b32_e32 v8, 0x7b, v6
; %bb.4230:                             ;   in Loop: Header=BB6_3989 Depth=3
	s_or_b32 exec_lo, exec_lo, s14
                                        ; implicit-def: $vgpr4
                                        ; implicit-def: $vgpr2_vgpr3
                                        ; implicit-def: $vgpr5
.LBB6_4231:                             ;   in Loop: Header=BB6_3989 Depth=3
	s_and_not1_saveexec_b32 s14, s76
	s_cbranch_execz .LBB6_4237
; %bb.4232:                             ;   in Loop: Header=BB6_3989 Depth=3
	s_mov_b32 s76, exec_lo
                                        ; implicit-def: $vgpr8
	v_cmpx_ne_u64_e32 0, v[2:3]
	s_xor_b32 s76, exec_lo, s76
; %bb.4233:                             ;   in Loop: Header=BB6_3989 Depth=3
	v_or_b32_e32 v8, 0x7f, v5
                                        ; implicit-def: $vgpr4
; %bb.4234:                             ;   in Loop: Header=BB6_3989 Depth=3
	s_and_not1_saveexec_b32 s76, s76
; %bb.4235:                             ;   in Loop: Header=BB6_3989 Depth=3
	v_cmp_lt_i32_e32 vcc_lo, -1, v4
	v_mov_b32_e32 v2, 0x7c
	s_delay_alu instid0(VALU_DEP_1)
	v_cndmask_b32_e32 v8, 0xfc, v2, vcc_lo
; %bb.4236:                             ;   in Loop: Header=BB6_3989 Depth=3
	s_or_b32 exec_lo, exec_lo, s76
.LBB6_4237:                             ;   in Loop: Header=BB6_3989 Depth=3
	s_delay_alu instid0(SALU_CYCLE_1) | instskip(SKIP_1) | instid1(VALU_DEP_1)
	s_or_b32 exec_lo, exec_lo, s14
	v_and_b32_e32 v2, 0xff, v10
	v_cmp_ne_u16_e32 vcc_lo, 0, v2
	v_mov_b32_e32 v2, 0
	s_and_saveexec_b32 s14, vcc_lo
	s_cbranch_execz .LBB6_4247
; %bb.4238:                             ;   in Loop: Header=BB6_3989 Depth=3
	v_bfe_i32 v4, v10, 0, 8
	v_bfrev_b32_e32 v2, 1
	s_mov_b32 s76, exec_lo
	s_delay_alu instid0(VALU_DEP_2)
	v_cmpx_ne_u16_e32 0xff80, v4
	s_cbranch_execz .LBB6_4246
; %bb.4239:                             ;   in Loop: Header=BB6_3989 Depth=3
	v_and_b32_e32 v2, 0x7c, v10
	v_and_b32_e32 v3, 3, v10
	s_delay_alu instid0(VALU_DEP_2) | instskip(SKIP_1) | instid1(SALU_CYCLE_1)
	v_cmp_ne_u32_e32 vcc_lo, 0x7c, v2
                                        ; implicit-def: $vgpr2
	s_and_saveexec_b32 s77, vcc_lo
	s_xor_b32 s77, exec_lo, s77
	s_cbranch_execz .LBB6_4243
; %bb.4240:                             ;   in Loop: Header=BB6_3989 Depth=3
	v_bfe_u32 v2, v10, 2, 5
	s_mov_b32 s78, exec_lo
	s_delay_alu instid0(VALU_DEP_1)
	v_cmpx_eq_u32_e32 0, v2
; %bb.4241:                             ;   in Loop: Header=BB6_3989 Depth=3
	v_clz_i32_u32_e32 v2, v3
	s_delay_alu instid0(VALU_DEP_1) | instskip(NEXT) | instid1(VALU_DEP_1)
	v_min_u32_e32 v2, 32, v2
	v_subrev_nc_u32_e32 v3, 29, v2
	s_delay_alu instid0(VALU_DEP_1) | instskip(NEXT) | instid1(VALU_DEP_1)
	v_lshlrev_b64_e32 v[4:5], v3, v[10:11]
	v_dual_sub_nc_u32 v2, 30, v2 :: v_dual_bitop2_b32 v3, 3, v4 bitop3:0x40
; %bb.4242:                             ;   in Loop: Header=BB6_3989 Depth=3
	s_or_b32 exec_lo, exec_lo, s78
	v_lshlrev_b32_e32 v4, 24, v10
	s_delay_alu instid0(VALU_DEP_1) | instskip(NEXT) | instid1(VALU_DEP_1)
	v_and_b32_e32 v4, 0x80000000, v4
	v_lshl_add_u32 v2, v2, 23, v4
                                        ; implicit-def: $vgpr4
	s_delay_alu instid0(VALU_DEP_1) | instskip(NEXT) | instid1(VALU_DEP_1)
	v_lshl_or_b32 v2, v3, 21, v2
                                        ; implicit-def: $vgpr3
	v_add_nc_u32_e32 v2, 0x38000000, v2
.LBB6_4243:                             ;   in Loop: Header=BB6_3989 Depth=3
	s_and_not1_saveexec_b32 s77, s77
; %bb.4244:                             ;   in Loop: Header=BB6_3989 Depth=3
	v_cmp_lt_i16_e32 vcc_lo, -1, v4
	v_mov_b32_e32 v2, 0x7f800000
	s_delay_alu instid0(VALU_DEP_1) | instskip(SKIP_1) | instid1(VALU_DEP_2)
	v_cndmask_b32_e32 v2, 0xff800000, v2, vcc_lo
	v_cmp_eq_u32_e32 vcc_lo, 0, v3
	v_cndmask_b32_e32 v2, 0x7f800001, v2, vcc_lo
; %bb.4245:                             ;   in Loop: Header=BB6_3989 Depth=3
	s_or_b32 exec_lo, exec_lo, s77
.LBB6_4246:                             ;   in Loop: Header=BB6_3989 Depth=3
	s_delay_alu instid0(SALU_CYCLE_1)
	s_or_b32 exec_lo, exec_lo, s76
.LBB6_4247:                             ;   in Loop: Header=BB6_3989 Depth=3
	s_delay_alu instid0(SALU_CYCLE_1) | instskip(NEXT) | instid1(VALU_DEP_1)
	s_or_b32 exec_lo, exec_lo, s14
	v_dual_mul_f32 v4, s75, v2 :: v_dual_mov_b32 v7, v113
	v_mov_b32_e32 v3, v113
                                        ; implicit-def: $vgpr9
	s_mov_b32 s14, exec_lo
	s_delay_alu instid0(VALU_DEP_2) | instskip(SKIP_2) | instid1(VALU_DEP_3)
	v_and_b32_e32 v6, 0x7f800000, v4
	v_and_b32_e32 v2, 0x7fffff, v4
	v_lshrrev_b32_e32 v5, 24, v4
	v_cmpx_ne_u64_e32 0x7f800000, v[6:7]
	s_xor_b32 s76, exec_lo, s14
	s_cbranch_execz .LBB6_4261
; %bb.4248:                             ;   in Loop: Header=BB6_3989 Depth=3
	v_and_b32_e32 v6, 0x7fffffff, v4
	v_mov_b32_e32 v7, v113
                                        ; implicit-def: $vgpr9
	s_delay_alu instid0(VALU_DEP_1) | instskip(SKIP_2) | instid1(SALU_CYCLE_1)
	v_cmp_gt_u64_e32 vcc_lo, 0x47600001, v[6:7]
	v_and_b32_e32 v6, 0x80, v5
	s_and_saveexec_b32 s14, vcc_lo
	s_xor_b32 s77, exec_lo, s14
	s_cbranch_execz .LBB6_4258
; %bb.4249:                             ;   in Loop: Header=BB6_3989 Depth=3
	v_mov_b32_e32 v9, 0
	s_mov_b32 s78, exec_lo
	v_cmpx_ne_u32_e32 0, v4
	s_cbranch_execz .LBB6_4257
; %bb.4250:                             ;   in Loop: Header=BB6_3989 Depth=3
	v_bfe_u32 v7, v4, 23, 8
	v_or_b32_e32 v25, 0x800000, v2
	s_delay_alu instid0(VALU_DEP_2) | instskip(SKIP_1) | instid1(VALU_DEP_2)
	v_sub_nc_u32_e32 v4, 0x71, v7
	v_cmp_gt_u32_e32 vcc_lo, 0x72, v7
	v_cndmask_b32_e32 v4, 0, v4, vcc_lo
	v_cmp_eq_u32_e32 vcc_lo, 0, v7
	s_delay_alu instid0(VALU_DEP_2) | instskip(NEXT) | instid1(VALU_DEP_1)
	v_cndmask_b32_e64 v9, v4, 0x70, vcc_lo
	v_dual_cndmask_b32 v2, v25, v2, vcc_lo :: v_dual_add_nc_u32 v4, 21, v9
	v_add_nc_u32_e32 v26, 20, v9
	s_delay_alu instid0(VALU_DEP_2) | instskip(NEXT) | instid1(VALU_DEP_2)
	v_lshlrev_b64_e64 v[4:5], v4, -1
	v_lshlrev_b64_e64 v[26:27], v26, 1
	s_delay_alu instid0(VALU_DEP_2) | instskip(SKIP_1) | instid1(VALU_DEP_4)
	v_bfi_b32 v4, v4, 0, v2
	v_lshrrev_b64 v[2:3], v9, v[2:3]
	v_bfi_b32 v5, v5, 0, 0
	s_delay_alu instid0(VALU_DEP_1) | instskip(NEXT) | instid1(VALU_DEP_3)
	v_cmp_eq_u64_e64 s14, v[4:5], v[26:27]
	v_mov_b64_e32 v[4:5], v[2:3]
	s_and_saveexec_b32 s79, s14
; %bb.4251:                             ;   in Loop: Header=BB6_3989 Depth=3
	v_bfe_u32 v4, v2, 21, 1
	v_mov_b32_e32 v5, v113
	s_delay_alu instid0(VALU_DEP_1) | instskip(NEXT) | instid1(VALU_DEP_1)
	v_add_nc_u64_e32 v[4:5], v[2:3], v[4:5]
	v_add_nc_u64_e32 v[4:5], -1, v[4:5]
; %bb.4252:                             ;   in Loop: Header=BB6_3989 Depth=3
	s_or_b32 exec_lo, exec_lo, s79
	v_add_nc_u32_e32 v3, 0xffffff81, v7
	v_lshrrev_b32_e32 v5, 23, v2
	s_mov_b32 s14, exec_lo
	s_delay_alu instid0(VALU_DEP_2) | instskip(NEXT) | instid1(VALU_DEP_1)
	v_cndmask_b32_e64 v3, v3, 0xffffff82, vcc_lo
	v_add3_u32 v5, v9, v3, v5
	v_and_b32_e32 v3, 0x1fffff, v4
                                        ; implicit-def: $vgpr4
	s_delay_alu instid0(VALU_DEP_1) | instskip(SKIP_1) | instid1(VALU_DEP_2)
	v_dual_add_nc_u32 v7, 14, v5 :: v_dual_add_nc_u32 v2, v3, v2
	v_mov_b32_e32 v3, v113
	v_cmpx_ne_u32_e32 0, v7
	s_xor_b32 s14, exec_lo, s14
; %bb.4253:                             ;   in Loop: Header=BB6_3989 Depth=3
	s_delay_alu instid0(VALU_DEP_2) | instskip(SKIP_2) | instid1(VALU_DEP_2)
	v_cmp_lt_u64_e32 vcc_lo, 0xffffff, v[2:3]
	v_add_nc_u32_e32 v4, 15, v5
	v_cndmask_b32_e64 v5, 0, 1, vcc_lo
	v_cndmask_b32_e32 v4, v7, v4, vcc_lo
	s_delay_alu instid0(VALU_DEP_2)
	v_lshrrev_b64 v[2:3], v5, v[2:3]
; %bb.4254:                             ;   in Loop: Header=BB6_3989 Depth=3
	s_and_not1_saveexec_b32 s14, s14
; %bb.4255:                             ;   in Loop: Header=BB6_3989 Depth=3
	s_delay_alu instid0(VALU_DEP_1)
	v_bfe_u32 v4, v2, 23, 1
; %bb.4256:                             ;   in Loop: Header=BB6_3989 Depth=3
	s_or_b32 exec_lo, exec_lo, s14
	s_delay_alu instid0(VALU_DEP_2) | instskip(NEXT) | instid1(VALU_DEP_2)
	v_lshrrev_b64 v[2:3], 21, v[2:3]
	v_cmp_gt_i32_e32 vcc_lo, 32, v4
	v_min_i32_e32 v5, 31, v4
	v_cmp_eq_u32_e64 s14, 0, v4
	s_delay_alu instid0(VALU_DEP_2) | instskip(SKIP_1) | instid1(VALU_DEP_2)
	v_dual_cndmask_b32 v3, 0, v3, vcc_lo :: v_dual_lshlrev_b32 v5, 2, v5
	v_cndmask_b32_e32 v2, 3, v2, vcc_lo
	v_and_b32_e32 v5, 0xfc, v5
	s_delay_alu instid0(VALU_DEP_2) | instskip(NEXT) | instid1(VALU_DEP_2)
	v_cmp_eq_u64_e32 vcc_lo, 0, v[2:3]
	v_and_or_b32 v2, v2, 3, v5
	s_and_b32 s14, s14, vcc_lo
	s_delay_alu instid0(VALU_DEP_1) | instid1(SALU_CYCLE_1)
	v_cndmask_b32_e64 v2, v2, 0, s14
	s_delay_alu instid0(VALU_DEP_1)
	v_or_b32_e32 v9, v2, v6
.LBB6_4257:                             ;   in Loop: Header=BB6_3989 Depth=3
	s_or_b32 exec_lo, exec_lo, s78
                                        ; implicit-def: $vgpr6
.LBB6_4258:                             ;   in Loop: Header=BB6_3989 Depth=3
	s_and_not1_saveexec_b32 s14, s77
; %bb.4259:                             ;   in Loop: Header=BB6_3989 Depth=3
	v_or_b32_e32 v9, 0x7b, v6
; %bb.4260:                             ;   in Loop: Header=BB6_3989 Depth=3
	s_or_b32 exec_lo, exec_lo, s14
                                        ; implicit-def: $vgpr4
                                        ; implicit-def: $vgpr2_vgpr3
                                        ; implicit-def: $vgpr5
.LBB6_4261:                             ;   in Loop: Header=BB6_3989 Depth=3
	s_and_not1_saveexec_b32 s14, s76
	s_cbranch_execz .LBB6_4267
; %bb.4262:                             ;   in Loop: Header=BB6_3989 Depth=3
	s_mov_b32 s76, exec_lo
                                        ; implicit-def: $vgpr9
	v_cmpx_ne_u64_e32 0, v[2:3]
	s_xor_b32 s76, exec_lo, s76
; %bb.4263:                             ;   in Loop: Header=BB6_3989 Depth=3
	v_or_b32_e32 v9, 0x7f, v5
                                        ; implicit-def: $vgpr4
; %bb.4264:                             ;   in Loop: Header=BB6_3989 Depth=3
	s_and_not1_saveexec_b32 s76, s76
; %bb.4265:                             ;   in Loop: Header=BB6_3989 Depth=3
	v_cmp_lt_i32_e32 vcc_lo, -1, v4
	v_mov_b32_e32 v2, 0x7c
	s_delay_alu instid0(VALU_DEP_1)
	v_cndmask_b32_e32 v9, 0xfc, v2, vcc_lo
; %bb.4266:                             ;   in Loop: Header=BB6_3989 Depth=3
	s_or_b32 exec_lo, exec_lo, s76
.LBB6_4267:                             ;   in Loop: Header=BB6_3989 Depth=3
	s_delay_alu instid0(SALU_CYCLE_1) | instskip(SKIP_3) | instid1(VALU_DEP_2)
	s_or_b32 exec_lo, exec_lo, s14
	v_lshrrev_b16 v2, 8, v10
	v_mov_b32_e32 v4, 0
	s_mov_b32 s14, exec_lo
	v_cmpx_ne_u16_e32 0, v2
	s_cbranch_execz .LBB6_4277
; %bb.4268:                             ;   in Loop: Header=BB6_3989 Depth=3
	v_bfrev_b32_e32 v4, 1
	s_mov_b32 s76, exec_lo
	v_cmpx_ne_u16_e32 0x80, v2
	s_cbranch_execz .LBB6_4276
; %bb.4269:                             ;   in Loop: Header=BB6_3989 Depth=3
	v_and_b32_e32 v5, 0xffff, v2
	s_delay_alu instid0(VALU_DEP_1) | instskip(SKIP_1) | instid1(VALU_DEP_2)
	v_and_b32_e32 v4, 0x7c, v5
	v_and_b32_e32 v3, 3, v5
	v_cmp_ne_u32_e32 vcc_lo, 0x7c, v4
                                        ; implicit-def: $vgpr4
	s_and_saveexec_b32 s77, vcc_lo
	s_delay_alu instid0(SALU_CYCLE_1)
	s_xor_b32 s77, exec_lo, s77
	s_cbranch_execz .LBB6_4273
; %bb.4270:                             ;   in Loop: Header=BB6_3989 Depth=3
	v_bfe_u32 v4, v5, 2, 5
	s_mov_b32 s78, exec_lo
	s_delay_alu instid0(VALU_DEP_1)
	v_cmpx_eq_u32_e32 0, v4
	s_cbranch_execz .LBB6_4272
; %bb.4271:                             ;   in Loop: Header=BB6_3989 Depth=3
	v_clz_i32_u32_e32 v3, v3
	s_delay_alu instid0(VALU_DEP_1) | instskip(SKIP_1) | instid1(VALU_DEP_2)
	v_min_u32_e32 v4, 32, v3
	v_mov_b32_e32 v3, v113
	v_subrev_nc_u32_e32 v5, 29, v4
	v_sub_nc_u32_e32 v4, 30, v4
	s_delay_alu instid0(VALU_DEP_2) | instskip(NEXT) | instid1(VALU_DEP_1)
	v_lshlrev_b64_e32 v[2:3], v5, v[2:3]
	v_and_b32_e32 v3, 3, v2
.LBB6_4272:                             ;   in Loop: Header=BB6_3989 Depth=3
	s_or_b32 exec_lo, exec_lo, s78
	v_lshlrev_b32_e32 v2, 16, v10
	s_delay_alu instid0(VALU_DEP_1) | instskip(NEXT) | instid1(VALU_DEP_1)
	v_and_b32_e32 v2, 0x80000000, v2
	v_lshl_add_u32 v2, v4, 23, v2
	s_delay_alu instid0(VALU_DEP_1) | instskip(NEXT) | instid1(VALU_DEP_1)
	v_lshl_or_b32 v2, v3, 21, v2
                                        ; implicit-def: $vgpr3
	v_add_nc_u32_e32 v4, 0x38000000, v2
.LBB6_4273:                             ;   in Loop: Header=BB6_3989 Depth=3
	s_and_not1_saveexec_b32 s77, s77
; %bb.4274:                             ;   in Loop: Header=BB6_3989 Depth=3
	v_cmp_lt_i16_e32 vcc_lo, -1, v10
	v_mov_b32_e32 v2, 0x7f800000
	s_delay_alu instid0(VALU_DEP_1) | instskip(SKIP_1) | instid1(VALU_DEP_2)
	v_cndmask_b32_e32 v2, 0xff800000, v2, vcc_lo
	v_cmp_eq_u32_e32 vcc_lo, 0, v3
	v_cndmask_b32_e32 v4, 0x7f800001, v2, vcc_lo
; %bb.4275:                             ;   in Loop: Header=BB6_3989 Depth=3
	s_or_b32 exec_lo, exec_lo, s77
.LBB6_4276:                             ;   in Loop: Header=BB6_3989 Depth=3
	s_delay_alu instid0(SALU_CYCLE_1)
	s_or_b32 exec_lo, exec_lo, s76
.LBB6_4277:                             ;   in Loop: Header=BB6_3989 Depth=3
	s_delay_alu instid0(SALU_CYCLE_1) | instskip(NEXT) | instid1(VALU_DEP_1)
	s_or_b32 exec_lo, exec_lo, s14
	v_dual_mul_f32 v4, s75, v4 :: v_dual_mov_b32 v7, v113
	v_mov_b32_e32 v3, v113
                                        ; implicit-def: $vgpr25
	s_mov_b32 s14, exec_lo
	s_delay_alu instid0(VALU_DEP_2) | instskip(SKIP_2) | instid1(VALU_DEP_3)
	v_and_b32_e32 v6, 0x7f800000, v4
	v_and_b32_e32 v2, 0x7fffff, v4
	v_lshrrev_b32_e32 v5, 24, v4
	v_cmpx_ne_u64_e32 0x7f800000, v[6:7]
	s_xor_b32 s76, exec_lo, s14
	s_cbranch_execz .LBB6_4291
; %bb.4278:                             ;   in Loop: Header=BB6_3989 Depth=3
	v_and_b32_e32 v6, 0x7fffffff, v4
	v_mov_b32_e32 v7, v113
                                        ; implicit-def: $vgpr25
	s_delay_alu instid0(VALU_DEP_1) | instskip(SKIP_2) | instid1(SALU_CYCLE_1)
	v_cmp_gt_u64_e32 vcc_lo, 0x47600001, v[6:7]
	v_and_b32_e32 v6, 0x80, v5
	s_and_saveexec_b32 s14, vcc_lo
	s_xor_b32 s77, exec_lo, s14
	s_cbranch_execz .LBB6_4288
; %bb.4279:                             ;   in Loop: Header=BB6_3989 Depth=3
	v_mov_b32_e32 v25, 0
	s_mov_b32 s78, exec_lo
	v_cmpx_ne_u32_e32 0, v4
	s_cbranch_execz .LBB6_4287
; %bb.4280:                             ;   in Loop: Header=BB6_3989 Depth=3
	v_bfe_u32 v7, v4, 23, 8
	v_or_b32_e32 v26, 0x800000, v2
	s_delay_alu instid0(VALU_DEP_2) | instskip(SKIP_1) | instid1(VALU_DEP_2)
	v_sub_nc_u32_e32 v4, 0x71, v7
	v_cmp_gt_u32_e32 vcc_lo, 0x72, v7
	v_cndmask_b32_e32 v4, 0, v4, vcc_lo
	v_cmp_eq_u32_e32 vcc_lo, 0, v7
	s_delay_alu instid0(VALU_DEP_2) | instskip(NEXT) | instid1(VALU_DEP_1)
	v_cndmask_b32_e64 v25, v4, 0x70, vcc_lo
	v_dual_cndmask_b32 v2, v26, v2, vcc_lo :: v_dual_add_nc_u32 v4, 21, v25
	v_add_nc_u32_e32 v27, 20, v25
	s_delay_alu instid0(VALU_DEP_2) | instskip(NEXT) | instid1(VALU_DEP_2)
	v_lshlrev_b64_e64 v[4:5], v4, -1
	v_lshlrev_b64_e64 v[26:27], v27, 1
	s_delay_alu instid0(VALU_DEP_2) | instskip(SKIP_1) | instid1(VALU_DEP_4)
	v_bfi_b32 v4, v4, 0, v2
	v_lshrrev_b64 v[2:3], v25, v[2:3]
	v_bfi_b32 v5, v5, 0, 0
	s_delay_alu instid0(VALU_DEP_1) | instskip(NEXT) | instid1(VALU_DEP_3)
	v_cmp_eq_u64_e64 s14, v[4:5], v[26:27]
	v_mov_b64_e32 v[4:5], v[2:3]
	s_and_saveexec_b32 s79, s14
; %bb.4281:                             ;   in Loop: Header=BB6_3989 Depth=3
	v_bfe_u32 v4, v2, 21, 1
	v_mov_b32_e32 v5, v113
	s_delay_alu instid0(VALU_DEP_1) | instskip(NEXT) | instid1(VALU_DEP_1)
	v_add_nc_u64_e32 v[4:5], v[2:3], v[4:5]
	v_add_nc_u64_e32 v[4:5], -1, v[4:5]
; %bb.4282:                             ;   in Loop: Header=BB6_3989 Depth=3
	s_or_b32 exec_lo, exec_lo, s79
	v_add_nc_u32_e32 v3, 0xffffff81, v7
	v_lshrrev_b32_e32 v5, 23, v2
	s_mov_b32 s14, exec_lo
	s_delay_alu instid0(VALU_DEP_2) | instskip(NEXT) | instid1(VALU_DEP_1)
	v_cndmask_b32_e64 v3, v3, 0xffffff82, vcc_lo
	v_add3_u32 v5, v25, v3, v5
	v_and_b32_e32 v3, 0x1fffff, v4
                                        ; implicit-def: $vgpr4
	s_delay_alu instid0(VALU_DEP_1) | instskip(SKIP_1) | instid1(VALU_DEP_2)
	v_dual_add_nc_u32 v7, 14, v5 :: v_dual_add_nc_u32 v2, v3, v2
	v_mov_b32_e32 v3, v113
	v_cmpx_ne_u32_e32 0, v7
	s_xor_b32 s14, exec_lo, s14
; %bb.4283:                             ;   in Loop: Header=BB6_3989 Depth=3
	s_delay_alu instid0(VALU_DEP_2) | instskip(SKIP_2) | instid1(VALU_DEP_2)
	v_cmp_lt_u64_e32 vcc_lo, 0xffffff, v[2:3]
	v_add_nc_u32_e32 v4, 15, v5
	v_cndmask_b32_e64 v5, 0, 1, vcc_lo
	v_cndmask_b32_e32 v4, v7, v4, vcc_lo
	s_delay_alu instid0(VALU_DEP_2)
	v_lshrrev_b64 v[2:3], v5, v[2:3]
; %bb.4284:                             ;   in Loop: Header=BB6_3989 Depth=3
	s_and_not1_saveexec_b32 s14, s14
; %bb.4285:                             ;   in Loop: Header=BB6_3989 Depth=3
	s_delay_alu instid0(VALU_DEP_1)
	v_bfe_u32 v4, v2, 23, 1
; %bb.4286:                             ;   in Loop: Header=BB6_3989 Depth=3
	s_or_b32 exec_lo, exec_lo, s14
	s_delay_alu instid0(VALU_DEP_2) | instskip(NEXT) | instid1(VALU_DEP_2)
	v_lshrrev_b64 v[2:3], 21, v[2:3]
	v_cmp_gt_i32_e32 vcc_lo, 32, v4
	v_min_i32_e32 v5, 31, v4
	v_cmp_eq_u32_e64 s14, 0, v4
	s_delay_alu instid0(VALU_DEP_2) | instskip(SKIP_1) | instid1(VALU_DEP_2)
	v_dual_cndmask_b32 v3, 0, v3, vcc_lo :: v_dual_lshlrev_b32 v5, 2, v5
	v_cndmask_b32_e32 v2, 3, v2, vcc_lo
	v_and_b32_e32 v5, 0xfc, v5
	s_delay_alu instid0(VALU_DEP_2) | instskip(NEXT) | instid1(VALU_DEP_2)
	v_cmp_eq_u64_e32 vcc_lo, 0, v[2:3]
	v_and_or_b32 v2, v2, 3, v5
	s_and_b32 s14, s14, vcc_lo
	s_delay_alu instid0(VALU_DEP_1) | instid1(SALU_CYCLE_1)
	v_cndmask_b32_e64 v2, v2, 0, s14
	s_delay_alu instid0(VALU_DEP_1)
	v_or_b32_e32 v25, v2, v6
.LBB6_4287:                             ;   in Loop: Header=BB6_3989 Depth=3
	s_or_b32 exec_lo, exec_lo, s78
                                        ; implicit-def: $vgpr6
.LBB6_4288:                             ;   in Loop: Header=BB6_3989 Depth=3
	s_and_not1_saveexec_b32 s14, s77
; %bb.4289:                             ;   in Loop: Header=BB6_3989 Depth=3
	v_or_b32_e32 v25, 0x7b, v6
; %bb.4290:                             ;   in Loop: Header=BB6_3989 Depth=3
	s_or_b32 exec_lo, exec_lo, s14
                                        ; implicit-def: $vgpr4
                                        ; implicit-def: $vgpr2_vgpr3
                                        ; implicit-def: $vgpr5
.LBB6_4291:                             ;   in Loop: Header=BB6_3989 Depth=3
	s_and_not1_saveexec_b32 s14, s76
	s_cbranch_execz .LBB6_4297
; %bb.4292:                             ;   in Loop: Header=BB6_3989 Depth=3
	s_mov_b32 s76, exec_lo
                                        ; implicit-def: $vgpr25
	v_cmpx_ne_u64_e32 0, v[2:3]
	s_xor_b32 s76, exec_lo, s76
; %bb.4293:                             ;   in Loop: Header=BB6_3989 Depth=3
	v_or_b32_e32 v25, 0x7f, v5
                                        ; implicit-def: $vgpr4
; %bb.4294:                             ;   in Loop: Header=BB6_3989 Depth=3
	s_and_not1_saveexec_b32 s76, s76
; %bb.4295:                             ;   in Loop: Header=BB6_3989 Depth=3
	v_cmp_lt_i32_e32 vcc_lo, -1, v4
	v_mov_b32_e32 v2, 0x7c
	s_delay_alu instid0(VALU_DEP_1)
	v_cndmask_b32_e32 v25, 0xfc, v2, vcc_lo
; %bb.4296:                             ;   in Loop: Header=BB6_3989 Depth=3
	s_or_b32 exec_lo, exec_lo, s76
.LBB6_4297:                             ;   in Loop: Header=BB6_3989 Depth=3
	s_delay_alu instid0(SALU_CYCLE_1) | instskip(SKIP_2) | instid1(VALU_DEP_1)
	s_or_b32 exec_lo, exec_lo, s14
	v_dual_mov_b32 v3, 0 :: v_dual_lshrrev_b32 v2, 16, v10
	s_mov_b32 s14, exec_lo
	v_and_b32_e32 v4, 0xff, v2
	s_delay_alu instid0(VALU_DEP_1)
	v_cmpx_ne_u16_e32 0, v4
	s_cbranch_execz .LBB6_4307
; %bb.4298:                             ;   in Loop: Header=BB6_3989 Depth=3
	v_bfrev_b32_e32 v3, 1
	s_mov_b32 s76, exec_lo
	v_cmpx_ne_u16_e32 0x80, v4
	s_cbranch_execz .LBB6_4306
; %bb.4299:                             ;   in Loop: Header=BB6_3989 Depth=3
	v_and_b32_e32 v3, 0x7c0000, v10
	v_bfe_u32 v4, v10, 16, 2
	s_delay_alu instid0(VALU_DEP_2) | instskip(SKIP_1) | instid1(SALU_CYCLE_1)
	v_cmp_ne_u32_e32 vcc_lo, 0x7c0000, v3
                                        ; implicit-def: $vgpr3
	s_and_saveexec_b32 s77, vcc_lo
	s_xor_b32 s77, exec_lo, s77
	s_cbranch_execz .LBB6_4303
; %bb.4300:                             ;   in Loop: Header=BB6_3989 Depth=3
	v_bfe_u32 v3, v10, 18, 5
	s_mov_b32 s78, exec_lo
	s_delay_alu instid0(VALU_DEP_1)
	v_cmpx_eq_u32_e32 0, v3
; %bb.4301:                             ;   in Loop: Header=BB6_3989 Depth=3
	v_clz_i32_u32_e32 v3, v4
	s_delay_alu instid0(VALU_DEP_1) | instskip(NEXT) | instid1(VALU_DEP_1)
	v_min_u32_e32 v3, 32, v3
	v_subrev_nc_u32_e32 v4, 29, v3
	s_delay_alu instid0(VALU_DEP_1) | instskip(NEXT) | instid1(VALU_DEP_1)
	v_lshlrev_b64_e32 v[4:5], v4, v[2:3]
	v_dual_sub_nc_u32 v3, 30, v3 :: v_dual_bitop2_b32 v4, 3, v4 bitop3:0x40
; %bb.4302:                             ;   in Loop: Header=BB6_3989 Depth=3
	s_or_b32 exec_lo, exec_lo, s78
	v_lshlrev_b32_e32 v2, 24, v2
	s_delay_alu instid0(VALU_DEP_1) | instskip(NEXT) | instid1(VALU_DEP_1)
	v_and_b32_e32 v2, 0x80000000, v2
	v_lshl_add_u32 v2, v3, 23, v2
	s_delay_alu instid0(VALU_DEP_1) | instskip(NEXT) | instid1(VALU_DEP_1)
	v_lshl_or_b32 v2, v4, 21, v2
                                        ; implicit-def: $vgpr4
	v_add_nc_u32_e32 v3, 0x38000000, v2
                                        ; implicit-def: $vgpr2
.LBB6_4303:                             ;   in Loop: Header=BB6_3989 Depth=3
	s_and_not1_saveexec_b32 s77, s77
; %bb.4304:                             ;   in Loop: Header=BB6_3989 Depth=3
	v_bfe_i32 v2, v2, 0, 8
	s_delay_alu instid0(VALU_DEP_1) | instskip(SKIP_1) | instid1(VALU_DEP_1)
	v_cmp_lt_i16_e32 vcc_lo, -1, v2
	v_mov_b32_e32 v2, 0x7f800000
	v_cndmask_b32_e32 v2, 0xff800000, v2, vcc_lo
	v_cmp_eq_u32_e32 vcc_lo, 0, v4
	s_delay_alu instid0(VALU_DEP_2)
	v_cndmask_b32_e32 v3, 0x7f800001, v2, vcc_lo
; %bb.4305:                             ;   in Loop: Header=BB6_3989 Depth=3
	s_or_b32 exec_lo, exec_lo, s77
.LBB6_4306:                             ;   in Loop: Header=BB6_3989 Depth=3
	s_delay_alu instid0(SALU_CYCLE_1)
	s_or_b32 exec_lo, exec_lo, s76
.LBB6_4307:                             ;   in Loop: Header=BB6_3989 Depth=3
	s_delay_alu instid0(SALU_CYCLE_1) | instskip(NEXT) | instid1(VALU_DEP_1)
	s_or_b32 exec_lo, exec_lo, s14
	v_dual_mul_f32 v4, s75, v3 :: v_dual_mov_b32 v7, v113
	v_mov_b32_e32 v3, v113
                                        ; implicit-def: $vgpr26
	s_mov_b32 s14, exec_lo
	s_delay_alu instid0(VALU_DEP_2) | instskip(SKIP_2) | instid1(VALU_DEP_3)
	v_and_b32_e32 v6, 0x7f800000, v4
	v_and_b32_e32 v2, 0x7fffff, v4
	v_lshrrev_b32_e32 v5, 24, v4
	v_cmpx_ne_u64_e32 0x7f800000, v[6:7]
	s_xor_b32 s76, exec_lo, s14
	s_cbranch_execz .LBB6_4321
; %bb.4308:                             ;   in Loop: Header=BB6_3989 Depth=3
	v_and_b32_e32 v6, 0x7fffffff, v4
	v_mov_b32_e32 v7, v113
                                        ; implicit-def: $vgpr26
	s_delay_alu instid0(VALU_DEP_1) | instskip(SKIP_2) | instid1(SALU_CYCLE_1)
	v_cmp_gt_u64_e32 vcc_lo, 0x47600001, v[6:7]
	v_and_b32_e32 v6, 0x80, v5
	s_and_saveexec_b32 s14, vcc_lo
	s_xor_b32 s77, exec_lo, s14
	s_cbranch_execz .LBB6_4318
; %bb.4309:                             ;   in Loop: Header=BB6_3989 Depth=3
	v_mov_b32_e32 v26, 0
	s_mov_b32 s78, exec_lo
	v_cmpx_ne_u32_e32 0, v4
	s_cbranch_execz .LBB6_4317
; %bb.4310:                             ;   in Loop: Header=BB6_3989 Depth=3
	v_bfe_u32 v7, v4, 23, 8
	v_or_b32_e32 v27, 0x800000, v2
	s_delay_alu instid0(VALU_DEP_2) | instskip(SKIP_1) | instid1(VALU_DEP_2)
	v_sub_nc_u32_e32 v4, 0x71, v7
	v_cmp_gt_u32_e32 vcc_lo, 0x72, v7
	v_cndmask_b32_e32 v4, 0, v4, vcc_lo
	v_cmp_eq_u32_e32 vcc_lo, 0, v7
	s_delay_alu instid0(VALU_DEP_2) | instskip(SKIP_1) | instid1(VALU_DEP_2)
	v_cndmask_b32_e64 v26, v4, 0x70, vcc_lo
	v_cndmask_b32_e32 v2, v27, v2, vcc_lo
	v_dual_add_nc_u32 v4, 21, v26 :: v_dual_add_nc_u32 v28, 20, v26
	s_delay_alu instid0(VALU_DEP_1) | instskip(NEXT) | instid1(VALU_DEP_2)
	v_lshlrev_b64_e64 v[4:5], v4, -1
	v_lshlrev_b64_e64 v[28:29], v28, 1
	s_delay_alu instid0(VALU_DEP_2) | instskip(SKIP_1) | instid1(VALU_DEP_4)
	v_bfi_b32 v4, v4, 0, v2
	v_lshrrev_b64 v[2:3], v26, v[2:3]
	v_bfi_b32 v5, v5, 0, 0
	s_delay_alu instid0(VALU_DEP_1) | instskip(NEXT) | instid1(VALU_DEP_3)
	v_cmp_eq_u64_e64 s14, v[4:5], v[28:29]
	v_mov_b64_e32 v[4:5], v[2:3]
	s_and_saveexec_b32 s79, s14
; %bb.4311:                             ;   in Loop: Header=BB6_3989 Depth=3
	v_bfe_u32 v4, v2, 21, 1
	v_mov_b32_e32 v5, v113
	s_delay_alu instid0(VALU_DEP_1) | instskip(NEXT) | instid1(VALU_DEP_1)
	v_add_nc_u64_e32 v[4:5], v[2:3], v[4:5]
	v_add_nc_u64_e32 v[4:5], -1, v[4:5]
; %bb.4312:                             ;   in Loop: Header=BB6_3989 Depth=3
	s_or_b32 exec_lo, exec_lo, s79
	v_add_nc_u32_e32 v3, 0xffffff81, v7
	v_lshrrev_b32_e32 v5, 23, v2
	s_mov_b32 s14, exec_lo
	s_delay_alu instid0(VALU_DEP_2) | instskip(NEXT) | instid1(VALU_DEP_1)
	v_cndmask_b32_e64 v3, v3, 0xffffff82, vcc_lo
	v_add3_u32 v5, v26, v3, v5
	v_and_b32_e32 v3, 0x1fffff, v4
                                        ; implicit-def: $vgpr4
	s_delay_alu instid0(VALU_DEP_1) | instskip(SKIP_1) | instid1(VALU_DEP_2)
	v_dual_add_nc_u32 v7, 14, v5 :: v_dual_add_nc_u32 v2, v3, v2
	v_mov_b32_e32 v3, v113
	v_cmpx_ne_u32_e32 0, v7
	s_xor_b32 s14, exec_lo, s14
; %bb.4313:                             ;   in Loop: Header=BB6_3989 Depth=3
	s_delay_alu instid0(VALU_DEP_2) | instskip(SKIP_2) | instid1(VALU_DEP_2)
	v_cmp_lt_u64_e32 vcc_lo, 0xffffff, v[2:3]
	v_add_nc_u32_e32 v4, 15, v5
	v_cndmask_b32_e64 v5, 0, 1, vcc_lo
	v_cndmask_b32_e32 v4, v7, v4, vcc_lo
	s_delay_alu instid0(VALU_DEP_2)
	v_lshrrev_b64 v[2:3], v5, v[2:3]
; %bb.4314:                             ;   in Loop: Header=BB6_3989 Depth=3
	s_and_not1_saveexec_b32 s14, s14
; %bb.4315:                             ;   in Loop: Header=BB6_3989 Depth=3
	s_delay_alu instid0(VALU_DEP_1)
	v_bfe_u32 v4, v2, 23, 1
; %bb.4316:                             ;   in Loop: Header=BB6_3989 Depth=3
	s_or_b32 exec_lo, exec_lo, s14
	s_delay_alu instid0(VALU_DEP_2) | instskip(NEXT) | instid1(VALU_DEP_2)
	v_lshrrev_b64 v[2:3], 21, v[2:3]
	v_cmp_gt_i32_e32 vcc_lo, 32, v4
	v_min_i32_e32 v5, 31, v4
	v_cmp_eq_u32_e64 s14, 0, v4
	s_delay_alu instid0(VALU_DEP_2) | instskip(SKIP_1) | instid1(VALU_DEP_2)
	v_dual_cndmask_b32 v3, 0, v3, vcc_lo :: v_dual_lshlrev_b32 v5, 2, v5
	v_cndmask_b32_e32 v2, 3, v2, vcc_lo
	v_and_b32_e32 v5, 0xfc, v5
	s_delay_alu instid0(VALU_DEP_2) | instskip(NEXT) | instid1(VALU_DEP_2)
	v_cmp_eq_u64_e32 vcc_lo, 0, v[2:3]
	v_and_or_b32 v2, v2, 3, v5
	s_and_b32 s14, s14, vcc_lo
	s_delay_alu instid0(VALU_DEP_1) | instid1(SALU_CYCLE_1)
	v_cndmask_b32_e64 v2, v2, 0, s14
	s_delay_alu instid0(VALU_DEP_1)
	v_or_b32_e32 v26, v2, v6
.LBB6_4317:                             ;   in Loop: Header=BB6_3989 Depth=3
	s_or_b32 exec_lo, exec_lo, s78
                                        ; implicit-def: $vgpr6
.LBB6_4318:                             ;   in Loop: Header=BB6_3989 Depth=3
	s_and_not1_saveexec_b32 s14, s77
; %bb.4319:                             ;   in Loop: Header=BB6_3989 Depth=3
	v_or_b32_e32 v26, 0x7b, v6
; %bb.4320:                             ;   in Loop: Header=BB6_3989 Depth=3
	s_or_b32 exec_lo, exec_lo, s14
                                        ; implicit-def: $vgpr4
                                        ; implicit-def: $vgpr2_vgpr3
                                        ; implicit-def: $vgpr5
.LBB6_4321:                             ;   in Loop: Header=BB6_3989 Depth=3
	s_and_not1_saveexec_b32 s14, s76
	s_cbranch_execz .LBB6_4327
; %bb.4322:                             ;   in Loop: Header=BB6_3989 Depth=3
	s_mov_b32 s76, exec_lo
                                        ; implicit-def: $vgpr26
	v_cmpx_ne_u64_e32 0, v[2:3]
	s_xor_b32 s76, exec_lo, s76
; %bb.4323:                             ;   in Loop: Header=BB6_3989 Depth=3
	v_or_b32_e32 v26, 0x7f, v5
                                        ; implicit-def: $vgpr4
; %bb.4324:                             ;   in Loop: Header=BB6_3989 Depth=3
	s_and_not1_saveexec_b32 s76, s76
; %bb.4325:                             ;   in Loop: Header=BB6_3989 Depth=3
	v_cmp_lt_i32_e32 vcc_lo, -1, v4
	v_mov_b32_e32 v2, 0x7c
	s_delay_alu instid0(VALU_DEP_1)
	v_cndmask_b32_e32 v26, 0xfc, v2, vcc_lo
; %bb.4326:                             ;   in Loop: Header=BB6_3989 Depth=3
	s_or_b32 exec_lo, exec_lo, s76
.LBB6_4327:                             ;   in Loop: Header=BB6_3989 Depth=3
	s_delay_alu instid0(SALU_CYCLE_1)
	s_or_b32 exec_lo, exec_lo, s14
	v_mov_b32_e32 v3, 0
	s_mov_b32 s14, exec_lo
	v_cmpx_lt_u32_e32 0xffffff, v10
	s_cbranch_execz .LBB6_4337
; %bb.4328:                             ;   in Loop: Header=BB6_3989 Depth=3
	v_lshrrev_b32_e32 v2, 24, v10
	v_bfrev_b32_e32 v3, 1
	s_mov_b32 s76, exec_lo
	s_delay_alu instid0(VALU_DEP_2)
	v_cmpx_ne_u32_e32 0x80, v2
	s_cbranch_execz .LBB6_4336
; %bb.4329:                             ;   in Loop: Header=BB6_3989 Depth=3
	v_and_b32_e32 v3, 0x7c000000, v10
	v_bfe_u32 v4, v10, 24, 2
	s_delay_alu instid0(VALU_DEP_2) | instskip(SKIP_1) | instid1(SALU_CYCLE_1)
	v_cmp_ne_u32_e32 vcc_lo, 0x7c000000, v3
                                        ; implicit-def: $vgpr3
	s_and_saveexec_b32 s77, vcc_lo
	s_xor_b32 s77, exec_lo, s77
	s_cbranch_execz .LBB6_4333
; %bb.4330:                             ;   in Loop: Header=BB6_3989 Depth=3
	v_bfe_u32 v3, v10, 26, 5
	s_mov_b32 s78, exec_lo
	s_delay_alu instid0(VALU_DEP_1)
	v_cmpx_eq_u32_e32 0, v3
; %bb.4331:                             ;   in Loop: Header=BB6_3989 Depth=3
	v_clz_i32_u32_e32 v3, v4
	s_delay_alu instid0(VALU_DEP_1) | instskip(NEXT) | instid1(VALU_DEP_1)
	v_min_u32_e32 v4, 32, v3
	v_subrev_nc_u32_e32 v3, 29, v4
	s_delay_alu instid0(VALU_DEP_1) | instskip(NEXT) | instid1(VALU_DEP_1)
	v_lshlrev_b64_e32 v[2:3], v3, v[2:3]
	v_dual_sub_nc_u32 v3, 30, v4 :: v_dual_bitop2_b32 v4, 3, v2 bitop3:0x40
; %bb.4332:                             ;   in Loop: Header=BB6_3989 Depth=3
	s_or_b32 exec_lo, exec_lo, s78
	v_and_b32_e32 v2, 0x80000000, v10
	s_delay_alu instid0(VALU_DEP_1) | instskip(NEXT) | instid1(VALU_DEP_1)
	v_lshl_add_u32 v2, v3, 23, v2
	v_lshl_or_b32 v2, v4, 21, v2
                                        ; implicit-def: $vgpr4
	s_delay_alu instid0(VALU_DEP_1)
	v_add_nc_u32_e32 v3, 0x38000000, v2
.LBB6_4333:                             ;   in Loop: Header=BB6_3989 Depth=3
	s_and_not1_saveexec_b32 s77, s77
; %bb.4334:                             ;   in Loop: Header=BB6_3989 Depth=3
	v_cmp_lt_i32_e32 vcc_lo, -1, v10
	v_mov_b32_e32 v2, 0x7f800000
	s_delay_alu instid0(VALU_DEP_1) | instskip(SKIP_1) | instid1(VALU_DEP_2)
	v_cndmask_b32_e32 v2, 0xff800000, v2, vcc_lo
	v_cmp_eq_u32_e32 vcc_lo, 0, v4
	v_cndmask_b32_e32 v3, 0x7f800001, v2, vcc_lo
; %bb.4335:                             ;   in Loop: Header=BB6_3989 Depth=3
	s_or_b32 exec_lo, exec_lo, s77
.LBB6_4336:                             ;   in Loop: Header=BB6_3989 Depth=3
	s_delay_alu instid0(SALU_CYCLE_1)
	s_or_b32 exec_lo, exec_lo, s76
.LBB6_4337:                             ;   in Loop: Header=BB6_3989 Depth=3
	s_delay_alu instid0(SALU_CYCLE_1) | instskip(NEXT) | instid1(VALU_DEP_1)
	s_or_b32 exec_lo, exec_lo, s14
	v_dual_mul_f32 v4, s75, v3 :: v_dual_mov_b32 v7, v113
	v_mov_b32_e32 v3, v113
                                        ; implicit-def: $vgpr27
	s_mov_b32 s14, exec_lo
	s_delay_alu instid0(VALU_DEP_2) | instskip(SKIP_2) | instid1(VALU_DEP_3)
	v_and_b32_e32 v6, 0x7f800000, v4
	v_and_b32_e32 v2, 0x7fffff, v4
	v_lshrrev_b32_e32 v5, 24, v4
	v_cmpx_ne_u64_e32 0x7f800000, v[6:7]
	s_xor_b32 s76, exec_lo, s14
	s_cbranch_execz .LBB6_4351
; %bb.4338:                             ;   in Loop: Header=BB6_3989 Depth=3
	v_and_b32_e32 v6, 0x7fffffff, v4
	v_mov_b32_e32 v7, v113
                                        ; implicit-def: $vgpr27
	s_delay_alu instid0(VALU_DEP_1) | instskip(SKIP_2) | instid1(SALU_CYCLE_1)
	v_cmp_gt_u64_e32 vcc_lo, 0x47600001, v[6:7]
	v_and_b32_e32 v6, 0x80, v5
	s_and_saveexec_b32 s14, vcc_lo
	s_xor_b32 s77, exec_lo, s14
	s_cbranch_execz .LBB6_4348
; %bb.4339:                             ;   in Loop: Header=BB6_3989 Depth=3
	v_mov_b32_e32 v27, 0
	s_mov_b32 s78, exec_lo
	v_cmpx_ne_u32_e32 0, v4
	s_cbranch_execz .LBB6_4347
; %bb.4340:                             ;   in Loop: Header=BB6_3989 Depth=3
	v_bfe_u32 v7, v4, 23, 8
	v_or_b32_e32 v28, 0x800000, v2
	s_delay_alu instid0(VALU_DEP_2) | instskip(SKIP_1) | instid1(VALU_DEP_2)
	v_sub_nc_u32_e32 v4, 0x71, v7
	v_cmp_gt_u32_e32 vcc_lo, 0x72, v7
	v_cndmask_b32_e32 v4, 0, v4, vcc_lo
	v_cmp_eq_u32_e32 vcc_lo, 0, v7
	s_delay_alu instid0(VALU_DEP_2) | instskip(NEXT) | instid1(VALU_DEP_1)
	v_cndmask_b32_e64 v27, v4, 0x70, vcc_lo
	v_dual_cndmask_b32 v2, v28, v2, vcc_lo :: v_dual_add_nc_u32 v4, 21, v27
	v_add_nc_u32_e32 v29, 20, v27
	s_delay_alu instid0(VALU_DEP_2) | instskip(NEXT) | instid1(VALU_DEP_2)
	v_lshlrev_b64_e64 v[4:5], v4, -1
	v_lshlrev_b64_e64 v[28:29], v29, 1
	s_delay_alu instid0(VALU_DEP_2) | instskip(SKIP_1) | instid1(VALU_DEP_4)
	v_bfi_b32 v4, v4, 0, v2
	v_lshrrev_b64 v[2:3], v27, v[2:3]
	v_bfi_b32 v5, v5, 0, 0
	s_delay_alu instid0(VALU_DEP_1) | instskip(NEXT) | instid1(VALU_DEP_3)
	v_cmp_eq_u64_e64 s14, v[4:5], v[28:29]
	v_mov_b64_e32 v[4:5], v[2:3]
	s_and_saveexec_b32 s79, s14
; %bb.4341:                             ;   in Loop: Header=BB6_3989 Depth=3
	v_bfe_u32 v4, v2, 21, 1
	v_mov_b32_e32 v5, v113
	s_delay_alu instid0(VALU_DEP_1) | instskip(NEXT) | instid1(VALU_DEP_1)
	v_add_nc_u64_e32 v[4:5], v[2:3], v[4:5]
	v_add_nc_u64_e32 v[4:5], -1, v[4:5]
; %bb.4342:                             ;   in Loop: Header=BB6_3989 Depth=3
	s_or_b32 exec_lo, exec_lo, s79
	v_add_nc_u32_e32 v3, 0xffffff81, v7
	v_lshrrev_b32_e32 v5, 23, v2
	s_mov_b32 s14, exec_lo
	s_delay_alu instid0(VALU_DEP_2) | instskip(NEXT) | instid1(VALU_DEP_1)
	v_cndmask_b32_e64 v3, v3, 0xffffff82, vcc_lo
	v_add3_u32 v5, v27, v3, v5
	v_and_b32_e32 v3, 0x1fffff, v4
                                        ; implicit-def: $vgpr4
	s_delay_alu instid0(VALU_DEP_1) | instskip(SKIP_1) | instid1(VALU_DEP_2)
	v_dual_add_nc_u32 v7, 14, v5 :: v_dual_add_nc_u32 v2, v3, v2
	v_mov_b32_e32 v3, v113
	v_cmpx_ne_u32_e32 0, v7
	s_xor_b32 s14, exec_lo, s14
; %bb.4343:                             ;   in Loop: Header=BB6_3989 Depth=3
	s_delay_alu instid0(VALU_DEP_2) | instskip(SKIP_2) | instid1(VALU_DEP_2)
	v_cmp_lt_u64_e32 vcc_lo, 0xffffff, v[2:3]
	v_add_nc_u32_e32 v4, 15, v5
	v_cndmask_b32_e64 v5, 0, 1, vcc_lo
	v_cndmask_b32_e32 v4, v7, v4, vcc_lo
	s_delay_alu instid0(VALU_DEP_2)
	v_lshrrev_b64 v[2:3], v5, v[2:3]
; %bb.4344:                             ;   in Loop: Header=BB6_3989 Depth=3
	s_and_not1_saveexec_b32 s14, s14
; %bb.4345:                             ;   in Loop: Header=BB6_3989 Depth=3
	s_delay_alu instid0(VALU_DEP_1)
	v_bfe_u32 v4, v2, 23, 1
; %bb.4346:                             ;   in Loop: Header=BB6_3989 Depth=3
	s_or_b32 exec_lo, exec_lo, s14
	s_delay_alu instid0(VALU_DEP_2) | instskip(NEXT) | instid1(VALU_DEP_2)
	v_lshrrev_b64 v[2:3], 21, v[2:3]
	v_cmp_gt_i32_e32 vcc_lo, 32, v4
	v_min_i32_e32 v5, 31, v4
	v_cmp_eq_u32_e64 s14, 0, v4
	s_delay_alu instid0(VALU_DEP_2) | instskip(SKIP_1) | instid1(VALU_DEP_2)
	v_dual_cndmask_b32 v3, 0, v3, vcc_lo :: v_dual_lshlrev_b32 v5, 2, v5
	v_cndmask_b32_e32 v2, 3, v2, vcc_lo
	v_and_b32_e32 v5, 0xfc, v5
	s_delay_alu instid0(VALU_DEP_2) | instskip(NEXT) | instid1(VALU_DEP_2)
	v_cmp_eq_u64_e32 vcc_lo, 0, v[2:3]
	v_and_or_b32 v2, v2, 3, v5
	s_and_b32 s14, s14, vcc_lo
	s_delay_alu instid0(VALU_DEP_1) | instid1(SALU_CYCLE_1)
	v_cndmask_b32_e64 v2, v2, 0, s14
	s_delay_alu instid0(VALU_DEP_1)
	v_or_b32_e32 v27, v2, v6
.LBB6_4347:                             ;   in Loop: Header=BB6_3989 Depth=3
	s_or_b32 exec_lo, exec_lo, s78
                                        ; implicit-def: $vgpr6
.LBB6_4348:                             ;   in Loop: Header=BB6_3989 Depth=3
	s_and_not1_saveexec_b32 s14, s77
; %bb.4349:                             ;   in Loop: Header=BB6_3989 Depth=3
	v_or_b32_e32 v27, 0x7b, v6
; %bb.4350:                             ;   in Loop: Header=BB6_3989 Depth=3
	s_or_b32 exec_lo, exec_lo, s14
                                        ; implicit-def: $vgpr4
                                        ; implicit-def: $vgpr2_vgpr3
                                        ; implicit-def: $vgpr5
.LBB6_4351:                             ;   in Loop: Header=BB6_3989 Depth=3
	s_and_not1_saveexec_b32 s14, s76
	s_cbranch_execz .LBB6_4357
; %bb.4352:                             ;   in Loop: Header=BB6_3989 Depth=3
	s_mov_b32 s76, exec_lo
                                        ; implicit-def: $vgpr27
	v_cmpx_ne_u64_e32 0, v[2:3]
	s_xor_b32 s76, exec_lo, s76
; %bb.4353:                             ;   in Loop: Header=BB6_3989 Depth=3
	v_or_b32_e32 v27, 0x7f, v5
                                        ; implicit-def: $vgpr4
; %bb.4354:                             ;   in Loop: Header=BB6_3989 Depth=3
	s_and_not1_saveexec_b32 s76, s76
; %bb.4355:                             ;   in Loop: Header=BB6_3989 Depth=3
	v_cmp_lt_i32_e32 vcc_lo, -1, v4
	v_mov_b32_e32 v2, 0x7c
	s_delay_alu instid0(VALU_DEP_1)
	v_cndmask_b32_e32 v27, 0xfc, v2, vcc_lo
; %bb.4356:                             ;   in Loop: Header=BB6_3989 Depth=3
	s_or_b32 exec_lo, exec_lo, s76
.LBB6_4357:                             ;   in Loop: Header=BB6_3989 Depth=3
	s_delay_alu instid0(SALU_CYCLE_1) | instskip(SKIP_4) | instid1(VALU_DEP_3)
	s_or_b32 exec_lo, exec_lo, s14
	v_and_b32_e32 v5, 0xff, v11
	v_dual_mov_b32 v2, v11 :: v_dual_mov_b32 v3, v113
	v_mov_b32_e32 v4, 0
	s_mov_b32 s14, exec_lo
	v_cmpx_ne_u16_e32 0, v5
	s_cbranch_execz .LBB6_4367
; %bb.4358:                             ;   in Loop: Header=BB6_3989 Depth=3
	v_bfrev_b32_e32 v4, 1
	s_mov_b32 s76, exec_lo
	v_cmpx_ne_u16_e32 0x80, v5
	s_cbranch_execz .LBB6_4366
; %bb.4359:                             ;   in Loop: Header=BB6_3989 Depth=3
	v_and_b32_e32 v4, 0x7c, v11
	v_and_b32_e32 v5, 3, v11
	s_delay_alu instid0(VALU_DEP_2) | instskip(SKIP_1) | instid1(SALU_CYCLE_1)
	v_cmp_ne_u32_e32 vcc_lo, 0x7c, v4
                                        ; implicit-def: $vgpr4
	s_and_saveexec_b32 s77, vcc_lo
	s_xor_b32 s77, exec_lo, s77
	s_cbranch_execz .LBB6_4363
; %bb.4360:                             ;   in Loop: Header=BB6_3989 Depth=3
	v_bfe_u32 v4, v11, 2, 5
	s_mov_b32 s78, exec_lo
	s_delay_alu instid0(VALU_DEP_1)
	v_cmpx_eq_u32_e32 0, v4
; %bb.4361:                             ;   in Loop: Header=BB6_3989 Depth=3
	v_clz_i32_u32_e32 v4, v5
	s_delay_alu instid0(VALU_DEP_1) | instskip(NEXT) | instid1(VALU_DEP_1)
	v_min_u32_e32 v4, 32, v4
	v_subrev_nc_u32_e32 v5, 29, v4
	s_delay_alu instid0(VALU_DEP_1) | instskip(NEXT) | instid1(VALU_DEP_1)
	v_lshlrev_b64_e32 v[6:7], v5, v[2:3]
	v_dual_sub_nc_u32 v4, 30, v4 :: v_dual_bitop2_b32 v5, 3, v6 bitop3:0x40
; %bb.4362:                             ;   in Loop: Header=BB6_3989 Depth=3
	s_or_b32 exec_lo, exec_lo, s78
	v_lshlrev_b32_e32 v3, 24, v11
	s_delay_alu instid0(VALU_DEP_1) | instskip(NEXT) | instid1(VALU_DEP_1)
	v_and_b32_e32 v3, 0x80000000, v3
	v_lshl_add_u32 v3, v4, 23, v3
	s_delay_alu instid0(VALU_DEP_1) | instskip(NEXT) | instid1(VALU_DEP_1)
	v_lshl_or_b32 v3, v5, 21, v3
                                        ; implicit-def: $vgpr5
	v_add_nc_u32_e32 v4, 0x38000000, v3
.LBB6_4363:                             ;   in Loop: Header=BB6_3989 Depth=3
	s_and_not1_saveexec_b32 s77, s77
; %bb.4364:                             ;   in Loop: Header=BB6_3989 Depth=3
	v_bfe_i32 v3, v11, 0, 8
	s_delay_alu instid0(VALU_DEP_1) | instskip(SKIP_1) | instid1(VALU_DEP_1)
	v_cmp_lt_i16_e32 vcc_lo, -1, v3
	v_mov_b32_e32 v3, 0x7f800000
	v_cndmask_b32_e32 v3, 0xff800000, v3, vcc_lo
	v_cmp_eq_u32_e32 vcc_lo, 0, v5
	s_delay_alu instid0(VALU_DEP_2)
	v_cndmask_b32_e32 v4, 0x7f800001, v3, vcc_lo
; %bb.4365:                             ;   in Loop: Header=BB6_3989 Depth=3
	s_or_b32 exec_lo, exec_lo, s77
.LBB6_4366:                             ;   in Loop: Header=BB6_3989 Depth=3
	s_delay_alu instid0(SALU_CYCLE_1)
	s_or_b32 exec_lo, exec_lo, s76
.LBB6_4367:                             ;   in Loop: Header=BB6_3989 Depth=3
	s_delay_alu instid0(SALU_CYCLE_1) | instskip(NEXT) | instid1(VALU_DEP_1)
	s_or_b32 exec_lo, exec_lo, s14
	v_dual_mul_f32 v7, s75, v4 :: v_dual_mov_b32 v29, v113
	v_mov_b32_e32 v5, v113
                                        ; implicit-def: $vgpr6
	s_mov_b32 s14, exec_lo
	s_delay_alu instid0(VALU_DEP_2) | instskip(SKIP_2) | instid1(VALU_DEP_3)
	v_and_b32_e32 v28, 0x7f800000, v7
	v_and_b32_e32 v4, 0x7fffff, v7
	v_lshrrev_b32_e32 v3, 24, v7
	v_cmpx_ne_u64_e32 0x7f800000, v[28:29]
	s_xor_b32 s76, exec_lo, s14
	s_cbranch_execz .LBB6_4381
; %bb.4368:                             ;   in Loop: Header=BB6_3989 Depth=3
	v_and_b32_e32 v28, 0x7fffffff, v7
	v_mov_b32_e32 v29, v113
	v_and_b32_e32 v3, 0x80, v3
                                        ; implicit-def: $vgpr6
	s_mov_b32 s14, exec_lo
	s_delay_alu instid0(VALU_DEP_2)
	v_cmpx_gt_u64_e32 0x47600001, v[28:29]
	s_xor_b32 s77, exec_lo, s14
	s_cbranch_execz .LBB6_4378
; %bb.4369:                             ;   in Loop: Header=BB6_3989 Depth=3
	v_mov_b32_e32 v6, 0
	s_mov_b32 s78, exec_lo
	v_cmpx_ne_u32_e32 0, v7
	s_cbranch_execz .LBB6_4377
; %bb.4370:                             ;   in Loop: Header=BB6_3989 Depth=3
	v_bfe_u32 v28, v7, 23, 8
	v_or_b32_e32 v30, 0x800000, v4
	s_delay_alu instid0(VALU_DEP_2) | instskip(SKIP_1) | instid1(VALU_DEP_2)
	v_sub_nc_u32_e32 v6, 0x71, v28
	v_cmp_gt_u32_e32 vcc_lo, 0x72, v28
	v_cndmask_b32_e32 v6, 0, v6, vcc_lo
	v_cmp_eq_u32_e32 vcc_lo, 0, v28
	s_delay_alu instid0(VALU_DEP_2) | instskip(NEXT) | instid1(VALU_DEP_1)
	v_cndmask_b32_e64 v29, v6, 0x70, vcc_lo
	v_dual_cndmask_b32 v4, v30, v4, vcc_lo :: v_dual_add_nc_u32 v6, 21, v29
	v_add_nc_u32_e32 v31, 20, v29
	s_delay_alu instid0(VALU_DEP_2) | instskip(NEXT) | instid1(VALU_DEP_2)
	v_lshlrev_b64_e64 v[6:7], v6, -1
	v_lshlrev_b64_e64 v[30:31], v31, 1
	s_delay_alu instid0(VALU_DEP_2) | instskip(SKIP_1) | instid1(VALU_DEP_4)
	v_bfi_b32 v6, v6, 0, v4
	v_lshrrev_b64 v[4:5], v29, v[4:5]
	v_bfi_b32 v7, v7, 0, 0
	s_delay_alu instid0(VALU_DEP_1) | instskip(NEXT) | instid1(VALU_DEP_3)
	v_cmp_eq_u64_e64 s14, v[6:7], v[30:31]
	v_mov_b64_e32 v[6:7], v[4:5]
	s_and_saveexec_b32 s79, s14
; %bb.4371:                             ;   in Loop: Header=BB6_3989 Depth=3
	v_bfe_u32 v6, v4, 21, 1
	v_mov_b32_e32 v7, v113
	s_delay_alu instid0(VALU_DEP_1) | instskip(NEXT) | instid1(VALU_DEP_1)
	v_add_nc_u64_e32 v[6:7], v[4:5], v[6:7]
	v_add_nc_u64_e32 v[6:7], -1, v[6:7]
; %bb.4372:                             ;   in Loop: Header=BB6_3989 Depth=3
	s_or_b32 exec_lo, exec_lo, s79
	v_add_nc_u32_e32 v5, 0xffffff81, v28
	v_lshrrev_b32_e32 v7, 23, v4
	s_mov_b32 s14, exec_lo
	s_delay_alu instid0(VALU_DEP_2) | instskip(NEXT) | instid1(VALU_DEP_1)
	v_cndmask_b32_e64 v5, v5, 0xffffff82, vcc_lo
	v_add3_u32 v7, v29, v5, v7
	v_and_b32_e32 v5, 0x1fffff, v6
                                        ; implicit-def: $vgpr6
	s_delay_alu instid0(VALU_DEP_1) | instskip(SKIP_1) | instid1(VALU_DEP_2)
	v_dual_add_nc_u32 v28, 14, v7 :: v_dual_add_nc_u32 v4, v5, v4
	v_mov_b32_e32 v5, v113
	v_cmpx_ne_u32_e32 0, v28
	s_xor_b32 s14, exec_lo, s14
; %bb.4373:                             ;   in Loop: Header=BB6_3989 Depth=3
	s_delay_alu instid0(VALU_DEP_2) | instskip(SKIP_2) | instid1(VALU_DEP_2)
	v_cmp_lt_u64_e32 vcc_lo, 0xffffff, v[4:5]
	v_add_nc_u32_e32 v6, 15, v7
	v_cndmask_b32_e64 v7, 0, 1, vcc_lo
	v_cndmask_b32_e32 v6, v28, v6, vcc_lo
	s_delay_alu instid0(VALU_DEP_2)
	v_lshrrev_b64 v[4:5], v7, v[4:5]
; %bb.4374:                             ;   in Loop: Header=BB6_3989 Depth=3
	s_and_not1_saveexec_b32 s14, s14
; %bb.4375:                             ;   in Loop: Header=BB6_3989 Depth=3
	s_delay_alu instid0(VALU_DEP_1)
	v_bfe_u32 v6, v4, 23, 1
; %bb.4376:                             ;   in Loop: Header=BB6_3989 Depth=3
	s_or_b32 exec_lo, exec_lo, s14
	s_delay_alu instid0(VALU_DEP_2) | instskip(NEXT) | instid1(VALU_DEP_2)
	v_lshrrev_b64 v[4:5], 21, v[4:5]
	v_cmp_gt_i32_e32 vcc_lo, 32, v6
	v_min_i32_e32 v7, 31, v6
	v_cmp_eq_u32_e64 s14, 0, v6
	s_delay_alu instid0(VALU_DEP_2) | instskip(SKIP_1) | instid1(VALU_DEP_2)
	v_dual_cndmask_b32 v5, 0, v5, vcc_lo :: v_dual_lshlrev_b32 v7, 2, v7
	v_cndmask_b32_e32 v4, 3, v4, vcc_lo
	v_and_b32_e32 v7, 0xfc, v7
	s_delay_alu instid0(VALU_DEP_2) | instskip(NEXT) | instid1(VALU_DEP_2)
	v_cmp_eq_u64_e32 vcc_lo, 0, v[4:5]
	v_and_or_b32 v4, v4, 3, v7
	s_and_b32 s14, s14, vcc_lo
	s_delay_alu instid0(VALU_DEP_1) | instid1(SALU_CYCLE_1)
	v_cndmask_b32_e64 v4, v4, 0, s14
	s_delay_alu instid0(VALU_DEP_1)
	v_or_b32_e32 v6, v4, v3
.LBB6_4377:                             ;   in Loop: Header=BB6_3989 Depth=3
	s_or_b32 exec_lo, exec_lo, s78
                                        ; implicit-def: $vgpr3
.LBB6_4378:                             ;   in Loop: Header=BB6_3989 Depth=3
	s_and_not1_saveexec_b32 s14, s77
; %bb.4379:                             ;   in Loop: Header=BB6_3989 Depth=3
	v_or_b32_e32 v6, 0x7b, v3
; %bb.4380:                             ;   in Loop: Header=BB6_3989 Depth=3
	s_or_b32 exec_lo, exec_lo, s14
                                        ; implicit-def: $vgpr7
                                        ; implicit-def: $vgpr4_vgpr5
                                        ; implicit-def: $vgpr3
.LBB6_4381:                             ;   in Loop: Header=BB6_3989 Depth=3
	s_and_not1_saveexec_b32 s14, s76
	s_cbranch_execz .LBB6_4387
; %bb.4382:                             ;   in Loop: Header=BB6_3989 Depth=3
	s_mov_b32 s76, exec_lo
                                        ; implicit-def: $vgpr6
	v_cmpx_ne_u64_e32 0, v[4:5]
	s_xor_b32 s76, exec_lo, s76
; %bb.4383:                             ;   in Loop: Header=BB6_3989 Depth=3
	v_or_b32_e32 v6, 0x7f, v3
                                        ; implicit-def: $vgpr7
; %bb.4384:                             ;   in Loop: Header=BB6_3989 Depth=3
	s_and_not1_saveexec_b32 s76, s76
; %bb.4385:                             ;   in Loop: Header=BB6_3989 Depth=3
	v_cmp_lt_i32_e32 vcc_lo, -1, v7
	v_mov_b32_e32 v3, 0x7c
	s_delay_alu instid0(VALU_DEP_1)
	v_cndmask_b32_e32 v6, 0xfc, v3, vcc_lo
; %bb.4386:                             ;   in Loop: Header=BB6_3989 Depth=3
	s_or_b32 exec_lo, exec_lo, s76
.LBB6_4387:                             ;   in Loop: Header=BB6_3989 Depth=3
	s_delay_alu instid0(SALU_CYCLE_1) | instskip(SKIP_3) | instid1(VALU_DEP_2)
	s_or_b32 exec_lo, exec_lo, s14
	v_lshrrev_b16 v4, 8, v2
	v_mov_b32_e32 v7, 0
	s_mov_b32 s14, exec_lo
	v_cmpx_ne_u16_e32 0, v4
	s_cbranch_execz .LBB6_4397
; %bb.4388:                             ;   in Loop: Header=BB6_3989 Depth=3
	v_bfrev_b32_e32 v7, 1
	s_mov_b32 s76, exec_lo
	v_cmpx_ne_u16_e32 0x80, v4
	s_cbranch_execz .LBB6_4396
; %bb.4389:                             ;   in Loop: Header=BB6_3989 Depth=3
	v_and_b32_e32 v3, 0xffff, v4
	s_delay_alu instid0(VALU_DEP_1) | instskip(SKIP_1) | instid1(VALU_DEP_2)
	v_and_b32_e32 v7, 0x7c, v3
	v_and_b32_e32 v5, 3, v3
	v_cmp_ne_u32_e32 vcc_lo, 0x7c, v7
                                        ; implicit-def: $vgpr7
	s_and_saveexec_b32 s77, vcc_lo
	s_delay_alu instid0(SALU_CYCLE_1)
	s_xor_b32 s77, exec_lo, s77
	s_cbranch_execz .LBB6_4393
; %bb.4390:                             ;   in Loop: Header=BB6_3989 Depth=3
	v_bfe_u32 v3, v3, 2, 5
	s_mov_b32 s78, exec_lo
	s_delay_alu instid0(VALU_DEP_1)
	v_cmpx_eq_u32_e32 0, v3
	s_cbranch_execz .LBB6_4392
; %bb.4391:                             ;   in Loop: Header=BB6_3989 Depth=3
	v_clz_i32_u32_e32 v3, v5
	s_delay_alu instid0(VALU_DEP_1) | instskip(SKIP_1) | instid1(VALU_DEP_2)
	v_min_u32_e32 v3, 32, v3
	v_mov_b32_e32 v5, v113
	v_subrev_nc_u32_e32 v7, 29, v3
	v_sub_nc_u32_e32 v3, 30, v3
	s_delay_alu instid0(VALU_DEP_2) | instskip(NEXT) | instid1(VALU_DEP_1)
	v_lshlrev_b64_e32 v[4:5], v7, v[4:5]
	v_and_b32_e32 v5, 3, v4
.LBB6_4392:                             ;   in Loop: Header=BB6_3989 Depth=3
	s_or_b32 exec_lo, exec_lo, s78
	v_lshlrev_b32_e32 v2, 16, v2
	s_delay_alu instid0(VALU_DEP_1) | instskip(NEXT) | instid1(VALU_DEP_1)
	v_and_b32_e32 v2, 0x80000000, v2
	v_lshl_add_u32 v2, v3, 23, v2
	s_delay_alu instid0(VALU_DEP_1) | instskip(NEXT) | instid1(VALU_DEP_1)
	v_lshl_or_b32 v2, v5, 21, v2
                                        ; implicit-def: $vgpr5
	v_add_nc_u32_e32 v7, 0x38000000, v2
                                        ; implicit-def: $vgpr2_vgpr3
.LBB6_4393:                             ;   in Loop: Header=BB6_3989 Depth=3
	s_and_not1_saveexec_b32 s77, s77
; %bb.4394:                             ;   in Loop: Header=BB6_3989 Depth=3
	v_cmp_lt_i16_e32 vcc_lo, -1, v2
	v_mov_b32_e32 v2, 0x7f800000
	s_delay_alu instid0(VALU_DEP_1) | instskip(SKIP_1) | instid1(VALU_DEP_2)
	v_cndmask_b32_e32 v2, 0xff800000, v2, vcc_lo
	v_cmp_eq_u32_e32 vcc_lo, 0, v5
	v_cndmask_b32_e32 v7, 0x7f800001, v2, vcc_lo
; %bb.4395:                             ;   in Loop: Header=BB6_3989 Depth=3
	s_or_b32 exec_lo, exec_lo, s77
.LBB6_4396:                             ;   in Loop: Header=BB6_3989 Depth=3
	s_delay_alu instid0(SALU_CYCLE_1)
	s_or_b32 exec_lo, exec_lo, s76
.LBB6_4397:                             ;   in Loop: Header=BB6_3989 Depth=3
	s_delay_alu instid0(SALU_CYCLE_1) | instskip(NEXT) | instid1(VALU_DEP_1)
	s_or_b32 exec_lo, exec_lo, s14
	v_dual_mul_f32 v4, s75, v7 :: v_dual_mov_b32 v29, v113
	v_mov_b32_e32 v3, v113
                                        ; implicit-def: $vgpr7
	s_mov_b32 s14, exec_lo
	s_delay_alu instid0(VALU_DEP_2) | instskip(SKIP_2) | instid1(VALU_DEP_3)
	v_and_b32_e32 v28, 0x7f800000, v4
	v_and_b32_e32 v2, 0x7fffff, v4
	v_lshrrev_b32_e32 v5, 24, v4
	v_cmpx_ne_u64_e32 0x7f800000, v[28:29]
	s_xor_b32 s76, exec_lo, s14
	s_cbranch_execz .LBB6_4411
; %bb.4398:                             ;   in Loop: Header=BB6_3989 Depth=3
	v_and_b32_e32 v28, 0x7fffffff, v4
	v_mov_b32_e32 v29, v113
                                        ; implicit-def: $vgpr7
	s_delay_alu instid0(VALU_DEP_1) | instskip(SKIP_2) | instid1(SALU_CYCLE_1)
	v_cmp_gt_u64_e32 vcc_lo, 0x47600001, v[28:29]
	v_and_b32_e32 v28, 0x80, v5
	s_and_saveexec_b32 s14, vcc_lo
	s_xor_b32 s77, exec_lo, s14
	s_cbranch_execz .LBB6_4408
; %bb.4399:                             ;   in Loop: Header=BB6_3989 Depth=3
	v_mov_b32_e32 v7, 0
	s_mov_b32 s78, exec_lo
	v_cmpx_ne_u32_e32 0, v4
	s_cbranch_execz .LBB6_4407
; %bb.4400:                             ;   in Loop: Header=BB6_3989 Depth=3
	v_bfe_u32 v7, v4, 23, 8
	v_or_b32_e32 v30, 0x800000, v2
	s_delay_alu instid0(VALU_DEP_2) | instskip(SKIP_1) | instid1(VALU_DEP_2)
	v_sub_nc_u32_e32 v4, 0x71, v7
	v_cmp_gt_u32_e32 vcc_lo, 0x72, v7
	v_cndmask_b32_e32 v4, 0, v4, vcc_lo
	v_cmp_eq_u32_e32 vcc_lo, 0, v7
	s_delay_alu instid0(VALU_DEP_2) | instskip(NEXT) | instid1(VALU_DEP_1)
	v_cndmask_b32_e64 v29, v4, 0x70, vcc_lo
	v_dual_cndmask_b32 v2, v30, v2, vcc_lo :: v_dual_add_nc_u32 v4, 21, v29
	v_add_nc_u32_e32 v31, 20, v29
	s_delay_alu instid0(VALU_DEP_2) | instskip(NEXT) | instid1(VALU_DEP_2)
	v_lshlrev_b64_e64 v[4:5], v4, -1
	v_lshlrev_b64_e64 v[30:31], v31, 1
	s_delay_alu instid0(VALU_DEP_2) | instskip(SKIP_1) | instid1(VALU_DEP_4)
	v_bfi_b32 v4, v4, 0, v2
	v_lshrrev_b64 v[2:3], v29, v[2:3]
	v_bfi_b32 v5, v5, 0, 0
	s_delay_alu instid0(VALU_DEP_1) | instskip(NEXT) | instid1(VALU_DEP_3)
	v_cmp_eq_u64_e64 s14, v[4:5], v[30:31]
	v_mov_b64_e32 v[4:5], v[2:3]
	s_and_saveexec_b32 s79, s14
; %bb.4401:                             ;   in Loop: Header=BB6_3989 Depth=3
	v_bfe_u32 v4, v2, 21, 1
	v_mov_b32_e32 v5, v113
	s_delay_alu instid0(VALU_DEP_1) | instskip(NEXT) | instid1(VALU_DEP_1)
	v_add_nc_u64_e32 v[4:5], v[2:3], v[4:5]
	v_add_nc_u64_e32 v[4:5], -1, v[4:5]
; %bb.4402:                             ;   in Loop: Header=BB6_3989 Depth=3
	s_or_b32 exec_lo, exec_lo, s79
	v_add_nc_u32_e32 v3, 0xffffff81, v7
	v_lshrrev_b32_e32 v5, 23, v2
	s_mov_b32 s14, exec_lo
	s_delay_alu instid0(VALU_DEP_2) | instskip(NEXT) | instid1(VALU_DEP_1)
	v_cndmask_b32_e64 v3, v3, 0xffffff82, vcc_lo
	v_add3_u32 v5, v29, v3, v5
	v_and_b32_e32 v3, 0x1fffff, v4
                                        ; implicit-def: $vgpr4
	s_delay_alu instid0(VALU_DEP_1) | instskip(SKIP_1) | instid1(VALU_DEP_2)
	v_dual_add_nc_u32 v7, 14, v5 :: v_dual_add_nc_u32 v2, v3, v2
	v_mov_b32_e32 v3, v113
	v_cmpx_ne_u32_e32 0, v7
	s_xor_b32 s14, exec_lo, s14
; %bb.4403:                             ;   in Loop: Header=BB6_3989 Depth=3
	s_delay_alu instid0(VALU_DEP_2) | instskip(SKIP_2) | instid1(VALU_DEP_2)
	v_cmp_lt_u64_e32 vcc_lo, 0xffffff, v[2:3]
	v_add_nc_u32_e32 v4, 15, v5
	v_cndmask_b32_e64 v5, 0, 1, vcc_lo
	v_cndmask_b32_e32 v4, v7, v4, vcc_lo
	s_delay_alu instid0(VALU_DEP_2)
	v_lshrrev_b64 v[2:3], v5, v[2:3]
; %bb.4404:                             ;   in Loop: Header=BB6_3989 Depth=3
	s_and_not1_saveexec_b32 s14, s14
; %bb.4405:                             ;   in Loop: Header=BB6_3989 Depth=3
	s_delay_alu instid0(VALU_DEP_1)
	v_bfe_u32 v4, v2, 23, 1
; %bb.4406:                             ;   in Loop: Header=BB6_3989 Depth=3
	s_or_b32 exec_lo, exec_lo, s14
	s_delay_alu instid0(VALU_DEP_2) | instskip(NEXT) | instid1(VALU_DEP_2)
	v_lshrrev_b64 v[2:3], 21, v[2:3]
	v_cmp_gt_i32_e32 vcc_lo, 32, v4
	v_min_i32_e32 v5, 31, v4
	v_cmp_eq_u32_e64 s14, 0, v4
	s_delay_alu instid0(VALU_DEP_2) | instskip(SKIP_1) | instid1(VALU_DEP_2)
	v_dual_cndmask_b32 v3, 0, v3, vcc_lo :: v_dual_lshlrev_b32 v5, 2, v5
	v_cndmask_b32_e32 v2, 3, v2, vcc_lo
	v_and_b32_e32 v5, 0xfc, v5
	s_delay_alu instid0(VALU_DEP_2) | instskip(NEXT) | instid1(VALU_DEP_2)
	v_cmp_eq_u64_e32 vcc_lo, 0, v[2:3]
	v_and_or_b32 v2, v2, 3, v5
	s_and_b32 s14, s14, vcc_lo
	s_delay_alu instid0(VALU_DEP_1) | instid1(SALU_CYCLE_1)
	v_cndmask_b32_e64 v2, v2, 0, s14
	s_delay_alu instid0(VALU_DEP_1)
	v_or_b32_e32 v7, v2, v28
.LBB6_4407:                             ;   in Loop: Header=BB6_3989 Depth=3
	s_or_b32 exec_lo, exec_lo, s78
                                        ; implicit-def: $vgpr28
.LBB6_4408:                             ;   in Loop: Header=BB6_3989 Depth=3
	s_and_not1_saveexec_b32 s14, s77
; %bb.4409:                             ;   in Loop: Header=BB6_3989 Depth=3
	v_or_b32_e32 v7, 0x7b, v28
; %bb.4410:                             ;   in Loop: Header=BB6_3989 Depth=3
	s_or_b32 exec_lo, exec_lo, s14
                                        ; implicit-def: $vgpr4
                                        ; implicit-def: $vgpr2_vgpr3
                                        ; implicit-def: $vgpr5
.LBB6_4411:                             ;   in Loop: Header=BB6_3989 Depth=3
	s_and_not1_saveexec_b32 s14, s76
	s_cbranch_execz .LBB6_4417
; %bb.4412:                             ;   in Loop: Header=BB6_3989 Depth=3
	s_mov_b32 s76, exec_lo
                                        ; implicit-def: $vgpr7
	v_cmpx_ne_u64_e32 0, v[2:3]
	s_xor_b32 s76, exec_lo, s76
; %bb.4413:                             ;   in Loop: Header=BB6_3989 Depth=3
	v_or_b32_e32 v7, 0x7f, v5
                                        ; implicit-def: $vgpr4
; %bb.4414:                             ;   in Loop: Header=BB6_3989 Depth=3
	s_and_not1_saveexec_b32 s76, s76
; %bb.4415:                             ;   in Loop: Header=BB6_3989 Depth=3
	v_cmp_lt_i32_e32 vcc_lo, -1, v4
	v_mov_b32_e32 v2, 0x7c
	s_delay_alu instid0(VALU_DEP_1)
	v_cndmask_b32_e32 v7, 0xfc, v2, vcc_lo
; %bb.4416:                             ;   in Loop: Header=BB6_3989 Depth=3
	s_or_b32 exec_lo, exec_lo, s76
.LBB6_4417:                             ;   in Loop: Header=BB6_3989 Depth=3
	s_delay_alu instid0(SALU_CYCLE_1) | instskip(SKIP_2) | instid1(VALU_DEP_1)
	s_or_b32 exec_lo, exec_lo, s14
	v_dual_mov_b32 v3, 0 :: v_dual_lshrrev_b32 v2, 16, v11
	s_mov_b32 s14, exec_lo
	v_and_b32_e32 v4, 0xff, v2
	s_delay_alu instid0(VALU_DEP_1)
	v_cmpx_ne_u16_e32 0, v4
	s_cbranch_execz .LBB6_4427
; %bb.4418:                             ;   in Loop: Header=BB6_3989 Depth=3
	v_bfrev_b32_e32 v3, 1
	s_mov_b32 s76, exec_lo
	v_cmpx_ne_u16_e32 0x80, v4
	s_cbranch_execz .LBB6_4426
; %bb.4419:                             ;   in Loop: Header=BB6_3989 Depth=3
	v_and_b32_e32 v3, 0x7c0000, v11
	v_bfe_u32 v4, v11, 16, 2
	s_delay_alu instid0(VALU_DEP_2) | instskip(SKIP_1) | instid1(SALU_CYCLE_1)
	v_cmp_ne_u32_e32 vcc_lo, 0x7c0000, v3
                                        ; implicit-def: $vgpr3
	s_and_saveexec_b32 s77, vcc_lo
	s_xor_b32 s77, exec_lo, s77
	s_cbranch_execz .LBB6_4423
; %bb.4420:                             ;   in Loop: Header=BB6_3989 Depth=3
	v_bfe_u32 v3, v11, 18, 5
	s_mov_b32 s78, exec_lo
	s_delay_alu instid0(VALU_DEP_1)
	v_cmpx_eq_u32_e32 0, v3
; %bb.4421:                             ;   in Loop: Header=BB6_3989 Depth=3
	v_clz_i32_u32_e32 v3, v4
	s_delay_alu instid0(VALU_DEP_1) | instskip(NEXT) | instid1(VALU_DEP_1)
	v_min_u32_e32 v3, 32, v3
	v_subrev_nc_u32_e32 v4, 29, v3
	s_delay_alu instid0(VALU_DEP_1) | instskip(NEXT) | instid1(VALU_DEP_1)
	v_lshlrev_b64_e32 v[4:5], v4, v[2:3]
	v_dual_sub_nc_u32 v3, 30, v3 :: v_dual_bitop2_b32 v4, 3, v4 bitop3:0x40
; %bb.4422:                             ;   in Loop: Header=BB6_3989 Depth=3
	s_or_b32 exec_lo, exec_lo, s78
	v_lshlrev_b32_e32 v2, 24, v2
	s_delay_alu instid0(VALU_DEP_1) | instskip(NEXT) | instid1(VALU_DEP_1)
	v_and_b32_e32 v2, 0x80000000, v2
	v_lshl_add_u32 v2, v3, 23, v2
	s_delay_alu instid0(VALU_DEP_1) | instskip(NEXT) | instid1(VALU_DEP_1)
	v_lshl_or_b32 v2, v4, 21, v2
                                        ; implicit-def: $vgpr4
	v_add_nc_u32_e32 v3, 0x38000000, v2
                                        ; implicit-def: $vgpr2
.LBB6_4423:                             ;   in Loop: Header=BB6_3989 Depth=3
	s_and_not1_saveexec_b32 s77, s77
; %bb.4424:                             ;   in Loop: Header=BB6_3989 Depth=3
	v_bfe_i32 v2, v2, 0, 8
	s_delay_alu instid0(VALU_DEP_1) | instskip(SKIP_1) | instid1(VALU_DEP_1)
	v_cmp_lt_i16_e32 vcc_lo, -1, v2
	v_mov_b32_e32 v2, 0x7f800000
	v_cndmask_b32_e32 v2, 0xff800000, v2, vcc_lo
	v_cmp_eq_u32_e32 vcc_lo, 0, v4
	s_delay_alu instid0(VALU_DEP_2)
	v_cndmask_b32_e32 v3, 0x7f800001, v2, vcc_lo
; %bb.4425:                             ;   in Loop: Header=BB6_3989 Depth=3
	s_or_b32 exec_lo, exec_lo, s77
.LBB6_4426:                             ;   in Loop: Header=BB6_3989 Depth=3
	s_delay_alu instid0(SALU_CYCLE_1)
	s_or_b32 exec_lo, exec_lo, s76
.LBB6_4427:                             ;   in Loop: Header=BB6_3989 Depth=3
	s_delay_alu instid0(SALU_CYCLE_1) | instskip(NEXT) | instid1(VALU_DEP_1)
	s_or_b32 exec_lo, exec_lo, s14
	v_dual_mul_f32 v4, s75, v3 :: v_dual_mov_b32 v29, v113
	s_delay_alu instid0(VALU_DEP_1) | instskip(SKIP_2) | instid1(VALU_DEP_2)
	v_dual_mov_b32 v3, v113 :: v_dual_lshrrev_b32 v5, 24, v4
	v_and_b32_e32 v28, 0x7f800000, v4
	v_and_b32_e32 v2, 0x7fffff, v4
	v_cmp_ne_u64_e32 vcc_lo, 0x7f800000, v[28:29]
                                        ; implicit-def: $vgpr28
	s_and_saveexec_b32 s14, vcc_lo
	s_delay_alu instid0(SALU_CYCLE_1)
	s_xor_b32 s76, exec_lo, s14
	s_cbranch_execz .LBB6_4441
; %bb.4428:                             ;   in Loop: Header=BB6_3989 Depth=3
	v_and_b32_e32 v28, 0x7fffffff, v4
	v_mov_b32_e32 v29, v113
	s_delay_alu instid0(VALU_DEP_1) | instskip(SKIP_2) | instid1(SALU_CYCLE_1)
	v_cmp_gt_u64_e32 vcc_lo, 0x47600001, v[28:29]
	v_and_b32_e32 v29, 0x80, v5
                                        ; implicit-def: $vgpr28
	s_and_saveexec_b32 s14, vcc_lo
	s_xor_b32 s77, exec_lo, s14
	s_cbranch_execz .LBB6_4438
; %bb.4429:                             ;   in Loop: Header=BB6_3989 Depth=3
	v_mov_b32_e32 v28, 0
	s_mov_b32 s78, exec_lo
	v_cmpx_ne_u32_e32 0, v4
	s_cbranch_execz .LBB6_4437
; %bb.4430:                             ;   in Loop: Header=BB6_3989 Depth=3
	v_bfe_u32 v28, v4, 23, 8
	v_or_b32_e32 v31, 0x800000, v2
	s_delay_alu instid0(VALU_DEP_2) | instskip(SKIP_1) | instid1(VALU_DEP_2)
	v_sub_nc_u32_e32 v4, 0x71, v28
	v_cmp_gt_u32_e32 vcc_lo, 0x72, v28
	v_cndmask_b32_e32 v4, 0, v4, vcc_lo
	v_cmp_eq_u32_e32 vcc_lo, 0, v28
	s_delay_alu instid0(VALU_DEP_2) | instskip(SKIP_1) | instid1(VALU_DEP_2)
	v_cndmask_b32_e64 v30, v4, 0x70, vcc_lo
	v_cndmask_b32_e32 v2, v31, v2, vcc_lo
	v_dual_add_nc_u32 v4, 21, v30 :: v_dual_add_nc_u32 v32, 20, v30
	s_delay_alu instid0(VALU_DEP_1) | instskip(NEXT) | instid1(VALU_DEP_2)
	v_lshlrev_b64_e64 v[4:5], v4, -1
	v_lshlrev_b64_e64 v[32:33], v32, 1
	s_delay_alu instid0(VALU_DEP_2) | instskip(SKIP_1) | instid1(VALU_DEP_4)
	v_bfi_b32 v4, v4, 0, v2
	v_lshrrev_b64 v[2:3], v30, v[2:3]
	v_bfi_b32 v5, v5, 0, 0
	s_delay_alu instid0(VALU_DEP_1) | instskip(NEXT) | instid1(VALU_DEP_3)
	v_cmp_eq_u64_e64 s14, v[4:5], v[32:33]
	v_mov_b64_e32 v[4:5], v[2:3]
	s_and_saveexec_b32 s79, s14
; %bb.4431:                             ;   in Loop: Header=BB6_3989 Depth=3
	v_bfe_u32 v4, v2, 21, 1
	v_mov_b32_e32 v5, v113
	s_delay_alu instid0(VALU_DEP_1) | instskip(NEXT) | instid1(VALU_DEP_1)
	v_add_nc_u64_e32 v[4:5], v[2:3], v[4:5]
	v_add_nc_u64_e32 v[4:5], -1, v[4:5]
; %bb.4432:                             ;   in Loop: Header=BB6_3989 Depth=3
	s_or_b32 exec_lo, exec_lo, s79
	v_add_nc_u32_e32 v3, 0xffffff81, v28
	v_lshrrev_b32_e32 v5, 23, v2
	s_mov_b32 s14, exec_lo
	s_delay_alu instid0(VALU_DEP_2) | instskip(NEXT) | instid1(VALU_DEP_1)
	v_cndmask_b32_e64 v3, v3, 0xffffff82, vcc_lo
	v_add3_u32 v5, v30, v3, v5
	v_and_b32_e32 v3, 0x1fffff, v4
                                        ; implicit-def: $vgpr4
	s_delay_alu instid0(VALU_DEP_1) | instskip(SKIP_1) | instid1(VALU_DEP_2)
	v_dual_add_nc_u32 v28, 14, v5 :: v_dual_add_nc_u32 v2, v3, v2
	v_mov_b32_e32 v3, v113
	v_cmpx_ne_u32_e32 0, v28
	s_xor_b32 s14, exec_lo, s14
; %bb.4433:                             ;   in Loop: Header=BB6_3989 Depth=3
	s_delay_alu instid0(VALU_DEP_2) | instskip(SKIP_2) | instid1(VALU_DEP_2)
	v_cmp_lt_u64_e32 vcc_lo, 0xffffff, v[2:3]
	v_add_nc_u32_e32 v4, 15, v5
	v_cndmask_b32_e64 v5, 0, 1, vcc_lo
	v_cndmask_b32_e32 v4, v28, v4, vcc_lo
	s_delay_alu instid0(VALU_DEP_2)
	v_lshrrev_b64 v[2:3], v5, v[2:3]
; %bb.4434:                             ;   in Loop: Header=BB6_3989 Depth=3
	s_and_not1_saveexec_b32 s14, s14
; %bb.4435:                             ;   in Loop: Header=BB6_3989 Depth=3
	s_delay_alu instid0(VALU_DEP_1)
	v_bfe_u32 v4, v2, 23, 1
; %bb.4436:                             ;   in Loop: Header=BB6_3989 Depth=3
	s_or_b32 exec_lo, exec_lo, s14
	s_delay_alu instid0(VALU_DEP_2) | instskip(NEXT) | instid1(VALU_DEP_2)
	v_lshrrev_b64 v[2:3], 21, v[2:3]
	v_cmp_gt_i32_e32 vcc_lo, 32, v4
	v_min_i32_e32 v5, 31, v4
	v_cmp_eq_u32_e64 s14, 0, v4
	s_delay_alu instid0(VALU_DEP_2) | instskip(SKIP_1) | instid1(VALU_DEP_2)
	v_dual_cndmask_b32 v3, 0, v3, vcc_lo :: v_dual_lshlrev_b32 v5, 2, v5
	v_cndmask_b32_e32 v2, 3, v2, vcc_lo
	v_and_b32_e32 v5, 0xfc, v5
	s_delay_alu instid0(VALU_DEP_2) | instskip(NEXT) | instid1(VALU_DEP_2)
	v_cmp_eq_u64_e32 vcc_lo, 0, v[2:3]
	v_and_or_b32 v2, v2, 3, v5
	s_and_b32 s14, s14, vcc_lo
	s_delay_alu instid0(VALU_DEP_1) | instid1(SALU_CYCLE_1)
	v_cndmask_b32_e64 v2, v2, 0, s14
	s_delay_alu instid0(VALU_DEP_1)
	v_or_b32_e32 v28, v2, v29
.LBB6_4437:                             ;   in Loop: Header=BB6_3989 Depth=3
	s_or_b32 exec_lo, exec_lo, s78
                                        ; implicit-def: $vgpr29
.LBB6_4438:                             ;   in Loop: Header=BB6_3989 Depth=3
	s_and_not1_saveexec_b32 s14, s77
; %bb.4439:                             ;   in Loop: Header=BB6_3989 Depth=3
	v_or_b32_e32 v28, 0x7b, v29
; %bb.4440:                             ;   in Loop: Header=BB6_3989 Depth=3
	s_or_b32 exec_lo, exec_lo, s14
                                        ; implicit-def: $vgpr4
                                        ; implicit-def: $vgpr2_vgpr3
                                        ; implicit-def: $vgpr5
.LBB6_4441:                             ;   in Loop: Header=BB6_3989 Depth=3
	s_and_not1_saveexec_b32 s14, s76
	s_cbranch_execz .LBB6_4447
; %bb.4442:                             ;   in Loop: Header=BB6_3989 Depth=3
	s_mov_b32 s76, exec_lo
                                        ; implicit-def: $vgpr28
	v_cmpx_ne_u64_e32 0, v[2:3]
	s_xor_b32 s76, exec_lo, s76
; %bb.4443:                             ;   in Loop: Header=BB6_3989 Depth=3
	v_or_b32_e32 v28, 0x7f, v5
                                        ; implicit-def: $vgpr4
; %bb.4444:                             ;   in Loop: Header=BB6_3989 Depth=3
	s_and_not1_saveexec_b32 s76, s76
; %bb.4445:                             ;   in Loop: Header=BB6_3989 Depth=3
	v_cmp_lt_i32_e32 vcc_lo, -1, v4
	v_mov_b32_e32 v2, 0x7c
	s_delay_alu instid0(VALU_DEP_1)
	v_cndmask_b32_e32 v28, 0xfc, v2, vcc_lo
; %bb.4446:                             ;   in Loop: Header=BB6_3989 Depth=3
	s_or_b32 exec_lo, exec_lo, s76
.LBB6_4447:                             ;   in Loop: Header=BB6_3989 Depth=3
	s_delay_alu instid0(SALU_CYCLE_1)
	s_or_b32 exec_lo, exec_lo, s14
	v_mov_b32_e32 v3, 0
	s_mov_b32 s14, exec_lo
	v_cmpx_lt_u64_e64 s[22:23], v[10:11]
	s_cbranch_execz .LBB6_4457
; %bb.4448:                             ;   in Loop: Header=BB6_3989 Depth=3
	v_lshrrev_b32_e32 v2, 24, v11
	v_bfrev_b32_e32 v3, 1
	s_mov_b32 s76, exec_lo
	s_delay_alu instid0(VALU_DEP_2)
	v_cmpx_ne_u32_e32 0x80, v2
	s_cbranch_execz .LBB6_4456
; %bb.4449:                             ;   in Loop: Header=BB6_3989 Depth=3
	v_and_b32_e32 v3, 0x7c000000, v11
	v_bfe_u32 v4, v11, 24, 2
	s_delay_alu instid0(VALU_DEP_2) | instskip(SKIP_1) | instid1(SALU_CYCLE_1)
	v_cmp_ne_u32_e32 vcc_lo, 0x7c000000, v3
                                        ; implicit-def: $vgpr3
	s_and_saveexec_b32 s77, vcc_lo
	s_xor_b32 s77, exec_lo, s77
	s_cbranch_execz .LBB6_4453
; %bb.4450:                             ;   in Loop: Header=BB6_3989 Depth=3
	v_bfe_u32 v3, v11, 26, 5
	s_mov_b32 s78, exec_lo
	s_delay_alu instid0(VALU_DEP_1)
	v_cmpx_eq_u32_e32 0, v3
; %bb.4451:                             ;   in Loop: Header=BB6_3989 Depth=3
	v_clz_i32_u32_e32 v3, v4
	s_delay_alu instid0(VALU_DEP_1) | instskip(NEXT) | instid1(VALU_DEP_1)
	v_min_u32_e32 v4, 32, v3
	v_subrev_nc_u32_e32 v3, 29, v4
	s_delay_alu instid0(VALU_DEP_1) | instskip(NEXT) | instid1(VALU_DEP_1)
	v_lshlrev_b64_e32 v[2:3], v3, v[2:3]
	v_dual_sub_nc_u32 v3, 30, v4 :: v_dual_bitop2_b32 v4, 3, v2 bitop3:0x40
; %bb.4452:                             ;   in Loop: Header=BB6_3989 Depth=3
	s_or_b32 exec_lo, exec_lo, s78
	v_and_b32_e32 v2, 0x80000000, v11
                                        ; implicit-def: $vgpr10_vgpr11
	s_delay_alu instid0(VALU_DEP_1) | instskip(NEXT) | instid1(VALU_DEP_1)
	v_lshl_add_u32 v2, v3, 23, v2
	v_lshl_or_b32 v2, v4, 21, v2
                                        ; implicit-def: $vgpr4
	s_delay_alu instid0(VALU_DEP_1)
	v_add_nc_u32_e32 v3, 0x38000000, v2
.LBB6_4453:                             ;   in Loop: Header=BB6_3989 Depth=3
	s_and_not1_saveexec_b32 s77, s77
; %bb.4454:                             ;   in Loop: Header=BB6_3989 Depth=3
	v_cmp_lt_i64_e32 vcc_lo, -1, v[10:11]
	v_mov_b32_e32 v2, 0x7f800000
	s_delay_alu instid0(VALU_DEP_1) | instskip(SKIP_1) | instid1(VALU_DEP_2)
	v_cndmask_b32_e32 v2, 0xff800000, v2, vcc_lo
	v_cmp_eq_u32_e32 vcc_lo, 0, v4
	v_cndmask_b32_e32 v3, 0x7f800001, v2, vcc_lo
; %bb.4455:                             ;   in Loop: Header=BB6_3989 Depth=3
	s_or_b32 exec_lo, exec_lo, s77
.LBB6_4456:                             ;   in Loop: Header=BB6_3989 Depth=3
	s_delay_alu instid0(SALU_CYCLE_1)
	s_or_b32 exec_lo, exec_lo, s76
.LBB6_4457:                             ;   in Loop: Header=BB6_3989 Depth=3
	s_delay_alu instid0(SALU_CYCLE_1) | instskip(NEXT) | instid1(VALU_DEP_1)
	s_or_b32 exec_lo, exec_lo, s14
	v_dual_mul_f32 v5, s75, v3 :: v_dual_mov_b32 v11, v113
	v_mov_b32_e32 v3, v113
                                        ; implicit-def: $vgpr4
	s_delay_alu instid0(VALU_DEP_2) | instskip(SKIP_1) | instid1(VALU_DEP_2)
	v_and_b32_e32 v10, 0x7f800000, v5
	v_and_b32_e32 v2, 0x7fffff, v5
	v_cmp_ne_u64_e32 vcc_lo, 0x7f800000, v[10:11]
	v_lshrrev_b32_e32 v10, 24, v5
	s_and_saveexec_b32 s14, vcc_lo
	s_delay_alu instid0(SALU_CYCLE_1)
	s_xor_b32 s75, exec_lo, s14
	s_cbranch_execz .LBB6_4471
; %bb.4458:                             ;   in Loop: Header=BB6_3989 Depth=3
	v_and_b32_e32 v30, 0x7fffffff, v5
	v_mov_b32_e32 v31, v113
	v_and_b32_e32 v10, 0x80, v10
                                        ; implicit-def: $vgpr4
	s_mov_b32 s14, exec_lo
	s_delay_alu instid0(VALU_DEP_2)
	v_cmpx_gt_u64_e32 0x47600001, v[30:31]
	s_xor_b32 s76, exec_lo, s14
	s_cbranch_execz .LBB6_4468
; %bb.4459:                             ;   in Loop: Header=BB6_3989 Depth=3
	v_mov_b32_e32 v4, 0
	s_mov_b32 s77, exec_lo
	v_cmpx_ne_u32_e32 0, v5
	s_cbranch_execz .LBB6_4467
; %bb.4460:                             ;   in Loop: Header=BB6_3989 Depth=3
	v_bfe_u32 v11, v5, 23, 8
	v_or_b32_e32 v30, 0x800000, v2
	s_delay_alu instid0(VALU_DEP_2) | instskip(SKIP_1) | instid1(VALU_DEP_2)
	v_sub_nc_u32_e32 v4, 0x71, v11
	v_cmp_gt_u32_e32 vcc_lo, 0x72, v11
	v_cndmask_b32_e32 v4, 0, v4, vcc_lo
	v_cmp_eq_u32_e32 vcc_lo, 0, v11
	s_delay_alu instid0(VALU_DEP_2) | instskip(NEXT) | instid1(VALU_DEP_1)
	v_cndmask_b32_e64 v29, v4, 0x70, vcc_lo
	v_dual_cndmask_b32 v2, v30, v2, vcc_lo :: v_dual_add_nc_u32 v4, 21, v29
	v_add_nc_u32_e32 v31, 20, v29
	s_delay_alu instid0(VALU_DEP_2) | instskip(NEXT) | instid1(VALU_DEP_2)
	v_lshlrev_b64_e64 v[4:5], v4, -1
	v_lshlrev_b64_e64 v[30:31], v31, 1
	s_delay_alu instid0(VALU_DEP_2) | instskip(SKIP_1) | instid1(VALU_DEP_4)
	v_bfi_b32 v4, v4, 0, v2
	v_lshrrev_b64 v[2:3], v29, v[2:3]
	v_bfi_b32 v5, v5, 0, 0
	s_delay_alu instid0(VALU_DEP_1) | instskip(NEXT) | instid1(VALU_DEP_3)
	v_cmp_eq_u64_e64 s14, v[4:5], v[30:31]
	v_mov_b64_e32 v[4:5], v[2:3]
	s_and_saveexec_b32 s78, s14
; %bb.4461:                             ;   in Loop: Header=BB6_3989 Depth=3
	v_bfe_u32 v4, v2, 21, 1
	v_mov_b32_e32 v5, v113
	s_delay_alu instid0(VALU_DEP_1) | instskip(NEXT) | instid1(VALU_DEP_1)
	v_add_nc_u64_e32 v[4:5], v[2:3], v[4:5]
	v_add_nc_u64_e32 v[4:5], -1, v[4:5]
; %bb.4462:                             ;   in Loop: Header=BB6_3989 Depth=3
	s_or_b32 exec_lo, exec_lo, s78
	v_add_nc_u32_e32 v3, 0xffffff81, v11
	v_lshrrev_b32_e32 v5, 23, v2
	s_mov_b32 s14, exec_lo
	s_delay_alu instid0(VALU_DEP_2) | instskip(NEXT) | instid1(VALU_DEP_1)
	v_cndmask_b32_e64 v3, v3, 0xffffff82, vcc_lo
	v_add3_u32 v5, v29, v3, v5
	v_and_b32_e32 v3, 0x1fffff, v4
                                        ; implicit-def: $vgpr4
	s_delay_alu instid0(VALU_DEP_1) | instskip(SKIP_1) | instid1(VALU_DEP_2)
	v_dual_add_nc_u32 v11, 14, v5 :: v_dual_add_nc_u32 v2, v3, v2
	v_mov_b32_e32 v3, v113
	v_cmpx_ne_u32_e32 0, v11
	s_xor_b32 s14, exec_lo, s14
; %bb.4463:                             ;   in Loop: Header=BB6_3989 Depth=3
	s_delay_alu instid0(VALU_DEP_2) | instskip(SKIP_2) | instid1(VALU_DEP_2)
	v_cmp_lt_u64_e32 vcc_lo, 0xffffff, v[2:3]
	v_add_nc_u32_e32 v4, 15, v5
	v_cndmask_b32_e64 v5, 0, 1, vcc_lo
	v_cndmask_b32_e32 v4, v11, v4, vcc_lo
	s_delay_alu instid0(VALU_DEP_2)
	v_lshrrev_b64 v[2:3], v5, v[2:3]
; %bb.4464:                             ;   in Loop: Header=BB6_3989 Depth=3
	s_and_not1_saveexec_b32 s14, s14
; %bb.4465:                             ;   in Loop: Header=BB6_3989 Depth=3
	s_delay_alu instid0(VALU_DEP_1)
	v_bfe_u32 v4, v2, 23, 1
; %bb.4466:                             ;   in Loop: Header=BB6_3989 Depth=3
	s_or_b32 exec_lo, exec_lo, s14
	s_delay_alu instid0(VALU_DEP_2) | instskip(NEXT) | instid1(VALU_DEP_2)
	v_lshrrev_b64 v[2:3], 21, v[2:3]
	v_cmp_gt_i32_e32 vcc_lo, 32, v4
	v_min_i32_e32 v5, 31, v4
	v_cmp_eq_u32_e64 s14, 0, v4
	s_delay_alu instid0(VALU_DEP_2) | instskip(SKIP_1) | instid1(VALU_DEP_2)
	v_dual_cndmask_b32 v3, 0, v3, vcc_lo :: v_dual_lshlrev_b32 v5, 2, v5
	v_cndmask_b32_e32 v2, 3, v2, vcc_lo
	v_and_b32_e32 v5, 0xfc, v5
	s_delay_alu instid0(VALU_DEP_2) | instskip(NEXT) | instid1(VALU_DEP_2)
	v_cmp_eq_u64_e32 vcc_lo, 0, v[2:3]
	v_and_or_b32 v2, v2, 3, v5
	s_and_b32 s14, s14, vcc_lo
	s_delay_alu instid0(VALU_DEP_1) | instid1(SALU_CYCLE_1)
	v_cndmask_b32_e64 v2, v2, 0, s14
	s_delay_alu instid0(VALU_DEP_1)
	v_or_b32_e32 v4, v2, v10
.LBB6_4467:                             ;   in Loop: Header=BB6_3989 Depth=3
	s_or_b32 exec_lo, exec_lo, s77
                                        ; implicit-def: $vgpr10
.LBB6_4468:                             ;   in Loop: Header=BB6_3989 Depth=3
	s_and_not1_saveexec_b32 s14, s76
; %bb.4469:                             ;   in Loop: Header=BB6_3989 Depth=3
	v_or_b32_e32 v4, 0x7b, v10
; %bb.4470:                             ;   in Loop: Header=BB6_3989 Depth=3
	s_or_b32 exec_lo, exec_lo, s14
                                        ; implicit-def: $vgpr5
                                        ; implicit-def: $vgpr2_vgpr3
                                        ; implicit-def: $vgpr10
.LBB6_4471:                             ;   in Loop: Header=BB6_3989 Depth=3
	s_and_not1_saveexec_b32 s14, s75
	s_cbranch_execz .LBB6_3988
; %bb.4472:                             ;   in Loop: Header=BB6_3989 Depth=3
	s_mov_b32 s75, exec_lo
                                        ; implicit-def: $vgpr4
	v_cmpx_ne_u64_e32 0, v[2:3]
	s_xor_b32 s75, exec_lo, s75
; %bb.4473:                             ;   in Loop: Header=BB6_3989 Depth=3
	v_or_b32_e32 v4, 0x7f, v10
                                        ; implicit-def: $vgpr5
; %bb.4474:                             ;   in Loop: Header=BB6_3989 Depth=3
	s_and_not1_saveexec_b32 s75, s75
	s_cbranch_execz .LBB6_3987
; %bb.4475:                             ;   in Loop: Header=BB6_3989 Depth=3
	v_cmp_lt_i32_e32 vcc_lo, -1, v5
	v_mov_b32_e32 v2, 0x7c
	s_delay_alu instid0(VALU_DEP_1)
	v_cndmask_b32_e32 v4, 0xfc, v2, vcc_lo
	s_branch .LBB6_3987
.LBB6_4476:                             ;   in Loop: Header=BB6_57 Depth=2
	s_or_b32 exec_lo, exec_lo, s72
.LBB6_4477:                             ;   in Loop: Header=BB6_57 Depth=2
	s_delay_alu instid0(SALU_CYCLE_1) | instskip(SKIP_4) | instid1(VALU_DEP_1)
	s_or_b32 exec_lo, exec_lo, s63
	scratch_load_b64 v[2:3], off, s33 offset:272 ; 8-byte Folded Reload
	v_cmp_lt_i32_e32 vcc_lo, 0, v16
	s_wait_loadcnt 0x0
	v_dual_cndmask_b32 v2, 0, v2, vcc_lo :: v_dual_bitop2_b32 v0, 15, v67 bitop3:0x40
	v_dual_sub_nc_u32 v1, v15, v0 :: v_dual_cndmask_b32 v9, v15, v0, s13
	s_delay_alu instid0(VALU_DEP_1) | instskip(NEXT) | instid1(VALU_DEP_2)
	v_dual_cndmask_b32 v0, 0, v1, s13 :: v_dual_sub_nc_u32 v1, v2, v16
	v_cmp_ne_u32_e32 vcc_lo, 0, v9
	s_delay_alu instid0(VALU_DEP_2) | instskip(NEXT) | instid1(VALU_DEP_3)
	v_add3_u32 v8, v14, v12, v0
	v_lshl_add_u32 v10, v1, 5, v13
	s_and_b32 s13, vcc_lo, exec_lo
.LBB6_4478:                             ;   in Loop: Header=BB6_57 Depth=2
	s_wait_xcnt 0x0
	s_or_b32 exec_lo, exec_lo, s15
	s_and_saveexec_b32 s63, s13
	s_cbranch_execz .LBB6_5625
.LBB6_4479:                             ;   in Loop: Header=BB6_57 Depth=2
	s_wait_loadcnt 0x0
	v_dual_ashrrev_i32 v0, 31, v10 :: v_dual_ashrrev_i32 v1, 31, v9
	s_mov_b32 s72, exec_lo
	s_delay_alu instid0(VALU_DEP_1) | instskip(NEXT) | instid1(VALU_DEP_1)
	v_dual_lshrrev_b32 v0, 27, v0 :: v_dual_lshrrev_b32 v1, 22, v1
	v_dual_add_nc_u32 v0, v10, v0 :: v_dual_add_nc_u32 v1, v9, v1
	s_delay_alu instid0(VALU_DEP_1) | instskip(NEXT) | instid1(VALU_DEP_1)
	v_dual_ashrrev_i32 v11, 5, v0 :: v_dual_ashrrev_i32 v13, 10, v1
	v_sub_nc_u32_e32 v12, v13, v11
	s_delay_alu instid0(VALU_DEP_1)
	v_cmpx_lt_i32_e32 0, v12
	s_cbranch_execz .LBB6_5579
; %bb.4480:                             ;   in Loop: Header=BB6_57 Depth=2
	v_and_b32_e32 v0, 0xffffffe0, v0
	s_mov_b32 s73, 0
	s_delay_alu instid0(VALU_DEP_1) | instskip(NEXT) | instid1(VALU_DEP_1)
	v_dual_lshlrev_b32 v1, 10, v11 :: v_dual_sub_nc_u32 v0, v10, v0
	v_add3_u32 v4, v8, v0, v1
	s_delay_alu instid0(VALU_DEP_1)
	v_ashrrev_i32_e32 v5, 31, v4
	s_branch .LBB6_4483
.LBB6_4481:                             ;   in Loop: Header=BB6_4483 Depth=3
	s_or_b32 exec_lo, exec_lo, s14
.LBB6_4482:                             ;   in Loop: Header=BB6_4483 Depth=3
	s_delay_alu instid0(SALU_CYCLE_1)
	s_or_b32 exec_lo, exec_lo, s13
	v_add_nc_u64_e32 v[0:1], v[4:5], v[58:59]
	s_clause 0x7
	flat_store_b8 v[0:1], v14 th:TH_STORE_NT
	flat_store_b8 v[0:1], v15 offset:32 th:TH_STORE_NT
	flat_store_b8 v[0:1], v16 offset:64 th:TH_STORE_NT
	;; [unrolled: 1-line block ×7, first 2 shown]
	scratch_load_b64 v[14:15], off, s33 offset:272 ; 8-byte Folded Reload
	s_clause 0xf
	flat_store_b8 v[0:1], v22 offset:256 th:TH_STORE_NT
	flat_store_b8 v[0:1], v23 offset:288 th:TH_STORE_NT
	;; [unrolled: 1-line block ×16, first 2 shown]
	s_wait_loadcnt 0x0
	v_sub_nc_u32_e32 v12, v12, v14
	scratch_load_b64 v[14:15], off, s33 offset:280 ; 8-byte Folded Reload
	s_clause 0x7
	flat_store_b8 v[0:1], v38 offset:768 th:TH_STORE_NT
	flat_store_b8 v[0:1], v39 offset:800 th:TH_STORE_NT
	;; [unrolled: 1-line block ×8, first 2 shown]
	v_cmp_gt_i32_e32 vcc_lo, 1, v12
	s_or_b32 s73, vcc_lo, s73
	s_wait_loadcnt 0x0
	v_add_nc_u64_e32 v[56:57], v[56:57], v[14:15]
	v_add_nc_u64_e32 v[58:59], v[58:59], v[14:15]
	s_wait_xcnt 0x0
	s_and_not1_b32 exec_lo, exec_lo, s73
	s_cbranch_execz .LBB6_5578
.LBB6_4483:                             ;   Parent Loop BB6_47 Depth=1
                                        ;     Parent Loop BB6_57 Depth=2
                                        ; =>    This Inner Loop Header: Depth=3
	s_trap 2
	ds_load_b64 v[0:1], v0
	s_mov_b32 s74, 0
	s_wait_dscnt 0x0
	v_and_b32_e32 v2, 0xff, v0
	v_readfirstlane_b32 s14, v0
	v_readfirstlane_b32 s15, v1
	s_delay_alu instid0(VALU_DEP_3)
	v_cmp_eq_u32_e32 vcc_lo, 0, v2
	s_cbranch_vccnz .LBB6_4491
; %bb.4484:                             ;   in Loop: Header=BB6_4483 Depth=3
	s_bfe_i32 s75, s14, 0x80000
	s_brev_b32 s74, 1
	s_and_b32 s13, 0xffff, s75
	s_delay_alu instid0(SALU_CYCLE_1)
	s_cmp_eq_u32 s13, 0xff80
	s_cbranch_scc1 .LBB6_4491
; %bb.4485:                             ;   in Loop: Header=BB6_4483 Depth=3
	s_and_b32 s74, s14, 0x7c
	s_and_b32 s13, s14, 3
	s_mov_b32 s76, -1
	s_cmp_lg_u32 s74, 0x7c
	s_sext_i32_i16 s75, s75
                                        ; implicit-def: $sgpr74
	s_cbranch_scc0 .LBB6_4489
; %bb.4486:                             ;   in Loop: Header=BB6_4483 Depth=3
	s_bfe_u32 s74, s14, 0x50002
	s_mov_b32 s76, s13
	s_cmp_lg_u32 s74, 0
	s_cbranch_scc1 .LBB6_4488
; %bb.4487:                             ;   in Loop: Header=BB6_4483 Depth=3
	s_clz_i32_u32 s74, s13
	s_delay_alu instid0(SALU_CYCLE_1) | instskip(NEXT) | instid1(SALU_CYCLE_1)
	s_min_u32 s74, s74, 32
	s_sub_co_i32 s76, s74, 29
	s_sub_co_i32 s74, 30, s74
	s_lshl_b64 s[14:15], s[14:15], s76
	s_delay_alu instid0(SALU_CYCLE_1)
	s_and_b32 s76, s14, 3
.LBB6_4488:                             ;   in Loop: Header=BB6_4483 Depth=3
	s_and_b32 s14, s75, 0x80000000
	s_lshl_b32 s15, s74, 23
	s_lshl_b32 s74, s76, 21
	s_add_co_i32 s15, s15, s14
	s_mov_b32 s76, 0
	s_or_b32 s14, s15, s74
	s_delay_alu instid0(SALU_CYCLE_1)
	s_add_co_i32 s74, s14, 0x38000000
.LBB6_4489:                             ;   in Loop: Header=BB6_4483 Depth=3
	s_and_b32 vcc_lo, exec_lo, s76
	s_cbranch_vccz .LBB6_4491
; %bb.4490:                             ;   in Loop: Header=BB6_4483 Depth=3
	s_cmp_gt_i32 s75, -1
	s_cselect_b32 s14, s47, 0xff800000
	s_cmp_eq_u32 s13, 0
	s_cselect_b32 s74, s14, 0x7f800001
.LBB6_4491:                             ;   in Loop: Header=BB6_4483 Depth=3
	v_add_nc_u64_e32 v[0:1], v[4:5], v[56:57]
	v_mov_b32_e32 v6, 0
	s_mov_b32 s13, exec_lo
	flat_load_i8 v2, v[0:1] th:TH_LOAD_NT
	s_wait_loadcnt_dscnt 0x0
	s_wait_xcnt 0x0
	v_cmpx_ne_u16_e32 0, v2
	s_cbranch_execz .LBB6_4501
; %bb.4492:                             ;   in Loop: Header=BB6_4483 Depth=3
	v_bfrev_b32_e32 v6, 1
	s_mov_b32 s14, exec_lo
	v_cmpx_ne_u16_e32 0xff80, v2
	s_cbranch_execz .LBB6_4500
; %bb.4493:                             ;   in Loop: Header=BB6_4483 Depth=3
	v_and_b32_e32 v6, 0x7c, v2
	v_and_b32_e32 v3, 3, v2
	s_delay_alu instid0(VALU_DEP_2) | instskip(SKIP_1) | instid1(SALU_CYCLE_1)
	v_cmp_ne_u32_e32 vcc_lo, 0x7c, v6
                                        ; implicit-def: $vgpr6
	s_and_saveexec_b32 s15, vcc_lo
	s_xor_b32 s15, exec_lo, s15
	s_cbranch_execz .LBB6_4497
; %bb.4494:                             ;   in Loop: Header=BB6_4483 Depth=3
	v_and_b32_e32 v6, 0xff, v2
	s_mov_b32 s75, exec_lo
	s_delay_alu instid0(VALU_DEP_1) | instskip(NEXT) | instid1(VALU_DEP_1)
	v_bfe_u32 v6, v6, 2, 5
	v_cmpx_eq_u32_e32 0, v6
	s_cbranch_execz .LBB6_4496
; %bb.4495:                             ;   in Loop: Header=BB6_4483 Depth=3
	v_clz_i32_u32_e32 v3, v3
	s_delay_alu instid0(VALU_DEP_1) | instskip(SKIP_1) | instid1(VALU_DEP_2)
	v_min_u32_e32 v6, 32, v3
	v_mov_b32_e32 v3, v113
	v_subrev_nc_u32_e32 v7, 29, v6
	v_sub_nc_u32_e32 v6, 30, v6
	s_delay_alu instid0(VALU_DEP_2) | instskip(NEXT) | instid1(VALU_DEP_1)
	v_lshlrev_b64_e32 v[14:15], v7, v[2:3]
	v_and_b32_e32 v3, 3, v14
.LBB6_4496:                             ;   in Loop: Header=BB6_4483 Depth=3
	s_or_b32 exec_lo, exec_lo, s75
	v_bfe_i32 v2, v2, 0, 16
	s_delay_alu instid0(VALU_DEP_1) | instskip(NEXT) | instid1(VALU_DEP_1)
	v_and_b32_e32 v2, 0x80000000, v2
	v_lshl_add_u32 v2, v6, 23, v2
	s_delay_alu instid0(VALU_DEP_1) | instskip(NEXT) | instid1(VALU_DEP_1)
	v_lshl_or_b32 v2, v3, 21, v2
                                        ; implicit-def: $vgpr3
	v_add_nc_u32_e32 v6, 0x38000000, v2
                                        ; implicit-def: $vgpr2
.LBB6_4497:                             ;   in Loop: Header=BB6_4483 Depth=3
	s_and_not1_saveexec_b32 s15, s15
; %bb.4498:                             ;   in Loop: Header=BB6_4483 Depth=3
	v_cmp_lt_i16_e32 vcc_lo, -1, v2
	v_mov_b32_e32 v2, 0x7f800000
	s_delay_alu instid0(VALU_DEP_1) | instskip(SKIP_1) | instid1(VALU_DEP_2)
	v_cndmask_b32_e32 v2, 0xff800000, v2, vcc_lo
	v_cmp_eq_u32_e32 vcc_lo, 0, v3
	v_cndmask_b32_e32 v6, 0x7f800001, v2, vcc_lo
; %bb.4499:                             ;   in Loop: Header=BB6_4483 Depth=3
	s_or_b32 exec_lo, exec_lo, s15
.LBB6_4500:                             ;   in Loop: Header=BB6_4483 Depth=3
	s_delay_alu instid0(SALU_CYCLE_1)
	s_or_b32 exec_lo, exec_lo, s14
.LBB6_4501:                             ;   in Loop: Header=BB6_4483 Depth=3
	s_delay_alu instid0(SALU_CYCLE_1) | instskip(NEXT) | instid1(VALU_DEP_1)
	s_or_b32 exec_lo, exec_lo, s13
	v_dual_mul_f32 v6, s74, v6 :: v_dual_mov_b32 v3, v113
                                        ; implicit-def: $vgpr14
	s_delay_alu instid0(VALU_DEP_1) | instskip(NEXT) | instid1(VALU_DEP_1)
	v_and_b32_e32 v2, 0x7f800000, v6
	v_cmp_ne_u64_e32 vcc_lo, 0x7f800000, v[2:3]
	v_and_b32_e32 v2, 0x7fffff, v6
	s_and_saveexec_b32 s13, vcc_lo
	s_delay_alu instid0(SALU_CYCLE_1)
	s_xor_b32 s14, exec_lo, s13
	s_cbranch_execz .LBB6_4519
; %bb.4502:                             ;   in Loop: Header=BB6_4483 Depth=3
	v_and_b32_e32 v14, 0x7fffffff, v6
	v_dual_mov_b32 v15, v113 :: v_dual_lshrrev_b32 v7, 24, v6
	s_delay_alu instid0(VALU_DEP_1) | instskip(NEXT) | instid1(VALU_DEP_2)
	v_cmp_gt_u64_e32 vcc_lo, 0x47600001, v[14:15]
	v_and_b32_e32 v15, 0x80, v7
                                        ; implicit-def: $vgpr14
	s_and_saveexec_b32 s13, vcc_lo
	s_delay_alu instid0(SALU_CYCLE_1)
	s_xor_b32 s15, exec_lo, s13
	s_cbranch_execz .LBB6_4516
; %bb.4503:                             ;   in Loop: Header=BB6_4483 Depth=3
	v_mov_b32_e32 v14, 0
	s_mov_b32 s75, exec_lo
	v_cmpx_ne_u32_e32 0, v6
	s_cbranch_execz .LBB6_4515
; %bb.4504:                             ;   in Loop: Header=BB6_4483 Depth=3
	v_bfe_u32 v14, v6, 23, 8
	v_or_b32_e32 v17, 0x800000, v2
	s_delay_alu instid0(VALU_DEP_2) | instskip(SKIP_1) | instid1(VALU_DEP_2)
	v_sub_nc_u32_e32 v6, 0x71, v14
	v_cmp_gt_u32_e32 vcc_lo, 0x72, v14
	v_cndmask_b32_e32 v6, 0, v6, vcc_lo
	v_cmp_eq_u32_e32 vcc_lo, 0, v14
	s_delay_alu instid0(VALU_DEP_2) | instskip(NEXT) | instid1(VALU_DEP_1)
	v_cndmask_b32_e64 v16, v6, 0x70, vcc_lo
	v_dual_cndmask_b32 v2, v17, v2, vcc_lo :: v_dual_add_nc_u32 v6, 21, v16
	v_add_nc_u32_e32 v18, 20, v16
	s_delay_alu instid0(VALU_DEP_2) | instskip(NEXT) | instid1(VALU_DEP_2)
	v_lshlrev_b64_e64 v[6:7], v6, -1
	v_lshlrev_b64_e64 v[18:19], v18, 1
	s_delay_alu instid0(VALU_DEP_2) | instskip(SKIP_1) | instid1(VALU_DEP_4)
	v_bfi_b32 v6, v6, 0, v2
	v_lshrrev_b64 v[2:3], v16, v[2:3]
	v_bfi_b32 v7, v7, 0, 0
	s_delay_alu instid0(VALU_DEP_1) | instskip(NEXT) | instid1(VALU_DEP_3)
	v_cmp_eq_u64_e64 s13, v[6:7], v[18:19]
	v_mov_b64_e32 v[6:7], v[2:3]
	s_and_saveexec_b32 s76, s13
; %bb.4505:                             ;   in Loop: Header=BB6_4483 Depth=3
	v_bfe_u32 v6, v2, 21, 1
	v_mov_b32_e32 v7, v113
	s_delay_alu instid0(VALU_DEP_1) | instskip(NEXT) | instid1(VALU_DEP_1)
	v_add_nc_u64_e32 v[6:7], v[2:3], v[6:7]
	v_add_nc_u64_e32 v[6:7], -1, v[6:7]
; %bb.4506:                             ;   in Loop: Header=BB6_4483 Depth=3
	s_or_b32 exec_lo, exec_lo, s76
	v_add_nc_u32_e32 v3, 0xffffff81, v14
	v_lshrrev_b32_e32 v7, 23, v2
	s_mov_b32 s13, exec_lo
	s_delay_alu instid0(VALU_DEP_2) | instskip(NEXT) | instid1(VALU_DEP_1)
	v_cndmask_b32_e64 v3, v3, 0xffffff82, vcc_lo
	v_add3_u32 v7, v16, v3, v7
	v_and_b32_e32 v3, 0x1fffff, v6
                                        ; implicit-def: $vgpr6
	s_delay_alu instid0(VALU_DEP_1) | instskip(SKIP_1) | instid1(VALU_DEP_2)
	v_dual_add_nc_u32 v14, 14, v7 :: v_dual_add_nc_u32 v2, v3, v2
	v_mov_b32_e32 v3, v113
	v_cmpx_ne_u32_e32 0, v14
	s_xor_b32 s13, exec_lo, s13
; %bb.4507:                             ;   in Loop: Header=BB6_4483 Depth=3
	s_delay_alu instid0(VALU_DEP_2) | instskip(SKIP_2) | instid1(VALU_DEP_2)
	v_cmp_lt_u64_e32 vcc_lo, 0xffffff, v[2:3]
	v_add_nc_u32_e32 v6, 15, v7
	v_cndmask_b32_e64 v7, 0, 1, vcc_lo
	v_cndmask_b32_e32 v6, v14, v6, vcc_lo
	s_delay_alu instid0(VALU_DEP_2)
	v_lshrrev_b64 v[2:3], v7, v[2:3]
; %bb.4508:                             ;   in Loop: Header=BB6_4483 Depth=3
	s_and_not1_saveexec_b32 s13, s13
; %bb.4509:                             ;   in Loop: Header=BB6_4483 Depth=3
	s_delay_alu instid0(VALU_DEP_1)
	v_bfe_u32 v6, v2, 23, 1
; %bb.4510:                             ;   in Loop: Header=BB6_4483 Depth=3
	s_or_b32 exec_lo, exec_lo, s13
	s_delay_alu instid0(VALU_DEP_2) | instskip(NEXT) | instid1(VALU_DEP_2)
	v_lshrrev_b64 v[2:3], 21, v[2:3]
	v_cmp_gt_i32_e32 vcc_lo, 32, v6
	v_cmp_ne_u32_e64 s13, 0, v6
                                        ; implicit-def: $vgpr14
	s_delay_alu instid0(VALU_DEP_3) | instskip(NEXT) | instid1(VALU_DEP_1)
	v_dual_cndmask_b32 v3, 0, v3 :: v_dual_cndmask_b32 v2, 3, v2
	v_cmp_ne_u64_e32 vcc_lo, 0, v[2:3]
	s_or_b32 s13, s13, vcc_lo
	s_delay_alu instid0(SALU_CYCLE_1) | instskip(NEXT) | instid1(SALU_CYCLE_1)
	s_and_saveexec_b32 s76, s13
	s_xor_b32 s13, exec_lo, s76
; %bb.4511:                             ;   in Loop: Header=BB6_4483 Depth=3
	v_min_i32_e32 v3, 31, v6
	s_delay_alu instid0(VALU_DEP_1) | instskip(NEXT) | instid1(VALU_DEP_1)
	v_lshl_or_b32 v3, v3, 2, v15
                                        ; implicit-def: $vgpr15
	v_and_or_b32 v14, v2, 3, v3
; %bb.4512:                             ;   in Loop: Header=BB6_4483 Depth=3
	s_and_not1_saveexec_b32 s13, s13
; %bb.4513:                             ;   in Loop: Header=BB6_4483 Depth=3
	v_mov_b32_e32 v14, v15
; %bb.4514:                             ;   in Loop: Header=BB6_4483 Depth=3
	s_or_b32 exec_lo, exec_lo, s13
.LBB6_4515:                             ;   in Loop: Header=BB6_4483 Depth=3
	s_delay_alu instid0(SALU_CYCLE_1)
	s_or_b32 exec_lo, exec_lo, s75
                                        ; implicit-def: $vgpr15
.LBB6_4516:                             ;   in Loop: Header=BB6_4483 Depth=3
	s_and_not1_saveexec_b32 s13, s15
; %bb.4517:                             ;   in Loop: Header=BB6_4483 Depth=3
	v_or_b32_e32 v14, 0x7b, v15
; %bb.4518:                             ;   in Loop: Header=BB6_4483 Depth=3
	s_or_b32 exec_lo, exec_lo, s13
                                        ; implicit-def: $vgpr6
                                        ; implicit-def: $vgpr2_vgpr3
.LBB6_4519:                             ;   in Loop: Header=BB6_4483 Depth=3
	s_and_not1_saveexec_b32 s13, s14
	s_cbranch_execz .LBB6_4525
; %bb.4520:                             ;   in Loop: Header=BB6_4483 Depth=3
	s_mov_b32 s14, exec_lo
                                        ; implicit-def: $vgpr14
	v_cmpx_ne_u64_e32 0, v[2:3]
	s_xor_b32 s14, exec_lo, s14
; %bb.4521:                             ;   in Loop: Header=BB6_4483 Depth=3
	v_lshrrev_b32_e32 v2, 24, v6
                                        ; implicit-def: $vgpr6
	s_delay_alu instid0(VALU_DEP_1)
	v_or_b32_e32 v14, 0x7f, v2
; %bb.4522:                             ;   in Loop: Header=BB6_4483 Depth=3
	s_and_not1_saveexec_b32 s14, s14
; %bb.4523:                             ;   in Loop: Header=BB6_4483 Depth=3
	v_cmp_lt_i32_e32 vcc_lo, -1, v6
	v_cndmask_b32_e64 v14, -4, 0x7c, vcc_lo
; %bb.4524:                             ;   in Loop: Header=BB6_4483 Depth=3
	s_or_b32 exec_lo, exec_lo, s14
.LBB6_4525:                             ;   in Loop: Header=BB6_4483 Depth=3
	s_delay_alu instid0(SALU_CYCLE_1)
	s_or_b32 exec_lo, exec_lo, s13
	flat_load_i8 v2, v[0:1] offset:32 th:TH_LOAD_NT
	v_mov_b32_e32 v6, 0
	s_mov_b32 s13, exec_lo
	s_wait_loadcnt_dscnt 0x0
	s_wait_xcnt 0x0
	v_cmpx_ne_u16_e32 0, v2
	s_cbranch_execz .LBB6_4535
; %bb.4526:                             ;   in Loop: Header=BB6_4483 Depth=3
	v_bfrev_b32_e32 v6, 1
	s_mov_b32 s14, exec_lo
	v_cmpx_ne_u16_e32 0xff80, v2
	s_cbranch_execz .LBB6_4534
; %bb.4527:                             ;   in Loop: Header=BB6_4483 Depth=3
	v_and_b32_e32 v6, 0x7c, v2
	v_and_b32_e32 v3, 3, v2
	s_delay_alu instid0(VALU_DEP_2) | instskip(SKIP_1) | instid1(SALU_CYCLE_1)
	v_cmp_ne_u32_e32 vcc_lo, 0x7c, v6
                                        ; implicit-def: $vgpr6
	s_and_saveexec_b32 s15, vcc_lo
	s_xor_b32 s15, exec_lo, s15
	s_cbranch_execz .LBB6_4531
; %bb.4528:                             ;   in Loop: Header=BB6_4483 Depth=3
	v_and_b32_e32 v6, 0xff, v2
	s_mov_b32 s75, exec_lo
	s_delay_alu instid0(VALU_DEP_1) | instskip(NEXT) | instid1(VALU_DEP_1)
	v_bfe_u32 v6, v6, 2, 5
	v_cmpx_eq_u32_e32 0, v6
	s_cbranch_execz .LBB6_4530
; %bb.4529:                             ;   in Loop: Header=BB6_4483 Depth=3
	v_clz_i32_u32_e32 v3, v3
	s_delay_alu instid0(VALU_DEP_1) | instskip(SKIP_1) | instid1(VALU_DEP_2)
	v_min_u32_e32 v6, 32, v3
	v_mov_b32_e32 v3, v113
	v_subrev_nc_u32_e32 v7, 29, v6
	v_sub_nc_u32_e32 v6, 30, v6
	s_delay_alu instid0(VALU_DEP_2) | instskip(NEXT) | instid1(VALU_DEP_1)
	v_lshlrev_b64_e32 v[16:17], v7, v[2:3]
	v_and_b32_e32 v3, 3, v16
.LBB6_4530:                             ;   in Loop: Header=BB6_4483 Depth=3
	s_or_b32 exec_lo, exec_lo, s75
	v_bfe_i32 v2, v2, 0, 16
	s_delay_alu instid0(VALU_DEP_1) | instskip(NEXT) | instid1(VALU_DEP_1)
	v_and_b32_e32 v2, 0x80000000, v2
	v_lshl_add_u32 v2, v6, 23, v2
	s_delay_alu instid0(VALU_DEP_1) | instskip(NEXT) | instid1(VALU_DEP_1)
	v_lshl_or_b32 v2, v3, 21, v2
                                        ; implicit-def: $vgpr3
	v_add_nc_u32_e32 v6, 0x38000000, v2
                                        ; implicit-def: $vgpr2
.LBB6_4531:                             ;   in Loop: Header=BB6_4483 Depth=3
	s_and_not1_saveexec_b32 s15, s15
; %bb.4532:                             ;   in Loop: Header=BB6_4483 Depth=3
	v_cmp_lt_i16_e32 vcc_lo, -1, v2
	v_mov_b32_e32 v2, 0x7f800000
	s_delay_alu instid0(VALU_DEP_1) | instskip(SKIP_1) | instid1(VALU_DEP_2)
	v_cndmask_b32_e32 v2, 0xff800000, v2, vcc_lo
	v_cmp_eq_u32_e32 vcc_lo, 0, v3
	v_cndmask_b32_e32 v6, 0x7f800001, v2, vcc_lo
; %bb.4533:                             ;   in Loop: Header=BB6_4483 Depth=3
	s_or_b32 exec_lo, exec_lo, s15
.LBB6_4534:                             ;   in Loop: Header=BB6_4483 Depth=3
	s_delay_alu instid0(SALU_CYCLE_1)
	s_or_b32 exec_lo, exec_lo, s14
.LBB6_4535:                             ;   in Loop: Header=BB6_4483 Depth=3
	s_delay_alu instid0(SALU_CYCLE_1) | instskip(NEXT) | instid1(VALU_DEP_1)
	s_or_b32 exec_lo, exec_lo, s13
	v_dual_mul_f32 v6, s74, v6 :: v_dual_mov_b32 v3, v113
                                        ; implicit-def: $vgpr15
	s_delay_alu instid0(VALU_DEP_1) | instskip(NEXT) | instid1(VALU_DEP_1)
	v_and_b32_e32 v2, 0x7f800000, v6
	v_cmp_ne_u64_e32 vcc_lo, 0x7f800000, v[2:3]
	v_and_b32_e32 v2, 0x7fffff, v6
	s_and_saveexec_b32 s13, vcc_lo
	s_delay_alu instid0(SALU_CYCLE_1)
	s_xor_b32 s14, exec_lo, s13
	s_cbranch_execz .LBB6_4553
; %bb.4536:                             ;   in Loop: Header=BB6_4483 Depth=3
	v_and_b32_e32 v16, 0x7fffffff, v6
	v_dual_mov_b32 v17, v113 :: v_dual_lshrrev_b32 v7, 24, v6
                                        ; implicit-def: $vgpr15
	s_delay_alu instid0(VALU_DEP_1) | instskip(NEXT) | instid1(VALU_DEP_2)
	v_cmp_gt_u64_e32 vcc_lo, 0x47600001, v[16:17]
	v_and_b32_e32 v16, 0x80, v7
	s_and_saveexec_b32 s13, vcc_lo
	s_delay_alu instid0(SALU_CYCLE_1)
	s_xor_b32 s15, exec_lo, s13
	s_cbranch_execz .LBB6_4550
; %bb.4537:                             ;   in Loop: Header=BB6_4483 Depth=3
	v_mov_b32_e32 v15, 0
	s_mov_b32 s75, exec_lo
	v_cmpx_ne_u32_e32 0, v6
	s_cbranch_execz .LBB6_4549
; %bb.4538:                             ;   in Loop: Header=BB6_4483 Depth=3
	v_bfe_u32 v15, v6, 23, 8
	v_or_b32_e32 v18, 0x800000, v2
	s_delay_alu instid0(VALU_DEP_2) | instskip(SKIP_1) | instid1(VALU_DEP_2)
	v_sub_nc_u32_e32 v6, 0x71, v15
	v_cmp_gt_u32_e32 vcc_lo, 0x72, v15
	v_cndmask_b32_e32 v6, 0, v6, vcc_lo
	v_cmp_eq_u32_e32 vcc_lo, 0, v15
	s_delay_alu instid0(VALU_DEP_2) | instskip(NEXT) | instid1(VALU_DEP_1)
	v_cndmask_b32_e64 v17, v6, 0x70, vcc_lo
	v_dual_cndmask_b32 v2, v18, v2, vcc_lo :: v_dual_add_nc_u32 v6, 21, v17
	v_add_nc_u32_e32 v19, 20, v17
	s_delay_alu instid0(VALU_DEP_2) | instskip(NEXT) | instid1(VALU_DEP_2)
	v_lshlrev_b64_e64 v[6:7], v6, -1
	v_lshlrev_b64_e64 v[18:19], v19, 1
	s_delay_alu instid0(VALU_DEP_2) | instskip(SKIP_1) | instid1(VALU_DEP_4)
	v_bfi_b32 v6, v6, 0, v2
	v_lshrrev_b64 v[2:3], v17, v[2:3]
	v_bfi_b32 v7, v7, 0, 0
	s_delay_alu instid0(VALU_DEP_1) | instskip(NEXT) | instid1(VALU_DEP_3)
	v_cmp_eq_u64_e64 s13, v[6:7], v[18:19]
	v_mov_b64_e32 v[6:7], v[2:3]
	s_and_saveexec_b32 s76, s13
; %bb.4539:                             ;   in Loop: Header=BB6_4483 Depth=3
	v_bfe_u32 v6, v2, 21, 1
	v_mov_b32_e32 v7, v113
	s_delay_alu instid0(VALU_DEP_1) | instskip(NEXT) | instid1(VALU_DEP_1)
	v_add_nc_u64_e32 v[6:7], v[2:3], v[6:7]
	v_add_nc_u64_e32 v[6:7], -1, v[6:7]
; %bb.4540:                             ;   in Loop: Header=BB6_4483 Depth=3
	s_or_b32 exec_lo, exec_lo, s76
	v_add_nc_u32_e32 v3, 0xffffff81, v15
	v_lshrrev_b32_e32 v7, 23, v2
	s_mov_b32 s13, exec_lo
	s_delay_alu instid0(VALU_DEP_2) | instskip(NEXT) | instid1(VALU_DEP_1)
	v_cndmask_b32_e64 v3, v3, 0xffffff82, vcc_lo
	v_add3_u32 v7, v17, v3, v7
	v_and_b32_e32 v3, 0x1fffff, v6
                                        ; implicit-def: $vgpr6
	s_delay_alu instid0(VALU_DEP_1) | instskip(SKIP_1) | instid1(VALU_DEP_2)
	v_dual_add_nc_u32 v15, 14, v7 :: v_dual_add_nc_u32 v2, v3, v2
	v_mov_b32_e32 v3, v113
	v_cmpx_ne_u32_e32 0, v15
	s_xor_b32 s13, exec_lo, s13
; %bb.4541:                             ;   in Loop: Header=BB6_4483 Depth=3
	s_delay_alu instid0(VALU_DEP_2) | instskip(SKIP_2) | instid1(VALU_DEP_2)
	v_cmp_lt_u64_e32 vcc_lo, 0xffffff, v[2:3]
	v_add_nc_u32_e32 v6, 15, v7
	v_cndmask_b32_e64 v7, 0, 1, vcc_lo
	v_cndmask_b32_e32 v6, v15, v6, vcc_lo
	s_delay_alu instid0(VALU_DEP_2)
	v_lshrrev_b64 v[2:3], v7, v[2:3]
; %bb.4542:                             ;   in Loop: Header=BB6_4483 Depth=3
	s_and_not1_saveexec_b32 s13, s13
; %bb.4543:                             ;   in Loop: Header=BB6_4483 Depth=3
	s_delay_alu instid0(VALU_DEP_1)
	v_bfe_u32 v6, v2, 23, 1
; %bb.4544:                             ;   in Loop: Header=BB6_4483 Depth=3
	s_or_b32 exec_lo, exec_lo, s13
	s_delay_alu instid0(VALU_DEP_2) | instskip(NEXT) | instid1(VALU_DEP_2)
	v_lshrrev_b64 v[2:3], 21, v[2:3]
	v_cmp_gt_i32_e32 vcc_lo, 32, v6
	v_cmp_ne_u32_e64 s13, 0, v6
                                        ; implicit-def: $vgpr15
	s_delay_alu instid0(VALU_DEP_3) | instskip(NEXT) | instid1(VALU_DEP_1)
	v_dual_cndmask_b32 v3, 0, v3 :: v_dual_cndmask_b32 v2, 3, v2
	v_cmp_ne_u64_e32 vcc_lo, 0, v[2:3]
	s_or_b32 s13, s13, vcc_lo
	s_delay_alu instid0(SALU_CYCLE_1) | instskip(NEXT) | instid1(SALU_CYCLE_1)
	s_and_saveexec_b32 s76, s13
	s_xor_b32 s13, exec_lo, s76
; %bb.4545:                             ;   in Loop: Header=BB6_4483 Depth=3
	v_min_i32_e32 v3, 31, v6
	s_delay_alu instid0(VALU_DEP_1) | instskip(NEXT) | instid1(VALU_DEP_1)
	v_lshl_or_b32 v3, v3, 2, v16
                                        ; implicit-def: $vgpr16
	v_and_or_b32 v15, v2, 3, v3
; %bb.4546:                             ;   in Loop: Header=BB6_4483 Depth=3
	s_and_not1_saveexec_b32 s13, s13
; %bb.4547:                             ;   in Loop: Header=BB6_4483 Depth=3
	v_mov_b32_e32 v15, v16
; %bb.4548:                             ;   in Loop: Header=BB6_4483 Depth=3
	s_or_b32 exec_lo, exec_lo, s13
.LBB6_4549:                             ;   in Loop: Header=BB6_4483 Depth=3
	s_delay_alu instid0(SALU_CYCLE_1)
	s_or_b32 exec_lo, exec_lo, s75
                                        ; implicit-def: $vgpr16
.LBB6_4550:                             ;   in Loop: Header=BB6_4483 Depth=3
	s_and_not1_saveexec_b32 s13, s15
; %bb.4551:                             ;   in Loop: Header=BB6_4483 Depth=3
	v_or_b32_e32 v15, 0x7b, v16
; %bb.4552:                             ;   in Loop: Header=BB6_4483 Depth=3
	s_or_b32 exec_lo, exec_lo, s13
                                        ; implicit-def: $vgpr6
                                        ; implicit-def: $vgpr2_vgpr3
.LBB6_4553:                             ;   in Loop: Header=BB6_4483 Depth=3
	s_and_not1_saveexec_b32 s13, s14
	s_cbranch_execz .LBB6_4559
; %bb.4554:                             ;   in Loop: Header=BB6_4483 Depth=3
	s_mov_b32 s14, exec_lo
                                        ; implicit-def: $vgpr15
	v_cmpx_ne_u64_e32 0, v[2:3]
	s_xor_b32 s14, exec_lo, s14
; %bb.4555:                             ;   in Loop: Header=BB6_4483 Depth=3
	v_lshrrev_b32_e32 v2, 24, v6
                                        ; implicit-def: $vgpr6
	s_delay_alu instid0(VALU_DEP_1)
	v_or_b32_e32 v15, 0x7f, v2
; %bb.4556:                             ;   in Loop: Header=BB6_4483 Depth=3
	s_and_not1_saveexec_b32 s14, s14
; %bb.4557:                             ;   in Loop: Header=BB6_4483 Depth=3
	v_cmp_lt_i32_e32 vcc_lo, -1, v6
	v_cndmask_b32_e64 v15, -4, 0x7c, vcc_lo
; %bb.4558:                             ;   in Loop: Header=BB6_4483 Depth=3
	s_or_b32 exec_lo, exec_lo, s14
.LBB6_4559:                             ;   in Loop: Header=BB6_4483 Depth=3
	s_delay_alu instid0(SALU_CYCLE_1)
	s_or_b32 exec_lo, exec_lo, s13
	flat_load_i8 v2, v[0:1] offset:64 th:TH_LOAD_NT
	v_mov_b32_e32 v6, 0
	s_mov_b32 s13, exec_lo
	s_wait_loadcnt_dscnt 0x0
	s_wait_xcnt 0x0
	v_cmpx_ne_u16_e32 0, v2
	s_cbranch_execz .LBB6_4569
; %bb.4560:                             ;   in Loop: Header=BB6_4483 Depth=3
	v_bfrev_b32_e32 v6, 1
	s_mov_b32 s14, exec_lo
	v_cmpx_ne_u16_e32 0xff80, v2
	s_cbranch_execz .LBB6_4568
; %bb.4561:                             ;   in Loop: Header=BB6_4483 Depth=3
	v_and_b32_e32 v6, 0x7c, v2
	v_and_b32_e32 v3, 3, v2
	s_delay_alu instid0(VALU_DEP_2) | instskip(SKIP_1) | instid1(SALU_CYCLE_1)
	v_cmp_ne_u32_e32 vcc_lo, 0x7c, v6
                                        ; implicit-def: $vgpr6
	s_and_saveexec_b32 s15, vcc_lo
	s_xor_b32 s15, exec_lo, s15
	s_cbranch_execz .LBB6_4565
; %bb.4562:                             ;   in Loop: Header=BB6_4483 Depth=3
	v_and_b32_e32 v6, 0xff, v2
	s_mov_b32 s75, exec_lo
	s_delay_alu instid0(VALU_DEP_1) | instskip(NEXT) | instid1(VALU_DEP_1)
	v_bfe_u32 v6, v6, 2, 5
	v_cmpx_eq_u32_e32 0, v6
	s_cbranch_execz .LBB6_4564
; %bb.4563:                             ;   in Loop: Header=BB6_4483 Depth=3
	v_clz_i32_u32_e32 v3, v3
	s_delay_alu instid0(VALU_DEP_1) | instskip(SKIP_1) | instid1(VALU_DEP_2)
	v_min_u32_e32 v6, 32, v3
	v_mov_b32_e32 v3, v113
	v_subrev_nc_u32_e32 v7, 29, v6
	v_sub_nc_u32_e32 v6, 30, v6
	s_delay_alu instid0(VALU_DEP_2) | instskip(NEXT) | instid1(VALU_DEP_1)
	v_lshlrev_b64_e32 v[16:17], v7, v[2:3]
	v_and_b32_e32 v3, 3, v16
.LBB6_4564:                             ;   in Loop: Header=BB6_4483 Depth=3
	s_or_b32 exec_lo, exec_lo, s75
	v_bfe_i32 v2, v2, 0, 16
	s_delay_alu instid0(VALU_DEP_1) | instskip(NEXT) | instid1(VALU_DEP_1)
	v_and_b32_e32 v2, 0x80000000, v2
	v_lshl_add_u32 v2, v6, 23, v2
	s_delay_alu instid0(VALU_DEP_1) | instskip(NEXT) | instid1(VALU_DEP_1)
	v_lshl_or_b32 v2, v3, 21, v2
                                        ; implicit-def: $vgpr3
	v_add_nc_u32_e32 v6, 0x38000000, v2
                                        ; implicit-def: $vgpr2
.LBB6_4565:                             ;   in Loop: Header=BB6_4483 Depth=3
	s_and_not1_saveexec_b32 s15, s15
; %bb.4566:                             ;   in Loop: Header=BB6_4483 Depth=3
	v_cmp_lt_i16_e32 vcc_lo, -1, v2
	v_mov_b32_e32 v2, 0x7f800000
	s_delay_alu instid0(VALU_DEP_1) | instskip(SKIP_1) | instid1(VALU_DEP_2)
	v_cndmask_b32_e32 v2, 0xff800000, v2, vcc_lo
	v_cmp_eq_u32_e32 vcc_lo, 0, v3
	v_cndmask_b32_e32 v6, 0x7f800001, v2, vcc_lo
; %bb.4567:                             ;   in Loop: Header=BB6_4483 Depth=3
	s_or_b32 exec_lo, exec_lo, s15
.LBB6_4568:                             ;   in Loop: Header=BB6_4483 Depth=3
	s_delay_alu instid0(SALU_CYCLE_1)
	s_or_b32 exec_lo, exec_lo, s14
.LBB6_4569:                             ;   in Loop: Header=BB6_4483 Depth=3
	s_delay_alu instid0(SALU_CYCLE_1) | instskip(NEXT) | instid1(VALU_DEP_1)
	s_or_b32 exec_lo, exec_lo, s13
	v_dual_mul_f32 v6, s74, v6 :: v_dual_mov_b32 v3, v113
                                        ; implicit-def: $vgpr16
	s_delay_alu instid0(VALU_DEP_1) | instskip(NEXT) | instid1(VALU_DEP_1)
	v_and_b32_e32 v2, 0x7f800000, v6
	v_cmp_ne_u64_e32 vcc_lo, 0x7f800000, v[2:3]
	v_and_b32_e32 v2, 0x7fffff, v6
	s_and_saveexec_b32 s13, vcc_lo
	s_delay_alu instid0(SALU_CYCLE_1)
	s_xor_b32 s14, exec_lo, s13
	s_cbranch_execz .LBB6_4587
; %bb.4570:                             ;   in Loop: Header=BB6_4483 Depth=3
	v_and_b32_e32 v16, 0x7fffffff, v6
	v_dual_mov_b32 v17, v113 :: v_dual_lshrrev_b32 v7, 24, v6
	s_delay_alu instid0(VALU_DEP_1) | instskip(NEXT) | instid1(VALU_DEP_2)
	v_cmp_gt_u64_e32 vcc_lo, 0x47600001, v[16:17]
	v_and_b32_e32 v17, 0x80, v7
                                        ; implicit-def: $vgpr16
	s_and_saveexec_b32 s13, vcc_lo
	s_delay_alu instid0(SALU_CYCLE_1)
	s_xor_b32 s15, exec_lo, s13
	s_cbranch_execz .LBB6_4584
; %bb.4571:                             ;   in Loop: Header=BB6_4483 Depth=3
	v_mov_b32_e32 v16, 0
	s_mov_b32 s75, exec_lo
	v_cmpx_ne_u32_e32 0, v6
	s_cbranch_execz .LBB6_4583
; %bb.4572:                             ;   in Loop: Header=BB6_4483 Depth=3
	v_bfe_u32 v16, v6, 23, 8
	v_or_b32_e32 v19, 0x800000, v2
	s_delay_alu instid0(VALU_DEP_2) | instskip(SKIP_1) | instid1(VALU_DEP_2)
	v_sub_nc_u32_e32 v6, 0x71, v16
	v_cmp_gt_u32_e32 vcc_lo, 0x72, v16
	v_cndmask_b32_e32 v6, 0, v6, vcc_lo
	v_cmp_eq_u32_e32 vcc_lo, 0, v16
	s_delay_alu instid0(VALU_DEP_2) | instskip(SKIP_1) | instid1(VALU_DEP_2)
	v_cndmask_b32_e64 v18, v6, 0x70, vcc_lo
	v_cndmask_b32_e32 v2, v19, v2, vcc_lo
	v_dual_add_nc_u32 v6, 21, v18 :: v_dual_add_nc_u32 v20, 20, v18
	s_delay_alu instid0(VALU_DEP_1) | instskip(NEXT) | instid1(VALU_DEP_2)
	v_lshlrev_b64_e64 v[6:7], v6, -1
	v_lshlrev_b64_e64 v[20:21], v20, 1
	s_delay_alu instid0(VALU_DEP_2) | instskip(SKIP_1) | instid1(VALU_DEP_4)
	v_bfi_b32 v6, v6, 0, v2
	v_lshrrev_b64 v[2:3], v18, v[2:3]
	v_bfi_b32 v7, v7, 0, 0
	s_delay_alu instid0(VALU_DEP_1) | instskip(NEXT) | instid1(VALU_DEP_3)
	v_cmp_eq_u64_e64 s13, v[6:7], v[20:21]
	v_mov_b64_e32 v[6:7], v[2:3]
	s_and_saveexec_b32 s76, s13
; %bb.4573:                             ;   in Loop: Header=BB6_4483 Depth=3
	v_bfe_u32 v6, v2, 21, 1
	v_mov_b32_e32 v7, v113
	s_delay_alu instid0(VALU_DEP_1) | instskip(NEXT) | instid1(VALU_DEP_1)
	v_add_nc_u64_e32 v[6:7], v[2:3], v[6:7]
	v_add_nc_u64_e32 v[6:7], -1, v[6:7]
; %bb.4574:                             ;   in Loop: Header=BB6_4483 Depth=3
	s_or_b32 exec_lo, exec_lo, s76
	v_add_nc_u32_e32 v3, 0xffffff81, v16
	v_lshrrev_b32_e32 v7, 23, v2
	s_mov_b32 s13, exec_lo
	s_delay_alu instid0(VALU_DEP_2) | instskip(NEXT) | instid1(VALU_DEP_1)
	v_cndmask_b32_e64 v3, v3, 0xffffff82, vcc_lo
	v_add3_u32 v7, v18, v3, v7
	v_and_b32_e32 v3, 0x1fffff, v6
                                        ; implicit-def: $vgpr6
	s_delay_alu instid0(VALU_DEP_1) | instskip(SKIP_1) | instid1(VALU_DEP_2)
	v_dual_add_nc_u32 v16, 14, v7 :: v_dual_add_nc_u32 v2, v3, v2
	v_mov_b32_e32 v3, v113
	v_cmpx_ne_u32_e32 0, v16
	s_xor_b32 s13, exec_lo, s13
; %bb.4575:                             ;   in Loop: Header=BB6_4483 Depth=3
	s_delay_alu instid0(VALU_DEP_2) | instskip(SKIP_2) | instid1(VALU_DEP_2)
	v_cmp_lt_u64_e32 vcc_lo, 0xffffff, v[2:3]
	v_add_nc_u32_e32 v6, 15, v7
	v_cndmask_b32_e64 v7, 0, 1, vcc_lo
	v_cndmask_b32_e32 v6, v16, v6, vcc_lo
	s_delay_alu instid0(VALU_DEP_2)
	v_lshrrev_b64 v[2:3], v7, v[2:3]
; %bb.4576:                             ;   in Loop: Header=BB6_4483 Depth=3
	s_and_not1_saveexec_b32 s13, s13
; %bb.4577:                             ;   in Loop: Header=BB6_4483 Depth=3
	s_delay_alu instid0(VALU_DEP_1)
	v_bfe_u32 v6, v2, 23, 1
; %bb.4578:                             ;   in Loop: Header=BB6_4483 Depth=3
	s_or_b32 exec_lo, exec_lo, s13
	s_delay_alu instid0(VALU_DEP_2) | instskip(NEXT) | instid1(VALU_DEP_2)
	v_lshrrev_b64 v[2:3], 21, v[2:3]
	v_cmp_gt_i32_e32 vcc_lo, 32, v6
	v_cmp_ne_u32_e64 s13, 0, v6
                                        ; implicit-def: $vgpr16
	s_delay_alu instid0(VALU_DEP_3) | instskip(NEXT) | instid1(VALU_DEP_1)
	v_dual_cndmask_b32 v3, 0, v3 :: v_dual_cndmask_b32 v2, 3, v2
	v_cmp_ne_u64_e32 vcc_lo, 0, v[2:3]
	s_or_b32 s13, s13, vcc_lo
	s_delay_alu instid0(SALU_CYCLE_1) | instskip(NEXT) | instid1(SALU_CYCLE_1)
	s_and_saveexec_b32 s76, s13
	s_xor_b32 s13, exec_lo, s76
; %bb.4579:                             ;   in Loop: Header=BB6_4483 Depth=3
	v_min_i32_e32 v3, 31, v6
	s_delay_alu instid0(VALU_DEP_1) | instskip(NEXT) | instid1(VALU_DEP_1)
	v_lshl_or_b32 v3, v3, 2, v17
                                        ; implicit-def: $vgpr17
	v_and_or_b32 v16, v2, 3, v3
; %bb.4580:                             ;   in Loop: Header=BB6_4483 Depth=3
	s_and_not1_saveexec_b32 s13, s13
; %bb.4581:                             ;   in Loop: Header=BB6_4483 Depth=3
	v_mov_b32_e32 v16, v17
; %bb.4582:                             ;   in Loop: Header=BB6_4483 Depth=3
	s_or_b32 exec_lo, exec_lo, s13
.LBB6_4583:                             ;   in Loop: Header=BB6_4483 Depth=3
	s_delay_alu instid0(SALU_CYCLE_1)
	s_or_b32 exec_lo, exec_lo, s75
                                        ; implicit-def: $vgpr17
.LBB6_4584:                             ;   in Loop: Header=BB6_4483 Depth=3
	s_and_not1_saveexec_b32 s13, s15
; %bb.4585:                             ;   in Loop: Header=BB6_4483 Depth=3
	v_or_b32_e32 v16, 0x7b, v17
; %bb.4586:                             ;   in Loop: Header=BB6_4483 Depth=3
	s_or_b32 exec_lo, exec_lo, s13
                                        ; implicit-def: $vgpr6
                                        ; implicit-def: $vgpr2_vgpr3
.LBB6_4587:                             ;   in Loop: Header=BB6_4483 Depth=3
	s_and_not1_saveexec_b32 s13, s14
	s_cbranch_execz .LBB6_4593
; %bb.4588:                             ;   in Loop: Header=BB6_4483 Depth=3
	s_mov_b32 s14, exec_lo
                                        ; implicit-def: $vgpr16
	v_cmpx_ne_u64_e32 0, v[2:3]
	s_xor_b32 s14, exec_lo, s14
; %bb.4589:                             ;   in Loop: Header=BB6_4483 Depth=3
	v_lshrrev_b32_e32 v2, 24, v6
                                        ; implicit-def: $vgpr6
	s_delay_alu instid0(VALU_DEP_1)
	v_or_b32_e32 v16, 0x7f, v2
; %bb.4590:                             ;   in Loop: Header=BB6_4483 Depth=3
	s_and_not1_saveexec_b32 s14, s14
; %bb.4591:                             ;   in Loop: Header=BB6_4483 Depth=3
	v_cmp_lt_i32_e32 vcc_lo, -1, v6
	v_cndmask_b32_e64 v16, -4, 0x7c, vcc_lo
; %bb.4592:                             ;   in Loop: Header=BB6_4483 Depth=3
	s_or_b32 exec_lo, exec_lo, s14
.LBB6_4593:                             ;   in Loop: Header=BB6_4483 Depth=3
	s_delay_alu instid0(SALU_CYCLE_1)
	s_or_b32 exec_lo, exec_lo, s13
	flat_load_i8 v2, v[0:1] offset:96 th:TH_LOAD_NT
	v_mov_b32_e32 v6, 0
	s_mov_b32 s13, exec_lo
	s_wait_loadcnt_dscnt 0x0
	s_wait_xcnt 0x0
	v_cmpx_ne_u16_e32 0, v2
	s_cbranch_execz .LBB6_4603
; %bb.4594:                             ;   in Loop: Header=BB6_4483 Depth=3
	v_bfrev_b32_e32 v6, 1
	s_mov_b32 s14, exec_lo
	v_cmpx_ne_u16_e32 0xff80, v2
	s_cbranch_execz .LBB6_4602
; %bb.4595:                             ;   in Loop: Header=BB6_4483 Depth=3
	v_and_b32_e32 v6, 0x7c, v2
	v_and_b32_e32 v3, 3, v2
	s_delay_alu instid0(VALU_DEP_2) | instskip(SKIP_1) | instid1(SALU_CYCLE_1)
	v_cmp_ne_u32_e32 vcc_lo, 0x7c, v6
                                        ; implicit-def: $vgpr6
	s_and_saveexec_b32 s15, vcc_lo
	s_xor_b32 s15, exec_lo, s15
	s_cbranch_execz .LBB6_4599
; %bb.4596:                             ;   in Loop: Header=BB6_4483 Depth=3
	v_and_b32_e32 v6, 0xff, v2
	s_mov_b32 s75, exec_lo
	s_delay_alu instid0(VALU_DEP_1) | instskip(NEXT) | instid1(VALU_DEP_1)
	v_bfe_u32 v6, v6, 2, 5
	v_cmpx_eq_u32_e32 0, v6
	s_cbranch_execz .LBB6_4598
; %bb.4597:                             ;   in Loop: Header=BB6_4483 Depth=3
	v_clz_i32_u32_e32 v3, v3
	s_delay_alu instid0(VALU_DEP_1) | instskip(SKIP_1) | instid1(VALU_DEP_2)
	v_min_u32_e32 v6, 32, v3
	v_mov_b32_e32 v3, v113
	v_subrev_nc_u32_e32 v7, 29, v6
	v_sub_nc_u32_e32 v6, 30, v6
	s_delay_alu instid0(VALU_DEP_2) | instskip(NEXT) | instid1(VALU_DEP_1)
	v_lshlrev_b64_e32 v[18:19], v7, v[2:3]
	v_and_b32_e32 v3, 3, v18
.LBB6_4598:                             ;   in Loop: Header=BB6_4483 Depth=3
	s_or_b32 exec_lo, exec_lo, s75
	v_bfe_i32 v2, v2, 0, 16
	s_delay_alu instid0(VALU_DEP_1) | instskip(NEXT) | instid1(VALU_DEP_1)
	v_and_b32_e32 v2, 0x80000000, v2
	v_lshl_add_u32 v2, v6, 23, v2
	s_delay_alu instid0(VALU_DEP_1) | instskip(NEXT) | instid1(VALU_DEP_1)
	v_lshl_or_b32 v2, v3, 21, v2
                                        ; implicit-def: $vgpr3
	v_add_nc_u32_e32 v6, 0x38000000, v2
                                        ; implicit-def: $vgpr2
.LBB6_4599:                             ;   in Loop: Header=BB6_4483 Depth=3
	s_and_not1_saveexec_b32 s15, s15
; %bb.4600:                             ;   in Loop: Header=BB6_4483 Depth=3
	v_cmp_lt_i16_e32 vcc_lo, -1, v2
	v_mov_b32_e32 v2, 0x7f800000
	s_delay_alu instid0(VALU_DEP_1) | instskip(SKIP_1) | instid1(VALU_DEP_2)
	v_cndmask_b32_e32 v2, 0xff800000, v2, vcc_lo
	v_cmp_eq_u32_e32 vcc_lo, 0, v3
	v_cndmask_b32_e32 v6, 0x7f800001, v2, vcc_lo
; %bb.4601:                             ;   in Loop: Header=BB6_4483 Depth=3
	s_or_b32 exec_lo, exec_lo, s15
.LBB6_4602:                             ;   in Loop: Header=BB6_4483 Depth=3
	s_delay_alu instid0(SALU_CYCLE_1)
	s_or_b32 exec_lo, exec_lo, s14
.LBB6_4603:                             ;   in Loop: Header=BB6_4483 Depth=3
	s_delay_alu instid0(SALU_CYCLE_1) | instskip(NEXT) | instid1(VALU_DEP_1)
	s_or_b32 exec_lo, exec_lo, s13
	v_dual_mul_f32 v6, s74, v6 :: v_dual_mov_b32 v3, v113
                                        ; implicit-def: $vgpr17
	s_delay_alu instid0(VALU_DEP_1) | instskip(NEXT) | instid1(VALU_DEP_1)
	v_and_b32_e32 v2, 0x7f800000, v6
	v_cmp_ne_u64_e32 vcc_lo, 0x7f800000, v[2:3]
	v_and_b32_e32 v2, 0x7fffff, v6
	s_and_saveexec_b32 s13, vcc_lo
	s_delay_alu instid0(SALU_CYCLE_1)
	s_xor_b32 s14, exec_lo, s13
	s_cbranch_execz .LBB6_4621
; %bb.4604:                             ;   in Loop: Header=BB6_4483 Depth=3
	v_and_b32_e32 v18, 0x7fffffff, v6
	v_dual_mov_b32 v19, v113 :: v_dual_lshrrev_b32 v7, 24, v6
                                        ; implicit-def: $vgpr17
	s_delay_alu instid0(VALU_DEP_1) | instskip(NEXT) | instid1(VALU_DEP_2)
	v_cmp_gt_u64_e32 vcc_lo, 0x47600001, v[18:19]
	v_and_b32_e32 v18, 0x80, v7
	s_and_saveexec_b32 s13, vcc_lo
	s_delay_alu instid0(SALU_CYCLE_1)
	s_xor_b32 s15, exec_lo, s13
	s_cbranch_execz .LBB6_4618
; %bb.4605:                             ;   in Loop: Header=BB6_4483 Depth=3
	v_mov_b32_e32 v17, 0
	s_mov_b32 s75, exec_lo
	v_cmpx_ne_u32_e32 0, v6
	s_cbranch_execz .LBB6_4617
; %bb.4606:                             ;   in Loop: Header=BB6_4483 Depth=3
	v_bfe_u32 v17, v6, 23, 8
	v_or_b32_e32 v20, 0x800000, v2
	s_delay_alu instid0(VALU_DEP_2) | instskip(SKIP_1) | instid1(VALU_DEP_2)
	v_sub_nc_u32_e32 v6, 0x71, v17
	v_cmp_gt_u32_e32 vcc_lo, 0x72, v17
	v_cndmask_b32_e32 v6, 0, v6, vcc_lo
	v_cmp_eq_u32_e32 vcc_lo, 0, v17
	s_delay_alu instid0(VALU_DEP_2) | instskip(NEXT) | instid1(VALU_DEP_1)
	v_cndmask_b32_e64 v19, v6, 0x70, vcc_lo
	v_dual_cndmask_b32 v2, v20, v2, vcc_lo :: v_dual_add_nc_u32 v6, 21, v19
	v_add_nc_u32_e32 v21, 20, v19
	s_delay_alu instid0(VALU_DEP_2) | instskip(NEXT) | instid1(VALU_DEP_2)
	v_lshlrev_b64_e64 v[6:7], v6, -1
	v_lshlrev_b64_e64 v[20:21], v21, 1
	s_delay_alu instid0(VALU_DEP_2) | instskip(SKIP_1) | instid1(VALU_DEP_4)
	v_bfi_b32 v6, v6, 0, v2
	v_lshrrev_b64 v[2:3], v19, v[2:3]
	v_bfi_b32 v7, v7, 0, 0
	s_delay_alu instid0(VALU_DEP_1) | instskip(NEXT) | instid1(VALU_DEP_3)
	v_cmp_eq_u64_e64 s13, v[6:7], v[20:21]
	v_mov_b64_e32 v[6:7], v[2:3]
	s_and_saveexec_b32 s76, s13
; %bb.4607:                             ;   in Loop: Header=BB6_4483 Depth=3
	v_bfe_u32 v6, v2, 21, 1
	v_mov_b32_e32 v7, v113
	s_delay_alu instid0(VALU_DEP_1) | instskip(NEXT) | instid1(VALU_DEP_1)
	v_add_nc_u64_e32 v[6:7], v[2:3], v[6:7]
	v_add_nc_u64_e32 v[6:7], -1, v[6:7]
; %bb.4608:                             ;   in Loop: Header=BB6_4483 Depth=3
	s_or_b32 exec_lo, exec_lo, s76
	v_add_nc_u32_e32 v3, 0xffffff81, v17
	v_lshrrev_b32_e32 v7, 23, v2
	s_mov_b32 s13, exec_lo
	s_delay_alu instid0(VALU_DEP_2) | instskip(NEXT) | instid1(VALU_DEP_1)
	v_cndmask_b32_e64 v3, v3, 0xffffff82, vcc_lo
	v_add3_u32 v7, v19, v3, v7
	v_and_b32_e32 v3, 0x1fffff, v6
                                        ; implicit-def: $vgpr6
	s_delay_alu instid0(VALU_DEP_1) | instskip(SKIP_1) | instid1(VALU_DEP_2)
	v_dual_add_nc_u32 v17, 14, v7 :: v_dual_add_nc_u32 v2, v3, v2
	v_mov_b32_e32 v3, v113
	v_cmpx_ne_u32_e32 0, v17
	s_xor_b32 s13, exec_lo, s13
; %bb.4609:                             ;   in Loop: Header=BB6_4483 Depth=3
	s_delay_alu instid0(VALU_DEP_2) | instskip(SKIP_2) | instid1(VALU_DEP_2)
	v_cmp_lt_u64_e32 vcc_lo, 0xffffff, v[2:3]
	v_add_nc_u32_e32 v6, 15, v7
	v_cndmask_b32_e64 v7, 0, 1, vcc_lo
	v_cndmask_b32_e32 v6, v17, v6, vcc_lo
	s_delay_alu instid0(VALU_DEP_2)
	v_lshrrev_b64 v[2:3], v7, v[2:3]
; %bb.4610:                             ;   in Loop: Header=BB6_4483 Depth=3
	s_and_not1_saveexec_b32 s13, s13
; %bb.4611:                             ;   in Loop: Header=BB6_4483 Depth=3
	s_delay_alu instid0(VALU_DEP_1)
	v_bfe_u32 v6, v2, 23, 1
; %bb.4612:                             ;   in Loop: Header=BB6_4483 Depth=3
	s_or_b32 exec_lo, exec_lo, s13
	s_delay_alu instid0(VALU_DEP_2) | instskip(NEXT) | instid1(VALU_DEP_2)
	v_lshrrev_b64 v[2:3], 21, v[2:3]
	v_cmp_gt_i32_e32 vcc_lo, 32, v6
	v_cmp_ne_u32_e64 s13, 0, v6
                                        ; implicit-def: $vgpr17
	s_delay_alu instid0(VALU_DEP_3) | instskip(NEXT) | instid1(VALU_DEP_1)
	v_dual_cndmask_b32 v3, 0, v3 :: v_dual_cndmask_b32 v2, 3, v2
	v_cmp_ne_u64_e32 vcc_lo, 0, v[2:3]
	s_or_b32 s13, s13, vcc_lo
	s_delay_alu instid0(SALU_CYCLE_1) | instskip(NEXT) | instid1(SALU_CYCLE_1)
	s_and_saveexec_b32 s76, s13
	s_xor_b32 s13, exec_lo, s76
; %bb.4613:                             ;   in Loop: Header=BB6_4483 Depth=3
	v_min_i32_e32 v3, 31, v6
	s_delay_alu instid0(VALU_DEP_1) | instskip(NEXT) | instid1(VALU_DEP_1)
	v_lshl_or_b32 v3, v3, 2, v18
                                        ; implicit-def: $vgpr18
	v_and_or_b32 v17, v2, 3, v3
; %bb.4614:                             ;   in Loop: Header=BB6_4483 Depth=3
	s_and_not1_saveexec_b32 s13, s13
; %bb.4615:                             ;   in Loop: Header=BB6_4483 Depth=3
	v_mov_b32_e32 v17, v18
; %bb.4616:                             ;   in Loop: Header=BB6_4483 Depth=3
	s_or_b32 exec_lo, exec_lo, s13
.LBB6_4617:                             ;   in Loop: Header=BB6_4483 Depth=3
	s_delay_alu instid0(SALU_CYCLE_1)
	s_or_b32 exec_lo, exec_lo, s75
                                        ; implicit-def: $vgpr18
.LBB6_4618:                             ;   in Loop: Header=BB6_4483 Depth=3
	s_and_not1_saveexec_b32 s13, s15
; %bb.4619:                             ;   in Loop: Header=BB6_4483 Depth=3
	v_or_b32_e32 v17, 0x7b, v18
; %bb.4620:                             ;   in Loop: Header=BB6_4483 Depth=3
	s_or_b32 exec_lo, exec_lo, s13
                                        ; implicit-def: $vgpr6
                                        ; implicit-def: $vgpr2_vgpr3
.LBB6_4621:                             ;   in Loop: Header=BB6_4483 Depth=3
	s_and_not1_saveexec_b32 s13, s14
	s_cbranch_execz .LBB6_4627
; %bb.4622:                             ;   in Loop: Header=BB6_4483 Depth=3
	s_mov_b32 s14, exec_lo
                                        ; implicit-def: $vgpr17
	v_cmpx_ne_u64_e32 0, v[2:3]
	s_xor_b32 s14, exec_lo, s14
; %bb.4623:                             ;   in Loop: Header=BB6_4483 Depth=3
	v_lshrrev_b32_e32 v2, 24, v6
                                        ; implicit-def: $vgpr6
	s_delay_alu instid0(VALU_DEP_1)
	v_or_b32_e32 v17, 0x7f, v2
; %bb.4624:                             ;   in Loop: Header=BB6_4483 Depth=3
	s_and_not1_saveexec_b32 s14, s14
; %bb.4625:                             ;   in Loop: Header=BB6_4483 Depth=3
	v_cmp_lt_i32_e32 vcc_lo, -1, v6
	v_cndmask_b32_e64 v17, -4, 0x7c, vcc_lo
; %bb.4626:                             ;   in Loop: Header=BB6_4483 Depth=3
	s_or_b32 exec_lo, exec_lo, s14
.LBB6_4627:                             ;   in Loop: Header=BB6_4483 Depth=3
	s_delay_alu instid0(SALU_CYCLE_1)
	s_or_b32 exec_lo, exec_lo, s13
	flat_load_i8 v2, v[0:1] offset:128 th:TH_LOAD_NT
	v_mov_b32_e32 v6, 0
	s_mov_b32 s13, exec_lo
	s_wait_loadcnt_dscnt 0x0
	s_wait_xcnt 0x0
	v_cmpx_ne_u16_e32 0, v2
	s_cbranch_execz .LBB6_4637
; %bb.4628:                             ;   in Loop: Header=BB6_4483 Depth=3
	v_bfrev_b32_e32 v6, 1
	s_mov_b32 s14, exec_lo
	v_cmpx_ne_u16_e32 0xff80, v2
	s_cbranch_execz .LBB6_4636
; %bb.4629:                             ;   in Loop: Header=BB6_4483 Depth=3
	v_and_b32_e32 v6, 0x7c, v2
	v_and_b32_e32 v3, 3, v2
	s_delay_alu instid0(VALU_DEP_2) | instskip(SKIP_1) | instid1(SALU_CYCLE_1)
	v_cmp_ne_u32_e32 vcc_lo, 0x7c, v6
                                        ; implicit-def: $vgpr6
	s_and_saveexec_b32 s15, vcc_lo
	s_xor_b32 s15, exec_lo, s15
	s_cbranch_execz .LBB6_4633
; %bb.4630:                             ;   in Loop: Header=BB6_4483 Depth=3
	v_and_b32_e32 v6, 0xff, v2
	s_mov_b32 s75, exec_lo
	s_delay_alu instid0(VALU_DEP_1) | instskip(NEXT) | instid1(VALU_DEP_1)
	v_bfe_u32 v6, v6, 2, 5
	v_cmpx_eq_u32_e32 0, v6
	s_cbranch_execz .LBB6_4632
; %bb.4631:                             ;   in Loop: Header=BB6_4483 Depth=3
	v_clz_i32_u32_e32 v3, v3
	s_delay_alu instid0(VALU_DEP_1) | instskip(SKIP_1) | instid1(VALU_DEP_2)
	v_min_u32_e32 v6, 32, v3
	v_mov_b32_e32 v3, v113
	v_subrev_nc_u32_e32 v7, 29, v6
	v_sub_nc_u32_e32 v6, 30, v6
	s_delay_alu instid0(VALU_DEP_2) | instskip(NEXT) | instid1(VALU_DEP_1)
	v_lshlrev_b64_e32 v[18:19], v7, v[2:3]
	v_and_b32_e32 v3, 3, v18
.LBB6_4632:                             ;   in Loop: Header=BB6_4483 Depth=3
	s_or_b32 exec_lo, exec_lo, s75
	v_bfe_i32 v2, v2, 0, 16
	s_delay_alu instid0(VALU_DEP_1) | instskip(NEXT) | instid1(VALU_DEP_1)
	v_and_b32_e32 v2, 0x80000000, v2
	v_lshl_add_u32 v2, v6, 23, v2
	s_delay_alu instid0(VALU_DEP_1) | instskip(NEXT) | instid1(VALU_DEP_1)
	v_lshl_or_b32 v2, v3, 21, v2
                                        ; implicit-def: $vgpr3
	v_add_nc_u32_e32 v6, 0x38000000, v2
                                        ; implicit-def: $vgpr2
.LBB6_4633:                             ;   in Loop: Header=BB6_4483 Depth=3
	s_and_not1_saveexec_b32 s15, s15
; %bb.4634:                             ;   in Loop: Header=BB6_4483 Depth=3
	v_cmp_lt_i16_e32 vcc_lo, -1, v2
	v_mov_b32_e32 v2, 0x7f800000
	s_delay_alu instid0(VALU_DEP_1) | instskip(SKIP_1) | instid1(VALU_DEP_2)
	v_cndmask_b32_e32 v2, 0xff800000, v2, vcc_lo
	v_cmp_eq_u32_e32 vcc_lo, 0, v3
	v_cndmask_b32_e32 v6, 0x7f800001, v2, vcc_lo
; %bb.4635:                             ;   in Loop: Header=BB6_4483 Depth=3
	s_or_b32 exec_lo, exec_lo, s15
.LBB6_4636:                             ;   in Loop: Header=BB6_4483 Depth=3
	s_delay_alu instid0(SALU_CYCLE_1)
	s_or_b32 exec_lo, exec_lo, s14
.LBB6_4637:                             ;   in Loop: Header=BB6_4483 Depth=3
	s_delay_alu instid0(SALU_CYCLE_1) | instskip(NEXT) | instid1(VALU_DEP_1)
	s_or_b32 exec_lo, exec_lo, s13
	v_dual_mul_f32 v6, s74, v6 :: v_dual_mov_b32 v3, v113
                                        ; implicit-def: $vgpr18
	s_delay_alu instid0(VALU_DEP_1) | instskip(NEXT) | instid1(VALU_DEP_1)
	v_and_b32_e32 v2, 0x7f800000, v6
	v_cmp_ne_u64_e32 vcc_lo, 0x7f800000, v[2:3]
	v_and_b32_e32 v2, 0x7fffff, v6
	s_and_saveexec_b32 s13, vcc_lo
	s_delay_alu instid0(SALU_CYCLE_1)
	s_xor_b32 s14, exec_lo, s13
	s_cbranch_execz .LBB6_4655
; %bb.4638:                             ;   in Loop: Header=BB6_4483 Depth=3
	v_and_b32_e32 v18, 0x7fffffff, v6
	v_dual_mov_b32 v19, v113 :: v_dual_lshrrev_b32 v7, 24, v6
	s_delay_alu instid0(VALU_DEP_1) | instskip(NEXT) | instid1(VALU_DEP_2)
	v_cmp_gt_u64_e32 vcc_lo, 0x47600001, v[18:19]
	v_and_b32_e32 v19, 0x80, v7
                                        ; implicit-def: $vgpr18
	s_and_saveexec_b32 s13, vcc_lo
	s_delay_alu instid0(SALU_CYCLE_1)
	s_xor_b32 s15, exec_lo, s13
	s_cbranch_execz .LBB6_4652
; %bb.4639:                             ;   in Loop: Header=BB6_4483 Depth=3
	v_mov_b32_e32 v18, 0
	s_mov_b32 s75, exec_lo
	v_cmpx_ne_u32_e32 0, v6
	s_cbranch_execz .LBB6_4651
; %bb.4640:                             ;   in Loop: Header=BB6_4483 Depth=3
	v_bfe_u32 v18, v6, 23, 8
	v_or_b32_e32 v21, 0x800000, v2
	s_delay_alu instid0(VALU_DEP_2) | instskip(SKIP_1) | instid1(VALU_DEP_2)
	v_sub_nc_u32_e32 v6, 0x71, v18
	v_cmp_gt_u32_e32 vcc_lo, 0x72, v18
	v_cndmask_b32_e32 v6, 0, v6, vcc_lo
	v_cmp_eq_u32_e32 vcc_lo, 0, v18
	s_delay_alu instid0(VALU_DEP_2) | instskip(NEXT) | instid1(VALU_DEP_1)
	v_cndmask_b32_e64 v20, v6, 0x70, vcc_lo
	v_dual_cndmask_b32 v2, v21, v2, vcc_lo :: v_dual_add_nc_u32 v6, 21, v20
	v_add_nc_u32_e32 v22, 20, v20
	s_delay_alu instid0(VALU_DEP_2) | instskip(NEXT) | instid1(VALU_DEP_2)
	v_lshlrev_b64_e64 v[6:7], v6, -1
	v_lshlrev_b64_e64 v[22:23], v22, 1
	s_delay_alu instid0(VALU_DEP_2) | instskip(SKIP_1) | instid1(VALU_DEP_4)
	v_bfi_b32 v6, v6, 0, v2
	v_lshrrev_b64 v[2:3], v20, v[2:3]
	v_bfi_b32 v7, v7, 0, 0
	s_delay_alu instid0(VALU_DEP_1) | instskip(NEXT) | instid1(VALU_DEP_3)
	v_cmp_eq_u64_e64 s13, v[6:7], v[22:23]
	v_mov_b64_e32 v[6:7], v[2:3]
	s_and_saveexec_b32 s76, s13
; %bb.4641:                             ;   in Loop: Header=BB6_4483 Depth=3
	v_bfe_u32 v6, v2, 21, 1
	v_mov_b32_e32 v7, v113
	s_delay_alu instid0(VALU_DEP_1) | instskip(NEXT) | instid1(VALU_DEP_1)
	v_add_nc_u64_e32 v[6:7], v[2:3], v[6:7]
	v_add_nc_u64_e32 v[6:7], -1, v[6:7]
; %bb.4642:                             ;   in Loop: Header=BB6_4483 Depth=3
	s_or_b32 exec_lo, exec_lo, s76
	v_add_nc_u32_e32 v3, 0xffffff81, v18
	v_lshrrev_b32_e32 v7, 23, v2
	s_mov_b32 s13, exec_lo
	s_delay_alu instid0(VALU_DEP_2) | instskip(NEXT) | instid1(VALU_DEP_1)
	v_cndmask_b32_e64 v3, v3, 0xffffff82, vcc_lo
	v_add3_u32 v7, v20, v3, v7
	v_and_b32_e32 v3, 0x1fffff, v6
                                        ; implicit-def: $vgpr6
	s_delay_alu instid0(VALU_DEP_1) | instskip(SKIP_1) | instid1(VALU_DEP_2)
	v_dual_add_nc_u32 v18, 14, v7 :: v_dual_add_nc_u32 v2, v3, v2
	v_mov_b32_e32 v3, v113
	v_cmpx_ne_u32_e32 0, v18
	s_xor_b32 s13, exec_lo, s13
; %bb.4643:                             ;   in Loop: Header=BB6_4483 Depth=3
	s_delay_alu instid0(VALU_DEP_2) | instskip(SKIP_2) | instid1(VALU_DEP_2)
	v_cmp_lt_u64_e32 vcc_lo, 0xffffff, v[2:3]
	v_add_nc_u32_e32 v6, 15, v7
	v_cndmask_b32_e64 v7, 0, 1, vcc_lo
	v_cndmask_b32_e32 v6, v18, v6, vcc_lo
	s_delay_alu instid0(VALU_DEP_2)
	v_lshrrev_b64 v[2:3], v7, v[2:3]
; %bb.4644:                             ;   in Loop: Header=BB6_4483 Depth=3
	s_and_not1_saveexec_b32 s13, s13
; %bb.4645:                             ;   in Loop: Header=BB6_4483 Depth=3
	s_delay_alu instid0(VALU_DEP_1)
	v_bfe_u32 v6, v2, 23, 1
; %bb.4646:                             ;   in Loop: Header=BB6_4483 Depth=3
	s_or_b32 exec_lo, exec_lo, s13
	s_delay_alu instid0(VALU_DEP_2) | instskip(NEXT) | instid1(VALU_DEP_2)
	v_lshrrev_b64 v[2:3], 21, v[2:3]
	v_cmp_gt_i32_e32 vcc_lo, 32, v6
	v_cmp_ne_u32_e64 s13, 0, v6
                                        ; implicit-def: $vgpr18
	s_delay_alu instid0(VALU_DEP_3) | instskip(NEXT) | instid1(VALU_DEP_1)
	v_dual_cndmask_b32 v3, 0, v3 :: v_dual_cndmask_b32 v2, 3, v2
	v_cmp_ne_u64_e32 vcc_lo, 0, v[2:3]
	s_or_b32 s13, s13, vcc_lo
	s_delay_alu instid0(SALU_CYCLE_1) | instskip(NEXT) | instid1(SALU_CYCLE_1)
	s_and_saveexec_b32 s76, s13
	s_xor_b32 s13, exec_lo, s76
; %bb.4647:                             ;   in Loop: Header=BB6_4483 Depth=3
	v_min_i32_e32 v3, 31, v6
	s_delay_alu instid0(VALU_DEP_1) | instskip(NEXT) | instid1(VALU_DEP_1)
	v_lshl_or_b32 v3, v3, 2, v19
                                        ; implicit-def: $vgpr19
	v_and_or_b32 v18, v2, 3, v3
; %bb.4648:                             ;   in Loop: Header=BB6_4483 Depth=3
	s_and_not1_saveexec_b32 s13, s13
; %bb.4649:                             ;   in Loop: Header=BB6_4483 Depth=3
	v_mov_b32_e32 v18, v19
; %bb.4650:                             ;   in Loop: Header=BB6_4483 Depth=3
	s_or_b32 exec_lo, exec_lo, s13
.LBB6_4651:                             ;   in Loop: Header=BB6_4483 Depth=3
	s_delay_alu instid0(SALU_CYCLE_1)
	s_or_b32 exec_lo, exec_lo, s75
                                        ; implicit-def: $vgpr19
.LBB6_4652:                             ;   in Loop: Header=BB6_4483 Depth=3
	s_and_not1_saveexec_b32 s13, s15
; %bb.4653:                             ;   in Loop: Header=BB6_4483 Depth=3
	v_or_b32_e32 v18, 0x7b, v19
; %bb.4654:                             ;   in Loop: Header=BB6_4483 Depth=3
	s_or_b32 exec_lo, exec_lo, s13
                                        ; implicit-def: $vgpr6
                                        ; implicit-def: $vgpr2_vgpr3
.LBB6_4655:                             ;   in Loop: Header=BB6_4483 Depth=3
	s_and_not1_saveexec_b32 s13, s14
	s_cbranch_execz .LBB6_4661
; %bb.4656:                             ;   in Loop: Header=BB6_4483 Depth=3
	s_mov_b32 s14, exec_lo
                                        ; implicit-def: $vgpr18
	v_cmpx_ne_u64_e32 0, v[2:3]
	s_xor_b32 s14, exec_lo, s14
; %bb.4657:                             ;   in Loop: Header=BB6_4483 Depth=3
	v_lshrrev_b32_e32 v2, 24, v6
                                        ; implicit-def: $vgpr6
	s_delay_alu instid0(VALU_DEP_1)
	v_or_b32_e32 v18, 0x7f, v2
; %bb.4658:                             ;   in Loop: Header=BB6_4483 Depth=3
	s_and_not1_saveexec_b32 s14, s14
; %bb.4659:                             ;   in Loop: Header=BB6_4483 Depth=3
	v_cmp_lt_i32_e32 vcc_lo, -1, v6
	v_cndmask_b32_e64 v18, -4, 0x7c, vcc_lo
; %bb.4660:                             ;   in Loop: Header=BB6_4483 Depth=3
	s_or_b32 exec_lo, exec_lo, s14
.LBB6_4661:                             ;   in Loop: Header=BB6_4483 Depth=3
	s_delay_alu instid0(SALU_CYCLE_1)
	s_or_b32 exec_lo, exec_lo, s13
	flat_load_i8 v2, v[0:1] offset:160 th:TH_LOAD_NT
	v_mov_b32_e32 v6, 0
	s_mov_b32 s13, exec_lo
	s_wait_loadcnt_dscnt 0x0
	s_wait_xcnt 0x0
	v_cmpx_ne_u16_e32 0, v2
	s_cbranch_execz .LBB6_4671
; %bb.4662:                             ;   in Loop: Header=BB6_4483 Depth=3
	v_bfrev_b32_e32 v6, 1
	s_mov_b32 s14, exec_lo
	v_cmpx_ne_u16_e32 0xff80, v2
	s_cbranch_execz .LBB6_4670
; %bb.4663:                             ;   in Loop: Header=BB6_4483 Depth=3
	v_and_b32_e32 v6, 0x7c, v2
	v_and_b32_e32 v3, 3, v2
	s_delay_alu instid0(VALU_DEP_2) | instskip(SKIP_1) | instid1(SALU_CYCLE_1)
	v_cmp_ne_u32_e32 vcc_lo, 0x7c, v6
                                        ; implicit-def: $vgpr6
	s_and_saveexec_b32 s15, vcc_lo
	s_xor_b32 s15, exec_lo, s15
	s_cbranch_execz .LBB6_4667
; %bb.4664:                             ;   in Loop: Header=BB6_4483 Depth=3
	v_and_b32_e32 v6, 0xff, v2
	s_mov_b32 s75, exec_lo
	s_delay_alu instid0(VALU_DEP_1) | instskip(NEXT) | instid1(VALU_DEP_1)
	v_bfe_u32 v6, v6, 2, 5
	v_cmpx_eq_u32_e32 0, v6
	s_cbranch_execz .LBB6_4666
; %bb.4665:                             ;   in Loop: Header=BB6_4483 Depth=3
	v_clz_i32_u32_e32 v3, v3
	s_delay_alu instid0(VALU_DEP_1) | instskip(SKIP_1) | instid1(VALU_DEP_2)
	v_min_u32_e32 v6, 32, v3
	v_mov_b32_e32 v3, v113
	v_subrev_nc_u32_e32 v7, 29, v6
	v_sub_nc_u32_e32 v6, 30, v6
	s_delay_alu instid0(VALU_DEP_2) | instskip(NEXT) | instid1(VALU_DEP_1)
	v_lshlrev_b64_e32 v[20:21], v7, v[2:3]
	v_and_b32_e32 v3, 3, v20
.LBB6_4666:                             ;   in Loop: Header=BB6_4483 Depth=3
	s_or_b32 exec_lo, exec_lo, s75
	v_bfe_i32 v2, v2, 0, 16
	s_delay_alu instid0(VALU_DEP_1) | instskip(NEXT) | instid1(VALU_DEP_1)
	v_and_b32_e32 v2, 0x80000000, v2
	v_lshl_add_u32 v2, v6, 23, v2
	s_delay_alu instid0(VALU_DEP_1) | instskip(NEXT) | instid1(VALU_DEP_1)
	v_lshl_or_b32 v2, v3, 21, v2
                                        ; implicit-def: $vgpr3
	v_add_nc_u32_e32 v6, 0x38000000, v2
                                        ; implicit-def: $vgpr2
.LBB6_4667:                             ;   in Loop: Header=BB6_4483 Depth=3
	s_and_not1_saveexec_b32 s15, s15
; %bb.4668:                             ;   in Loop: Header=BB6_4483 Depth=3
	v_cmp_lt_i16_e32 vcc_lo, -1, v2
	v_mov_b32_e32 v2, 0x7f800000
	s_delay_alu instid0(VALU_DEP_1) | instskip(SKIP_1) | instid1(VALU_DEP_2)
	v_cndmask_b32_e32 v2, 0xff800000, v2, vcc_lo
	v_cmp_eq_u32_e32 vcc_lo, 0, v3
	v_cndmask_b32_e32 v6, 0x7f800001, v2, vcc_lo
; %bb.4669:                             ;   in Loop: Header=BB6_4483 Depth=3
	s_or_b32 exec_lo, exec_lo, s15
.LBB6_4670:                             ;   in Loop: Header=BB6_4483 Depth=3
	s_delay_alu instid0(SALU_CYCLE_1)
	s_or_b32 exec_lo, exec_lo, s14
.LBB6_4671:                             ;   in Loop: Header=BB6_4483 Depth=3
	s_delay_alu instid0(SALU_CYCLE_1) | instskip(NEXT) | instid1(VALU_DEP_1)
	s_or_b32 exec_lo, exec_lo, s13
	v_dual_mul_f32 v6, s74, v6 :: v_dual_mov_b32 v3, v113
                                        ; implicit-def: $vgpr19
	s_delay_alu instid0(VALU_DEP_1) | instskip(NEXT) | instid1(VALU_DEP_1)
	v_and_b32_e32 v2, 0x7f800000, v6
	v_cmp_ne_u64_e32 vcc_lo, 0x7f800000, v[2:3]
	v_and_b32_e32 v2, 0x7fffff, v6
	s_and_saveexec_b32 s13, vcc_lo
	s_delay_alu instid0(SALU_CYCLE_1)
	s_xor_b32 s14, exec_lo, s13
	s_cbranch_execz .LBB6_4689
; %bb.4672:                             ;   in Loop: Header=BB6_4483 Depth=3
	v_and_b32_e32 v20, 0x7fffffff, v6
	v_dual_mov_b32 v21, v113 :: v_dual_lshrrev_b32 v7, 24, v6
                                        ; implicit-def: $vgpr19
	s_delay_alu instid0(VALU_DEP_1) | instskip(NEXT) | instid1(VALU_DEP_2)
	v_cmp_gt_u64_e32 vcc_lo, 0x47600001, v[20:21]
	v_and_b32_e32 v20, 0x80, v7
	s_and_saveexec_b32 s13, vcc_lo
	s_delay_alu instid0(SALU_CYCLE_1)
	s_xor_b32 s15, exec_lo, s13
	s_cbranch_execz .LBB6_4686
; %bb.4673:                             ;   in Loop: Header=BB6_4483 Depth=3
	v_mov_b32_e32 v19, 0
	s_mov_b32 s75, exec_lo
	v_cmpx_ne_u32_e32 0, v6
	s_cbranch_execz .LBB6_4685
; %bb.4674:                             ;   in Loop: Header=BB6_4483 Depth=3
	v_bfe_u32 v19, v6, 23, 8
	v_or_b32_e32 v22, 0x800000, v2
	s_delay_alu instid0(VALU_DEP_2) | instskip(SKIP_1) | instid1(VALU_DEP_2)
	v_sub_nc_u32_e32 v6, 0x71, v19
	v_cmp_gt_u32_e32 vcc_lo, 0x72, v19
	v_cndmask_b32_e32 v6, 0, v6, vcc_lo
	v_cmp_eq_u32_e32 vcc_lo, 0, v19
	s_delay_alu instid0(VALU_DEP_2) | instskip(NEXT) | instid1(VALU_DEP_1)
	v_cndmask_b32_e64 v21, v6, 0x70, vcc_lo
	v_dual_cndmask_b32 v2, v22, v2, vcc_lo :: v_dual_add_nc_u32 v6, 21, v21
	v_add_nc_u32_e32 v23, 20, v21
	s_delay_alu instid0(VALU_DEP_2) | instskip(NEXT) | instid1(VALU_DEP_2)
	v_lshlrev_b64_e64 v[6:7], v6, -1
	v_lshlrev_b64_e64 v[22:23], v23, 1
	s_delay_alu instid0(VALU_DEP_2) | instskip(SKIP_1) | instid1(VALU_DEP_4)
	v_bfi_b32 v6, v6, 0, v2
	v_lshrrev_b64 v[2:3], v21, v[2:3]
	v_bfi_b32 v7, v7, 0, 0
	s_delay_alu instid0(VALU_DEP_1) | instskip(NEXT) | instid1(VALU_DEP_3)
	v_cmp_eq_u64_e64 s13, v[6:7], v[22:23]
	v_mov_b64_e32 v[6:7], v[2:3]
	s_and_saveexec_b32 s76, s13
; %bb.4675:                             ;   in Loop: Header=BB6_4483 Depth=3
	v_bfe_u32 v6, v2, 21, 1
	v_mov_b32_e32 v7, v113
	s_delay_alu instid0(VALU_DEP_1) | instskip(NEXT) | instid1(VALU_DEP_1)
	v_add_nc_u64_e32 v[6:7], v[2:3], v[6:7]
	v_add_nc_u64_e32 v[6:7], -1, v[6:7]
; %bb.4676:                             ;   in Loop: Header=BB6_4483 Depth=3
	s_or_b32 exec_lo, exec_lo, s76
	v_add_nc_u32_e32 v3, 0xffffff81, v19
	v_lshrrev_b32_e32 v7, 23, v2
	s_mov_b32 s13, exec_lo
	s_delay_alu instid0(VALU_DEP_2) | instskip(NEXT) | instid1(VALU_DEP_1)
	v_cndmask_b32_e64 v3, v3, 0xffffff82, vcc_lo
	v_add3_u32 v7, v21, v3, v7
	v_and_b32_e32 v3, 0x1fffff, v6
                                        ; implicit-def: $vgpr6
	s_delay_alu instid0(VALU_DEP_1) | instskip(SKIP_1) | instid1(VALU_DEP_2)
	v_dual_add_nc_u32 v19, 14, v7 :: v_dual_add_nc_u32 v2, v3, v2
	v_mov_b32_e32 v3, v113
	v_cmpx_ne_u32_e32 0, v19
	s_xor_b32 s13, exec_lo, s13
; %bb.4677:                             ;   in Loop: Header=BB6_4483 Depth=3
	s_delay_alu instid0(VALU_DEP_2) | instskip(SKIP_2) | instid1(VALU_DEP_2)
	v_cmp_lt_u64_e32 vcc_lo, 0xffffff, v[2:3]
	v_add_nc_u32_e32 v6, 15, v7
	v_cndmask_b32_e64 v7, 0, 1, vcc_lo
	v_cndmask_b32_e32 v6, v19, v6, vcc_lo
	s_delay_alu instid0(VALU_DEP_2)
	v_lshrrev_b64 v[2:3], v7, v[2:3]
; %bb.4678:                             ;   in Loop: Header=BB6_4483 Depth=3
	s_and_not1_saveexec_b32 s13, s13
; %bb.4679:                             ;   in Loop: Header=BB6_4483 Depth=3
	s_delay_alu instid0(VALU_DEP_1)
	v_bfe_u32 v6, v2, 23, 1
; %bb.4680:                             ;   in Loop: Header=BB6_4483 Depth=3
	s_or_b32 exec_lo, exec_lo, s13
	s_delay_alu instid0(VALU_DEP_2) | instskip(NEXT) | instid1(VALU_DEP_2)
	v_lshrrev_b64 v[2:3], 21, v[2:3]
	v_cmp_gt_i32_e32 vcc_lo, 32, v6
	v_cmp_ne_u32_e64 s13, 0, v6
                                        ; implicit-def: $vgpr19
	s_delay_alu instid0(VALU_DEP_3) | instskip(NEXT) | instid1(VALU_DEP_1)
	v_dual_cndmask_b32 v3, 0, v3 :: v_dual_cndmask_b32 v2, 3, v2
	v_cmp_ne_u64_e32 vcc_lo, 0, v[2:3]
	s_or_b32 s13, s13, vcc_lo
	s_delay_alu instid0(SALU_CYCLE_1) | instskip(NEXT) | instid1(SALU_CYCLE_1)
	s_and_saveexec_b32 s76, s13
	s_xor_b32 s13, exec_lo, s76
; %bb.4681:                             ;   in Loop: Header=BB6_4483 Depth=3
	v_min_i32_e32 v3, 31, v6
	s_delay_alu instid0(VALU_DEP_1) | instskip(NEXT) | instid1(VALU_DEP_1)
	v_lshl_or_b32 v3, v3, 2, v20
                                        ; implicit-def: $vgpr20
	v_and_or_b32 v19, v2, 3, v3
; %bb.4682:                             ;   in Loop: Header=BB6_4483 Depth=3
	s_and_not1_saveexec_b32 s13, s13
; %bb.4683:                             ;   in Loop: Header=BB6_4483 Depth=3
	v_mov_b32_e32 v19, v20
; %bb.4684:                             ;   in Loop: Header=BB6_4483 Depth=3
	s_or_b32 exec_lo, exec_lo, s13
.LBB6_4685:                             ;   in Loop: Header=BB6_4483 Depth=3
	s_delay_alu instid0(SALU_CYCLE_1)
	s_or_b32 exec_lo, exec_lo, s75
                                        ; implicit-def: $vgpr20
.LBB6_4686:                             ;   in Loop: Header=BB6_4483 Depth=3
	s_and_not1_saveexec_b32 s13, s15
; %bb.4687:                             ;   in Loop: Header=BB6_4483 Depth=3
	v_or_b32_e32 v19, 0x7b, v20
; %bb.4688:                             ;   in Loop: Header=BB6_4483 Depth=3
	s_or_b32 exec_lo, exec_lo, s13
                                        ; implicit-def: $vgpr6
                                        ; implicit-def: $vgpr2_vgpr3
.LBB6_4689:                             ;   in Loop: Header=BB6_4483 Depth=3
	s_and_not1_saveexec_b32 s13, s14
	s_cbranch_execz .LBB6_4695
; %bb.4690:                             ;   in Loop: Header=BB6_4483 Depth=3
	s_mov_b32 s14, exec_lo
                                        ; implicit-def: $vgpr19
	v_cmpx_ne_u64_e32 0, v[2:3]
	s_xor_b32 s14, exec_lo, s14
; %bb.4691:                             ;   in Loop: Header=BB6_4483 Depth=3
	v_lshrrev_b32_e32 v2, 24, v6
                                        ; implicit-def: $vgpr6
	s_delay_alu instid0(VALU_DEP_1)
	v_or_b32_e32 v19, 0x7f, v2
; %bb.4692:                             ;   in Loop: Header=BB6_4483 Depth=3
	s_and_not1_saveexec_b32 s14, s14
; %bb.4693:                             ;   in Loop: Header=BB6_4483 Depth=3
	v_cmp_lt_i32_e32 vcc_lo, -1, v6
	v_cndmask_b32_e64 v19, -4, 0x7c, vcc_lo
; %bb.4694:                             ;   in Loop: Header=BB6_4483 Depth=3
	s_or_b32 exec_lo, exec_lo, s14
.LBB6_4695:                             ;   in Loop: Header=BB6_4483 Depth=3
	s_delay_alu instid0(SALU_CYCLE_1)
	s_or_b32 exec_lo, exec_lo, s13
	flat_load_i8 v2, v[0:1] offset:192 th:TH_LOAD_NT
	v_mov_b32_e32 v6, 0
	s_mov_b32 s13, exec_lo
	s_wait_loadcnt_dscnt 0x0
	s_wait_xcnt 0x0
	v_cmpx_ne_u16_e32 0, v2
	s_cbranch_execz .LBB6_4705
; %bb.4696:                             ;   in Loop: Header=BB6_4483 Depth=3
	v_bfrev_b32_e32 v6, 1
	s_mov_b32 s14, exec_lo
	v_cmpx_ne_u16_e32 0xff80, v2
	s_cbranch_execz .LBB6_4704
; %bb.4697:                             ;   in Loop: Header=BB6_4483 Depth=3
	v_and_b32_e32 v6, 0x7c, v2
	v_and_b32_e32 v3, 3, v2
	s_delay_alu instid0(VALU_DEP_2) | instskip(SKIP_1) | instid1(SALU_CYCLE_1)
	v_cmp_ne_u32_e32 vcc_lo, 0x7c, v6
                                        ; implicit-def: $vgpr6
	s_and_saveexec_b32 s15, vcc_lo
	s_xor_b32 s15, exec_lo, s15
	s_cbranch_execz .LBB6_4701
; %bb.4698:                             ;   in Loop: Header=BB6_4483 Depth=3
	v_and_b32_e32 v6, 0xff, v2
	s_mov_b32 s75, exec_lo
	s_delay_alu instid0(VALU_DEP_1) | instskip(NEXT) | instid1(VALU_DEP_1)
	v_bfe_u32 v6, v6, 2, 5
	v_cmpx_eq_u32_e32 0, v6
	s_cbranch_execz .LBB6_4700
; %bb.4699:                             ;   in Loop: Header=BB6_4483 Depth=3
	v_clz_i32_u32_e32 v3, v3
	s_delay_alu instid0(VALU_DEP_1) | instskip(SKIP_1) | instid1(VALU_DEP_2)
	v_min_u32_e32 v6, 32, v3
	v_mov_b32_e32 v3, v113
	v_subrev_nc_u32_e32 v7, 29, v6
	v_sub_nc_u32_e32 v6, 30, v6
	s_delay_alu instid0(VALU_DEP_2) | instskip(NEXT) | instid1(VALU_DEP_1)
	v_lshlrev_b64_e32 v[20:21], v7, v[2:3]
	v_and_b32_e32 v3, 3, v20
.LBB6_4700:                             ;   in Loop: Header=BB6_4483 Depth=3
	s_or_b32 exec_lo, exec_lo, s75
	v_bfe_i32 v2, v2, 0, 16
	s_delay_alu instid0(VALU_DEP_1) | instskip(NEXT) | instid1(VALU_DEP_1)
	v_and_b32_e32 v2, 0x80000000, v2
	v_lshl_add_u32 v2, v6, 23, v2
	s_delay_alu instid0(VALU_DEP_1) | instskip(NEXT) | instid1(VALU_DEP_1)
	v_lshl_or_b32 v2, v3, 21, v2
                                        ; implicit-def: $vgpr3
	v_add_nc_u32_e32 v6, 0x38000000, v2
                                        ; implicit-def: $vgpr2
.LBB6_4701:                             ;   in Loop: Header=BB6_4483 Depth=3
	s_and_not1_saveexec_b32 s15, s15
; %bb.4702:                             ;   in Loop: Header=BB6_4483 Depth=3
	v_cmp_lt_i16_e32 vcc_lo, -1, v2
	v_mov_b32_e32 v2, 0x7f800000
	s_delay_alu instid0(VALU_DEP_1) | instskip(SKIP_1) | instid1(VALU_DEP_2)
	v_cndmask_b32_e32 v2, 0xff800000, v2, vcc_lo
	v_cmp_eq_u32_e32 vcc_lo, 0, v3
	v_cndmask_b32_e32 v6, 0x7f800001, v2, vcc_lo
; %bb.4703:                             ;   in Loop: Header=BB6_4483 Depth=3
	s_or_b32 exec_lo, exec_lo, s15
.LBB6_4704:                             ;   in Loop: Header=BB6_4483 Depth=3
	s_delay_alu instid0(SALU_CYCLE_1)
	s_or_b32 exec_lo, exec_lo, s14
.LBB6_4705:                             ;   in Loop: Header=BB6_4483 Depth=3
	s_delay_alu instid0(SALU_CYCLE_1) | instskip(NEXT) | instid1(VALU_DEP_1)
	s_or_b32 exec_lo, exec_lo, s13
	v_dual_mul_f32 v6, s74, v6 :: v_dual_mov_b32 v3, v113
                                        ; implicit-def: $vgpr20
	s_delay_alu instid0(VALU_DEP_1) | instskip(NEXT) | instid1(VALU_DEP_1)
	v_and_b32_e32 v2, 0x7f800000, v6
	v_cmp_ne_u64_e32 vcc_lo, 0x7f800000, v[2:3]
	v_and_b32_e32 v2, 0x7fffff, v6
	s_and_saveexec_b32 s13, vcc_lo
	s_delay_alu instid0(SALU_CYCLE_1)
	s_xor_b32 s14, exec_lo, s13
	s_cbranch_execz .LBB6_4723
; %bb.4706:                             ;   in Loop: Header=BB6_4483 Depth=3
	v_and_b32_e32 v20, 0x7fffffff, v6
	v_dual_mov_b32 v21, v113 :: v_dual_lshrrev_b32 v7, 24, v6
	s_delay_alu instid0(VALU_DEP_1) | instskip(NEXT) | instid1(VALU_DEP_2)
	v_cmp_gt_u64_e32 vcc_lo, 0x47600001, v[20:21]
	v_and_b32_e32 v21, 0x80, v7
                                        ; implicit-def: $vgpr20
	s_and_saveexec_b32 s13, vcc_lo
	s_delay_alu instid0(SALU_CYCLE_1)
	s_xor_b32 s15, exec_lo, s13
	s_cbranch_execz .LBB6_4720
; %bb.4707:                             ;   in Loop: Header=BB6_4483 Depth=3
	v_mov_b32_e32 v20, 0
	s_mov_b32 s75, exec_lo
	v_cmpx_ne_u32_e32 0, v6
	s_cbranch_execz .LBB6_4719
; %bb.4708:                             ;   in Loop: Header=BB6_4483 Depth=3
	v_bfe_u32 v20, v6, 23, 8
	v_or_b32_e32 v23, 0x800000, v2
	s_delay_alu instid0(VALU_DEP_2) | instskip(SKIP_1) | instid1(VALU_DEP_2)
	v_sub_nc_u32_e32 v6, 0x71, v20
	v_cmp_gt_u32_e32 vcc_lo, 0x72, v20
	v_cndmask_b32_e32 v6, 0, v6, vcc_lo
	v_cmp_eq_u32_e32 vcc_lo, 0, v20
	s_delay_alu instid0(VALU_DEP_2) | instskip(SKIP_1) | instid1(VALU_DEP_2)
	v_cndmask_b32_e64 v22, v6, 0x70, vcc_lo
	v_cndmask_b32_e32 v2, v23, v2, vcc_lo
	v_dual_add_nc_u32 v6, 21, v22 :: v_dual_add_nc_u32 v24, 20, v22
	s_delay_alu instid0(VALU_DEP_1) | instskip(NEXT) | instid1(VALU_DEP_2)
	v_lshlrev_b64_e64 v[6:7], v6, -1
	v_lshlrev_b64_e64 v[24:25], v24, 1
	s_delay_alu instid0(VALU_DEP_2) | instskip(SKIP_1) | instid1(VALU_DEP_4)
	v_bfi_b32 v6, v6, 0, v2
	v_lshrrev_b64 v[2:3], v22, v[2:3]
	v_bfi_b32 v7, v7, 0, 0
	s_delay_alu instid0(VALU_DEP_1) | instskip(NEXT) | instid1(VALU_DEP_3)
	v_cmp_eq_u64_e64 s13, v[6:7], v[24:25]
	v_mov_b64_e32 v[6:7], v[2:3]
	s_and_saveexec_b32 s76, s13
; %bb.4709:                             ;   in Loop: Header=BB6_4483 Depth=3
	v_bfe_u32 v6, v2, 21, 1
	v_mov_b32_e32 v7, v113
	s_delay_alu instid0(VALU_DEP_1) | instskip(NEXT) | instid1(VALU_DEP_1)
	v_add_nc_u64_e32 v[6:7], v[2:3], v[6:7]
	v_add_nc_u64_e32 v[6:7], -1, v[6:7]
; %bb.4710:                             ;   in Loop: Header=BB6_4483 Depth=3
	s_or_b32 exec_lo, exec_lo, s76
	v_add_nc_u32_e32 v3, 0xffffff81, v20
	v_lshrrev_b32_e32 v7, 23, v2
	s_mov_b32 s13, exec_lo
	s_delay_alu instid0(VALU_DEP_2) | instskip(NEXT) | instid1(VALU_DEP_1)
	v_cndmask_b32_e64 v3, v3, 0xffffff82, vcc_lo
	v_add3_u32 v7, v22, v3, v7
	v_and_b32_e32 v3, 0x1fffff, v6
                                        ; implicit-def: $vgpr6
	s_delay_alu instid0(VALU_DEP_1) | instskip(SKIP_1) | instid1(VALU_DEP_2)
	v_dual_add_nc_u32 v20, 14, v7 :: v_dual_add_nc_u32 v2, v3, v2
	v_mov_b32_e32 v3, v113
	v_cmpx_ne_u32_e32 0, v20
	s_xor_b32 s13, exec_lo, s13
; %bb.4711:                             ;   in Loop: Header=BB6_4483 Depth=3
	s_delay_alu instid0(VALU_DEP_2) | instskip(SKIP_2) | instid1(VALU_DEP_2)
	v_cmp_lt_u64_e32 vcc_lo, 0xffffff, v[2:3]
	v_add_nc_u32_e32 v6, 15, v7
	v_cndmask_b32_e64 v7, 0, 1, vcc_lo
	v_cndmask_b32_e32 v6, v20, v6, vcc_lo
	s_delay_alu instid0(VALU_DEP_2)
	v_lshrrev_b64 v[2:3], v7, v[2:3]
; %bb.4712:                             ;   in Loop: Header=BB6_4483 Depth=3
	s_and_not1_saveexec_b32 s13, s13
; %bb.4713:                             ;   in Loop: Header=BB6_4483 Depth=3
	s_delay_alu instid0(VALU_DEP_1)
	v_bfe_u32 v6, v2, 23, 1
; %bb.4714:                             ;   in Loop: Header=BB6_4483 Depth=3
	s_or_b32 exec_lo, exec_lo, s13
	s_delay_alu instid0(VALU_DEP_2) | instskip(NEXT) | instid1(VALU_DEP_2)
	v_lshrrev_b64 v[2:3], 21, v[2:3]
	v_cmp_gt_i32_e32 vcc_lo, 32, v6
	v_cmp_ne_u32_e64 s13, 0, v6
                                        ; implicit-def: $vgpr20
	s_delay_alu instid0(VALU_DEP_3) | instskip(NEXT) | instid1(VALU_DEP_1)
	v_dual_cndmask_b32 v3, 0, v3 :: v_dual_cndmask_b32 v2, 3, v2
	v_cmp_ne_u64_e32 vcc_lo, 0, v[2:3]
	s_or_b32 s13, s13, vcc_lo
	s_delay_alu instid0(SALU_CYCLE_1) | instskip(NEXT) | instid1(SALU_CYCLE_1)
	s_and_saveexec_b32 s76, s13
	s_xor_b32 s13, exec_lo, s76
; %bb.4715:                             ;   in Loop: Header=BB6_4483 Depth=3
	v_min_i32_e32 v3, 31, v6
	s_delay_alu instid0(VALU_DEP_1) | instskip(NEXT) | instid1(VALU_DEP_1)
	v_lshl_or_b32 v3, v3, 2, v21
                                        ; implicit-def: $vgpr21
	v_and_or_b32 v20, v2, 3, v3
; %bb.4716:                             ;   in Loop: Header=BB6_4483 Depth=3
	s_and_not1_saveexec_b32 s13, s13
; %bb.4717:                             ;   in Loop: Header=BB6_4483 Depth=3
	v_mov_b32_e32 v20, v21
; %bb.4718:                             ;   in Loop: Header=BB6_4483 Depth=3
	s_or_b32 exec_lo, exec_lo, s13
.LBB6_4719:                             ;   in Loop: Header=BB6_4483 Depth=3
	s_delay_alu instid0(SALU_CYCLE_1)
	s_or_b32 exec_lo, exec_lo, s75
                                        ; implicit-def: $vgpr21
.LBB6_4720:                             ;   in Loop: Header=BB6_4483 Depth=3
	s_and_not1_saveexec_b32 s13, s15
; %bb.4721:                             ;   in Loop: Header=BB6_4483 Depth=3
	v_or_b32_e32 v20, 0x7b, v21
; %bb.4722:                             ;   in Loop: Header=BB6_4483 Depth=3
	s_or_b32 exec_lo, exec_lo, s13
                                        ; implicit-def: $vgpr6
                                        ; implicit-def: $vgpr2_vgpr3
.LBB6_4723:                             ;   in Loop: Header=BB6_4483 Depth=3
	s_and_not1_saveexec_b32 s13, s14
	s_cbranch_execz .LBB6_4729
; %bb.4724:                             ;   in Loop: Header=BB6_4483 Depth=3
	s_mov_b32 s14, exec_lo
                                        ; implicit-def: $vgpr20
	v_cmpx_ne_u64_e32 0, v[2:3]
	s_xor_b32 s14, exec_lo, s14
; %bb.4725:                             ;   in Loop: Header=BB6_4483 Depth=3
	v_lshrrev_b32_e32 v2, 24, v6
                                        ; implicit-def: $vgpr6
	s_delay_alu instid0(VALU_DEP_1)
	v_or_b32_e32 v20, 0x7f, v2
; %bb.4726:                             ;   in Loop: Header=BB6_4483 Depth=3
	s_and_not1_saveexec_b32 s14, s14
; %bb.4727:                             ;   in Loop: Header=BB6_4483 Depth=3
	v_cmp_lt_i32_e32 vcc_lo, -1, v6
	v_cndmask_b32_e64 v20, -4, 0x7c, vcc_lo
; %bb.4728:                             ;   in Loop: Header=BB6_4483 Depth=3
	s_or_b32 exec_lo, exec_lo, s14
.LBB6_4729:                             ;   in Loop: Header=BB6_4483 Depth=3
	s_delay_alu instid0(SALU_CYCLE_1)
	s_or_b32 exec_lo, exec_lo, s13
	flat_load_i8 v2, v[0:1] offset:224 th:TH_LOAD_NT
	v_mov_b32_e32 v6, 0
	s_mov_b32 s13, exec_lo
	s_wait_loadcnt_dscnt 0x0
	s_wait_xcnt 0x0
	v_cmpx_ne_u16_e32 0, v2
	s_cbranch_execz .LBB6_4739
; %bb.4730:                             ;   in Loop: Header=BB6_4483 Depth=3
	v_bfrev_b32_e32 v6, 1
	s_mov_b32 s14, exec_lo
	v_cmpx_ne_u16_e32 0xff80, v2
	s_cbranch_execz .LBB6_4738
; %bb.4731:                             ;   in Loop: Header=BB6_4483 Depth=3
	v_and_b32_e32 v6, 0x7c, v2
	v_and_b32_e32 v3, 3, v2
	s_delay_alu instid0(VALU_DEP_2) | instskip(SKIP_1) | instid1(SALU_CYCLE_1)
	v_cmp_ne_u32_e32 vcc_lo, 0x7c, v6
                                        ; implicit-def: $vgpr6
	s_and_saveexec_b32 s15, vcc_lo
	s_xor_b32 s15, exec_lo, s15
	s_cbranch_execz .LBB6_4735
; %bb.4732:                             ;   in Loop: Header=BB6_4483 Depth=3
	v_and_b32_e32 v6, 0xff, v2
	s_mov_b32 s75, exec_lo
	s_delay_alu instid0(VALU_DEP_1) | instskip(NEXT) | instid1(VALU_DEP_1)
	v_bfe_u32 v6, v6, 2, 5
	v_cmpx_eq_u32_e32 0, v6
	s_cbranch_execz .LBB6_4734
; %bb.4733:                             ;   in Loop: Header=BB6_4483 Depth=3
	v_clz_i32_u32_e32 v3, v3
	s_delay_alu instid0(VALU_DEP_1) | instskip(SKIP_1) | instid1(VALU_DEP_2)
	v_min_u32_e32 v6, 32, v3
	v_mov_b32_e32 v3, v113
	v_subrev_nc_u32_e32 v7, 29, v6
	v_sub_nc_u32_e32 v6, 30, v6
	s_delay_alu instid0(VALU_DEP_2) | instskip(NEXT) | instid1(VALU_DEP_1)
	v_lshlrev_b64_e32 v[22:23], v7, v[2:3]
	v_and_b32_e32 v3, 3, v22
.LBB6_4734:                             ;   in Loop: Header=BB6_4483 Depth=3
	s_or_b32 exec_lo, exec_lo, s75
	v_bfe_i32 v2, v2, 0, 16
	s_delay_alu instid0(VALU_DEP_1) | instskip(NEXT) | instid1(VALU_DEP_1)
	v_and_b32_e32 v2, 0x80000000, v2
	v_lshl_add_u32 v2, v6, 23, v2
	s_delay_alu instid0(VALU_DEP_1) | instskip(NEXT) | instid1(VALU_DEP_1)
	v_lshl_or_b32 v2, v3, 21, v2
                                        ; implicit-def: $vgpr3
	v_add_nc_u32_e32 v6, 0x38000000, v2
                                        ; implicit-def: $vgpr2
.LBB6_4735:                             ;   in Loop: Header=BB6_4483 Depth=3
	s_and_not1_saveexec_b32 s15, s15
; %bb.4736:                             ;   in Loop: Header=BB6_4483 Depth=3
	v_cmp_lt_i16_e32 vcc_lo, -1, v2
	v_mov_b32_e32 v2, 0x7f800000
	s_delay_alu instid0(VALU_DEP_1) | instskip(SKIP_1) | instid1(VALU_DEP_2)
	v_cndmask_b32_e32 v2, 0xff800000, v2, vcc_lo
	v_cmp_eq_u32_e32 vcc_lo, 0, v3
	v_cndmask_b32_e32 v6, 0x7f800001, v2, vcc_lo
; %bb.4737:                             ;   in Loop: Header=BB6_4483 Depth=3
	s_or_b32 exec_lo, exec_lo, s15
.LBB6_4738:                             ;   in Loop: Header=BB6_4483 Depth=3
	s_delay_alu instid0(SALU_CYCLE_1)
	s_or_b32 exec_lo, exec_lo, s14
.LBB6_4739:                             ;   in Loop: Header=BB6_4483 Depth=3
	s_delay_alu instid0(SALU_CYCLE_1) | instskip(NEXT) | instid1(VALU_DEP_1)
	s_or_b32 exec_lo, exec_lo, s13
	v_dual_mul_f32 v6, s74, v6 :: v_dual_mov_b32 v3, v113
                                        ; implicit-def: $vgpr21
	s_delay_alu instid0(VALU_DEP_1) | instskip(NEXT) | instid1(VALU_DEP_1)
	v_and_b32_e32 v2, 0x7f800000, v6
	v_cmp_ne_u64_e32 vcc_lo, 0x7f800000, v[2:3]
	v_and_b32_e32 v2, 0x7fffff, v6
	s_and_saveexec_b32 s13, vcc_lo
	s_delay_alu instid0(SALU_CYCLE_1)
	s_xor_b32 s14, exec_lo, s13
	s_cbranch_execz .LBB6_4757
; %bb.4740:                             ;   in Loop: Header=BB6_4483 Depth=3
	v_and_b32_e32 v22, 0x7fffffff, v6
	v_dual_mov_b32 v23, v113 :: v_dual_lshrrev_b32 v7, 24, v6
                                        ; implicit-def: $vgpr21
	s_delay_alu instid0(VALU_DEP_1) | instskip(NEXT) | instid1(VALU_DEP_2)
	v_cmp_gt_u64_e32 vcc_lo, 0x47600001, v[22:23]
	v_and_b32_e32 v22, 0x80, v7
	s_and_saveexec_b32 s13, vcc_lo
	s_delay_alu instid0(SALU_CYCLE_1)
	s_xor_b32 s15, exec_lo, s13
	s_cbranch_execz .LBB6_4754
; %bb.4741:                             ;   in Loop: Header=BB6_4483 Depth=3
	v_mov_b32_e32 v21, 0
	s_mov_b32 s75, exec_lo
	v_cmpx_ne_u32_e32 0, v6
	s_cbranch_execz .LBB6_4753
; %bb.4742:                             ;   in Loop: Header=BB6_4483 Depth=3
	v_bfe_u32 v21, v6, 23, 8
	v_or_b32_e32 v24, 0x800000, v2
	s_delay_alu instid0(VALU_DEP_2) | instskip(SKIP_1) | instid1(VALU_DEP_2)
	v_sub_nc_u32_e32 v6, 0x71, v21
	v_cmp_gt_u32_e32 vcc_lo, 0x72, v21
	v_cndmask_b32_e32 v6, 0, v6, vcc_lo
	v_cmp_eq_u32_e32 vcc_lo, 0, v21
	s_delay_alu instid0(VALU_DEP_2) | instskip(NEXT) | instid1(VALU_DEP_1)
	v_cndmask_b32_e64 v23, v6, 0x70, vcc_lo
	v_dual_cndmask_b32 v2, v24, v2, vcc_lo :: v_dual_add_nc_u32 v6, 21, v23
	v_add_nc_u32_e32 v25, 20, v23
	s_delay_alu instid0(VALU_DEP_2) | instskip(NEXT) | instid1(VALU_DEP_2)
	v_lshlrev_b64_e64 v[6:7], v6, -1
	v_lshlrev_b64_e64 v[24:25], v25, 1
	s_delay_alu instid0(VALU_DEP_2) | instskip(SKIP_1) | instid1(VALU_DEP_4)
	v_bfi_b32 v6, v6, 0, v2
	v_lshrrev_b64 v[2:3], v23, v[2:3]
	v_bfi_b32 v7, v7, 0, 0
	s_delay_alu instid0(VALU_DEP_1) | instskip(NEXT) | instid1(VALU_DEP_3)
	v_cmp_eq_u64_e64 s13, v[6:7], v[24:25]
	v_mov_b64_e32 v[6:7], v[2:3]
	s_and_saveexec_b32 s76, s13
; %bb.4743:                             ;   in Loop: Header=BB6_4483 Depth=3
	v_bfe_u32 v6, v2, 21, 1
	v_mov_b32_e32 v7, v113
	s_delay_alu instid0(VALU_DEP_1) | instskip(NEXT) | instid1(VALU_DEP_1)
	v_add_nc_u64_e32 v[6:7], v[2:3], v[6:7]
	v_add_nc_u64_e32 v[6:7], -1, v[6:7]
; %bb.4744:                             ;   in Loop: Header=BB6_4483 Depth=3
	s_or_b32 exec_lo, exec_lo, s76
	v_add_nc_u32_e32 v3, 0xffffff81, v21
	v_lshrrev_b32_e32 v7, 23, v2
	s_mov_b32 s13, exec_lo
	s_delay_alu instid0(VALU_DEP_2) | instskip(NEXT) | instid1(VALU_DEP_1)
	v_cndmask_b32_e64 v3, v3, 0xffffff82, vcc_lo
	v_add3_u32 v7, v23, v3, v7
	v_and_b32_e32 v3, 0x1fffff, v6
                                        ; implicit-def: $vgpr6
	s_delay_alu instid0(VALU_DEP_1) | instskip(SKIP_1) | instid1(VALU_DEP_2)
	v_dual_add_nc_u32 v21, 14, v7 :: v_dual_add_nc_u32 v2, v3, v2
	v_mov_b32_e32 v3, v113
	v_cmpx_ne_u32_e32 0, v21
	s_xor_b32 s13, exec_lo, s13
; %bb.4745:                             ;   in Loop: Header=BB6_4483 Depth=3
	s_delay_alu instid0(VALU_DEP_2) | instskip(SKIP_2) | instid1(VALU_DEP_2)
	v_cmp_lt_u64_e32 vcc_lo, 0xffffff, v[2:3]
	v_add_nc_u32_e32 v6, 15, v7
	v_cndmask_b32_e64 v7, 0, 1, vcc_lo
	v_cndmask_b32_e32 v6, v21, v6, vcc_lo
	s_delay_alu instid0(VALU_DEP_2)
	v_lshrrev_b64 v[2:3], v7, v[2:3]
; %bb.4746:                             ;   in Loop: Header=BB6_4483 Depth=3
	s_and_not1_saveexec_b32 s13, s13
; %bb.4747:                             ;   in Loop: Header=BB6_4483 Depth=3
	s_delay_alu instid0(VALU_DEP_1)
	v_bfe_u32 v6, v2, 23, 1
; %bb.4748:                             ;   in Loop: Header=BB6_4483 Depth=3
	s_or_b32 exec_lo, exec_lo, s13
	s_delay_alu instid0(VALU_DEP_2) | instskip(NEXT) | instid1(VALU_DEP_2)
	v_lshrrev_b64 v[2:3], 21, v[2:3]
	v_cmp_gt_i32_e32 vcc_lo, 32, v6
	v_cmp_ne_u32_e64 s13, 0, v6
                                        ; implicit-def: $vgpr21
	s_delay_alu instid0(VALU_DEP_3) | instskip(NEXT) | instid1(VALU_DEP_1)
	v_dual_cndmask_b32 v3, 0, v3 :: v_dual_cndmask_b32 v2, 3, v2
	v_cmp_ne_u64_e32 vcc_lo, 0, v[2:3]
	s_or_b32 s13, s13, vcc_lo
	s_delay_alu instid0(SALU_CYCLE_1) | instskip(NEXT) | instid1(SALU_CYCLE_1)
	s_and_saveexec_b32 s76, s13
	s_xor_b32 s13, exec_lo, s76
; %bb.4749:                             ;   in Loop: Header=BB6_4483 Depth=3
	v_min_i32_e32 v3, 31, v6
	s_delay_alu instid0(VALU_DEP_1) | instskip(NEXT) | instid1(VALU_DEP_1)
	v_lshl_or_b32 v3, v3, 2, v22
                                        ; implicit-def: $vgpr22
	v_and_or_b32 v21, v2, 3, v3
; %bb.4750:                             ;   in Loop: Header=BB6_4483 Depth=3
	s_and_not1_saveexec_b32 s13, s13
; %bb.4751:                             ;   in Loop: Header=BB6_4483 Depth=3
	v_mov_b32_e32 v21, v22
; %bb.4752:                             ;   in Loop: Header=BB6_4483 Depth=3
	s_or_b32 exec_lo, exec_lo, s13
.LBB6_4753:                             ;   in Loop: Header=BB6_4483 Depth=3
	s_delay_alu instid0(SALU_CYCLE_1)
	s_or_b32 exec_lo, exec_lo, s75
                                        ; implicit-def: $vgpr22
.LBB6_4754:                             ;   in Loop: Header=BB6_4483 Depth=3
	s_and_not1_saveexec_b32 s13, s15
; %bb.4755:                             ;   in Loop: Header=BB6_4483 Depth=3
	v_or_b32_e32 v21, 0x7b, v22
; %bb.4756:                             ;   in Loop: Header=BB6_4483 Depth=3
	s_or_b32 exec_lo, exec_lo, s13
                                        ; implicit-def: $vgpr6
                                        ; implicit-def: $vgpr2_vgpr3
.LBB6_4757:                             ;   in Loop: Header=BB6_4483 Depth=3
	s_and_not1_saveexec_b32 s13, s14
	s_cbranch_execz .LBB6_4763
; %bb.4758:                             ;   in Loop: Header=BB6_4483 Depth=3
	s_mov_b32 s14, exec_lo
                                        ; implicit-def: $vgpr21
	v_cmpx_ne_u64_e32 0, v[2:3]
	s_xor_b32 s14, exec_lo, s14
; %bb.4759:                             ;   in Loop: Header=BB6_4483 Depth=3
	v_lshrrev_b32_e32 v2, 24, v6
                                        ; implicit-def: $vgpr6
	s_delay_alu instid0(VALU_DEP_1)
	v_or_b32_e32 v21, 0x7f, v2
; %bb.4760:                             ;   in Loop: Header=BB6_4483 Depth=3
	s_and_not1_saveexec_b32 s14, s14
; %bb.4761:                             ;   in Loop: Header=BB6_4483 Depth=3
	v_cmp_lt_i32_e32 vcc_lo, -1, v6
	v_cndmask_b32_e64 v21, -4, 0x7c, vcc_lo
; %bb.4762:                             ;   in Loop: Header=BB6_4483 Depth=3
	s_or_b32 exec_lo, exec_lo, s14
.LBB6_4763:                             ;   in Loop: Header=BB6_4483 Depth=3
	s_delay_alu instid0(SALU_CYCLE_1)
	s_or_b32 exec_lo, exec_lo, s13
	flat_load_i8 v2, v[0:1] offset:256 th:TH_LOAD_NT
	v_mov_b32_e32 v6, 0
	s_mov_b32 s13, exec_lo
	s_wait_loadcnt_dscnt 0x0
	s_wait_xcnt 0x0
	v_cmpx_ne_u16_e32 0, v2
	s_cbranch_execz .LBB6_4773
; %bb.4764:                             ;   in Loop: Header=BB6_4483 Depth=3
	v_bfrev_b32_e32 v6, 1
	s_mov_b32 s14, exec_lo
	v_cmpx_ne_u16_e32 0xff80, v2
	s_cbranch_execz .LBB6_4772
; %bb.4765:                             ;   in Loop: Header=BB6_4483 Depth=3
	v_and_b32_e32 v6, 0x7c, v2
	v_and_b32_e32 v3, 3, v2
	s_delay_alu instid0(VALU_DEP_2) | instskip(SKIP_1) | instid1(SALU_CYCLE_1)
	v_cmp_ne_u32_e32 vcc_lo, 0x7c, v6
                                        ; implicit-def: $vgpr6
	s_and_saveexec_b32 s15, vcc_lo
	s_xor_b32 s15, exec_lo, s15
	s_cbranch_execz .LBB6_4769
; %bb.4766:                             ;   in Loop: Header=BB6_4483 Depth=3
	v_and_b32_e32 v6, 0xff, v2
	s_mov_b32 s75, exec_lo
	s_delay_alu instid0(VALU_DEP_1) | instskip(NEXT) | instid1(VALU_DEP_1)
	v_bfe_u32 v6, v6, 2, 5
	v_cmpx_eq_u32_e32 0, v6
	s_cbranch_execz .LBB6_4768
; %bb.4767:                             ;   in Loop: Header=BB6_4483 Depth=3
	v_clz_i32_u32_e32 v3, v3
	s_delay_alu instid0(VALU_DEP_1) | instskip(SKIP_1) | instid1(VALU_DEP_2)
	v_min_u32_e32 v6, 32, v3
	v_mov_b32_e32 v3, v113
	v_subrev_nc_u32_e32 v7, 29, v6
	v_sub_nc_u32_e32 v6, 30, v6
	s_delay_alu instid0(VALU_DEP_2) | instskip(NEXT) | instid1(VALU_DEP_1)
	v_lshlrev_b64_e32 v[22:23], v7, v[2:3]
	v_and_b32_e32 v3, 3, v22
.LBB6_4768:                             ;   in Loop: Header=BB6_4483 Depth=3
	s_or_b32 exec_lo, exec_lo, s75
	v_bfe_i32 v2, v2, 0, 16
	s_delay_alu instid0(VALU_DEP_1) | instskip(NEXT) | instid1(VALU_DEP_1)
	v_and_b32_e32 v2, 0x80000000, v2
	v_lshl_add_u32 v2, v6, 23, v2
	s_delay_alu instid0(VALU_DEP_1) | instskip(NEXT) | instid1(VALU_DEP_1)
	v_lshl_or_b32 v2, v3, 21, v2
                                        ; implicit-def: $vgpr3
	v_add_nc_u32_e32 v6, 0x38000000, v2
                                        ; implicit-def: $vgpr2
.LBB6_4769:                             ;   in Loop: Header=BB6_4483 Depth=3
	s_and_not1_saveexec_b32 s15, s15
; %bb.4770:                             ;   in Loop: Header=BB6_4483 Depth=3
	v_cmp_lt_i16_e32 vcc_lo, -1, v2
	v_mov_b32_e32 v2, 0x7f800000
	s_delay_alu instid0(VALU_DEP_1) | instskip(SKIP_1) | instid1(VALU_DEP_2)
	v_cndmask_b32_e32 v2, 0xff800000, v2, vcc_lo
	v_cmp_eq_u32_e32 vcc_lo, 0, v3
	v_cndmask_b32_e32 v6, 0x7f800001, v2, vcc_lo
; %bb.4771:                             ;   in Loop: Header=BB6_4483 Depth=3
	s_or_b32 exec_lo, exec_lo, s15
.LBB6_4772:                             ;   in Loop: Header=BB6_4483 Depth=3
	s_delay_alu instid0(SALU_CYCLE_1)
	s_or_b32 exec_lo, exec_lo, s14
.LBB6_4773:                             ;   in Loop: Header=BB6_4483 Depth=3
	s_delay_alu instid0(SALU_CYCLE_1) | instskip(NEXT) | instid1(VALU_DEP_1)
	s_or_b32 exec_lo, exec_lo, s13
	v_dual_mul_f32 v6, s74, v6 :: v_dual_mov_b32 v3, v113
                                        ; implicit-def: $vgpr22
	s_delay_alu instid0(VALU_DEP_1) | instskip(NEXT) | instid1(VALU_DEP_1)
	v_and_b32_e32 v2, 0x7f800000, v6
	v_cmp_ne_u64_e32 vcc_lo, 0x7f800000, v[2:3]
	v_and_b32_e32 v2, 0x7fffff, v6
	s_and_saveexec_b32 s13, vcc_lo
	s_delay_alu instid0(SALU_CYCLE_1)
	s_xor_b32 s14, exec_lo, s13
	s_cbranch_execz .LBB6_4791
; %bb.4774:                             ;   in Loop: Header=BB6_4483 Depth=3
	v_and_b32_e32 v22, 0x7fffffff, v6
	v_dual_mov_b32 v23, v113 :: v_dual_lshrrev_b32 v7, 24, v6
	s_delay_alu instid0(VALU_DEP_1) | instskip(NEXT) | instid1(VALU_DEP_2)
	v_cmp_gt_u64_e32 vcc_lo, 0x47600001, v[22:23]
	v_and_b32_e32 v23, 0x80, v7
                                        ; implicit-def: $vgpr22
	s_and_saveexec_b32 s13, vcc_lo
	s_delay_alu instid0(SALU_CYCLE_1)
	s_xor_b32 s15, exec_lo, s13
	s_cbranch_execz .LBB6_4788
; %bb.4775:                             ;   in Loop: Header=BB6_4483 Depth=3
	v_mov_b32_e32 v22, 0
	s_mov_b32 s75, exec_lo
	v_cmpx_ne_u32_e32 0, v6
	s_cbranch_execz .LBB6_4787
; %bb.4776:                             ;   in Loop: Header=BB6_4483 Depth=3
	v_bfe_u32 v22, v6, 23, 8
	v_or_b32_e32 v25, 0x800000, v2
	s_delay_alu instid0(VALU_DEP_2) | instskip(SKIP_1) | instid1(VALU_DEP_2)
	v_sub_nc_u32_e32 v6, 0x71, v22
	v_cmp_gt_u32_e32 vcc_lo, 0x72, v22
	v_cndmask_b32_e32 v6, 0, v6, vcc_lo
	v_cmp_eq_u32_e32 vcc_lo, 0, v22
	s_delay_alu instid0(VALU_DEP_2) | instskip(NEXT) | instid1(VALU_DEP_1)
	v_cndmask_b32_e64 v24, v6, 0x70, vcc_lo
	v_dual_cndmask_b32 v2, v25, v2, vcc_lo :: v_dual_add_nc_u32 v6, 21, v24
	v_add_nc_u32_e32 v26, 20, v24
	s_delay_alu instid0(VALU_DEP_2) | instskip(NEXT) | instid1(VALU_DEP_2)
	v_lshlrev_b64_e64 v[6:7], v6, -1
	v_lshlrev_b64_e64 v[26:27], v26, 1
	s_delay_alu instid0(VALU_DEP_2) | instskip(SKIP_1) | instid1(VALU_DEP_4)
	v_bfi_b32 v6, v6, 0, v2
	v_lshrrev_b64 v[2:3], v24, v[2:3]
	v_bfi_b32 v7, v7, 0, 0
	s_delay_alu instid0(VALU_DEP_1) | instskip(NEXT) | instid1(VALU_DEP_3)
	v_cmp_eq_u64_e64 s13, v[6:7], v[26:27]
	v_mov_b64_e32 v[6:7], v[2:3]
	s_and_saveexec_b32 s76, s13
; %bb.4777:                             ;   in Loop: Header=BB6_4483 Depth=3
	v_bfe_u32 v6, v2, 21, 1
	v_mov_b32_e32 v7, v113
	s_delay_alu instid0(VALU_DEP_1) | instskip(NEXT) | instid1(VALU_DEP_1)
	v_add_nc_u64_e32 v[6:7], v[2:3], v[6:7]
	v_add_nc_u64_e32 v[6:7], -1, v[6:7]
; %bb.4778:                             ;   in Loop: Header=BB6_4483 Depth=3
	s_or_b32 exec_lo, exec_lo, s76
	v_add_nc_u32_e32 v3, 0xffffff81, v22
	v_lshrrev_b32_e32 v7, 23, v2
	s_mov_b32 s13, exec_lo
	s_delay_alu instid0(VALU_DEP_2) | instskip(NEXT) | instid1(VALU_DEP_1)
	v_cndmask_b32_e64 v3, v3, 0xffffff82, vcc_lo
	v_add3_u32 v7, v24, v3, v7
	v_and_b32_e32 v3, 0x1fffff, v6
                                        ; implicit-def: $vgpr6
	s_delay_alu instid0(VALU_DEP_1) | instskip(SKIP_1) | instid1(VALU_DEP_2)
	v_dual_add_nc_u32 v22, 14, v7 :: v_dual_add_nc_u32 v2, v3, v2
	v_mov_b32_e32 v3, v113
	v_cmpx_ne_u32_e32 0, v22
	s_xor_b32 s13, exec_lo, s13
; %bb.4779:                             ;   in Loop: Header=BB6_4483 Depth=3
	s_delay_alu instid0(VALU_DEP_2) | instskip(SKIP_2) | instid1(VALU_DEP_2)
	v_cmp_lt_u64_e32 vcc_lo, 0xffffff, v[2:3]
	v_add_nc_u32_e32 v6, 15, v7
	v_cndmask_b32_e64 v7, 0, 1, vcc_lo
	v_cndmask_b32_e32 v6, v22, v6, vcc_lo
	s_delay_alu instid0(VALU_DEP_2)
	v_lshrrev_b64 v[2:3], v7, v[2:3]
; %bb.4780:                             ;   in Loop: Header=BB6_4483 Depth=3
	s_and_not1_saveexec_b32 s13, s13
; %bb.4781:                             ;   in Loop: Header=BB6_4483 Depth=3
	s_delay_alu instid0(VALU_DEP_1)
	v_bfe_u32 v6, v2, 23, 1
; %bb.4782:                             ;   in Loop: Header=BB6_4483 Depth=3
	s_or_b32 exec_lo, exec_lo, s13
	s_delay_alu instid0(VALU_DEP_2) | instskip(NEXT) | instid1(VALU_DEP_2)
	v_lshrrev_b64 v[2:3], 21, v[2:3]
	v_cmp_gt_i32_e32 vcc_lo, 32, v6
	v_cmp_ne_u32_e64 s13, 0, v6
                                        ; implicit-def: $vgpr22
	s_delay_alu instid0(VALU_DEP_3) | instskip(NEXT) | instid1(VALU_DEP_1)
	v_dual_cndmask_b32 v3, 0, v3 :: v_dual_cndmask_b32 v2, 3, v2
	v_cmp_ne_u64_e32 vcc_lo, 0, v[2:3]
	s_or_b32 s13, s13, vcc_lo
	s_delay_alu instid0(SALU_CYCLE_1) | instskip(NEXT) | instid1(SALU_CYCLE_1)
	s_and_saveexec_b32 s76, s13
	s_xor_b32 s13, exec_lo, s76
; %bb.4783:                             ;   in Loop: Header=BB6_4483 Depth=3
	v_min_i32_e32 v3, 31, v6
	s_delay_alu instid0(VALU_DEP_1) | instskip(NEXT) | instid1(VALU_DEP_1)
	v_lshl_or_b32 v3, v3, 2, v23
                                        ; implicit-def: $vgpr23
	v_and_or_b32 v22, v2, 3, v3
; %bb.4784:                             ;   in Loop: Header=BB6_4483 Depth=3
	s_and_not1_saveexec_b32 s13, s13
; %bb.4785:                             ;   in Loop: Header=BB6_4483 Depth=3
	v_mov_b32_e32 v22, v23
; %bb.4786:                             ;   in Loop: Header=BB6_4483 Depth=3
	s_or_b32 exec_lo, exec_lo, s13
.LBB6_4787:                             ;   in Loop: Header=BB6_4483 Depth=3
	s_delay_alu instid0(SALU_CYCLE_1)
	s_or_b32 exec_lo, exec_lo, s75
                                        ; implicit-def: $vgpr23
.LBB6_4788:                             ;   in Loop: Header=BB6_4483 Depth=3
	s_and_not1_saveexec_b32 s13, s15
; %bb.4789:                             ;   in Loop: Header=BB6_4483 Depth=3
	v_or_b32_e32 v22, 0x7b, v23
; %bb.4790:                             ;   in Loop: Header=BB6_4483 Depth=3
	s_or_b32 exec_lo, exec_lo, s13
                                        ; implicit-def: $vgpr6
                                        ; implicit-def: $vgpr2_vgpr3
.LBB6_4791:                             ;   in Loop: Header=BB6_4483 Depth=3
	s_and_not1_saveexec_b32 s13, s14
	s_cbranch_execz .LBB6_4797
; %bb.4792:                             ;   in Loop: Header=BB6_4483 Depth=3
	s_mov_b32 s14, exec_lo
                                        ; implicit-def: $vgpr22
	v_cmpx_ne_u64_e32 0, v[2:3]
	s_xor_b32 s14, exec_lo, s14
; %bb.4793:                             ;   in Loop: Header=BB6_4483 Depth=3
	v_lshrrev_b32_e32 v2, 24, v6
                                        ; implicit-def: $vgpr6
	s_delay_alu instid0(VALU_DEP_1)
	v_or_b32_e32 v22, 0x7f, v2
; %bb.4794:                             ;   in Loop: Header=BB6_4483 Depth=3
	s_and_not1_saveexec_b32 s14, s14
; %bb.4795:                             ;   in Loop: Header=BB6_4483 Depth=3
	v_cmp_lt_i32_e32 vcc_lo, -1, v6
	v_cndmask_b32_e64 v22, -4, 0x7c, vcc_lo
; %bb.4796:                             ;   in Loop: Header=BB6_4483 Depth=3
	s_or_b32 exec_lo, exec_lo, s14
.LBB6_4797:                             ;   in Loop: Header=BB6_4483 Depth=3
	s_delay_alu instid0(SALU_CYCLE_1)
	s_or_b32 exec_lo, exec_lo, s13
	flat_load_i8 v2, v[0:1] offset:288 th:TH_LOAD_NT
	v_mov_b32_e32 v6, 0
	s_mov_b32 s13, exec_lo
	s_wait_loadcnt_dscnt 0x0
	s_wait_xcnt 0x0
	v_cmpx_ne_u16_e32 0, v2
	s_cbranch_execz .LBB6_4807
; %bb.4798:                             ;   in Loop: Header=BB6_4483 Depth=3
	v_bfrev_b32_e32 v6, 1
	s_mov_b32 s14, exec_lo
	v_cmpx_ne_u16_e32 0xff80, v2
	s_cbranch_execz .LBB6_4806
; %bb.4799:                             ;   in Loop: Header=BB6_4483 Depth=3
	v_and_b32_e32 v6, 0x7c, v2
	v_and_b32_e32 v3, 3, v2
	s_delay_alu instid0(VALU_DEP_2) | instskip(SKIP_1) | instid1(SALU_CYCLE_1)
	v_cmp_ne_u32_e32 vcc_lo, 0x7c, v6
                                        ; implicit-def: $vgpr6
	s_and_saveexec_b32 s15, vcc_lo
	s_xor_b32 s15, exec_lo, s15
	s_cbranch_execz .LBB6_4803
; %bb.4800:                             ;   in Loop: Header=BB6_4483 Depth=3
	v_and_b32_e32 v6, 0xff, v2
	s_mov_b32 s75, exec_lo
	s_delay_alu instid0(VALU_DEP_1) | instskip(NEXT) | instid1(VALU_DEP_1)
	v_bfe_u32 v6, v6, 2, 5
	v_cmpx_eq_u32_e32 0, v6
	s_cbranch_execz .LBB6_4802
; %bb.4801:                             ;   in Loop: Header=BB6_4483 Depth=3
	v_clz_i32_u32_e32 v3, v3
	s_delay_alu instid0(VALU_DEP_1) | instskip(SKIP_1) | instid1(VALU_DEP_2)
	v_min_u32_e32 v6, 32, v3
	v_mov_b32_e32 v3, v113
	v_subrev_nc_u32_e32 v7, 29, v6
	v_sub_nc_u32_e32 v6, 30, v6
	s_delay_alu instid0(VALU_DEP_2) | instskip(NEXT) | instid1(VALU_DEP_1)
	v_lshlrev_b64_e32 v[24:25], v7, v[2:3]
	v_and_b32_e32 v3, 3, v24
.LBB6_4802:                             ;   in Loop: Header=BB6_4483 Depth=3
	s_or_b32 exec_lo, exec_lo, s75
	v_bfe_i32 v2, v2, 0, 16
	s_delay_alu instid0(VALU_DEP_1) | instskip(NEXT) | instid1(VALU_DEP_1)
	v_and_b32_e32 v2, 0x80000000, v2
	v_lshl_add_u32 v2, v6, 23, v2
	s_delay_alu instid0(VALU_DEP_1) | instskip(NEXT) | instid1(VALU_DEP_1)
	v_lshl_or_b32 v2, v3, 21, v2
                                        ; implicit-def: $vgpr3
	v_add_nc_u32_e32 v6, 0x38000000, v2
                                        ; implicit-def: $vgpr2
.LBB6_4803:                             ;   in Loop: Header=BB6_4483 Depth=3
	s_and_not1_saveexec_b32 s15, s15
; %bb.4804:                             ;   in Loop: Header=BB6_4483 Depth=3
	v_cmp_lt_i16_e32 vcc_lo, -1, v2
	v_mov_b32_e32 v2, 0x7f800000
	s_delay_alu instid0(VALU_DEP_1) | instskip(SKIP_1) | instid1(VALU_DEP_2)
	v_cndmask_b32_e32 v2, 0xff800000, v2, vcc_lo
	v_cmp_eq_u32_e32 vcc_lo, 0, v3
	v_cndmask_b32_e32 v6, 0x7f800001, v2, vcc_lo
; %bb.4805:                             ;   in Loop: Header=BB6_4483 Depth=3
	s_or_b32 exec_lo, exec_lo, s15
.LBB6_4806:                             ;   in Loop: Header=BB6_4483 Depth=3
	s_delay_alu instid0(SALU_CYCLE_1)
	s_or_b32 exec_lo, exec_lo, s14
.LBB6_4807:                             ;   in Loop: Header=BB6_4483 Depth=3
	s_delay_alu instid0(SALU_CYCLE_1) | instskip(NEXT) | instid1(VALU_DEP_1)
	s_or_b32 exec_lo, exec_lo, s13
	v_dual_mul_f32 v6, s74, v6 :: v_dual_mov_b32 v3, v113
                                        ; implicit-def: $vgpr23
	s_delay_alu instid0(VALU_DEP_1) | instskip(NEXT) | instid1(VALU_DEP_1)
	v_and_b32_e32 v2, 0x7f800000, v6
	v_cmp_ne_u64_e32 vcc_lo, 0x7f800000, v[2:3]
	v_and_b32_e32 v2, 0x7fffff, v6
	s_and_saveexec_b32 s13, vcc_lo
	s_delay_alu instid0(SALU_CYCLE_1)
	s_xor_b32 s14, exec_lo, s13
	s_cbranch_execz .LBB6_4825
; %bb.4808:                             ;   in Loop: Header=BB6_4483 Depth=3
	v_and_b32_e32 v24, 0x7fffffff, v6
	v_dual_mov_b32 v25, v113 :: v_dual_lshrrev_b32 v7, 24, v6
                                        ; implicit-def: $vgpr23
	s_delay_alu instid0(VALU_DEP_1) | instskip(NEXT) | instid1(VALU_DEP_2)
	v_cmp_gt_u64_e32 vcc_lo, 0x47600001, v[24:25]
	v_and_b32_e32 v24, 0x80, v7
	s_and_saveexec_b32 s13, vcc_lo
	s_delay_alu instid0(SALU_CYCLE_1)
	s_xor_b32 s15, exec_lo, s13
	s_cbranch_execz .LBB6_4822
; %bb.4809:                             ;   in Loop: Header=BB6_4483 Depth=3
	v_mov_b32_e32 v23, 0
	s_mov_b32 s75, exec_lo
	v_cmpx_ne_u32_e32 0, v6
	s_cbranch_execz .LBB6_4821
; %bb.4810:                             ;   in Loop: Header=BB6_4483 Depth=3
	v_bfe_u32 v23, v6, 23, 8
	v_or_b32_e32 v26, 0x800000, v2
	s_delay_alu instid0(VALU_DEP_2) | instskip(SKIP_1) | instid1(VALU_DEP_2)
	v_sub_nc_u32_e32 v6, 0x71, v23
	v_cmp_gt_u32_e32 vcc_lo, 0x72, v23
	v_cndmask_b32_e32 v6, 0, v6, vcc_lo
	v_cmp_eq_u32_e32 vcc_lo, 0, v23
	s_delay_alu instid0(VALU_DEP_2) | instskip(NEXT) | instid1(VALU_DEP_1)
	v_cndmask_b32_e64 v25, v6, 0x70, vcc_lo
	v_dual_cndmask_b32 v2, v26, v2, vcc_lo :: v_dual_add_nc_u32 v6, 21, v25
	v_add_nc_u32_e32 v27, 20, v25
	s_delay_alu instid0(VALU_DEP_2) | instskip(NEXT) | instid1(VALU_DEP_2)
	v_lshlrev_b64_e64 v[6:7], v6, -1
	v_lshlrev_b64_e64 v[26:27], v27, 1
	s_delay_alu instid0(VALU_DEP_2) | instskip(SKIP_1) | instid1(VALU_DEP_4)
	v_bfi_b32 v6, v6, 0, v2
	v_lshrrev_b64 v[2:3], v25, v[2:3]
	v_bfi_b32 v7, v7, 0, 0
	s_delay_alu instid0(VALU_DEP_1) | instskip(NEXT) | instid1(VALU_DEP_3)
	v_cmp_eq_u64_e64 s13, v[6:7], v[26:27]
	v_mov_b64_e32 v[6:7], v[2:3]
	s_and_saveexec_b32 s76, s13
; %bb.4811:                             ;   in Loop: Header=BB6_4483 Depth=3
	v_bfe_u32 v6, v2, 21, 1
	v_mov_b32_e32 v7, v113
	s_delay_alu instid0(VALU_DEP_1) | instskip(NEXT) | instid1(VALU_DEP_1)
	v_add_nc_u64_e32 v[6:7], v[2:3], v[6:7]
	v_add_nc_u64_e32 v[6:7], -1, v[6:7]
; %bb.4812:                             ;   in Loop: Header=BB6_4483 Depth=3
	s_or_b32 exec_lo, exec_lo, s76
	v_add_nc_u32_e32 v3, 0xffffff81, v23
	v_lshrrev_b32_e32 v7, 23, v2
	s_mov_b32 s13, exec_lo
	s_delay_alu instid0(VALU_DEP_2) | instskip(NEXT) | instid1(VALU_DEP_1)
	v_cndmask_b32_e64 v3, v3, 0xffffff82, vcc_lo
	v_add3_u32 v7, v25, v3, v7
	v_and_b32_e32 v3, 0x1fffff, v6
                                        ; implicit-def: $vgpr6
	s_delay_alu instid0(VALU_DEP_1) | instskip(SKIP_1) | instid1(VALU_DEP_2)
	v_dual_add_nc_u32 v23, 14, v7 :: v_dual_add_nc_u32 v2, v3, v2
	v_mov_b32_e32 v3, v113
	v_cmpx_ne_u32_e32 0, v23
	s_xor_b32 s13, exec_lo, s13
; %bb.4813:                             ;   in Loop: Header=BB6_4483 Depth=3
	s_delay_alu instid0(VALU_DEP_2) | instskip(SKIP_2) | instid1(VALU_DEP_2)
	v_cmp_lt_u64_e32 vcc_lo, 0xffffff, v[2:3]
	v_add_nc_u32_e32 v6, 15, v7
	v_cndmask_b32_e64 v7, 0, 1, vcc_lo
	v_cndmask_b32_e32 v6, v23, v6, vcc_lo
	s_delay_alu instid0(VALU_DEP_2)
	v_lshrrev_b64 v[2:3], v7, v[2:3]
; %bb.4814:                             ;   in Loop: Header=BB6_4483 Depth=3
	s_and_not1_saveexec_b32 s13, s13
; %bb.4815:                             ;   in Loop: Header=BB6_4483 Depth=3
	s_delay_alu instid0(VALU_DEP_1)
	v_bfe_u32 v6, v2, 23, 1
; %bb.4816:                             ;   in Loop: Header=BB6_4483 Depth=3
	s_or_b32 exec_lo, exec_lo, s13
	s_delay_alu instid0(VALU_DEP_2) | instskip(NEXT) | instid1(VALU_DEP_2)
	v_lshrrev_b64 v[2:3], 21, v[2:3]
	v_cmp_gt_i32_e32 vcc_lo, 32, v6
	v_cmp_ne_u32_e64 s13, 0, v6
                                        ; implicit-def: $vgpr23
	s_delay_alu instid0(VALU_DEP_3) | instskip(NEXT) | instid1(VALU_DEP_1)
	v_dual_cndmask_b32 v3, 0, v3 :: v_dual_cndmask_b32 v2, 3, v2
	v_cmp_ne_u64_e32 vcc_lo, 0, v[2:3]
	s_or_b32 s13, s13, vcc_lo
	s_delay_alu instid0(SALU_CYCLE_1) | instskip(NEXT) | instid1(SALU_CYCLE_1)
	s_and_saveexec_b32 s76, s13
	s_xor_b32 s13, exec_lo, s76
; %bb.4817:                             ;   in Loop: Header=BB6_4483 Depth=3
	v_min_i32_e32 v3, 31, v6
	s_delay_alu instid0(VALU_DEP_1) | instskip(NEXT) | instid1(VALU_DEP_1)
	v_lshl_or_b32 v3, v3, 2, v24
                                        ; implicit-def: $vgpr24
	v_and_or_b32 v23, v2, 3, v3
; %bb.4818:                             ;   in Loop: Header=BB6_4483 Depth=3
	s_and_not1_saveexec_b32 s13, s13
; %bb.4819:                             ;   in Loop: Header=BB6_4483 Depth=3
	v_mov_b32_e32 v23, v24
; %bb.4820:                             ;   in Loop: Header=BB6_4483 Depth=3
	s_or_b32 exec_lo, exec_lo, s13
.LBB6_4821:                             ;   in Loop: Header=BB6_4483 Depth=3
	s_delay_alu instid0(SALU_CYCLE_1)
	s_or_b32 exec_lo, exec_lo, s75
                                        ; implicit-def: $vgpr24
.LBB6_4822:                             ;   in Loop: Header=BB6_4483 Depth=3
	s_and_not1_saveexec_b32 s13, s15
; %bb.4823:                             ;   in Loop: Header=BB6_4483 Depth=3
	v_or_b32_e32 v23, 0x7b, v24
; %bb.4824:                             ;   in Loop: Header=BB6_4483 Depth=3
	s_or_b32 exec_lo, exec_lo, s13
                                        ; implicit-def: $vgpr6
                                        ; implicit-def: $vgpr2_vgpr3
.LBB6_4825:                             ;   in Loop: Header=BB6_4483 Depth=3
	s_and_not1_saveexec_b32 s13, s14
	s_cbranch_execz .LBB6_4831
; %bb.4826:                             ;   in Loop: Header=BB6_4483 Depth=3
	s_mov_b32 s14, exec_lo
                                        ; implicit-def: $vgpr23
	v_cmpx_ne_u64_e32 0, v[2:3]
	s_xor_b32 s14, exec_lo, s14
; %bb.4827:                             ;   in Loop: Header=BB6_4483 Depth=3
	v_lshrrev_b32_e32 v2, 24, v6
                                        ; implicit-def: $vgpr6
	s_delay_alu instid0(VALU_DEP_1)
	v_or_b32_e32 v23, 0x7f, v2
; %bb.4828:                             ;   in Loop: Header=BB6_4483 Depth=3
	s_and_not1_saveexec_b32 s14, s14
; %bb.4829:                             ;   in Loop: Header=BB6_4483 Depth=3
	v_cmp_lt_i32_e32 vcc_lo, -1, v6
	v_cndmask_b32_e64 v23, -4, 0x7c, vcc_lo
; %bb.4830:                             ;   in Loop: Header=BB6_4483 Depth=3
	s_or_b32 exec_lo, exec_lo, s14
.LBB6_4831:                             ;   in Loop: Header=BB6_4483 Depth=3
	s_delay_alu instid0(SALU_CYCLE_1)
	s_or_b32 exec_lo, exec_lo, s13
	flat_load_i8 v2, v[0:1] offset:320 th:TH_LOAD_NT
	v_mov_b32_e32 v6, 0
	s_mov_b32 s13, exec_lo
	s_wait_loadcnt_dscnt 0x0
	s_wait_xcnt 0x0
	v_cmpx_ne_u16_e32 0, v2
	s_cbranch_execz .LBB6_4841
; %bb.4832:                             ;   in Loop: Header=BB6_4483 Depth=3
	v_bfrev_b32_e32 v6, 1
	s_mov_b32 s14, exec_lo
	v_cmpx_ne_u16_e32 0xff80, v2
	s_cbranch_execz .LBB6_4840
; %bb.4833:                             ;   in Loop: Header=BB6_4483 Depth=3
	v_and_b32_e32 v6, 0x7c, v2
	v_and_b32_e32 v3, 3, v2
	s_delay_alu instid0(VALU_DEP_2) | instskip(SKIP_1) | instid1(SALU_CYCLE_1)
	v_cmp_ne_u32_e32 vcc_lo, 0x7c, v6
                                        ; implicit-def: $vgpr6
	s_and_saveexec_b32 s15, vcc_lo
	s_xor_b32 s15, exec_lo, s15
	s_cbranch_execz .LBB6_4837
; %bb.4834:                             ;   in Loop: Header=BB6_4483 Depth=3
	v_and_b32_e32 v6, 0xff, v2
	s_mov_b32 s75, exec_lo
	s_delay_alu instid0(VALU_DEP_1) | instskip(NEXT) | instid1(VALU_DEP_1)
	v_bfe_u32 v6, v6, 2, 5
	v_cmpx_eq_u32_e32 0, v6
	s_cbranch_execz .LBB6_4836
; %bb.4835:                             ;   in Loop: Header=BB6_4483 Depth=3
	v_clz_i32_u32_e32 v3, v3
	s_delay_alu instid0(VALU_DEP_1) | instskip(SKIP_1) | instid1(VALU_DEP_2)
	v_min_u32_e32 v6, 32, v3
	v_mov_b32_e32 v3, v113
	v_subrev_nc_u32_e32 v7, 29, v6
	v_sub_nc_u32_e32 v6, 30, v6
	s_delay_alu instid0(VALU_DEP_2) | instskip(NEXT) | instid1(VALU_DEP_1)
	v_lshlrev_b64_e32 v[24:25], v7, v[2:3]
	v_and_b32_e32 v3, 3, v24
.LBB6_4836:                             ;   in Loop: Header=BB6_4483 Depth=3
	s_or_b32 exec_lo, exec_lo, s75
	v_bfe_i32 v2, v2, 0, 16
	s_delay_alu instid0(VALU_DEP_1) | instskip(NEXT) | instid1(VALU_DEP_1)
	v_and_b32_e32 v2, 0x80000000, v2
	v_lshl_add_u32 v2, v6, 23, v2
	s_delay_alu instid0(VALU_DEP_1) | instskip(NEXT) | instid1(VALU_DEP_1)
	v_lshl_or_b32 v2, v3, 21, v2
                                        ; implicit-def: $vgpr3
	v_add_nc_u32_e32 v6, 0x38000000, v2
                                        ; implicit-def: $vgpr2
.LBB6_4837:                             ;   in Loop: Header=BB6_4483 Depth=3
	s_and_not1_saveexec_b32 s15, s15
; %bb.4838:                             ;   in Loop: Header=BB6_4483 Depth=3
	v_cmp_lt_i16_e32 vcc_lo, -1, v2
	v_mov_b32_e32 v2, 0x7f800000
	s_delay_alu instid0(VALU_DEP_1) | instskip(SKIP_1) | instid1(VALU_DEP_2)
	v_cndmask_b32_e32 v2, 0xff800000, v2, vcc_lo
	v_cmp_eq_u32_e32 vcc_lo, 0, v3
	v_cndmask_b32_e32 v6, 0x7f800001, v2, vcc_lo
; %bb.4839:                             ;   in Loop: Header=BB6_4483 Depth=3
	s_or_b32 exec_lo, exec_lo, s15
.LBB6_4840:                             ;   in Loop: Header=BB6_4483 Depth=3
	s_delay_alu instid0(SALU_CYCLE_1)
	s_or_b32 exec_lo, exec_lo, s14
.LBB6_4841:                             ;   in Loop: Header=BB6_4483 Depth=3
	s_delay_alu instid0(SALU_CYCLE_1) | instskip(NEXT) | instid1(VALU_DEP_1)
	s_or_b32 exec_lo, exec_lo, s13
	v_dual_mul_f32 v6, s74, v6 :: v_dual_mov_b32 v3, v113
                                        ; implicit-def: $vgpr24
	s_delay_alu instid0(VALU_DEP_1) | instskip(NEXT) | instid1(VALU_DEP_1)
	v_and_b32_e32 v2, 0x7f800000, v6
	v_cmp_ne_u64_e32 vcc_lo, 0x7f800000, v[2:3]
	v_and_b32_e32 v2, 0x7fffff, v6
	s_and_saveexec_b32 s13, vcc_lo
	s_delay_alu instid0(SALU_CYCLE_1)
	s_xor_b32 s14, exec_lo, s13
	s_cbranch_execz .LBB6_4859
; %bb.4842:                             ;   in Loop: Header=BB6_4483 Depth=3
	v_and_b32_e32 v24, 0x7fffffff, v6
	v_dual_mov_b32 v25, v113 :: v_dual_lshrrev_b32 v7, 24, v6
	s_delay_alu instid0(VALU_DEP_1) | instskip(NEXT) | instid1(VALU_DEP_2)
	v_cmp_gt_u64_e32 vcc_lo, 0x47600001, v[24:25]
	v_and_b32_e32 v25, 0x80, v7
                                        ; implicit-def: $vgpr24
	s_and_saveexec_b32 s13, vcc_lo
	s_delay_alu instid0(SALU_CYCLE_1)
	s_xor_b32 s15, exec_lo, s13
	s_cbranch_execz .LBB6_4856
; %bb.4843:                             ;   in Loop: Header=BB6_4483 Depth=3
	v_mov_b32_e32 v24, 0
	s_mov_b32 s75, exec_lo
	v_cmpx_ne_u32_e32 0, v6
	s_cbranch_execz .LBB6_4855
; %bb.4844:                             ;   in Loop: Header=BB6_4483 Depth=3
	v_bfe_u32 v24, v6, 23, 8
	v_or_b32_e32 v27, 0x800000, v2
	s_delay_alu instid0(VALU_DEP_2) | instskip(SKIP_1) | instid1(VALU_DEP_2)
	v_sub_nc_u32_e32 v6, 0x71, v24
	v_cmp_gt_u32_e32 vcc_lo, 0x72, v24
	v_cndmask_b32_e32 v6, 0, v6, vcc_lo
	v_cmp_eq_u32_e32 vcc_lo, 0, v24
	s_delay_alu instid0(VALU_DEP_2) | instskip(SKIP_1) | instid1(VALU_DEP_2)
	v_cndmask_b32_e64 v26, v6, 0x70, vcc_lo
	v_cndmask_b32_e32 v2, v27, v2, vcc_lo
	v_dual_add_nc_u32 v6, 21, v26 :: v_dual_add_nc_u32 v28, 20, v26
	s_delay_alu instid0(VALU_DEP_1) | instskip(NEXT) | instid1(VALU_DEP_2)
	v_lshlrev_b64_e64 v[6:7], v6, -1
	v_lshlrev_b64_e64 v[28:29], v28, 1
	s_delay_alu instid0(VALU_DEP_2) | instskip(SKIP_1) | instid1(VALU_DEP_4)
	v_bfi_b32 v6, v6, 0, v2
	v_lshrrev_b64 v[2:3], v26, v[2:3]
	v_bfi_b32 v7, v7, 0, 0
	s_delay_alu instid0(VALU_DEP_1) | instskip(NEXT) | instid1(VALU_DEP_3)
	v_cmp_eq_u64_e64 s13, v[6:7], v[28:29]
	v_mov_b64_e32 v[6:7], v[2:3]
	s_and_saveexec_b32 s76, s13
; %bb.4845:                             ;   in Loop: Header=BB6_4483 Depth=3
	v_bfe_u32 v6, v2, 21, 1
	v_mov_b32_e32 v7, v113
	s_delay_alu instid0(VALU_DEP_1) | instskip(NEXT) | instid1(VALU_DEP_1)
	v_add_nc_u64_e32 v[6:7], v[2:3], v[6:7]
	v_add_nc_u64_e32 v[6:7], -1, v[6:7]
; %bb.4846:                             ;   in Loop: Header=BB6_4483 Depth=3
	s_or_b32 exec_lo, exec_lo, s76
	v_add_nc_u32_e32 v3, 0xffffff81, v24
	v_lshrrev_b32_e32 v7, 23, v2
	s_mov_b32 s13, exec_lo
	s_delay_alu instid0(VALU_DEP_2) | instskip(NEXT) | instid1(VALU_DEP_1)
	v_cndmask_b32_e64 v3, v3, 0xffffff82, vcc_lo
	v_add3_u32 v7, v26, v3, v7
	v_and_b32_e32 v3, 0x1fffff, v6
                                        ; implicit-def: $vgpr6
	s_delay_alu instid0(VALU_DEP_1) | instskip(SKIP_1) | instid1(VALU_DEP_2)
	v_dual_add_nc_u32 v24, 14, v7 :: v_dual_add_nc_u32 v2, v3, v2
	v_mov_b32_e32 v3, v113
	v_cmpx_ne_u32_e32 0, v24
	s_xor_b32 s13, exec_lo, s13
; %bb.4847:                             ;   in Loop: Header=BB6_4483 Depth=3
	s_delay_alu instid0(VALU_DEP_2) | instskip(SKIP_2) | instid1(VALU_DEP_2)
	v_cmp_lt_u64_e32 vcc_lo, 0xffffff, v[2:3]
	v_add_nc_u32_e32 v6, 15, v7
	v_cndmask_b32_e64 v7, 0, 1, vcc_lo
	v_cndmask_b32_e32 v6, v24, v6, vcc_lo
	s_delay_alu instid0(VALU_DEP_2)
	v_lshrrev_b64 v[2:3], v7, v[2:3]
; %bb.4848:                             ;   in Loop: Header=BB6_4483 Depth=3
	s_and_not1_saveexec_b32 s13, s13
; %bb.4849:                             ;   in Loop: Header=BB6_4483 Depth=3
	s_delay_alu instid0(VALU_DEP_1)
	v_bfe_u32 v6, v2, 23, 1
; %bb.4850:                             ;   in Loop: Header=BB6_4483 Depth=3
	s_or_b32 exec_lo, exec_lo, s13
	s_delay_alu instid0(VALU_DEP_2) | instskip(NEXT) | instid1(VALU_DEP_2)
	v_lshrrev_b64 v[2:3], 21, v[2:3]
	v_cmp_gt_i32_e32 vcc_lo, 32, v6
	v_cmp_ne_u32_e64 s13, 0, v6
                                        ; implicit-def: $vgpr24
	s_delay_alu instid0(VALU_DEP_3) | instskip(NEXT) | instid1(VALU_DEP_1)
	v_dual_cndmask_b32 v3, 0, v3 :: v_dual_cndmask_b32 v2, 3, v2
	v_cmp_ne_u64_e32 vcc_lo, 0, v[2:3]
	s_or_b32 s13, s13, vcc_lo
	s_delay_alu instid0(SALU_CYCLE_1) | instskip(NEXT) | instid1(SALU_CYCLE_1)
	s_and_saveexec_b32 s76, s13
	s_xor_b32 s13, exec_lo, s76
; %bb.4851:                             ;   in Loop: Header=BB6_4483 Depth=3
	v_min_i32_e32 v3, 31, v6
	s_delay_alu instid0(VALU_DEP_1) | instskip(NEXT) | instid1(VALU_DEP_1)
	v_lshl_or_b32 v3, v3, 2, v25
                                        ; implicit-def: $vgpr25
	v_and_or_b32 v24, v2, 3, v3
; %bb.4852:                             ;   in Loop: Header=BB6_4483 Depth=3
	s_and_not1_saveexec_b32 s13, s13
; %bb.4853:                             ;   in Loop: Header=BB6_4483 Depth=3
	v_mov_b32_e32 v24, v25
; %bb.4854:                             ;   in Loop: Header=BB6_4483 Depth=3
	s_or_b32 exec_lo, exec_lo, s13
.LBB6_4855:                             ;   in Loop: Header=BB6_4483 Depth=3
	s_delay_alu instid0(SALU_CYCLE_1)
	s_or_b32 exec_lo, exec_lo, s75
                                        ; implicit-def: $vgpr25
.LBB6_4856:                             ;   in Loop: Header=BB6_4483 Depth=3
	s_and_not1_saveexec_b32 s13, s15
; %bb.4857:                             ;   in Loop: Header=BB6_4483 Depth=3
	v_or_b32_e32 v24, 0x7b, v25
; %bb.4858:                             ;   in Loop: Header=BB6_4483 Depth=3
	s_or_b32 exec_lo, exec_lo, s13
                                        ; implicit-def: $vgpr6
                                        ; implicit-def: $vgpr2_vgpr3
.LBB6_4859:                             ;   in Loop: Header=BB6_4483 Depth=3
	s_and_not1_saveexec_b32 s13, s14
	s_cbranch_execz .LBB6_4865
; %bb.4860:                             ;   in Loop: Header=BB6_4483 Depth=3
	s_mov_b32 s14, exec_lo
                                        ; implicit-def: $vgpr24
	v_cmpx_ne_u64_e32 0, v[2:3]
	s_xor_b32 s14, exec_lo, s14
; %bb.4861:                             ;   in Loop: Header=BB6_4483 Depth=3
	v_lshrrev_b32_e32 v2, 24, v6
                                        ; implicit-def: $vgpr6
	s_delay_alu instid0(VALU_DEP_1)
	v_or_b32_e32 v24, 0x7f, v2
; %bb.4862:                             ;   in Loop: Header=BB6_4483 Depth=3
	s_and_not1_saveexec_b32 s14, s14
; %bb.4863:                             ;   in Loop: Header=BB6_4483 Depth=3
	v_cmp_lt_i32_e32 vcc_lo, -1, v6
	v_cndmask_b32_e64 v24, -4, 0x7c, vcc_lo
; %bb.4864:                             ;   in Loop: Header=BB6_4483 Depth=3
	s_or_b32 exec_lo, exec_lo, s14
.LBB6_4865:                             ;   in Loop: Header=BB6_4483 Depth=3
	s_delay_alu instid0(SALU_CYCLE_1)
	s_or_b32 exec_lo, exec_lo, s13
	flat_load_i8 v2, v[0:1] offset:352 th:TH_LOAD_NT
	v_mov_b32_e32 v6, 0
	s_mov_b32 s13, exec_lo
	s_wait_loadcnt_dscnt 0x0
	s_wait_xcnt 0x0
	v_cmpx_ne_u16_e32 0, v2
	s_cbranch_execz .LBB6_4875
; %bb.4866:                             ;   in Loop: Header=BB6_4483 Depth=3
	v_bfrev_b32_e32 v6, 1
	s_mov_b32 s14, exec_lo
	v_cmpx_ne_u16_e32 0xff80, v2
	s_cbranch_execz .LBB6_4874
; %bb.4867:                             ;   in Loop: Header=BB6_4483 Depth=3
	v_and_b32_e32 v6, 0x7c, v2
	v_and_b32_e32 v3, 3, v2
	s_delay_alu instid0(VALU_DEP_2) | instskip(SKIP_1) | instid1(SALU_CYCLE_1)
	v_cmp_ne_u32_e32 vcc_lo, 0x7c, v6
                                        ; implicit-def: $vgpr6
	s_and_saveexec_b32 s15, vcc_lo
	s_xor_b32 s15, exec_lo, s15
	s_cbranch_execz .LBB6_4871
; %bb.4868:                             ;   in Loop: Header=BB6_4483 Depth=3
	v_and_b32_e32 v6, 0xff, v2
	s_mov_b32 s75, exec_lo
	s_delay_alu instid0(VALU_DEP_1) | instskip(NEXT) | instid1(VALU_DEP_1)
	v_bfe_u32 v6, v6, 2, 5
	v_cmpx_eq_u32_e32 0, v6
	s_cbranch_execz .LBB6_4870
; %bb.4869:                             ;   in Loop: Header=BB6_4483 Depth=3
	v_clz_i32_u32_e32 v3, v3
	s_delay_alu instid0(VALU_DEP_1) | instskip(SKIP_1) | instid1(VALU_DEP_2)
	v_min_u32_e32 v6, 32, v3
	v_mov_b32_e32 v3, v113
	v_subrev_nc_u32_e32 v7, 29, v6
	v_sub_nc_u32_e32 v6, 30, v6
	s_delay_alu instid0(VALU_DEP_2) | instskip(NEXT) | instid1(VALU_DEP_1)
	v_lshlrev_b64_e32 v[26:27], v7, v[2:3]
	v_and_b32_e32 v3, 3, v26
.LBB6_4870:                             ;   in Loop: Header=BB6_4483 Depth=3
	s_or_b32 exec_lo, exec_lo, s75
	v_bfe_i32 v2, v2, 0, 16
	s_delay_alu instid0(VALU_DEP_1) | instskip(NEXT) | instid1(VALU_DEP_1)
	v_and_b32_e32 v2, 0x80000000, v2
	v_lshl_add_u32 v2, v6, 23, v2
	s_delay_alu instid0(VALU_DEP_1) | instskip(NEXT) | instid1(VALU_DEP_1)
	v_lshl_or_b32 v2, v3, 21, v2
                                        ; implicit-def: $vgpr3
	v_add_nc_u32_e32 v6, 0x38000000, v2
                                        ; implicit-def: $vgpr2
.LBB6_4871:                             ;   in Loop: Header=BB6_4483 Depth=3
	s_and_not1_saveexec_b32 s15, s15
; %bb.4872:                             ;   in Loop: Header=BB6_4483 Depth=3
	v_cmp_lt_i16_e32 vcc_lo, -1, v2
	v_mov_b32_e32 v2, 0x7f800000
	s_delay_alu instid0(VALU_DEP_1) | instskip(SKIP_1) | instid1(VALU_DEP_2)
	v_cndmask_b32_e32 v2, 0xff800000, v2, vcc_lo
	v_cmp_eq_u32_e32 vcc_lo, 0, v3
	v_cndmask_b32_e32 v6, 0x7f800001, v2, vcc_lo
; %bb.4873:                             ;   in Loop: Header=BB6_4483 Depth=3
	s_or_b32 exec_lo, exec_lo, s15
.LBB6_4874:                             ;   in Loop: Header=BB6_4483 Depth=3
	s_delay_alu instid0(SALU_CYCLE_1)
	s_or_b32 exec_lo, exec_lo, s14
.LBB6_4875:                             ;   in Loop: Header=BB6_4483 Depth=3
	s_delay_alu instid0(SALU_CYCLE_1) | instskip(NEXT) | instid1(VALU_DEP_1)
	s_or_b32 exec_lo, exec_lo, s13
	v_dual_mul_f32 v6, s74, v6 :: v_dual_mov_b32 v3, v113
                                        ; implicit-def: $vgpr25
	s_delay_alu instid0(VALU_DEP_1) | instskip(NEXT) | instid1(VALU_DEP_1)
	v_and_b32_e32 v2, 0x7f800000, v6
	v_cmp_ne_u64_e32 vcc_lo, 0x7f800000, v[2:3]
	v_and_b32_e32 v2, 0x7fffff, v6
	s_and_saveexec_b32 s13, vcc_lo
	s_delay_alu instid0(SALU_CYCLE_1)
	s_xor_b32 s14, exec_lo, s13
	s_cbranch_execz .LBB6_4893
; %bb.4876:                             ;   in Loop: Header=BB6_4483 Depth=3
	v_and_b32_e32 v26, 0x7fffffff, v6
	v_dual_mov_b32 v27, v113 :: v_dual_lshrrev_b32 v7, 24, v6
                                        ; implicit-def: $vgpr25
	s_delay_alu instid0(VALU_DEP_1) | instskip(NEXT) | instid1(VALU_DEP_2)
	v_cmp_gt_u64_e32 vcc_lo, 0x47600001, v[26:27]
	v_and_b32_e32 v26, 0x80, v7
	s_and_saveexec_b32 s13, vcc_lo
	s_delay_alu instid0(SALU_CYCLE_1)
	s_xor_b32 s15, exec_lo, s13
	s_cbranch_execz .LBB6_4890
; %bb.4877:                             ;   in Loop: Header=BB6_4483 Depth=3
	v_mov_b32_e32 v25, 0
	s_mov_b32 s75, exec_lo
	v_cmpx_ne_u32_e32 0, v6
	s_cbranch_execz .LBB6_4889
; %bb.4878:                             ;   in Loop: Header=BB6_4483 Depth=3
	v_bfe_u32 v25, v6, 23, 8
	v_or_b32_e32 v28, 0x800000, v2
	s_delay_alu instid0(VALU_DEP_2) | instskip(SKIP_1) | instid1(VALU_DEP_2)
	v_sub_nc_u32_e32 v6, 0x71, v25
	v_cmp_gt_u32_e32 vcc_lo, 0x72, v25
	v_cndmask_b32_e32 v6, 0, v6, vcc_lo
	v_cmp_eq_u32_e32 vcc_lo, 0, v25
	s_delay_alu instid0(VALU_DEP_2) | instskip(NEXT) | instid1(VALU_DEP_1)
	v_cndmask_b32_e64 v27, v6, 0x70, vcc_lo
	v_dual_cndmask_b32 v2, v28, v2, vcc_lo :: v_dual_add_nc_u32 v6, 21, v27
	v_add_nc_u32_e32 v29, 20, v27
	s_delay_alu instid0(VALU_DEP_2) | instskip(NEXT) | instid1(VALU_DEP_2)
	v_lshlrev_b64_e64 v[6:7], v6, -1
	v_lshlrev_b64_e64 v[28:29], v29, 1
	s_delay_alu instid0(VALU_DEP_2) | instskip(SKIP_1) | instid1(VALU_DEP_4)
	v_bfi_b32 v6, v6, 0, v2
	v_lshrrev_b64 v[2:3], v27, v[2:3]
	v_bfi_b32 v7, v7, 0, 0
	s_delay_alu instid0(VALU_DEP_1) | instskip(NEXT) | instid1(VALU_DEP_3)
	v_cmp_eq_u64_e64 s13, v[6:7], v[28:29]
	v_mov_b64_e32 v[6:7], v[2:3]
	s_and_saveexec_b32 s76, s13
; %bb.4879:                             ;   in Loop: Header=BB6_4483 Depth=3
	v_bfe_u32 v6, v2, 21, 1
	v_mov_b32_e32 v7, v113
	s_delay_alu instid0(VALU_DEP_1) | instskip(NEXT) | instid1(VALU_DEP_1)
	v_add_nc_u64_e32 v[6:7], v[2:3], v[6:7]
	v_add_nc_u64_e32 v[6:7], -1, v[6:7]
; %bb.4880:                             ;   in Loop: Header=BB6_4483 Depth=3
	s_or_b32 exec_lo, exec_lo, s76
	v_add_nc_u32_e32 v3, 0xffffff81, v25
	v_lshrrev_b32_e32 v7, 23, v2
	s_mov_b32 s13, exec_lo
	s_delay_alu instid0(VALU_DEP_2) | instskip(NEXT) | instid1(VALU_DEP_1)
	v_cndmask_b32_e64 v3, v3, 0xffffff82, vcc_lo
	v_add3_u32 v7, v27, v3, v7
	v_and_b32_e32 v3, 0x1fffff, v6
                                        ; implicit-def: $vgpr6
	s_delay_alu instid0(VALU_DEP_1) | instskip(SKIP_1) | instid1(VALU_DEP_2)
	v_dual_add_nc_u32 v25, 14, v7 :: v_dual_add_nc_u32 v2, v3, v2
	v_mov_b32_e32 v3, v113
	v_cmpx_ne_u32_e32 0, v25
	s_xor_b32 s13, exec_lo, s13
; %bb.4881:                             ;   in Loop: Header=BB6_4483 Depth=3
	s_delay_alu instid0(VALU_DEP_2) | instskip(SKIP_2) | instid1(VALU_DEP_2)
	v_cmp_lt_u64_e32 vcc_lo, 0xffffff, v[2:3]
	v_add_nc_u32_e32 v6, 15, v7
	v_cndmask_b32_e64 v7, 0, 1, vcc_lo
	v_cndmask_b32_e32 v6, v25, v6, vcc_lo
	s_delay_alu instid0(VALU_DEP_2)
	v_lshrrev_b64 v[2:3], v7, v[2:3]
; %bb.4882:                             ;   in Loop: Header=BB6_4483 Depth=3
	s_and_not1_saveexec_b32 s13, s13
; %bb.4883:                             ;   in Loop: Header=BB6_4483 Depth=3
	s_delay_alu instid0(VALU_DEP_1)
	v_bfe_u32 v6, v2, 23, 1
; %bb.4884:                             ;   in Loop: Header=BB6_4483 Depth=3
	s_or_b32 exec_lo, exec_lo, s13
	s_delay_alu instid0(VALU_DEP_2) | instskip(NEXT) | instid1(VALU_DEP_2)
	v_lshrrev_b64 v[2:3], 21, v[2:3]
	v_cmp_gt_i32_e32 vcc_lo, 32, v6
	v_cmp_ne_u32_e64 s13, 0, v6
                                        ; implicit-def: $vgpr25
	s_delay_alu instid0(VALU_DEP_3) | instskip(NEXT) | instid1(VALU_DEP_1)
	v_dual_cndmask_b32 v3, 0, v3 :: v_dual_cndmask_b32 v2, 3, v2
	v_cmp_ne_u64_e32 vcc_lo, 0, v[2:3]
	s_or_b32 s13, s13, vcc_lo
	s_delay_alu instid0(SALU_CYCLE_1) | instskip(NEXT) | instid1(SALU_CYCLE_1)
	s_and_saveexec_b32 s76, s13
	s_xor_b32 s13, exec_lo, s76
; %bb.4885:                             ;   in Loop: Header=BB6_4483 Depth=3
	v_min_i32_e32 v3, 31, v6
	s_delay_alu instid0(VALU_DEP_1) | instskip(NEXT) | instid1(VALU_DEP_1)
	v_lshl_or_b32 v3, v3, 2, v26
                                        ; implicit-def: $vgpr26
	v_and_or_b32 v25, v2, 3, v3
; %bb.4886:                             ;   in Loop: Header=BB6_4483 Depth=3
	s_and_not1_saveexec_b32 s13, s13
; %bb.4887:                             ;   in Loop: Header=BB6_4483 Depth=3
	v_mov_b32_e32 v25, v26
; %bb.4888:                             ;   in Loop: Header=BB6_4483 Depth=3
	s_or_b32 exec_lo, exec_lo, s13
.LBB6_4889:                             ;   in Loop: Header=BB6_4483 Depth=3
	s_delay_alu instid0(SALU_CYCLE_1)
	s_or_b32 exec_lo, exec_lo, s75
                                        ; implicit-def: $vgpr26
.LBB6_4890:                             ;   in Loop: Header=BB6_4483 Depth=3
	s_and_not1_saveexec_b32 s13, s15
; %bb.4891:                             ;   in Loop: Header=BB6_4483 Depth=3
	v_or_b32_e32 v25, 0x7b, v26
; %bb.4892:                             ;   in Loop: Header=BB6_4483 Depth=3
	s_or_b32 exec_lo, exec_lo, s13
                                        ; implicit-def: $vgpr6
                                        ; implicit-def: $vgpr2_vgpr3
.LBB6_4893:                             ;   in Loop: Header=BB6_4483 Depth=3
	s_and_not1_saveexec_b32 s13, s14
	s_cbranch_execz .LBB6_4899
; %bb.4894:                             ;   in Loop: Header=BB6_4483 Depth=3
	s_mov_b32 s14, exec_lo
                                        ; implicit-def: $vgpr25
	v_cmpx_ne_u64_e32 0, v[2:3]
	s_xor_b32 s14, exec_lo, s14
; %bb.4895:                             ;   in Loop: Header=BB6_4483 Depth=3
	v_lshrrev_b32_e32 v2, 24, v6
                                        ; implicit-def: $vgpr6
	s_delay_alu instid0(VALU_DEP_1)
	v_or_b32_e32 v25, 0x7f, v2
; %bb.4896:                             ;   in Loop: Header=BB6_4483 Depth=3
	s_and_not1_saveexec_b32 s14, s14
; %bb.4897:                             ;   in Loop: Header=BB6_4483 Depth=3
	v_cmp_lt_i32_e32 vcc_lo, -1, v6
	v_cndmask_b32_e64 v25, -4, 0x7c, vcc_lo
; %bb.4898:                             ;   in Loop: Header=BB6_4483 Depth=3
	s_or_b32 exec_lo, exec_lo, s14
.LBB6_4899:                             ;   in Loop: Header=BB6_4483 Depth=3
	s_delay_alu instid0(SALU_CYCLE_1)
	s_or_b32 exec_lo, exec_lo, s13
	flat_load_i8 v2, v[0:1] offset:384 th:TH_LOAD_NT
	v_mov_b32_e32 v6, 0
	s_mov_b32 s13, exec_lo
	s_wait_loadcnt_dscnt 0x0
	s_wait_xcnt 0x0
	v_cmpx_ne_u16_e32 0, v2
	s_cbranch_execz .LBB6_4909
; %bb.4900:                             ;   in Loop: Header=BB6_4483 Depth=3
	v_bfrev_b32_e32 v6, 1
	s_mov_b32 s14, exec_lo
	v_cmpx_ne_u16_e32 0xff80, v2
	s_cbranch_execz .LBB6_4908
; %bb.4901:                             ;   in Loop: Header=BB6_4483 Depth=3
	v_and_b32_e32 v6, 0x7c, v2
	v_and_b32_e32 v3, 3, v2
	s_delay_alu instid0(VALU_DEP_2) | instskip(SKIP_1) | instid1(SALU_CYCLE_1)
	v_cmp_ne_u32_e32 vcc_lo, 0x7c, v6
                                        ; implicit-def: $vgpr6
	s_and_saveexec_b32 s15, vcc_lo
	s_xor_b32 s15, exec_lo, s15
	s_cbranch_execz .LBB6_4905
; %bb.4902:                             ;   in Loop: Header=BB6_4483 Depth=3
	v_and_b32_e32 v6, 0xff, v2
	s_mov_b32 s75, exec_lo
	s_delay_alu instid0(VALU_DEP_1) | instskip(NEXT) | instid1(VALU_DEP_1)
	v_bfe_u32 v6, v6, 2, 5
	v_cmpx_eq_u32_e32 0, v6
	s_cbranch_execz .LBB6_4904
; %bb.4903:                             ;   in Loop: Header=BB6_4483 Depth=3
	v_clz_i32_u32_e32 v3, v3
	s_delay_alu instid0(VALU_DEP_1) | instskip(SKIP_1) | instid1(VALU_DEP_2)
	v_min_u32_e32 v6, 32, v3
	v_mov_b32_e32 v3, v113
	v_subrev_nc_u32_e32 v7, 29, v6
	v_sub_nc_u32_e32 v6, 30, v6
	s_delay_alu instid0(VALU_DEP_2) | instskip(NEXT) | instid1(VALU_DEP_1)
	v_lshlrev_b64_e32 v[26:27], v7, v[2:3]
	v_and_b32_e32 v3, 3, v26
.LBB6_4904:                             ;   in Loop: Header=BB6_4483 Depth=3
	s_or_b32 exec_lo, exec_lo, s75
	v_bfe_i32 v2, v2, 0, 16
	s_delay_alu instid0(VALU_DEP_1) | instskip(NEXT) | instid1(VALU_DEP_1)
	v_and_b32_e32 v2, 0x80000000, v2
	v_lshl_add_u32 v2, v6, 23, v2
	s_delay_alu instid0(VALU_DEP_1) | instskip(NEXT) | instid1(VALU_DEP_1)
	v_lshl_or_b32 v2, v3, 21, v2
                                        ; implicit-def: $vgpr3
	v_add_nc_u32_e32 v6, 0x38000000, v2
                                        ; implicit-def: $vgpr2
.LBB6_4905:                             ;   in Loop: Header=BB6_4483 Depth=3
	s_and_not1_saveexec_b32 s15, s15
; %bb.4906:                             ;   in Loop: Header=BB6_4483 Depth=3
	v_cmp_lt_i16_e32 vcc_lo, -1, v2
	v_mov_b32_e32 v2, 0x7f800000
	s_delay_alu instid0(VALU_DEP_1) | instskip(SKIP_1) | instid1(VALU_DEP_2)
	v_cndmask_b32_e32 v2, 0xff800000, v2, vcc_lo
	v_cmp_eq_u32_e32 vcc_lo, 0, v3
	v_cndmask_b32_e32 v6, 0x7f800001, v2, vcc_lo
; %bb.4907:                             ;   in Loop: Header=BB6_4483 Depth=3
	s_or_b32 exec_lo, exec_lo, s15
.LBB6_4908:                             ;   in Loop: Header=BB6_4483 Depth=3
	s_delay_alu instid0(SALU_CYCLE_1)
	s_or_b32 exec_lo, exec_lo, s14
.LBB6_4909:                             ;   in Loop: Header=BB6_4483 Depth=3
	s_delay_alu instid0(SALU_CYCLE_1) | instskip(NEXT) | instid1(VALU_DEP_1)
	s_or_b32 exec_lo, exec_lo, s13
	v_dual_mul_f32 v6, s74, v6 :: v_dual_mov_b32 v3, v113
                                        ; implicit-def: $vgpr26
	s_delay_alu instid0(VALU_DEP_1) | instskip(NEXT) | instid1(VALU_DEP_1)
	v_and_b32_e32 v2, 0x7f800000, v6
	v_cmp_ne_u64_e32 vcc_lo, 0x7f800000, v[2:3]
	v_and_b32_e32 v2, 0x7fffff, v6
	s_and_saveexec_b32 s13, vcc_lo
	s_delay_alu instid0(SALU_CYCLE_1)
	s_xor_b32 s14, exec_lo, s13
	s_cbranch_execz .LBB6_4927
; %bb.4910:                             ;   in Loop: Header=BB6_4483 Depth=3
	v_and_b32_e32 v26, 0x7fffffff, v6
	v_dual_mov_b32 v27, v113 :: v_dual_lshrrev_b32 v7, 24, v6
	s_delay_alu instid0(VALU_DEP_1) | instskip(NEXT) | instid1(VALU_DEP_2)
	v_cmp_gt_u64_e32 vcc_lo, 0x47600001, v[26:27]
	v_and_b32_e32 v27, 0x80, v7
                                        ; implicit-def: $vgpr26
	s_and_saveexec_b32 s13, vcc_lo
	s_delay_alu instid0(SALU_CYCLE_1)
	s_xor_b32 s15, exec_lo, s13
	s_cbranch_execz .LBB6_4924
; %bb.4911:                             ;   in Loop: Header=BB6_4483 Depth=3
	v_mov_b32_e32 v26, 0
	s_mov_b32 s75, exec_lo
	v_cmpx_ne_u32_e32 0, v6
	s_cbranch_execz .LBB6_4923
; %bb.4912:                             ;   in Loop: Header=BB6_4483 Depth=3
	v_bfe_u32 v26, v6, 23, 8
	v_or_b32_e32 v29, 0x800000, v2
	s_delay_alu instid0(VALU_DEP_2) | instskip(SKIP_1) | instid1(VALU_DEP_2)
	v_sub_nc_u32_e32 v6, 0x71, v26
	v_cmp_gt_u32_e32 vcc_lo, 0x72, v26
	v_cndmask_b32_e32 v6, 0, v6, vcc_lo
	v_cmp_eq_u32_e32 vcc_lo, 0, v26
	s_delay_alu instid0(VALU_DEP_2) | instskip(NEXT) | instid1(VALU_DEP_1)
	v_cndmask_b32_e64 v28, v6, 0x70, vcc_lo
	v_dual_cndmask_b32 v2, v29, v2, vcc_lo :: v_dual_add_nc_u32 v6, 21, v28
	v_add_nc_u32_e32 v30, 20, v28
	s_delay_alu instid0(VALU_DEP_2) | instskip(NEXT) | instid1(VALU_DEP_2)
	v_lshlrev_b64_e64 v[6:7], v6, -1
	v_lshlrev_b64_e64 v[30:31], v30, 1
	s_delay_alu instid0(VALU_DEP_2) | instskip(SKIP_1) | instid1(VALU_DEP_4)
	v_bfi_b32 v6, v6, 0, v2
	v_lshrrev_b64 v[2:3], v28, v[2:3]
	v_bfi_b32 v7, v7, 0, 0
	s_delay_alu instid0(VALU_DEP_1) | instskip(NEXT) | instid1(VALU_DEP_3)
	v_cmp_eq_u64_e64 s13, v[6:7], v[30:31]
	v_mov_b64_e32 v[6:7], v[2:3]
	s_and_saveexec_b32 s76, s13
; %bb.4913:                             ;   in Loop: Header=BB6_4483 Depth=3
	v_bfe_u32 v6, v2, 21, 1
	v_mov_b32_e32 v7, v113
	s_delay_alu instid0(VALU_DEP_1) | instskip(NEXT) | instid1(VALU_DEP_1)
	v_add_nc_u64_e32 v[6:7], v[2:3], v[6:7]
	v_add_nc_u64_e32 v[6:7], -1, v[6:7]
; %bb.4914:                             ;   in Loop: Header=BB6_4483 Depth=3
	s_or_b32 exec_lo, exec_lo, s76
	v_add_nc_u32_e32 v3, 0xffffff81, v26
	v_lshrrev_b32_e32 v7, 23, v2
	s_mov_b32 s13, exec_lo
	s_delay_alu instid0(VALU_DEP_2) | instskip(NEXT) | instid1(VALU_DEP_1)
	v_cndmask_b32_e64 v3, v3, 0xffffff82, vcc_lo
	v_add3_u32 v7, v28, v3, v7
	v_and_b32_e32 v3, 0x1fffff, v6
                                        ; implicit-def: $vgpr6
	s_delay_alu instid0(VALU_DEP_1) | instskip(SKIP_1) | instid1(VALU_DEP_2)
	v_dual_add_nc_u32 v26, 14, v7 :: v_dual_add_nc_u32 v2, v3, v2
	v_mov_b32_e32 v3, v113
	v_cmpx_ne_u32_e32 0, v26
	s_xor_b32 s13, exec_lo, s13
; %bb.4915:                             ;   in Loop: Header=BB6_4483 Depth=3
	s_delay_alu instid0(VALU_DEP_2) | instskip(SKIP_2) | instid1(VALU_DEP_2)
	v_cmp_lt_u64_e32 vcc_lo, 0xffffff, v[2:3]
	v_add_nc_u32_e32 v6, 15, v7
	v_cndmask_b32_e64 v7, 0, 1, vcc_lo
	v_cndmask_b32_e32 v6, v26, v6, vcc_lo
	s_delay_alu instid0(VALU_DEP_2)
	v_lshrrev_b64 v[2:3], v7, v[2:3]
; %bb.4916:                             ;   in Loop: Header=BB6_4483 Depth=3
	s_and_not1_saveexec_b32 s13, s13
; %bb.4917:                             ;   in Loop: Header=BB6_4483 Depth=3
	s_delay_alu instid0(VALU_DEP_1)
	v_bfe_u32 v6, v2, 23, 1
; %bb.4918:                             ;   in Loop: Header=BB6_4483 Depth=3
	s_or_b32 exec_lo, exec_lo, s13
	s_delay_alu instid0(VALU_DEP_2) | instskip(NEXT) | instid1(VALU_DEP_2)
	v_lshrrev_b64 v[2:3], 21, v[2:3]
	v_cmp_gt_i32_e32 vcc_lo, 32, v6
	v_cmp_ne_u32_e64 s13, 0, v6
                                        ; implicit-def: $vgpr26
	s_delay_alu instid0(VALU_DEP_3) | instskip(NEXT) | instid1(VALU_DEP_1)
	v_dual_cndmask_b32 v3, 0, v3 :: v_dual_cndmask_b32 v2, 3, v2
	v_cmp_ne_u64_e32 vcc_lo, 0, v[2:3]
	s_or_b32 s13, s13, vcc_lo
	s_delay_alu instid0(SALU_CYCLE_1) | instskip(NEXT) | instid1(SALU_CYCLE_1)
	s_and_saveexec_b32 s76, s13
	s_xor_b32 s13, exec_lo, s76
; %bb.4919:                             ;   in Loop: Header=BB6_4483 Depth=3
	v_min_i32_e32 v3, 31, v6
	s_delay_alu instid0(VALU_DEP_1) | instskip(NEXT) | instid1(VALU_DEP_1)
	v_lshl_or_b32 v3, v3, 2, v27
                                        ; implicit-def: $vgpr27
	v_and_or_b32 v26, v2, 3, v3
; %bb.4920:                             ;   in Loop: Header=BB6_4483 Depth=3
	s_and_not1_saveexec_b32 s13, s13
; %bb.4921:                             ;   in Loop: Header=BB6_4483 Depth=3
	v_mov_b32_e32 v26, v27
; %bb.4922:                             ;   in Loop: Header=BB6_4483 Depth=3
	s_or_b32 exec_lo, exec_lo, s13
.LBB6_4923:                             ;   in Loop: Header=BB6_4483 Depth=3
	s_delay_alu instid0(SALU_CYCLE_1)
	s_or_b32 exec_lo, exec_lo, s75
                                        ; implicit-def: $vgpr27
.LBB6_4924:                             ;   in Loop: Header=BB6_4483 Depth=3
	s_and_not1_saveexec_b32 s13, s15
; %bb.4925:                             ;   in Loop: Header=BB6_4483 Depth=3
	v_or_b32_e32 v26, 0x7b, v27
; %bb.4926:                             ;   in Loop: Header=BB6_4483 Depth=3
	s_or_b32 exec_lo, exec_lo, s13
                                        ; implicit-def: $vgpr6
                                        ; implicit-def: $vgpr2_vgpr3
.LBB6_4927:                             ;   in Loop: Header=BB6_4483 Depth=3
	s_and_not1_saveexec_b32 s13, s14
	s_cbranch_execz .LBB6_4933
; %bb.4928:                             ;   in Loop: Header=BB6_4483 Depth=3
	s_mov_b32 s14, exec_lo
                                        ; implicit-def: $vgpr26
	v_cmpx_ne_u64_e32 0, v[2:3]
	s_xor_b32 s14, exec_lo, s14
; %bb.4929:                             ;   in Loop: Header=BB6_4483 Depth=3
	v_lshrrev_b32_e32 v2, 24, v6
                                        ; implicit-def: $vgpr6
	s_delay_alu instid0(VALU_DEP_1)
	v_or_b32_e32 v26, 0x7f, v2
; %bb.4930:                             ;   in Loop: Header=BB6_4483 Depth=3
	s_and_not1_saveexec_b32 s14, s14
; %bb.4931:                             ;   in Loop: Header=BB6_4483 Depth=3
	v_cmp_lt_i32_e32 vcc_lo, -1, v6
	v_cndmask_b32_e64 v26, -4, 0x7c, vcc_lo
; %bb.4932:                             ;   in Loop: Header=BB6_4483 Depth=3
	s_or_b32 exec_lo, exec_lo, s14
.LBB6_4933:                             ;   in Loop: Header=BB6_4483 Depth=3
	s_delay_alu instid0(SALU_CYCLE_1)
	s_or_b32 exec_lo, exec_lo, s13
	flat_load_i8 v2, v[0:1] offset:416 th:TH_LOAD_NT
	v_mov_b32_e32 v6, 0
	s_mov_b32 s13, exec_lo
	s_wait_loadcnt_dscnt 0x0
	s_wait_xcnt 0x0
	v_cmpx_ne_u16_e32 0, v2
	s_cbranch_execz .LBB6_4943
; %bb.4934:                             ;   in Loop: Header=BB6_4483 Depth=3
	v_bfrev_b32_e32 v6, 1
	s_mov_b32 s14, exec_lo
	v_cmpx_ne_u16_e32 0xff80, v2
	s_cbranch_execz .LBB6_4942
; %bb.4935:                             ;   in Loop: Header=BB6_4483 Depth=3
	v_and_b32_e32 v6, 0x7c, v2
	v_and_b32_e32 v3, 3, v2
	s_delay_alu instid0(VALU_DEP_2) | instskip(SKIP_1) | instid1(SALU_CYCLE_1)
	v_cmp_ne_u32_e32 vcc_lo, 0x7c, v6
                                        ; implicit-def: $vgpr6
	s_and_saveexec_b32 s15, vcc_lo
	s_xor_b32 s15, exec_lo, s15
	s_cbranch_execz .LBB6_4939
; %bb.4936:                             ;   in Loop: Header=BB6_4483 Depth=3
	v_and_b32_e32 v6, 0xff, v2
	s_mov_b32 s75, exec_lo
	s_delay_alu instid0(VALU_DEP_1) | instskip(NEXT) | instid1(VALU_DEP_1)
	v_bfe_u32 v6, v6, 2, 5
	v_cmpx_eq_u32_e32 0, v6
	s_cbranch_execz .LBB6_4938
; %bb.4937:                             ;   in Loop: Header=BB6_4483 Depth=3
	v_clz_i32_u32_e32 v3, v3
	s_delay_alu instid0(VALU_DEP_1) | instskip(SKIP_1) | instid1(VALU_DEP_2)
	v_min_u32_e32 v6, 32, v3
	v_mov_b32_e32 v3, v113
	v_subrev_nc_u32_e32 v7, 29, v6
	v_sub_nc_u32_e32 v6, 30, v6
	s_delay_alu instid0(VALU_DEP_2) | instskip(NEXT) | instid1(VALU_DEP_1)
	v_lshlrev_b64_e32 v[28:29], v7, v[2:3]
	v_and_b32_e32 v3, 3, v28
.LBB6_4938:                             ;   in Loop: Header=BB6_4483 Depth=3
	s_or_b32 exec_lo, exec_lo, s75
	v_bfe_i32 v2, v2, 0, 16
	s_delay_alu instid0(VALU_DEP_1) | instskip(NEXT) | instid1(VALU_DEP_1)
	v_and_b32_e32 v2, 0x80000000, v2
	v_lshl_add_u32 v2, v6, 23, v2
	s_delay_alu instid0(VALU_DEP_1) | instskip(NEXT) | instid1(VALU_DEP_1)
	v_lshl_or_b32 v2, v3, 21, v2
                                        ; implicit-def: $vgpr3
	v_add_nc_u32_e32 v6, 0x38000000, v2
                                        ; implicit-def: $vgpr2
.LBB6_4939:                             ;   in Loop: Header=BB6_4483 Depth=3
	s_and_not1_saveexec_b32 s15, s15
; %bb.4940:                             ;   in Loop: Header=BB6_4483 Depth=3
	v_cmp_lt_i16_e32 vcc_lo, -1, v2
	v_mov_b32_e32 v2, 0x7f800000
	s_delay_alu instid0(VALU_DEP_1) | instskip(SKIP_1) | instid1(VALU_DEP_2)
	v_cndmask_b32_e32 v2, 0xff800000, v2, vcc_lo
	v_cmp_eq_u32_e32 vcc_lo, 0, v3
	v_cndmask_b32_e32 v6, 0x7f800001, v2, vcc_lo
; %bb.4941:                             ;   in Loop: Header=BB6_4483 Depth=3
	s_or_b32 exec_lo, exec_lo, s15
.LBB6_4942:                             ;   in Loop: Header=BB6_4483 Depth=3
	s_delay_alu instid0(SALU_CYCLE_1)
	s_or_b32 exec_lo, exec_lo, s14
.LBB6_4943:                             ;   in Loop: Header=BB6_4483 Depth=3
	s_delay_alu instid0(SALU_CYCLE_1) | instskip(NEXT) | instid1(VALU_DEP_1)
	s_or_b32 exec_lo, exec_lo, s13
	v_dual_mul_f32 v6, s74, v6 :: v_dual_mov_b32 v3, v113
                                        ; implicit-def: $vgpr27
	s_delay_alu instid0(VALU_DEP_1) | instskip(NEXT) | instid1(VALU_DEP_1)
	v_and_b32_e32 v2, 0x7f800000, v6
	v_cmp_ne_u64_e32 vcc_lo, 0x7f800000, v[2:3]
	v_and_b32_e32 v2, 0x7fffff, v6
	s_and_saveexec_b32 s13, vcc_lo
	s_delay_alu instid0(SALU_CYCLE_1)
	s_xor_b32 s14, exec_lo, s13
	s_cbranch_execz .LBB6_4961
; %bb.4944:                             ;   in Loop: Header=BB6_4483 Depth=3
	v_and_b32_e32 v28, 0x7fffffff, v6
	v_dual_mov_b32 v29, v113 :: v_dual_lshrrev_b32 v7, 24, v6
                                        ; implicit-def: $vgpr27
	s_delay_alu instid0(VALU_DEP_1) | instskip(NEXT) | instid1(VALU_DEP_2)
	v_cmp_gt_u64_e32 vcc_lo, 0x47600001, v[28:29]
	v_and_b32_e32 v28, 0x80, v7
	s_and_saveexec_b32 s13, vcc_lo
	s_delay_alu instid0(SALU_CYCLE_1)
	s_xor_b32 s15, exec_lo, s13
	s_cbranch_execz .LBB6_4958
; %bb.4945:                             ;   in Loop: Header=BB6_4483 Depth=3
	v_mov_b32_e32 v27, 0
	s_mov_b32 s75, exec_lo
	v_cmpx_ne_u32_e32 0, v6
	s_cbranch_execz .LBB6_4957
; %bb.4946:                             ;   in Loop: Header=BB6_4483 Depth=3
	v_bfe_u32 v27, v6, 23, 8
	v_or_b32_e32 v30, 0x800000, v2
	s_delay_alu instid0(VALU_DEP_2) | instskip(SKIP_1) | instid1(VALU_DEP_2)
	v_sub_nc_u32_e32 v6, 0x71, v27
	v_cmp_gt_u32_e32 vcc_lo, 0x72, v27
	v_cndmask_b32_e32 v6, 0, v6, vcc_lo
	v_cmp_eq_u32_e32 vcc_lo, 0, v27
	s_delay_alu instid0(VALU_DEP_2) | instskip(NEXT) | instid1(VALU_DEP_1)
	v_cndmask_b32_e64 v29, v6, 0x70, vcc_lo
	v_dual_cndmask_b32 v2, v30, v2, vcc_lo :: v_dual_add_nc_u32 v6, 21, v29
	v_add_nc_u32_e32 v31, 20, v29
	s_delay_alu instid0(VALU_DEP_2) | instskip(NEXT) | instid1(VALU_DEP_2)
	v_lshlrev_b64_e64 v[6:7], v6, -1
	v_lshlrev_b64_e64 v[30:31], v31, 1
	s_delay_alu instid0(VALU_DEP_2) | instskip(SKIP_1) | instid1(VALU_DEP_4)
	v_bfi_b32 v6, v6, 0, v2
	v_lshrrev_b64 v[2:3], v29, v[2:3]
	v_bfi_b32 v7, v7, 0, 0
	s_delay_alu instid0(VALU_DEP_1) | instskip(NEXT) | instid1(VALU_DEP_3)
	v_cmp_eq_u64_e64 s13, v[6:7], v[30:31]
	v_mov_b64_e32 v[6:7], v[2:3]
	s_and_saveexec_b32 s76, s13
; %bb.4947:                             ;   in Loop: Header=BB6_4483 Depth=3
	v_bfe_u32 v6, v2, 21, 1
	v_mov_b32_e32 v7, v113
	s_delay_alu instid0(VALU_DEP_1) | instskip(NEXT) | instid1(VALU_DEP_1)
	v_add_nc_u64_e32 v[6:7], v[2:3], v[6:7]
	v_add_nc_u64_e32 v[6:7], -1, v[6:7]
; %bb.4948:                             ;   in Loop: Header=BB6_4483 Depth=3
	s_or_b32 exec_lo, exec_lo, s76
	v_add_nc_u32_e32 v3, 0xffffff81, v27
	v_lshrrev_b32_e32 v7, 23, v2
	s_mov_b32 s13, exec_lo
	s_delay_alu instid0(VALU_DEP_2) | instskip(NEXT) | instid1(VALU_DEP_1)
	v_cndmask_b32_e64 v3, v3, 0xffffff82, vcc_lo
	v_add3_u32 v7, v29, v3, v7
	v_and_b32_e32 v3, 0x1fffff, v6
                                        ; implicit-def: $vgpr6
	s_delay_alu instid0(VALU_DEP_1) | instskip(SKIP_1) | instid1(VALU_DEP_2)
	v_dual_add_nc_u32 v27, 14, v7 :: v_dual_add_nc_u32 v2, v3, v2
	v_mov_b32_e32 v3, v113
	v_cmpx_ne_u32_e32 0, v27
	s_xor_b32 s13, exec_lo, s13
; %bb.4949:                             ;   in Loop: Header=BB6_4483 Depth=3
	s_delay_alu instid0(VALU_DEP_2) | instskip(SKIP_2) | instid1(VALU_DEP_2)
	v_cmp_lt_u64_e32 vcc_lo, 0xffffff, v[2:3]
	v_add_nc_u32_e32 v6, 15, v7
	v_cndmask_b32_e64 v7, 0, 1, vcc_lo
	v_cndmask_b32_e32 v6, v27, v6, vcc_lo
	s_delay_alu instid0(VALU_DEP_2)
	v_lshrrev_b64 v[2:3], v7, v[2:3]
; %bb.4950:                             ;   in Loop: Header=BB6_4483 Depth=3
	s_and_not1_saveexec_b32 s13, s13
; %bb.4951:                             ;   in Loop: Header=BB6_4483 Depth=3
	s_delay_alu instid0(VALU_DEP_1)
	v_bfe_u32 v6, v2, 23, 1
; %bb.4952:                             ;   in Loop: Header=BB6_4483 Depth=3
	s_or_b32 exec_lo, exec_lo, s13
	s_delay_alu instid0(VALU_DEP_2) | instskip(NEXT) | instid1(VALU_DEP_2)
	v_lshrrev_b64 v[2:3], 21, v[2:3]
	v_cmp_gt_i32_e32 vcc_lo, 32, v6
	v_cmp_ne_u32_e64 s13, 0, v6
                                        ; implicit-def: $vgpr27
	s_delay_alu instid0(VALU_DEP_3) | instskip(NEXT) | instid1(VALU_DEP_1)
	v_dual_cndmask_b32 v3, 0, v3 :: v_dual_cndmask_b32 v2, 3, v2
	v_cmp_ne_u64_e32 vcc_lo, 0, v[2:3]
	s_or_b32 s13, s13, vcc_lo
	s_delay_alu instid0(SALU_CYCLE_1) | instskip(NEXT) | instid1(SALU_CYCLE_1)
	s_and_saveexec_b32 s76, s13
	s_xor_b32 s13, exec_lo, s76
; %bb.4953:                             ;   in Loop: Header=BB6_4483 Depth=3
	v_min_i32_e32 v3, 31, v6
	s_delay_alu instid0(VALU_DEP_1) | instskip(NEXT) | instid1(VALU_DEP_1)
	v_lshl_or_b32 v3, v3, 2, v28
                                        ; implicit-def: $vgpr28
	v_and_or_b32 v27, v2, 3, v3
; %bb.4954:                             ;   in Loop: Header=BB6_4483 Depth=3
	s_and_not1_saveexec_b32 s13, s13
; %bb.4955:                             ;   in Loop: Header=BB6_4483 Depth=3
	v_mov_b32_e32 v27, v28
; %bb.4956:                             ;   in Loop: Header=BB6_4483 Depth=3
	s_or_b32 exec_lo, exec_lo, s13
.LBB6_4957:                             ;   in Loop: Header=BB6_4483 Depth=3
	s_delay_alu instid0(SALU_CYCLE_1)
	s_or_b32 exec_lo, exec_lo, s75
                                        ; implicit-def: $vgpr28
.LBB6_4958:                             ;   in Loop: Header=BB6_4483 Depth=3
	s_and_not1_saveexec_b32 s13, s15
; %bb.4959:                             ;   in Loop: Header=BB6_4483 Depth=3
	v_or_b32_e32 v27, 0x7b, v28
; %bb.4960:                             ;   in Loop: Header=BB6_4483 Depth=3
	s_or_b32 exec_lo, exec_lo, s13
                                        ; implicit-def: $vgpr6
                                        ; implicit-def: $vgpr2_vgpr3
.LBB6_4961:                             ;   in Loop: Header=BB6_4483 Depth=3
	s_and_not1_saveexec_b32 s13, s14
	s_cbranch_execz .LBB6_4967
; %bb.4962:                             ;   in Loop: Header=BB6_4483 Depth=3
	s_mov_b32 s14, exec_lo
                                        ; implicit-def: $vgpr27
	v_cmpx_ne_u64_e32 0, v[2:3]
	s_xor_b32 s14, exec_lo, s14
; %bb.4963:                             ;   in Loop: Header=BB6_4483 Depth=3
	v_lshrrev_b32_e32 v2, 24, v6
                                        ; implicit-def: $vgpr6
	s_delay_alu instid0(VALU_DEP_1)
	v_or_b32_e32 v27, 0x7f, v2
; %bb.4964:                             ;   in Loop: Header=BB6_4483 Depth=3
	s_and_not1_saveexec_b32 s14, s14
; %bb.4965:                             ;   in Loop: Header=BB6_4483 Depth=3
	v_cmp_lt_i32_e32 vcc_lo, -1, v6
	v_cndmask_b32_e64 v27, -4, 0x7c, vcc_lo
; %bb.4966:                             ;   in Loop: Header=BB6_4483 Depth=3
	s_or_b32 exec_lo, exec_lo, s14
.LBB6_4967:                             ;   in Loop: Header=BB6_4483 Depth=3
	s_delay_alu instid0(SALU_CYCLE_1)
	s_or_b32 exec_lo, exec_lo, s13
	flat_load_i8 v2, v[0:1] offset:448 th:TH_LOAD_NT
	v_mov_b32_e32 v6, 0
	s_mov_b32 s13, exec_lo
	s_wait_loadcnt_dscnt 0x0
	s_wait_xcnt 0x0
	v_cmpx_ne_u16_e32 0, v2
	s_cbranch_execz .LBB6_4977
; %bb.4968:                             ;   in Loop: Header=BB6_4483 Depth=3
	v_bfrev_b32_e32 v6, 1
	s_mov_b32 s14, exec_lo
	v_cmpx_ne_u16_e32 0xff80, v2
	s_cbranch_execz .LBB6_4976
; %bb.4969:                             ;   in Loop: Header=BB6_4483 Depth=3
	v_and_b32_e32 v6, 0x7c, v2
	v_and_b32_e32 v3, 3, v2
	s_delay_alu instid0(VALU_DEP_2) | instskip(SKIP_1) | instid1(SALU_CYCLE_1)
	v_cmp_ne_u32_e32 vcc_lo, 0x7c, v6
                                        ; implicit-def: $vgpr6
	s_and_saveexec_b32 s15, vcc_lo
	s_xor_b32 s15, exec_lo, s15
	s_cbranch_execz .LBB6_4973
; %bb.4970:                             ;   in Loop: Header=BB6_4483 Depth=3
	v_and_b32_e32 v6, 0xff, v2
	s_mov_b32 s75, exec_lo
	s_delay_alu instid0(VALU_DEP_1) | instskip(NEXT) | instid1(VALU_DEP_1)
	v_bfe_u32 v6, v6, 2, 5
	v_cmpx_eq_u32_e32 0, v6
	s_cbranch_execz .LBB6_4972
; %bb.4971:                             ;   in Loop: Header=BB6_4483 Depth=3
	v_clz_i32_u32_e32 v3, v3
	s_delay_alu instid0(VALU_DEP_1) | instskip(SKIP_1) | instid1(VALU_DEP_2)
	v_min_u32_e32 v6, 32, v3
	v_mov_b32_e32 v3, v113
	v_subrev_nc_u32_e32 v7, 29, v6
	v_sub_nc_u32_e32 v6, 30, v6
	s_delay_alu instid0(VALU_DEP_2) | instskip(NEXT) | instid1(VALU_DEP_1)
	v_lshlrev_b64_e32 v[28:29], v7, v[2:3]
	v_and_b32_e32 v3, 3, v28
.LBB6_4972:                             ;   in Loop: Header=BB6_4483 Depth=3
	s_or_b32 exec_lo, exec_lo, s75
	v_bfe_i32 v2, v2, 0, 16
	s_delay_alu instid0(VALU_DEP_1) | instskip(NEXT) | instid1(VALU_DEP_1)
	v_and_b32_e32 v2, 0x80000000, v2
	v_lshl_add_u32 v2, v6, 23, v2
	s_delay_alu instid0(VALU_DEP_1) | instskip(NEXT) | instid1(VALU_DEP_1)
	v_lshl_or_b32 v2, v3, 21, v2
                                        ; implicit-def: $vgpr3
	v_add_nc_u32_e32 v6, 0x38000000, v2
                                        ; implicit-def: $vgpr2
.LBB6_4973:                             ;   in Loop: Header=BB6_4483 Depth=3
	s_and_not1_saveexec_b32 s15, s15
; %bb.4974:                             ;   in Loop: Header=BB6_4483 Depth=3
	v_cmp_lt_i16_e32 vcc_lo, -1, v2
	v_mov_b32_e32 v2, 0x7f800000
	s_delay_alu instid0(VALU_DEP_1) | instskip(SKIP_1) | instid1(VALU_DEP_2)
	v_cndmask_b32_e32 v2, 0xff800000, v2, vcc_lo
	v_cmp_eq_u32_e32 vcc_lo, 0, v3
	v_cndmask_b32_e32 v6, 0x7f800001, v2, vcc_lo
; %bb.4975:                             ;   in Loop: Header=BB6_4483 Depth=3
	s_or_b32 exec_lo, exec_lo, s15
.LBB6_4976:                             ;   in Loop: Header=BB6_4483 Depth=3
	s_delay_alu instid0(SALU_CYCLE_1)
	s_or_b32 exec_lo, exec_lo, s14
.LBB6_4977:                             ;   in Loop: Header=BB6_4483 Depth=3
	s_delay_alu instid0(SALU_CYCLE_1) | instskip(NEXT) | instid1(VALU_DEP_1)
	s_or_b32 exec_lo, exec_lo, s13
	v_dual_mul_f32 v6, s74, v6 :: v_dual_mov_b32 v3, v113
                                        ; implicit-def: $vgpr28
	s_delay_alu instid0(VALU_DEP_1) | instskip(NEXT) | instid1(VALU_DEP_1)
	v_and_b32_e32 v2, 0x7f800000, v6
	v_cmp_ne_u64_e32 vcc_lo, 0x7f800000, v[2:3]
	v_and_b32_e32 v2, 0x7fffff, v6
	s_and_saveexec_b32 s13, vcc_lo
	s_delay_alu instid0(SALU_CYCLE_1)
	s_xor_b32 s14, exec_lo, s13
	s_cbranch_execz .LBB6_4995
; %bb.4978:                             ;   in Loop: Header=BB6_4483 Depth=3
	v_and_b32_e32 v28, 0x7fffffff, v6
	v_dual_mov_b32 v29, v113 :: v_dual_lshrrev_b32 v7, 24, v6
	s_delay_alu instid0(VALU_DEP_1) | instskip(NEXT) | instid1(VALU_DEP_2)
	v_cmp_gt_u64_e32 vcc_lo, 0x47600001, v[28:29]
	v_and_b32_e32 v29, 0x80, v7
                                        ; implicit-def: $vgpr28
	s_and_saveexec_b32 s13, vcc_lo
	s_delay_alu instid0(SALU_CYCLE_1)
	s_xor_b32 s15, exec_lo, s13
	s_cbranch_execz .LBB6_4992
; %bb.4979:                             ;   in Loop: Header=BB6_4483 Depth=3
	v_mov_b32_e32 v28, 0
	s_mov_b32 s75, exec_lo
	v_cmpx_ne_u32_e32 0, v6
	s_cbranch_execz .LBB6_4991
; %bb.4980:                             ;   in Loop: Header=BB6_4483 Depth=3
	v_bfe_u32 v28, v6, 23, 8
	v_or_b32_e32 v31, 0x800000, v2
	s_delay_alu instid0(VALU_DEP_2) | instskip(SKIP_1) | instid1(VALU_DEP_2)
	v_sub_nc_u32_e32 v6, 0x71, v28
	v_cmp_gt_u32_e32 vcc_lo, 0x72, v28
	v_cndmask_b32_e32 v6, 0, v6, vcc_lo
	v_cmp_eq_u32_e32 vcc_lo, 0, v28
	s_delay_alu instid0(VALU_DEP_2) | instskip(SKIP_1) | instid1(VALU_DEP_2)
	v_cndmask_b32_e64 v30, v6, 0x70, vcc_lo
	v_cndmask_b32_e32 v2, v31, v2, vcc_lo
	v_dual_add_nc_u32 v6, 21, v30 :: v_dual_add_nc_u32 v32, 20, v30
	s_delay_alu instid0(VALU_DEP_1) | instskip(NEXT) | instid1(VALU_DEP_2)
	v_lshlrev_b64_e64 v[6:7], v6, -1
	v_lshlrev_b64_e64 v[32:33], v32, 1
	s_delay_alu instid0(VALU_DEP_2) | instskip(SKIP_1) | instid1(VALU_DEP_4)
	v_bfi_b32 v6, v6, 0, v2
	v_lshrrev_b64 v[2:3], v30, v[2:3]
	v_bfi_b32 v7, v7, 0, 0
	s_delay_alu instid0(VALU_DEP_1) | instskip(NEXT) | instid1(VALU_DEP_3)
	v_cmp_eq_u64_e64 s13, v[6:7], v[32:33]
	v_mov_b64_e32 v[6:7], v[2:3]
	s_and_saveexec_b32 s76, s13
; %bb.4981:                             ;   in Loop: Header=BB6_4483 Depth=3
	v_bfe_u32 v6, v2, 21, 1
	v_mov_b32_e32 v7, v113
	s_delay_alu instid0(VALU_DEP_1) | instskip(NEXT) | instid1(VALU_DEP_1)
	v_add_nc_u64_e32 v[6:7], v[2:3], v[6:7]
	v_add_nc_u64_e32 v[6:7], -1, v[6:7]
; %bb.4982:                             ;   in Loop: Header=BB6_4483 Depth=3
	s_or_b32 exec_lo, exec_lo, s76
	v_add_nc_u32_e32 v3, 0xffffff81, v28
	v_lshrrev_b32_e32 v7, 23, v2
	s_mov_b32 s13, exec_lo
	s_delay_alu instid0(VALU_DEP_2) | instskip(NEXT) | instid1(VALU_DEP_1)
	v_cndmask_b32_e64 v3, v3, 0xffffff82, vcc_lo
	v_add3_u32 v7, v30, v3, v7
	v_and_b32_e32 v3, 0x1fffff, v6
                                        ; implicit-def: $vgpr6
	s_delay_alu instid0(VALU_DEP_1) | instskip(SKIP_1) | instid1(VALU_DEP_2)
	v_dual_add_nc_u32 v28, 14, v7 :: v_dual_add_nc_u32 v2, v3, v2
	v_mov_b32_e32 v3, v113
	v_cmpx_ne_u32_e32 0, v28
	s_xor_b32 s13, exec_lo, s13
; %bb.4983:                             ;   in Loop: Header=BB6_4483 Depth=3
	s_delay_alu instid0(VALU_DEP_2) | instskip(SKIP_2) | instid1(VALU_DEP_2)
	v_cmp_lt_u64_e32 vcc_lo, 0xffffff, v[2:3]
	v_add_nc_u32_e32 v6, 15, v7
	v_cndmask_b32_e64 v7, 0, 1, vcc_lo
	v_cndmask_b32_e32 v6, v28, v6, vcc_lo
	s_delay_alu instid0(VALU_DEP_2)
	v_lshrrev_b64 v[2:3], v7, v[2:3]
; %bb.4984:                             ;   in Loop: Header=BB6_4483 Depth=3
	s_and_not1_saveexec_b32 s13, s13
; %bb.4985:                             ;   in Loop: Header=BB6_4483 Depth=3
	s_delay_alu instid0(VALU_DEP_1)
	v_bfe_u32 v6, v2, 23, 1
; %bb.4986:                             ;   in Loop: Header=BB6_4483 Depth=3
	s_or_b32 exec_lo, exec_lo, s13
	s_delay_alu instid0(VALU_DEP_2) | instskip(NEXT) | instid1(VALU_DEP_2)
	v_lshrrev_b64 v[2:3], 21, v[2:3]
	v_cmp_gt_i32_e32 vcc_lo, 32, v6
	v_cmp_ne_u32_e64 s13, 0, v6
                                        ; implicit-def: $vgpr28
	s_delay_alu instid0(VALU_DEP_3) | instskip(NEXT) | instid1(VALU_DEP_1)
	v_dual_cndmask_b32 v3, 0, v3 :: v_dual_cndmask_b32 v2, 3, v2
	v_cmp_ne_u64_e32 vcc_lo, 0, v[2:3]
	s_or_b32 s13, s13, vcc_lo
	s_delay_alu instid0(SALU_CYCLE_1) | instskip(NEXT) | instid1(SALU_CYCLE_1)
	s_and_saveexec_b32 s76, s13
	s_xor_b32 s13, exec_lo, s76
; %bb.4987:                             ;   in Loop: Header=BB6_4483 Depth=3
	v_min_i32_e32 v3, 31, v6
	s_delay_alu instid0(VALU_DEP_1) | instskip(NEXT) | instid1(VALU_DEP_1)
	v_lshl_or_b32 v3, v3, 2, v29
                                        ; implicit-def: $vgpr29
	v_and_or_b32 v28, v2, 3, v3
; %bb.4988:                             ;   in Loop: Header=BB6_4483 Depth=3
	s_and_not1_saveexec_b32 s13, s13
; %bb.4989:                             ;   in Loop: Header=BB6_4483 Depth=3
	v_mov_b32_e32 v28, v29
; %bb.4990:                             ;   in Loop: Header=BB6_4483 Depth=3
	s_or_b32 exec_lo, exec_lo, s13
.LBB6_4991:                             ;   in Loop: Header=BB6_4483 Depth=3
	s_delay_alu instid0(SALU_CYCLE_1)
	s_or_b32 exec_lo, exec_lo, s75
                                        ; implicit-def: $vgpr29
.LBB6_4992:                             ;   in Loop: Header=BB6_4483 Depth=3
	s_and_not1_saveexec_b32 s13, s15
; %bb.4993:                             ;   in Loop: Header=BB6_4483 Depth=3
	v_or_b32_e32 v28, 0x7b, v29
; %bb.4994:                             ;   in Loop: Header=BB6_4483 Depth=3
	s_or_b32 exec_lo, exec_lo, s13
                                        ; implicit-def: $vgpr6
                                        ; implicit-def: $vgpr2_vgpr3
.LBB6_4995:                             ;   in Loop: Header=BB6_4483 Depth=3
	s_and_not1_saveexec_b32 s13, s14
	s_cbranch_execz .LBB6_5001
; %bb.4996:                             ;   in Loop: Header=BB6_4483 Depth=3
	s_mov_b32 s14, exec_lo
                                        ; implicit-def: $vgpr28
	v_cmpx_ne_u64_e32 0, v[2:3]
	s_xor_b32 s14, exec_lo, s14
; %bb.4997:                             ;   in Loop: Header=BB6_4483 Depth=3
	v_lshrrev_b32_e32 v2, 24, v6
                                        ; implicit-def: $vgpr6
	s_delay_alu instid0(VALU_DEP_1)
	v_or_b32_e32 v28, 0x7f, v2
; %bb.4998:                             ;   in Loop: Header=BB6_4483 Depth=3
	s_and_not1_saveexec_b32 s14, s14
; %bb.4999:                             ;   in Loop: Header=BB6_4483 Depth=3
	v_cmp_lt_i32_e32 vcc_lo, -1, v6
	v_cndmask_b32_e64 v28, -4, 0x7c, vcc_lo
; %bb.5000:                             ;   in Loop: Header=BB6_4483 Depth=3
	s_or_b32 exec_lo, exec_lo, s14
.LBB6_5001:                             ;   in Loop: Header=BB6_4483 Depth=3
	s_delay_alu instid0(SALU_CYCLE_1)
	s_or_b32 exec_lo, exec_lo, s13
	flat_load_i8 v2, v[0:1] offset:480 th:TH_LOAD_NT
	v_mov_b32_e32 v6, 0
	s_mov_b32 s13, exec_lo
	s_wait_loadcnt_dscnt 0x0
	s_wait_xcnt 0x0
	v_cmpx_ne_u16_e32 0, v2
	s_cbranch_execz .LBB6_5011
; %bb.5002:                             ;   in Loop: Header=BB6_4483 Depth=3
	v_bfrev_b32_e32 v6, 1
	s_mov_b32 s14, exec_lo
	v_cmpx_ne_u16_e32 0xff80, v2
	s_cbranch_execz .LBB6_5010
; %bb.5003:                             ;   in Loop: Header=BB6_4483 Depth=3
	v_and_b32_e32 v6, 0x7c, v2
	v_and_b32_e32 v3, 3, v2
	s_delay_alu instid0(VALU_DEP_2) | instskip(SKIP_1) | instid1(SALU_CYCLE_1)
	v_cmp_ne_u32_e32 vcc_lo, 0x7c, v6
                                        ; implicit-def: $vgpr6
	s_and_saveexec_b32 s15, vcc_lo
	s_xor_b32 s15, exec_lo, s15
	s_cbranch_execz .LBB6_5007
; %bb.5004:                             ;   in Loop: Header=BB6_4483 Depth=3
	v_and_b32_e32 v6, 0xff, v2
	s_mov_b32 s75, exec_lo
	s_delay_alu instid0(VALU_DEP_1) | instskip(NEXT) | instid1(VALU_DEP_1)
	v_bfe_u32 v6, v6, 2, 5
	v_cmpx_eq_u32_e32 0, v6
	s_cbranch_execz .LBB6_5006
; %bb.5005:                             ;   in Loop: Header=BB6_4483 Depth=3
	v_clz_i32_u32_e32 v3, v3
	s_delay_alu instid0(VALU_DEP_1) | instskip(SKIP_1) | instid1(VALU_DEP_2)
	v_min_u32_e32 v6, 32, v3
	v_mov_b32_e32 v3, v113
	v_subrev_nc_u32_e32 v7, 29, v6
	v_sub_nc_u32_e32 v6, 30, v6
	s_delay_alu instid0(VALU_DEP_2) | instskip(NEXT) | instid1(VALU_DEP_1)
	v_lshlrev_b64_e32 v[30:31], v7, v[2:3]
	v_and_b32_e32 v3, 3, v30
.LBB6_5006:                             ;   in Loop: Header=BB6_4483 Depth=3
	s_or_b32 exec_lo, exec_lo, s75
	v_bfe_i32 v2, v2, 0, 16
	s_delay_alu instid0(VALU_DEP_1) | instskip(NEXT) | instid1(VALU_DEP_1)
	v_and_b32_e32 v2, 0x80000000, v2
	v_lshl_add_u32 v2, v6, 23, v2
	s_delay_alu instid0(VALU_DEP_1) | instskip(NEXT) | instid1(VALU_DEP_1)
	v_lshl_or_b32 v2, v3, 21, v2
                                        ; implicit-def: $vgpr3
	v_add_nc_u32_e32 v6, 0x38000000, v2
                                        ; implicit-def: $vgpr2
.LBB6_5007:                             ;   in Loop: Header=BB6_4483 Depth=3
	s_and_not1_saveexec_b32 s15, s15
; %bb.5008:                             ;   in Loop: Header=BB6_4483 Depth=3
	v_cmp_lt_i16_e32 vcc_lo, -1, v2
	v_mov_b32_e32 v2, 0x7f800000
	s_delay_alu instid0(VALU_DEP_1) | instskip(SKIP_1) | instid1(VALU_DEP_2)
	v_cndmask_b32_e32 v2, 0xff800000, v2, vcc_lo
	v_cmp_eq_u32_e32 vcc_lo, 0, v3
	v_cndmask_b32_e32 v6, 0x7f800001, v2, vcc_lo
; %bb.5009:                             ;   in Loop: Header=BB6_4483 Depth=3
	s_or_b32 exec_lo, exec_lo, s15
.LBB6_5010:                             ;   in Loop: Header=BB6_4483 Depth=3
	s_delay_alu instid0(SALU_CYCLE_1)
	s_or_b32 exec_lo, exec_lo, s14
.LBB6_5011:                             ;   in Loop: Header=BB6_4483 Depth=3
	s_delay_alu instid0(SALU_CYCLE_1) | instskip(NEXT) | instid1(VALU_DEP_1)
	s_or_b32 exec_lo, exec_lo, s13
	v_dual_mul_f32 v6, s74, v6 :: v_dual_mov_b32 v3, v113
                                        ; implicit-def: $vgpr29
	s_delay_alu instid0(VALU_DEP_1) | instskip(NEXT) | instid1(VALU_DEP_1)
	v_and_b32_e32 v2, 0x7f800000, v6
	v_cmp_ne_u64_e32 vcc_lo, 0x7f800000, v[2:3]
	v_and_b32_e32 v2, 0x7fffff, v6
	s_and_saveexec_b32 s13, vcc_lo
	s_delay_alu instid0(SALU_CYCLE_1)
	s_xor_b32 s14, exec_lo, s13
	s_cbranch_execz .LBB6_5029
; %bb.5012:                             ;   in Loop: Header=BB6_4483 Depth=3
	v_and_b32_e32 v30, 0x7fffffff, v6
	v_dual_mov_b32 v31, v113 :: v_dual_lshrrev_b32 v7, 24, v6
                                        ; implicit-def: $vgpr29
	s_delay_alu instid0(VALU_DEP_1) | instskip(NEXT) | instid1(VALU_DEP_2)
	v_cmp_gt_u64_e32 vcc_lo, 0x47600001, v[30:31]
	v_and_b32_e32 v30, 0x80, v7
	s_and_saveexec_b32 s13, vcc_lo
	s_delay_alu instid0(SALU_CYCLE_1)
	s_xor_b32 s15, exec_lo, s13
	s_cbranch_execz .LBB6_5026
; %bb.5013:                             ;   in Loop: Header=BB6_4483 Depth=3
	v_mov_b32_e32 v29, 0
	s_mov_b32 s75, exec_lo
	v_cmpx_ne_u32_e32 0, v6
	s_cbranch_execz .LBB6_5025
; %bb.5014:                             ;   in Loop: Header=BB6_4483 Depth=3
	v_bfe_u32 v29, v6, 23, 8
	v_or_b32_e32 v32, 0x800000, v2
	s_delay_alu instid0(VALU_DEP_2) | instskip(SKIP_1) | instid1(VALU_DEP_2)
	v_sub_nc_u32_e32 v6, 0x71, v29
	v_cmp_gt_u32_e32 vcc_lo, 0x72, v29
	v_cndmask_b32_e32 v6, 0, v6, vcc_lo
	v_cmp_eq_u32_e32 vcc_lo, 0, v29
	s_delay_alu instid0(VALU_DEP_2) | instskip(NEXT) | instid1(VALU_DEP_1)
	v_cndmask_b32_e64 v31, v6, 0x70, vcc_lo
	v_dual_cndmask_b32 v2, v32, v2, vcc_lo :: v_dual_add_nc_u32 v6, 21, v31
	v_add_nc_u32_e32 v33, 20, v31
	s_delay_alu instid0(VALU_DEP_2) | instskip(NEXT) | instid1(VALU_DEP_2)
	v_lshlrev_b64_e64 v[6:7], v6, -1
	v_lshlrev_b64_e64 v[32:33], v33, 1
	s_delay_alu instid0(VALU_DEP_2) | instskip(SKIP_1) | instid1(VALU_DEP_4)
	v_bfi_b32 v6, v6, 0, v2
	v_lshrrev_b64 v[2:3], v31, v[2:3]
	v_bfi_b32 v7, v7, 0, 0
	s_delay_alu instid0(VALU_DEP_1) | instskip(NEXT) | instid1(VALU_DEP_3)
	v_cmp_eq_u64_e64 s13, v[6:7], v[32:33]
	v_mov_b64_e32 v[6:7], v[2:3]
	s_and_saveexec_b32 s76, s13
; %bb.5015:                             ;   in Loop: Header=BB6_4483 Depth=3
	v_bfe_u32 v6, v2, 21, 1
	v_mov_b32_e32 v7, v113
	s_delay_alu instid0(VALU_DEP_1) | instskip(NEXT) | instid1(VALU_DEP_1)
	v_add_nc_u64_e32 v[6:7], v[2:3], v[6:7]
	v_add_nc_u64_e32 v[6:7], -1, v[6:7]
; %bb.5016:                             ;   in Loop: Header=BB6_4483 Depth=3
	s_or_b32 exec_lo, exec_lo, s76
	v_add_nc_u32_e32 v3, 0xffffff81, v29
	v_lshrrev_b32_e32 v7, 23, v2
	s_mov_b32 s13, exec_lo
	s_delay_alu instid0(VALU_DEP_2) | instskip(NEXT) | instid1(VALU_DEP_1)
	v_cndmask_b32_e64 v3, v3, 0xffffff82, vcc_lo
	v_add3_u32 v7, v31, v3, v7
	v_and_b32_e32 v3, 0x1fffff, v6
                                        ; implicit-def: $vgpr6
	s_delay_alu instid0(VALU_DEP_1) | instskip(SKIP_1) | instid1(VALU_DEP_2)
	v_dual_add_nc_u32 v29, 14, v7 :: v_dual_add_nc_u32 v2, v3, v2
	v_mov_b32_e32 v3, v113
	v_cmpx_ne_u32_e32 0, v29
	s_xor_b32 s13, exec_lo, s13
; %bb.5017:                             ;   in Loop: Header=BB6_4483 Depth=3
	s_delay_alu instid0(VALU_DEP_2) | instskip(SKIP_2) | instid1(VALU_DEP_2)
	v_cmp_lt_u64_e32 vcc_lo, 0xffffff, v[2:3]
	v_add_nc_u32_e32 v6, 15, v7
	v_cndmask_b32_e64 v7, 0, 1, vcc_lo
	v_cndmask_b32_e32 v6, v29, v6, vcc_lo
	s_delay_alu instid0(VALU_DEP_2)
	v_lshrrev_b64 v[2:3], v7, v[2:3]
; %bb.5018:                             ;   in Loop: Header=BB6_4483 Depth=3
	s_and_not1_saveexec_b32 s13, s13
; %bb.5019:                             ;   in Loop: Header=BB6_4483 Depth=3
	s_delay_alu instid0(VALU_DEP_1)
	v_bfe_u32 v6, v2, 23, 1
; %bb.5020:                             ;   in Loop: Header=BB6_4483 Depth=3
	s_or_b32 exec_lo, exec_lo, s13
	s_delay_alu instid0(VALU_DEP_2) | instskip(NEXT) | instid1(VALU_DEP_2)
	v_lshrrev_b64 v[2:3], 21, v[2:3]
	v_cmp_gt_i32_e32 vcc_lo, 32, v6
	v_cmp_ne_u32_e64 s13, 0, v6
                                        ; implicit-def: $vgpr29
	s_delay_alu instid0(VALU_DEP_3) | instskip(NEXT) | instid1(VALU_DEP_1)
	v_dual_cndmask_b32 v3, 0, v3 :: v_dual_cndmask_b32 v2, 3, v2
	v_cmp_ne_u64_e32 vcc_lo, 0, v[2:3]
	s_or_b32 s13, s13, vcc_lo
	s_delay_alu instid0(SALU_CYCLE_1) | instskip(NEXT) | instid1(SALU_CYCLE_1)
	s_and_saveexec_b32 s76, s13
	s_xor_b32 s13, exec_lo, s76
; %bb.5021:                             ;   in Loop: Header=BB6_4483 Depth=3
	v_min_i32_e32 v3, 31, v6
	s_delay_alu instid0(VALU_DEP_1) | instskip(NEXT) | instid1(VALU_DEP_1)
	v_lshl_or_b32 v3, v3, 2, v30
                                        ; implicit-def: $vgpr30
	v_and_or_b32 v29, v2, 3, v3
; %bb.5022:                             ;   in Loop: Header=BB6_4483 Depth=3
	s_and_not1_saveexec_b32 s13, s13
; %bb.5023:                             ;   in Loop: Header=BB6_4483 Depth=3
	v_mov_b32_e32 v29, v30
; %bb.5024:                             ;   in Loop: Header=BB6_4483 Depth=3
	s_or_b32 exec_lo, exec_lo, s13
.LBB6_5025:                             ;   in Loop: Header=BB6_4483 Depth=3
	s_delay_alu instid0(SALU_CYCLE_1)
	s_or_b32 exec_lo, exec_lo, s75
                                        ; implicit-def: $vgpr30
.LBB6_5026:                             ;   in Loop: Header=BB6_4483 Depth=3
	s_and_not1_saveexec_b32 s13, s15
; %bb.5027:                             ;   in Loop: Header=BB6_4483 Depth=3
	v_or_b32_e32 v29, 0x7b, v30
; %bb.5028:                             ;   in Loop: Header=BB6_4483 Depth=3
	s_or_b32 exec_lo, exec_lo, s13
                                        ; implicit-def: $vgpr6
                                        ; implicit-def: $vgpr2_vgpr3
.LBB6_5029:                             ;   in Loop: Header=BB6_4483 Depth=3
	s_and_not1_saveexec_b32 s13, s14
	s_cbranch_execz .LBB6_5035
; %bb.5030:                             ;   in Loop: Header=BB6_4483 Depth=3
	s_mov_b32 s14, exec_lo
                                        ; implicit-def: $vgpr29
	v_cmpx_ne_u64_e32 0, v[2:3]
	s_xor_b32 s14, exec_lo, s14
; %bb.5031:                             ;   in Loop: Header=BB6_4483 Depth=3
	v_lshrrev_b32_e32 v2, 24, v6
                                        ; implicit-def: $vgpr6
	s_delay_alu instid0(VALU_DEP_1)
	v_or_b32_e32 v29, 0x7f, v2
; %bb.5032:                             ;   in Loop: Header=BB6_4483 Depth=3
	s_and_not1_saveexec_b32 s14, s14
; %bb.5033:                             ;   in Loop: Header=BB6_4483 Depth=3
	v_cmp_lt_i32_e32 vcc_lo, -1, v6
	v_cndmask_b32_e64 v29, -4, 0x7c, vcc_lo
; %bb.5034:                             ;   in Loop: Header=BB6_4483 Depth=3
	s_or_b32 exec_lo, exec_lo, s14
.LBB6_5035:                             ;   in Loop: Header=BB6_4483 Depth=3
	s_delay_alu instid0(SALU_CYCLE_1)
	s_or_b32 exec_lo, exec_lo, s13
	flat_load_i8 v2, v[0:1] offset:512 th:TH_LOAD_NT
	v_mov_b32_e32 v6, 0
	s_mov_b32 s13, exec_lo
	s_wait_loadcnt_dscnt 0x0
	s_wait_xcnt 0x0
	v_cmpx_ne_u16_e32 0, v2
	s_cbranch_execz .LBB6_5045
; %bb.5036:                             ;   in Loop: Header=BB6_4483 Depth=3
	v_bfrev_b32_e32 v6, 1
	s_mov_b32 s14, exec_lo
	v_cmpx_ne_u16_e32 0xff80, v2
	s_cbranch_execz .LBB6_5044
; %bb.5037:                             ;   in Loop: Header=BB6_4483 Depth=3
	v_and_b32_e32 v6, 0x7c, v2
	v_and_b32_e32 v3, 3, v2
	s_delay_alu instid0(VALU_DEP_2) | instskip(SKIP_1) | instid1(SALU_CYCLE_1)
	v_cmp_ne_u32_e32 vcc_lo, 0x7c, v6
                                        ; implicit-def: $vgpr6
	s_and_saveexec_b32 s15, vcc_lo
	s_xor_b32 s15, exec_lo, s15
	s_cbranch_execz .LBB6_5041
; %bb.5038:                             ;   in Loop: Header=BB6_4483 Depth=3
	v_and_b32_e32 v6, 0xff, v2
	s_mov_b32 s75, exec_lo
	s_delay_alu instid0(VALU_DEP_1) | instskip(NEXT) | instid1(VALU_DEP_1)
	v_bfe_u32 v6, v6, 2, 5
	v_cmpx_eq_u32_e32 0, v6
	s_cbranch_execz .LBB6_5040
; %bb.5039:                             ;   in Loop: Header=BB6_4483 Depth=3
	v_clz_i32_u32_e32 v3, v3
	s_delay_alu instid0(VALU_DEP_1) | instskip(SKIP_1) | instid1(VALU_DEP_2)
	v_min_u32_e32 v6, 32, v3
	v_mov_b32_e32 v3, v113
	v_subrev_nc_u32_e32 v7, 29, v6
	v_sub_nc_u32_e32 v6, 30, v6
	s_delay_alu instid0(VALU_DEP_2) | instskip(NEXT) | instid1(VALU_DEP_1)
	v_lshlrev_b64_e32 v[30:31], v7, v[2:3]
	v_and_b32_e32 v3, 3, v30
.LBB6_5040:                             ;   in Loop: Header=BB6_4483 Depth=3
	s_or_b32 exec_lo, exec_lo, s75
	v_bfe_i32 v2, v2, 0, 16
	s_delay_alu instid0(VALU_DEP_1) | instskip(NEXT) | instid1(VALU_DEP_1)
	v_and_b32_e32 v2, 0x80000000, v2
	v_lshl_add_u32 v2, v6, 23, v2
	s_delay_alu instid0(VALU_DEP_1) | instskip(NEXT) | instid1(VALU_DEP_1)
	v_lshl_or_b32 v2, v3, 21, v2
                                        ; implicit-def: $vgpr3
	v_add_nc_u32_e32 v6, 0x38000000, v2
                                        ; implicit-def: $vgpr2
.LBB6_5041:                             ;   in Loop: Header=BB6_4483 Depth=3
	s_and_not1_saveexec_b32 s15, s15
; %bb.5042:                             ;   in Loop: Header=BB6_4483 Depth=3
	v_cmp_lt_i16_e32 vcc_lo, -1, v2
	v_mov_b32_e32 v2, 0x7f800000
	s_delay_alu instid0(VALU_DEP_1) | instskip(SKIP_1) | instid1(VALU_DEP_2)
	v_cndmask_b32_e32 v2, 0xff800000, v2, vcc_lo
	v_cmp_eq_u32_e32 vcc_lo, 0, v3
	v_cndmask_b32_e32 v6, 0x7f800001, v2, vcc_lo
; %bb.5043:                             ;   in Loop: Header=BB6_4483 Depth=3
	s_or_b32 exec_lo, exec_lo, s15
.LBB6_5044:                             ;   in Loop: Header=BB6_4483 Depth=3
	s_delay_alu instid0(SALU_CYCLE_1)
	s_or_b32 exec_lo, exec_lo, s14
.LBB6_5045:                             ;   in Loop: Header=BB6_4483 Depth=3
	s_delay_alu instid0(SALU_CYCLE_1) | instskip(NEXT) | instid1(VALU_DEP_1)
	s_or_b32 exec_lo, exec_lo, s13
	v_dual_mul_f32 v6, s74, v6 :: v_dual_mov_b32 v3, v113
                                        ; implicit-def: $vgpr30
	s_delay_alu instid0(VALU_DEP_1) | instskip(NEXT) | instid1(VALU_DEP_1)
	v_and_b32_e32 v2, 0x7f800000, v6
	v_cmp_ne_u64_e32 vcc_lo, 0x7f800000, v[2:3]
	v_and_b32_e32 v2, 0x7fffff, v6
	s_and_saveexec_b32 s13, vcc_lo
	s_delay_alu instid0(SALU_CYCLE_1)
	s_xor_b32 s14, exec_lo, s13
	s_cbranch_execz .LBB6_5063
; %bb.5046:                             ;   in Loop: Header=BB6_4483 Depth=3
	v_and_b32_e32 v30, 0x7fffffff, v6
	v_dual_mov_b32 v31, v113 :: v_dual_lshrrev_b32 v7, 24, v6
	s_delay_alu instid0(VALU_DEP_1) | instskip(NEXT) | instid1(VALU_DEP_2)
	v_cmp_gt_u64_e32 vcc_lo, 0x47600001, v[30:31]
	v_and_b32_e32 v31, 0x80, v7
                                        ; implicit-def: $vgpr30
	s_and_saveexec_b32 s13, vcc_lo
	s_delay_alu instid0(SALU_CYCLE_1)
	s_xor_b32 s15, exec_lo, s13
	s_cbranch_execz .LBB6_5060
; %bb.5047:                             ;   in Loop: Header=BB6_4483 Depth=3
	v_mov_b32_e32 v30, 0
	s_mov_b32 s75, exec_lo
	v_cmpx_ne_u32_e32 0, v6
	s_cbranch_execz .LBB6_5059
; %bb.5048:                             ;   in Loop: Header=BB6_4483 Depth=3
	v_bfe_u32 v30, v6, 23, 8
	v_or_b32_e32 v33, 0x800000, v2
	s_delay_alu instid0(VALU_DEP_2) | instskip(SKIP_1) | instid1(VALU_DEP_2)
	v_sub_nc_u32_e32 v6, 0x71, v30
	v_cmp_gt_u32_e32 vcc_lo, 0x72, v30
	v_cndmask_b32_e32 v6, 0, v6, vcc_lo
	v_cmp_eq_u32_e32 vcc_lo, 0, v30
	s_delay_alu instid0(VALU_DEP_2) | instskip(NEXT) | instid1(VALU_DEP_1)
	v_cndmask_b32_e64 v32, v6, 0x70, vcc_lo
	v_dual_cndmask_b32 v2, v33, v2, vcc_lo :: v_dual_add_nc_u32 v6, 21, v32
	v_add_nc_u32_e32 v34, 20, v32
	s_delay_alu instid0(VALU_DEP_2) | instskip(NEXT) | instid1(VALU_DEP_2)
	v_lshlrev_b64_e64 v[6:7], v6, -1
	v_lshlrev_b64_e64 v[34:35], v34, 1
	s_delay_alu instid0(VALU_DEP_2) | instskip(SKIP_1) | instid1(VALU_DEP_4)
	v_bfi_b32 v6, v6, 0, v2
	v_lshrrev_b64 v[2:3], v32, v[2:3]
	v_bfi_b32 v7, v7, 0, 0
	s_delay_alu instid0(VALU_DEP_1) | instskip(NEXT) | instid1(VALU_DEP_3)
	v_cmp_eq_u64_e64 s13, v[6:7], v[34:35]
	v_mov_b64_e32 v[6:7], v[2:3]
	s_and_saveexec_b32 s76, s13
; %bb.5049:                             ;   in Loop: Header=BB6_4483 Depth=3
	v_bfe_u32 v6, v2, 21, 1
	v_mov_b32_e32 v7, v113
	s_delay_alu instid0(VALU_DEP_1) | instskip(NEXT) | instid1(VALU_DEP_1)
	v_add_nc_u64_e32 v[6:7], v[2:3], v[6:7]
	v_add_nc_u64_e32 v[6:7], -1, v[6:7]
; %bb.5050:                             ;   in Loop: Header=BB6_4483 Depth=3
	s_or_b32 exec_lo, exec_lo, s76
	v_add_nc_u32_e32 v3, 0xffffff81, v30
	v_lshrrev_b32_e32 v7, 23, v2
	s_mov_b32 s13, exec_lo
	s_delay_alu instid0(VALU_DEP_2) | instskip(NEXT) | instid1(VALU_DEP_1)
	v_cndmask_b32_e64 v3, v3, 0xffffff82, vcc_lo
	v_add3_u32 v7, v32, v3, v7
	v_and_b32_e32 v3, 0x1fffff, v6
                                        ; implicit-def: $vgpr6
	s_delay_alu instid0(VALU_DEP_1) | instskip(SKIP_1) | instid1(VALU_DEP_2)
	v_dual_add_nc_u32 v30, 14, v7 :: v_dual_add_nc_u32 v2, v3, v2
	v_mov_b32_e32 v3, v113
	v_cmpx_ne_u32_e32 0, v30
	s_xor_b32 s13, exec_lo, s13
; %bb.5051:                             ;   in Loop: Header=BB6_4483 Depth=3
	s_delay_alu instid0(VALU_DEP_2) | instskip(SKIP_2) | instid1(VALU_DEP_2)
	v_cmp_lt_u64_e32 vcc_lo, 0xffffff, v[2:3]
	v_add_nc_u32_e32 v6, 15, v7
	v_cndmask_b32_e64 v7, 0, 1, vcc_lo
	v_cndmask_b32_e32 v6, v30, v6, vcc_lo
	s_delay_alu instid0(VALU_DEP_2)
	v_lshrrev_b64 v[2:3], v7, v[2:3]
; %bb.5052:                             ;   in Loop: Header=BB6_4483 Depth=3
	s_and_not1_saveexec_b32 s13, s13
; %bb.5053:                             ;   in Loop: Header=BB6_4483 Depth=3
	s_delay_alu instid0(VALU_DEP_1)
	v_bfe_u32 v6, v2, 23, 1
; %bb.5054:                             ;   in Loop: Header=BB6_4483 Depth=3
	s_or_b32 exec_lo, exec_lo, s13
	s_delay_alu instid0(VALU_DEP_2) | instskip(NEXT) | instid1(VALU_DEP_2)
	v_lshrrev_b64 v[2:3], 21, v[2:3]
	v_cmp_gt_i32_e32 vcc_lo, 32, v6
	v_cmp_ne_u32_e64 s13, 0, v6
                                        ; implicit-def: $vgpr30
	s_delay_alu instid0(VALU_DEP_3) | instskip(NEXT) | instid1(VALU_DEP_1)
	v_dual_cndmask_b32 v3, 0, v3 :: v_dual_cndmask_b32 v2, 3, v2
	v_cmp_ne_u64_e32 vcc_lo, 0, v[2:3]
	s_or_b32 s13, s13, vcc_lo
	s_delay_alu instid0(SALU_CYCLE_1) | instskip(NEXT) | instid1(SALU_CYCLE_1)
	s_and_saveexec_b32 s76, s13
	s_xor_b32 s13, exec_lo, s76
; %bb.5055:                             ;   in Loop: Header=BB6_4483 Depth=3
	v_min_i32_e32 v3, 31, v6
	s_delay_alu instid0(VALU_DEP_1) | instskip(NEXT) | instid1(VALU_DEP_1)
	v_lshl_or_b32 v3, v3, 2, v31
                                        ; implicit-def: $vgpr31
	v_and_or_b32 v30, v2, 3, v3
; %bb.5056:                             ;   in Loop: Header=BB6_4483 Depth=3
	s_and_not1_saveexec_b32 s13, s13
; %bb.5057:                             ;   in Loop: Header=BB6_4483 Depth=3
	v_mov_b32_e32 v30, v31
; %bb.5058:                             ;   in Loop: Header=BB6_4483 Depth=3
	s_or_b32 exec_lo, exec_lo, s13
.LBB6_5059:                             ;   in Loop: Header=BB6_4483 Depth=3
	s_delay_alu instid0(SALU_CYCLE_1)
	s_or_b32 exec_lo, exec_lo, s75
                                        ; implicit-def: $vgpr31
.LBB6_5060:                             ;   in Loop: Header=BB6_4483 Depth=3
	s_and_not1_saveexec_b32 s13, s15
; %bb.5061:                             ;   in Loop: Header=BB6_4483 Depth=3
	v_or_b32_e32 v30, 0x7b, v31
; %bb.5062:                             ;   in Loop: Header=BB6_4483 Depth=3
	s_or_b32 exec_lo, exec_lo, s13
                                        ; implicit-def: $vgpr6
                                        ; implicit-def: $vgpr2_vgpr3
.LBB6_5063:                             ;   in Loop: Header=BB6_4483 Depth=3
	s_and_not1_saveexec_b32 s13, s14
	s_cbranch_execz .LBB6_5069
; %bb.5064:                             ;   in Loop: Header=BB6_4483 Depth=3
	s_mov_b32 s14, exec_lo
                                        ; implicit-def: $vgpr30
	v_cmpx_ne_u64_e32 0, v[2:3]
	s_xor_b32 s14, exec_lo, s14
; %bb.5065:                             ;   in Loop: Header=BB6_4483 Depth=3
	v_lshrrev_b32_e32 v2, 24, v6
                                        ; implicit-def: $vgpr6
	s_delay_alu instid0(VALU_DEP_1)
	v_or_b32_e32 v30, 0x7f, v2
; %bb.5066:                             ;   in Loop: Header=BB6_4483 Depth=3
	s_and_not1_saveexec_b32 s14, s14
; %bb.5067:                             ;   in Loop: Header=BB6_4483 Depth=3
	v_cmp_lt_i32_e32 vcc_lo, -1, v6
	v_cndmask_b32_e64 v30, -4, 0x7c, vcc_lo
; %bb.5068:                             ;   in Loop: Header=BB6_4483 Depth=3
	s_or_b32 exec_lo, exec_lo, s14
.LBB6_5069:                             ;   in Loop: Header=BB6_4483 Depth=3
	s_delay_alu instid0(SALU_CYCLE_1)
	s_or_b32 exec_lo, exec_lo, s13
	flat_load_i8 v2, v[0:1] offset:544 th:TH_LOAD_NT
	v_mov_b32_e32 v6, 0
	s_mov_b32 s13, exec_lo
	s_wait_loadcnt_dscnt 0x0
	s_wait_xcnt 0x0
	v_cmpx_ne_u16_e32 0, v2
	s_cbranch_execz .LBB6_5079
; %bb.5070:                             ;   in Loop: Header=BB6_4483 Depth=3
	v_bfrev_b32_e32 v6, 1
	s_mov_b32 s14, exec_lo
	v_cmpx_ne_u16_e32 0xff80, v2
	s_cbranch_execz .LBB6_5078
; %bb.5071:                             ;   in Loop: Header=BB6_4483 Depth=3
	v_and_b32_e32 v6, 0x7c, v2
	v_and_b32_e32 v3, 3, v2
	s_delay_alu instid0(VALU_DEP_2) | instskip(SKIP_1) | instid1(SALU_CYCLE_1)
	v_cmp_ne_u32_e32 vcc_lo, 0x7c, v6
                                        ; implicit-def: $vgpr6
	s_and_saveexec_b32 s15, vcc_lo
	s_xor_b32 s15, exec_lo, s15
	s_cbranch_execz .LBB6_5075
; %bb.5072:                             ;   in Loop: Header=BB6_4483 Depth=3
	v_and_b32_e32 v6, 0xff, v2
	s_mov_b32 s75, exec_lo
	s_delay_alu instid0(VALU_DEP_1) | instskip(NEXT) | instid1(VALU_DEP_1)
	v_bfe_u32 v6, v6, 2, 5
	v_cmpx_eq_u32_e32 0, v6
	s_cbranch_execz .LBB6_5074
; %bb.5073:                             ;   in Loop: Header=BB6_4483 Depth=3
	v_clz_i32_u32_e32 v3, v3
	s_delay_alu instid0(VALU_DEP_1) | instskip(SKIP_1) | instid1(VALU_DEP_2)
	v_min_u32_e32 v6, 32, v3
	v_mov_b32_e32 v3, v113
	v_subrev_nc_u32_e32 v7, 29, v6
	v_sub_nc_u32_e32 v6, 30, v6
	s_delay_alu instid0(VALU_DEP_2) | instskip(NEXT) | instid1(VALU_DEP_1)
	v_lshlrev_b64_e32 v[32:33], v7, v[2:3]
	v_and_b32_e32 v3, 3, v32
.LBB6_5074:                             ;   in Loop: Header=BB6_4483 Depth=3
	s_or_b32 exec_lo, exec_lo, s75
	v_bfe_i32 v2, v2, 0, 16
	s_delay_alu instid0(VALU_DEP_1) | instskip(NEXT) | instid1(VALU_DEP_1)
	v_and_b32_e32 v2, 0x80000000, v2
	v_lshl_add_u32 v2, v6, 23, v2
	s_delay_alu instid0(VALU_DEP_1) | instskip(NEXT) | instid1(VALU_DEP_1)
	v_lshl_or_b32 v2, v3, 21, v2
                                        ; implicit-def: $vgpr3
	v_add_nc_u32_e32 v6, 0x38000000, v2
                                        ; implicit-def: $vgpr2
.LBB6_5075:                             ;   in Loop: Header=BB6_4483 Depth=3
	s_and_not1_saveexec_b32 s15, s15
; %bb.5076:                             ;   in Loop: Header=BB6_4483 Depth=3
	v_cmp_lt_i16_e32 vcc_lo, -1, v2
	v_mov_b32_e32 v2, 0x7f800000
	s_delay_alu instid0(VALU_DEP_1) | instskip(SKIP_1) | instid1(VALU_DEP_2)
	v_cndmask_b32_e32 v2, 0xff800000, v2, vcc_lo
	v_cmp_eq_u32_e32 vcc_lo, 0, v3
	v_cndmask_b32_e32 v6, 0x7f800001, v2, vcc_lo
; %bb.5077:                             ;   in Loop: Header=BB6_4483 Depth=3
	s_or_b32 exec_lo, exec_lo, s15
.LBB6_5078:                             ;   in Loop: Header=BB6_4483 Depth=3
	s_delay_alu instid0(SALU_CYCLE_1)
	s_or_b32 exec_lo, exec_lo, s14
.LBB6_5079:                             ;   in Loop: Header=BB6_4483 Depth=3
	s_delay_alu instid0(SALU_CYCLE_1) | instskip(NEXT) | instid1(VALU_DEP_1)
	s_or_b32 exec_lo, exec_lo, s13
	v_dual_mul_f32 v6, s74, v6 :: v_dual_mov_b32 v3, v113
                                        ; implicit-def: $vgpr31
	s_delay_alu instid0(VALU_DEP_1) | instskip(NEXT) | instid1(VALU_DEP_1)
	v_and_b32_e32 v2, 0x7f800000, v6
	v_cmp_ne_u64_e32 vcc_lo, 0x7f800000, v[2:3]
	v_and_b32_e32 v2, 0x7fffff, v6
	s_and_saveexec_b32 s13, vcc_lo
	s_delay_alu instid0(SALU_CYCLE_1)
	s_xor_b32 s14, exec_lo, s13
	s_cbranch_execz .LBB6_5097
; %bb.5080:                             ;   in Loop: Header=BB6_4483 Depth=3
	v_and_b32_e32 v32, 0x7fffffff, v6
	v_dual_mov_b32 v33, v113 :: v_dual_lshrrev_b32 v7, 24, v6
                                        ; implicit-def: $vgpr31
	s_delay_alu instid0(VALU_DEP_1) | instskip(NEXT) | instid1(VALU_DEP_2)
	v_cmp_gt_u64_e32 vcc_lo, 0x47600001, v[32:33]
	v_and_b32_e32 v32, 0x80, v7
	s_and_saveexec_b32 s13, vcc_lo
	s_delay_alu instid0(SALU_CYCLE_1)
	s_xor_b32 s15, exec_lo, s13
	s_cbranch_execz .LBB6_5094
; %bb.5081:                             ;   in Loop: Header=BB6_4483 Depth=3
	v_mov_b32_e32 v31, 0
	s_mov_b32 s75, exec_lo
	v_cmpx_ne_u32_e32 0, v6
	s_cbranch_execz .LBB6_5093
; %bb.5082:                             ;   in Loop: Header=BB6_4483 Depth=3
	v_bfe_u32 v31, v6, 23, 8
	v_or_b32_e32 v34, 0x800000, v2
	s_delay_alu instid0(VALU_DEP_2) | instskip(SKIP_1) | instid1(VALU_DEP_2)
	v_sub_nc_u32_e32 v6, 0x71, v31
	v_cmp_gt_u32_e32 vcc_lo, 0x72, v31
	v_cndmask_b32_e32 v6, 0, v6, vcc_lo
	v_cmp_eq_u32_e32 vcc_lo, 0, v31
	s_delay_alu instid0(VALU_DEP_2) | instskip(NEXT) | instid1(VALU_DEP_1)
	v_cndmask_b32_e64 v33, v6, 0x70, vcc_lo
	v_dual_cndmask_b32 v2, v34, v2, vcc_lo :: v_dual_add_nc_u32 v6, 21, v33
	v_add_nc_u32_e32 v35, 20, v33
	s_delay_alu instid0(VALU_DEP_2) | instskip(NEXT) | instid1(VALU_DEP_2)
	v_lshlrev_b64_e64 v[6:7], v6, -1
	v_lshlrev_b64_e64 v[34:35], v35, 1
	s_delay_alu instid0(VALU_DEP_2) | instskip(SKIP_1) | instid1(VALU_DEP_4)
	v_bfi_b32 v6, v6, 0, v2
	v_lshrrev_b64 v[2:3], v33, v[2:3]
	v_bfi_b32 v7, v7, 0, 0
	s_delay_alu instid0(VALU_DEP_1) | instskip(NEXT) | instid1(VALU_DEP_3)
	v_cmp_eq_u64_e64 s13, v[6:7], v[34:35]
	v_mov_b64_e32 v[6:7], v[2:3]
	s_and_saveexec_b32 s76, s13
; %bb.5083:                             ;   in Loop: Header=BB6_4483 Depth=3
	v_bfe_u32 v6, v2, 21, 1
	v_mov_b32_e32 v7, v113
	s_delay_alu instid0(VALU_DEP_1) | instskip(NEXT) | instid1(VALU_DEP_1)
	v_add_nc_u64_e32 v[6:7], v[2:3], v[6:7]
	v_add_nc_u64_e32 v[6:7], -1, v[6:7]
; %bb.5084:                             ;   in Loop: Header=BB6_4483 Depth=3
	s_or_b32 exec_lo, exec_lo, s76
	v_add_nc_u32_e32 v3, 0xffffff81, v31
	v_lshrrev_b32_e32 v7, 23, v2
	s_mov_b32 s13, exec_lo
	s_delay_alu instid0(VALU_DEP_2) | instskip(NEXT) | instid1(VALU_DEP_1)
	v_cndmask_b32_e64 v3, v3, 0xffffff82, vcc_lo
	v_add3_u32 v7, v33, v3, v7
	v_and_b32_e32 v3, 0x1fffff, v6
                                        ; implicit-def: $vgpr6
	s_delay_alu instid0(VALU_DEP_1) | instskip(SKIP_1) | instid1(VALU_DEP_2)
	v_dual_add_nc_u32 v31, 14, v7 :: v_dual_add_nc_u32 v2, v3, v2
	v_mov_b32_e32 v3, v113
	v_cmpx_ne_u32_e32 0, v31
	s_xor_b32 s13, exec_lo, s13
; %bb.5085:                             ;   in Loop: Header=BB6_4483 Depth=3
	s_delay_alu instid0(VALU_DEP_2) | instskip(SKIP_2) | instid1(VALU_DEP_2)
	v_cmp_lt_u64_e32 vcc_lo, 0xffffff, v[2:3]
	v_add_nc_u32_e32 v6, 15, v7
	v_cndmask_b32_e64 v7, 0, 1, vcc_lo
	v_cndmask_b32_e32 v6, v31, v6, vcc_lo
	s_delay_alu instid0(VALU_DEP_2)
	v_lshrrev_b64 v[2:3], v7, v[2:3]
; %bb.5086:                             ;   in Loop: Header=BB6_4483 Depth=3
	s_and_not1_saveexec_b32 s13, s13
; %bb.5087:                             ;   in Loop: Header=BB6_4483 Depth=3
	s_delay_alu instid0(VALU_DEP_1)
	v_bfe_u32 v6, v2, 23, 1
; %bb.5088:                             ;   in Loop: Header=BB6_4483 Depth=3
	s_or_b32 exec_lo, exec_lo, s13
	s_delay_alu instid0(VALU_DEP_2) | instskip(NEXT) | instid1(VALU_DEP_2)
	v_lshrrev_b64 v[2:3], 21, v[2:3]
	v_cmp_gt_i32_e32 vcc_lo, 32, v6
	v_cmp_ne_u32_e64 s13, 0, v6
                                        ; implicit-def: $vgpr31
	s_delay_alu instid0(VALU_DEP_3) | instskip(NEXT) | instid1(VALU_DEP_1)
	v_dual_cndmask_b32 v3, 0, v3 :: v_dual_cndmask_b32 v2, 3, v2
	v_cmp_ne_u64_e32 vcc_lo, 0, v[2:3]
	s_or_b32 s13, s13, vcc_lo
	s_delay_alu instid0(SALU_CYCLE_1) | instskip(NEXT) | instid1(SALU_CYCLE_1)
	s_and_saveexec_b32 s76, s13
	s_xor_b32 s13, exec_lo, s76
; %bb.5089:                             ;   in Loop: Header=BB6_4483 Depth=3
	v_min_i32_e32 v3, 31, v6
	s_delay_alu instid0(VALU_DEP_1) | instskip(NEXT) | instid1(VALU_DEP_1)
	v_lshl_or_b32 v3, v3, 2, v32
                                        ; implicit-def: $vgpr32
	v_and_or_b32 v31, v2, 3, v3
; %bb.5090:                             ;   in Loop: Header=BB6_4483 Depth=3
	s_and_not1_saveexec_b32 s13, s13
; %bb.5091:                             ;   in Loop: Header=BB6_4483 Depth=3
	v_mov_b32_e32 v31, v32
; %bb.5092:                             ;   in Loop: Header=BB6_4483 Depth=3
	s_or_b32 exec_lo, exec_lo, s13
.LBB6_5093:                             ;   in Loop: Header=BB6_4483 Depth=3
	s_delay_alu instid0(SALU_CYCLE_1)
	s_or_b32 exec_lo, exec_lo, s75
                                        ; implicit-def: $vgpr32
.LBB6_5094:                             ;   in Loop: Header=BB6_4483 Depth=3
	s_and_not1_saveexec_b32 s13, s15
; %bb.5095:                             ;   in Loop: Header=BB6_4483 Depth=3
	v_or_b32_e32 v31, 0x7b, v32
; %bb.5096:                             ;   in Loop: Header=BB6_4483 Depth=3
	s_or_b32 exec_lo, exec_lo, s13
                                        ; implicit-def: $vgpr6
                                        ; implicit-def: $vgpr2_vgpr3
.LBB6_5097:                             ;   in Loop: Header=BB6_4483 Depth=3
	s_and_not1_saveexec_b32 s13, s14
	s_cbranch_execz .LBB6_5103
; %bb.5098:                             ;   in Loop: Header=BB6_4483 Depth=3
	s_mov_b32 s14, exec_lo
                                        ; implicit-def: $vgpr31
	v_cmpx_ne_u64_e32 0, v[2:3]
	s_xor_b32 s14, exec_lo, s14
; %bb.5099:                             ;   in Loop: Header=BB6_4483 Depth=3
	v_lshrrev_b32_e32 v2, 24, v6
                                        ; implicit-def: $vgpr6
	s_delay_alu instid0(VALU_DEP_1)
	v_or_b32_e32 v31, 0x7f, v2
; %bb.5100:                             ;   in Loop: Header=BB6_4483 Depth=3
	s_and_not1_saveexec_b32 s14, s14
; %bb.5101:                             ;   in Loop: Header=BB6_4483 Depth=3
	v_cmp_lt_i32_e32 vcc_lo, -1, v6
	v_cndmask_b32_e64 v31, -4, 0x7c, vcc_lo
; %bb.5102:                             ;   in Loop: Header=BB6_4483 Depth=3
	s_or_b32 exec_lo, exec_lo, s14
.LBB6_5103:                             ;   in Loop: Header=BB6_4483 Depth=3
	s_delay_alu instid0(SALU_CYCLE_1)
	s_or_b32 exec_lo, exec_lo, s13
	flat_load_i8 v2, v[0:1] offset:576 th:TH_LOAD_NT
	v_mov_b32_e32 v6, 0
	s_mov_b32 s13, exec_lo
	s_wait_loadcnt_dscnt 0x0
	s_wait_xcnt 0x0
	v_cmpx_ne_u16_e32 0, v2
	s_cbranch_execz .LBB6_5113
; %bb.5104:                             ;   in Loop: Header=BB6_4483 Depth=3
	v_bfrev_b32_e32 v6, 1
	s_mov_b32 s14, exec_lo
	v_cmpx_ne_u16_e32 0xff80, v2
	s_cbranch_execz .LBB6_5112
; %bb.5105:                             ;   in Loop: Header=BB6_4483 Depth=3
	v_and_b32_e32 v6, 0x7c, v2
	v_and_b32_e32 v3, 3, v2
	s_delay_alu instid0(VALU_DEP_2) | instskip(SKIP_1) | instid1(SALU_CYCLE_1)
	v_cmp_ne_u32_e32 vcc_lo, 0x7c, v6
                                        ; implicit-def: $vgpr6
	s_and_saveexec_b32 s15, vcc_lo
	s_xor_b32 s15, exec_lo, s15
	s_cbranch_execz .LBB6_5109
; %bb.5106:                             ;   in Loop: Header=BB6_4483 Depth=3
	v_and_b32_e32 v6, 0xff, v2
	s_mov_b32 s75, exec_lo
	s_delay_alu instid0(VALU_DEP_1) | instskip(NEXT) | instid1(VALU_DEP_1)
	v_bfe_u32 v6, v6, 2, 5
	v_cmpx_eq_u32_e32 0, v6
	s_cbranch_execz .LBB6_5108
; %bb.5107:                             ;   in Loop: Header=BB6_4483 Depth=3
	v_clz_i32_u32_e32 v3, v3
	s_delay_alu instid0(VALU_DEP_1) | instskip(SKIP_1) | instid1(VALU_DEP_2)
	v_min_u32_e32 v6, 32, v3
	v_mov_b32_e32 v3, v113
	v_subrev_nc_u32_e32 v7, 29, v6
	v_sub_nc_u32_e32 v6, 30, v6
	s_delay_alu instid0(VALU_DEP_2) | instskip(NEXT) | instid1(VALU_DEP_1)
	v_lshlrev_b64_e32 v[32:33], v7, v[2:3]
	v_and_b32_e32 v3, 3, v32
.LBB6_5108:                             ;   in Loop: Header=BB6_4483 Depth=3
	s_or_b32 exec_lo, exec_lo, s75
	v_bfe_i32 v2, v2, 0, 16
	s_delay_alu instid0(VALU_DEP_1) | instskip(NEXT) | instid1(VALU_DEP_1)
	v_and_b32_e32 v2, 0x80000000, v2
	v_lshl_add_u32 v2, v6, 23, v2
	s_delay_alu instid0(VALU_DEP_1) | instskip(NEXT) | instid1(VALU_DEP_1)
	v_lshl_or_b32 v2, v3, 21, v2
                                        ; implicit-def: $vgpr3
	v_add_nc_u32_e32 v6, 0x38000000, v2
                                        ; implicit-def: $vgpr2
.LBB6_5109:                             ;   in Loop: Header=BB6_4483 Depth=3
	s_and_not1_saveexec_b32 s15, s15
; %bb.5110:                             ;   in Loop: Header=BB6_4483 Depth=3
	v_cmp_lt_i16_e32 vcc_lo, -1, v2
	v_mov_b32_e32 v2, 0x7f800000
	s_delay_alu instid0(VALU_DEP_1) | instskip(SKIP_1) | instid1(VALU_DEP_2)
	v_cndmask_b32_e32 v2, 0xff800000, v2, vcc_lo
	v_cmp_eq_u32_e32 vcc_lo, 0, v3
	v_cndmask_b32_e32 v6, 0x7f800001, v2, vcc_lo
; %bb.5111:                             ;   in Loop: Header=BB6_4483 Depth=3
	s_or_b32 exec_lo, exec_lo, s15
.LBB6_5112:                             ;   in Loop: Header=BB6_4483 Depth=3
	s_delay_alu instid0(SALU_CYCLE_1)
	s_or_b32 exec_lo, exec_lo, s14
.LBB6_5113:                             ;   in Loop: Header=BB6_4483 Depth=3
	s_delay_alu instid0(SALU_CYCLE_1) | instskip(NEXT) | instid1(VALU_DEP_1)
	s_or_b32 exec_lo, exec_lo, s13
	v_dual_mul_f32 v6, s74, v6 :: v_dual_mov_b32 v3, v113
                                        ; implicit-def: $vgpr32
	s_delay_alu instid0(VALU_DEP_1) | instskip(NEXT) | instid1(VALU_DEP_1)
	v_and_b32_e32 v2, 0x7f800000, v6
	v_cmp_ne_u64_e32 vcc_lo, 0x7f800000, v[2:3]
	v_and_b32_e32 v2, 0x7fffff, v6
	s_and_saveexec_b32 s13, vcc_lo
	s_delay_alu instid0(SALU_CYCLE_1)
	s_xor_b32 s14, exec_lo, s13
	s_cbranch_execz .LBB6_5131
; %bb.5114:                             ;   in Loop: Header=BB6_4483 Depth=3
	v_and_b32_e32 v32, 0x7fffffff, v6
	v_dual_mov_b32 v33, v113 :: v_dual_lshrrev_b32 v7, 24, v6
	s_delay_alu instid0(VALU_DEP_1) | instskip(NEXT) | instid1(VALU_DEP_2)
	v_cmp_gt_u64_e32 vcc_lo, 0x47600001, v[32:33]
	v_and_b32_e32 v33, 0x80, v7
                                        ; implicit-def: $vgpr32
	s_and_saveexec_b32 s13, vcc_lo
	s_delay_alu instid0(SALU_CYCLE_1)
	s_xor_b32 s15, exec_lo, s13
	s_cbranch_execz .LBB6_5128
; %bb.5115:                             ;   in Loop: Header=BB6_4483 Depth=3
	v_mov_b32_e32 v32, 0
	s_mov_b32 s75, exec_lo
	v_cmpx_ne_u32_e32 0, v6
	s_cbranch_execz .LBB6_5127
; %bb.5116:                             ;   in Loop: Header=BB6_4483 Depth=3
	v_bfe_u32 v32, v6, 23, 8
	v_or_b32_e32 v35, 0x800000, v2
	s_delay_alu instid0(VALU_DEP_2) | instskip(SKIP_1) | instid1(VALU_DEP_2)
	v_sub_nc_u32_e32 v6, 0x71, v32
	v_cmp_gt_u32_e32 vcc_lo, 0x72, v32
	v_cndmask_b32_e32 v6, 0, v6, vcc_lo
	v_cmp_eq_u32_e32 vcc_lo, 0, v32
	s_delay_alu instid0(VALU_DEP_2) | instskip(SKIP_1) | instid1(VALU_DEP_2)
	v_cndmask_b32_e64 v34, v6, 0x70, vcc_lo
	v_cndmask_b32_e32 v2, v35, v2, vcc_lo
	v_dual_add_nc_u32 v6, 21, v34 :: v_dual_add_nc_u32 v36, 20, v34
	s_delay_alu instid0(VALU_DEP_1) | instskip(NEXT) | instid1(VALU_DEP_2)
	v_lshlrev_b64_e64 v[6:7], v6, -1
	v_lshlrev_b64_e64 v[36:37], v36, 1
	s_delay_alu instid0(VALU_DEP_2) | instskip(SKIP_1) | instid1(VALU_DEP_4)
	v_bfi_b32 v6, v6, 0, v2
	v_lshrrev_b64 v[2:3], v34, v[2:3]
	v_bfi_b32 v7, v7, 0, 0
	s_delay_alu instid0(VALU_DEP_1) | instskip(NEXT) | instid1(VALU_DEP_3)
	v_cmp_eq_u64_e64 s13, v[6:7], v[36:37]
	v_mov_b64_e32 v[6:7], v[2:3]
	s_and_saveexec_b32 s76, s13
; %bb.5117:                             ;   in Loop: Header=BB6_4483 Depth=3
	v_bfe_u32 v6, v2, 21, 1
	v_mov_b32_e32 v7, v113
	s_delay_alu instid0(VALU_DEP_1) | instskip(NEXT) | instid1(VALU_DEP_1)
	v_add_nc_u64_e32 v[6:7], v[2:3], v[6:7]
	v_add_nc_u64_e32 v[6:7], -1, v[6:7]
; %bb.5118:                             ;   in Loop: Header=BB6_4483 Depth=3
	s_or_b32 exec_lo, exec_lo, s76
	v_add_nc_u32_e32 v3, 0xffffff81, v32
	v_lshrrev_b32_e32 v7, 23, v2
	s_mov_b32 s13, exec_lo
	s_delay_alu instid0(VALU_DEP_2) | instskip(NEXT) | instid1(VALU_DEP_1)
	v_cndmask_b32_e64 v3, v3, 0xffffff82, vcc_lo
	v_add3_u32 v7, v34, v3, v7
	v_and_b32_e32 v3, 0x1fffff, v6
                                        ; implicit-def: $vgpr6
	s_delay_alu instid0(VALU_DEP_1) | instskip(SKIP_1) | instid1(VALU_DEP_2)
	v_dual_add_nc_u32 v32, 14, v7 :: v_dual_add_nc_u32 v2, v3, v2
	v_mov_b32_e32 v3, v113
	v_cmpx_ne_u32_e32 0, v32
	s_xor_b32 s13, exec_lo, s13
; %bb.5119:                             ;   in Loop: Header=BB6_4483 Depth=3
	s_delay_alu instid0(VALU_DEP_2) | instskip(SKIP_2) | instid1(VALU_DEP_2)
	v_cmp_lt_u64_e32 vcc_lo, 0xffffff, v[2:3]
	v_add_nc_u32_e32 v6, 15, v7
	v_cndmask_b32_e64 v7, 0, 1, vcc_lo
	v_cndmask_b32_e32 v6, v32, v6, vcc_lo
	s_delay_alu instid0(VALU_DEP_2)
	v_lshrrev_b64 v[2:3], v7, v[2:3]
; %bb.5120:                             ;   in Loop: Header=BB6_4483 Depth=3
	s_and_not1_saveexec_b32 s13, s13
; %bb.5121:                             ;   in Loop: Header=BB6_4483 Depth=3
	s_delay_alu instid0(VALU_DEP_1)
	v_bfe_u32 v6, v2, 23, 1
; %bb.5122:                             ;   in Loop: Header=BB6_4483 Depth=3
	s_or_b32 exec_lo, exec_lo, s13
	s_delay_alu instid0(VALU_DEP_2) | instskip(NEXT) | instid1(VALU_DEP_2)
	v_lshrrev_b64 v[2:3], 21, v[2:3]
	v_cmp_gt_i32_e32 vcc_lo, 32, v6
	v_cmp_ne_u32_e64 s13, 0, v6
                                        ; implicit-def: $vgpr32
	s_delay_alu instid0(VALU_DEP_3) | instskip(NEXT) | instid1(VALU_DEP_1)
	v_dual_cndmask_b32 v3, 0, v3 :: v_dual_cndmask_b32 v2, 3, v2
	v_cmp_ne_u64_e32 vcc_lo, 0, v[2:3]
	s_or_b32 s13, s13, vcc_lo
	s_delay_alu instid0(SALU_CYCLE_1) | instskip(NEXT) | instid1(SALU_CYCLE_1)
	s_and_saveexec_b32 s76, s13
	s_xor_b32 s13, exec_lo, s76
; %bb.5123:                             ;   in Loop: Header=BB6_4483 Depth=3
	v_min_i32_e32 v3, 31, v6
	s_delay_alu instid0(VALU_DEP_1) | instskip(NEXT) | instid1(VALU_DEP_1)
	v_lshl_or_b32 v3, v3, 2, v33
                                        ; implicit-def: $vgpr33
	v_and_or_b32 v32, v2, 3, v3
; %bb.5124:                             ;   in Loop: Header=BB6_4483 Depth=3
	s_and_not1_saveexec_b32 s13, s13
; %bb.5125:                             ;   in Loop: Header=BB6_4483 Depth=3
	v_mov_b32_e32 v32, v33
; %bb.5126:                             ;   in Loop: Header=BB6_4483 Depth=3
	s_or_b32 exec_lo, exec_lo, s13
.LBB6_5127:                             ;   in Loop: Header=BB6_4483 Depth=3
	s_delay_alu instid0(SALU_CYCLE_1)
	s_or_b32 exec_lo, exec_lo, s75
                                        ; implicit-def: $vgpr33
.LBB6_5128:                             ;   in Loop: Header=BB6_4483 Depth=3
	s_and_not1_saveexec_b32 s13, s15
; %bb.5129:                             ;   in Loop: Header=BB6_4483 Depth=3
	v_or_b32_e32 v32, 0x7b, v33
; %bb.5130:                             ;   in Loop: Header=BB6_4483 Depth=3
	s_or_b32 exec_lo, exec_lo, s13
                                        ; implicit-def: $vgpr6
                                        ; implicit-def: $vgpr2_vgpr3
.LBB6_5131:                             ;   in Loop: Header=BB6_4483 Depth=3
	s_and_not1_saveexec_b32 s13, s14
	s_cbranch_execz .LBB6_5137
; %bb.5132:                             ;   in Loop: Header=BB6_4483 Depth=3
	s_mov_b32 s14, exec_lo
                                        ; implicit-def: $vgpr32
	v_cmpx_ne_u64_e32 0, v[2:3]
	s_xor_b32 s14, exec_lo, s14
; %bb.5133:                             ;   in Loop: Header=BB6_4483 Depth=3
	v_lshrrev_b32_e32 v2, 24, v6
                                        ; implicit-def: $vgpr6
	s_delay_alu instid0(VALU_DEP_1)
	v_or_b32_e32 v32, 0x7f, v2
; %bb.5134:                             ;   in Loop: Header=BB6_4483 Depth=3
	s_and_not1_saveexec_b32 s14, s14
; %bb.5135:                             ;   in Loop: Header=BB6_4483 Depth=3
	v_cmp_lt_i32_e32 vcc_lo, -1, v6
	v_cndmask_b32_e64 v32, -4, 0x7c, vcc_lo
; %bb.5136:                             ;   in Loop: Header=BB6_4483 Depth=3
	s_or_b32 exec_lo, exec_lo, s14
.LBB6_5137:                             ;   in Loop: Header=BB6_4483 Depth=3
	s_delay_alu instid0(SALU_CYCLE_1)
	s_or_b32 exec_lo, exec_lo, s13
	flat_load_i8 v2, v[0:1] offset:608 th:TH_LOAD_NT
	v_mov_b32_e32 v6, 0
	s_mov_b32 s13, exec_lo
	s_wait_loadcnt_dscnt 0x0
	s_wait_xcnt 0x0
	v_cmpx_ne_u16_e32 0, v2
	s_cbranch_execz .LBB6_5147
; %bb.5138:                             ;   in Loop: Header=BB6_4483 Depth=3
	v_bfrev_b32_e32 v6, 1
	s_mov_b32 s14, exec_lo
	v_cmpx_ne_u16_e32 0xff80, v2
	s_cbranch_execz .LBB6_5146
; %bb.5139:                             ;   in Loop: Header=BB6_4483 Depth=3
	v_and_b32_e32 v6, 0x7c, v2
	v_and_b32_e32 v3, 3, v2
	s_delay_alu instid0(VALU_DEP_2) | instskip(SKIP_1) | instid1(SALU_CYCLE_1)
	v_cmp_ne_u32_e32 vcc_lo, 0x7c, v6
                                        ; implicit-def: $vgpr6
	s_and_saveexec_b32 s15, vcc_lo
	s_xor_b32 s15, exec_lo, s15
	s_cbranch_execz .LBB6_5143
; %bb.5140:                             ;   in Loop: Header=BB6_4483 Depth=3
	v_and_b32_e32 v6, 0xff, v2
	s_mov_b32 s75, exec_lo
	s_delay_alu instid0(VALU_DEP_1) | instskip(NEXT) | instid1(VALU_DEP_1)
	v_bfe_u32 v6, v6, 2, 5
	v_cmpx_eq_u32_e32 0, v6
	s_cbranch_execz .LBB6_5142
; %bb.5141:                             ;   in Loop: Header=BB6_4483 Depth=3
	v_clz_i32_u32_e32 v3, v3
	s_delay_alu instid0(VALU_DEP_1) | instskip(SKIP_1) | instid1(VALU_DEP_2)
	v_min_u32_e32 v6, 32, v3
	v_mov_b32_e32 v3, v113
	v_subrev_nc_u32_e32 v7, 29, v6
	v_sub_nc_u32_e32 v6, 30, v6
	s_delay_alu instid0(VALU_DEP_2) | instskip(NEXT) | instid1(VALU_DEP_1)
	v_lshlrev_b64_e32 v[34:35], v7, v[2:3]
	v_and_b32_e32 v3, 3, v34
.LBB6_5142:                             ;   in Loop: Header=BB6_4483 Depth=3
	s_or_b32 exec_lo, exec_lo, s75
	v_bfe_i32 v2, v2, 0, 16
	s_delay_alu instid0(VALU_DEP_1) | instskip(NEXT) | instid1(VALU_DEP_1)
	v_and_b32_e32 v2, 0x80000000, v2
	v_lshl_add_u32 v2, v6, 23, v2
	s_delay_alu instid0(VALU_DEP_1) | instskip(NEXT) | instid1(VALU_DEP_1)
	v_lshl_or_b32 v2, v3, 21, v2
                                        ; implicit-def: $vgpr3
	v_add_nc_u32_e32 v6, 0x38000000, v2
                                        ; implicit-def: $vgpr2
.LBB6_5143:                             ;   in Loop: Header=BB6_4483 Depth=3
	s_and_not1_saveexec_b32 s15, s15
; %bb.5144:                             ;   in Loop: Header=BB6_4483 Depth=3
	v_cmp_lt_i16_e32 vcc_lo, -1, v2
	v_mov_b32_e32 v2, 0x7f800000
	s_delay_alu instid0(VALU_DEP_1) | instskip(SKIP_1) | instid1(VALU_DEP_2)
	v_cndmask_b32_e32 v2, 0xff800000, v2, vcc_lo
	v_cmp_eq_u32_e32 vcc_lo, 0, v3
	v_cndmask_b32_e32 v6, 0x7f800001, v2, vcc_lo
; %bb.5145:                             ;   in Loop: Header=BB6_4483 Depth=3
	s_or_b32 exec_lo, exec_lo, s15
.LBB6_5146:                             ;   in Loop: Header=BB6_4483 Depth=3
	s_delay_alu instid0(SALU_CYCLE_1)
	s_or_b32 exec_lo, exec_lo, s14
.LBB6_5147:                             ;   in Loop: Header=BB6_4483 Depth=3
	s_delay_alu instid0(SALU_CYCLE_1) | instskip(NEXT) | instid1(VALU_DEP_1)
	s_or_b32 exec_lo, exec_lo, s13
	v_dual_mul_f32 v6, s74, v6 :: v_dual_mov_b32 v3, v113
                                        ; implicit-def: $vgpr33
	s_delay_alu instid0(VALU_DEP_1) | instskip(NEXT) | instid1(VALU_DEP_1)
	v_and_b32_e32 v2, 0x7f800000, v6
	v_cmp_ne_u64_e32 vcc_lo, 0x7f800000, v[2:3]
	v_and_b32_e32 v2, 0x7fffff, v6
	s_and_saveexec_b32 s13, vcc_lo
	s_delay_alu instid0(SALU_CYCLE_1)
	s_xor_b32 s14, exec_lo, s13
	s_cbranch_execz .LBB6_5165
; %bb.5148:                             ;   in Loop: Header=BB6_4483 Depth=3
	v_and_b32_e32 v34, 0x7fffffff, v6
	v_dual_mov_b32 v35, v113 :: v_dual_lshrrev_b32 v7, 24, v6
                                        ; implicit-def: $vgpr33
	s_delay_alu instid0(VALU_DEP_1) | instskip(NEXT) | instid1(VALU_DEP_2)
	v_cmp_gt_u64_e32 vcc_lo, 0x47600001, v[34:35]
	v_and_b32_e32 v34, 0x80, v7
	s_and_saveexec_b32 s13, vcc_lo
	s_delay_alu instid0(SALU_CYCLE_1)
	s_xor_b32 s15, exec_lo, s13
	s_cbranch_execz .LBB6_5162
; %bb.5149:                             ;   in Loop: Header=BB6_4483 Depth=3
	v_mov_b32_e32 v33, 0
	s_mov_b32 s75, exec_lo
	v_cmpx_ne_u32_e32 0, v6
	s_cbranch_execz .LBB6_5161
; %bb.5150:                             ;   in Loop: Header=BB6_4483 Depth=3
	v_bfe_u32 v33, v6, 23, 8
	v_or_b32_e32 v36, 0x800000, v2
	s_delay_alu instid0(VALU_DEP_2) | instskip(SKIP_1) | instid1(VALU_DEP_2)
	v_sub_nc_u32_e32 v6, 0x71, v33
	v_cmp_gt_u32_e32 vcc_lo, 0x72, v33
	v_cndmask_b32_e32 v6, 0, v6, vcc_lo
	v_cmp_eq_u32_e32 vcc_lo, 0, v33
	s_delay_alu instid0(VALU_DEP_2) | instskip(NEXT) | instid1(VALU_DEP_1)
	v_cndmask_b32_e64 v35, v6, 0x70, vcc_lo
	v_dual_cndmask_b32 v2, v36, v2, vcc_lo :: v_dual_add_nc_u32 v6, 21, v35
	v_add_nc_u32_e32 v37, 20, v35
	s_delay_alu instid0(VALU_DEP_2) | instskip(NEXT) | instid1(VALU_DEP_2)
	v_lshlrev_b64_e64 v[6:7], v6, -1
	v_lshlrev_b64_e64 v[36:37], v37, 1
	s_delay_alu instid0(VALU_DEP_2) | instskip(SKIP_1) | instid1(VALU_DEP_4)
	v_bfi_b32 v6, v6, 0, v2
	v_lshrrev_b64 v[2:3], v35, v[2:3]
	v_bfi_b32 v7, v7, 0, 0
	s_delay_alu instid0(VALU_DEP_1) | instskip(NEXT) | instid1(VALU_DEP_3)
	v_cmp_eq_u64_e64 s13, v[6:7], v[36:37]
	v_mov_b64_e32 v[6:7], v[2:3]
	s_and_saveexec_b32 s76, s13
; %bb.5151:                             ;   in Loop: Header=BB6_4483 Depth=3
	v_bfe_u32 v6, v2, 21, 1
	v_mov_b32_e32 v7, v113
	s_delay_alu instid0(VALU_DEP_1) | instskip(NEXT) | instid1(VALU_DEP_1)
	v_add_nc_u64_e32 v[6:7], v[2:3], v[6:7]
	v_add_nc_u64_e32 v[6:7], -1, v[6:7]
; %bb.5152:                             ;   in Loop: Header=BB6_4483 Depth=3
	s_or_b32 exec_lo, exec_lo, s76
	v_add_nc_u32_e32 v3, 0xffffff81, v33
	v_lshrrev_b32_e32 v7, 23, v2
	s_mov_b32 s13, exec_lo
	s_delay_alu instid0(VALU_DEP_2) | instskip(NEXT) | instid1(VALU_DEP_1)
	v_cndmask_b32_e64 v3, v3, 0xffffff82, vcc_lo
	v_add3_u32 v7, v35, v3, v7
	v_and_b32_e32 v3, 0x1fffff, v6
                                        ; implicit-def: $vgpr6
	s_delay_alu instid0(VALU_DEP_1) | instskip(SKIP_1) | instid1(VALU_DEP_2)
	v_dual_add_nc_u32 v33, 14, v7 :: v_dual_add_nc_u32 v2, v3, v2
	v_mov_b32_e32 v3, v113
	v_cmpx_ne_u32_e32 0, v33
	s_xor_b32 s13, exec_lo, s13
; %bb.5153:                             ;   in Loop: Header=BB6_4483 Depth=3
	s_delay_alu instid0(VALU_DEP_2) | instskip(SKIP_2) | instid1(VALU_DEP_2)
	v_cmp_lt_u64_e32 vcc_lo, 0xffffff, v[2:3]
	v_add_nc_u32_e32 v6, 15, v7
	v_cndmask_b32_e64 v7, 0, 1, vcc_lo
	v_cndmask_b32_e32 v6, v33, v6, vcc_lo
	s_delay_alu instid0(VALU_DEP_2)
	v_lshrrev_b64 v[2:3], v7, v[2:3]
; %bb.5154:                             ;   in Loop: Header=BB6_4483 Depth=3
	s_and_not1_saveexec_b32 s13, s13
; %bb.5155:                             ;   in Loop: Header=BB6_4483 Depth=3
	s_delay_alu instid0(VALU_DEP_1)
	v_bfe_u32 v6, v2, 23, 1
; %bb.5156:                             ;   in Loop: Header=BB6_4483 Depth=3
	s_or_b32 exec_lo, exec_lo, s13
	s_delay_alu instid0(VALU_DEP_2) | instskip(NEXT) | instid1(VALU_DEP_2)
	v_lshrrev_b64 v[2:3], 21, v[2:3]
	v_cmp_gt_i32_e32 vcc_lo, 32, v6
	v_cmp_ne_u32_e64 s13, 0, v6
                                        ; implicit-def: $vgpr33
	s_delay_alu instid0(VALU_DEP_3) | instskip(NEXT) | instid1(VALU_DEP_1)
	v_dual_cndmask_b32 v3, 0, v3 :: v_dual_cndmask_b32 v2, 3, v2
	v_cmp_ne_u64_e32 vcc_lo, 0, v[2:3]
	s_or_b32 s13, s13, vcc_lo
	s_delay_alu instid0(SALU_CYCLE_1) | instskip(NEXT) | instid1(SALU_CYCLE_1)
	s_and_saveexec_b32 s76, s13
	s_xor_b32 s13, exec_lo, s76
; %bb.5157:                             ;   in Loop: Header=BB6_4483 Depth=3
	v_min_i32_e32 v3, 31, v6
	s_delay_alu instid0(VALU_DEP_1) | instskip(NEXT) | instid1(VALU_DEP_1)
	v_lshl_or_b32 v3, v3, 2, v34
                                        ; implicit-def: $vgpr34
	v_and_or_b32 v33, v2, 3, v3
; %bb.5158:                             ;   in Loop: Header=BB6_4483 Depth=3
	s_and_not1_saveexec_b32 s13, s13
; %bb.5159:                             ;   in Loop: Header=BB6_4483 Depth=3
	v_mov_b32_e32 v33, v34
; %bb.5160:                             ;   in Loop: Header=BB6_4483 Depth=3
	s_or_b32 exec_lo, exec_lo, s13
.LBB6_5161:                             ;   in Loop: Header=BB6_4483 Depth=3
	s_delay_alu instid0(SALU_CYCLE_1)
	s_or_b32 exec_lo, exec_lo, s75
                                        ; implicit-def: $vgpr34
.LBB6_5162:                             ;   in Loop: Header=BB6_4483 Depth=3
	s_and_not1_saveexec_b32 s13, s15
; %bb.5163:                             ;   in Loop: Header=BB6_4483 Depth=3
	v_or_b32_e32 v33, 0x7b, v34
; %bb.5164:                             ;   in Loop: Header=BB6_4483 Depth=3
	s_or_b32 exec_lo, exec_lo, s13
                                        ; implicit-def: $vgpr6
                                        ; implicit-def: $vgpr2_vgpr3
.LBB6_5165:                             ;   in Loop: Header=BB6_4483 Depth=3
	s_and_not1_saveexec_b32 s13, s14
	s_cbranch_execz .LBB6_5171
; %bb.5166:                             ;   in Loop: Header=BB6_4483 Depth=3
	s_mov_b32 s14, exec_lo
                                        ; implicit-def: $vgpr33
	v_cmpx_ne_u64_e32 0, v[2:3]
	s_xor_b32 s14, exec_lo, s14
; %bb.5167:                             ;   in Loop: Header=BB6_4483 Depth=3
	v_lshrrev_b32_e32 v2, 24, v6
                                        ; implicit-def: $vgpr6
	s_delay_alu instid0(VALU_DEP_1)
	v_or_b32_e32 v33, 0x7f, v2
; %bb.5168:                             ;   in Loop: Header=BB6_4483 Depth=3
	s_and_not1_saveexec_b32 s14, s14
; %bb.5169:                             ;   in Loop: Header=BB6_4483 Depth=3
	v_cmp_lt_i32_e32 vcc_lo, -1, v6
	v_cndmask_b32_e64 v33, -4, 0x7c, vcc_lo
; %bb.5170:                             ;   in Loop: Header=BB6_4483 Depth=3
	s_or_b32 exec_lo, exec_lo, s14
.LBB6_5171:                             ;   in Loop: Header=BB6_4483 Depth=3
	s_delay_alu instid0(SALU_CYCLE_1)
	s_or_b32 exec_lo, exec_lo, s13
	flat_load_i8 v2, v[0:1] offset:640 th:TH_LOAD_NT
	v_mov_b32_e32 v6, 0
	s_mov_b32 s13, exec_lo
	s_wait_loadcnt_dscnt 0x0
	s_wait_xcnt 0x0
	v_cmpx_ne_u16_e32 0, v2
	s_cbranch_execz .LBB6_5181
; %bb.5172:                             ;   in Loop: Header=BB6_4483 Depth=3
	v_bfrev_b32_e32 v6, 1
	s_mov_b32 s14, exec_lo
	v_cmpx_ne_u16_e32 0xff80, v2
	s_cbranch_execz .LBB6_5180
; %bb.5173:                             ;   in Loop: Header=BB6_4483 Depth=3
	v_and_b32_e32 v6, 0x7c, v2
	v_and_b32_e32 v3, 3, v2
	s_delay_alu instid0(VALU_DEP_2) | instskip(SKIP_1) | instid1(SALU_CYCLE_1)
	v_cmp_ne_u32_e32 vcc_lo, 0x7c, v6
                                        ; implicit-def: $vgpr6
	s_and_saveexec_b32 s15, vcc_lo
	s_xor_b32 s15, exec_lo, s15
	s_cbranch_execz .LBB6_5177
; %bb.5174:                             ;   in Loop: Header=BB6_4483 Depth=3
	v_and_b32_e32 v6, 0xff, v2
	s_mov_b32 s75, exec_lo
	s_delay_alu instid0(VALU_DEP_1) | instskip(NEXT) | instid1(VALU_DEP_1)
	v_bfe_u32 v6, v6, 2, 5
	v_cmpx_eq_u32_e32 0, v6
	s_cbranch_execz .LBB6_5176
; %bb.5175:                             ;   in Loop: Header=BB6_4483 Depth=3
	v_clz_i32_u32_e32 v3, v3
	s_delay_alu instid0(VALU_DEP_1) | instskip(SKIP_1) | instid1(VALU_DEP_2)
	v_min_u32_e32 v6, 32, v3
	v_mov_b32_e32 v3, v113
	v_subrev_nc_u32_e32 v7, 29, v6
	v_sub_nc_u32_e32 v6, 30, v6
	s_delay_alu instid0(VALU_DEP_2) | instskip(NEXT) | instid1(VALU_DEP_1)
	v_lshlrev_b64_e32 v[34:35], v7, v[2:3]
	v_and_b32_e32 v3, 3, v34
.LBB6_5176:                             ;   in Loop: Header=BB6_4483 Depth=3
	s_or_b32 exec_lo, exec_lo, s75
	v_bfe_i32 v2, v2, 0, 16
	s_delay_alu instid0(VALU_DEP_1) | instskip(NEXT) | instid1(VALU_DEP_1)
	v_and_b32_e32 v2, 0x80000000, v2
	v_lshl_add_u32 v2, v6, 23, v2
	s_delay_alu instid0(VALU_DEP_1) | instskip(NEXT) | instid1(VALU_DEP_1)
	v_lshl_or_b32 v2, v3, 21, v2
                                        ; implicit-def: $vgpr3
	v_add_nc_u32_e32 v6, 0x38000000, v2
                                        ; implicit-def: $vgpr2
.LBB6_5177:                             ;   in Loop: Header=BB6_4483 Depth=3
	s_and_not1_saveexec_b32 s15, s15
; %bb.5178:                             ;   in Loop: Header=BB6_4483 Depth=3
	v_cmp_lt_i16_e32 vcc_lo, -1, v2
	v_mov_b32_e32 v2, 0x7f800000
	s_delay_alu instid0(VALU_DEP_1) | instskip(SKIP_1) | instid1(VALU_DEP_2)
	v_cndmask_b32_e32 v2, 0xff800000, v2, vcc_lo
	v_cmp_eq_u32_e32 vcc_lo, 0, v3
	v_cndmask_b32_e32 v6, 0x7f800001, v2, vcc_lo
; %bb.5179:                             ;   in Loop: Header=BB6_4483 Depth=3
	s_or_b32 exec_lo, exec_lo, s15
.LBB6_5180:                             ;   in Loop: Header=BB6_4483 Depth=3
	s_delay_alu instid0(SALU_CYCLE_1)
	s_or_b32 exec_lo, exec_lo, s14
.LBB6_5181:                             ;   in Loop: Header=BB6_4483 Depth=3
	s_delay_alu instid0(SALU_CYCLE_1) | instskip(NEXT) | instid1(VALU_DEP_1)
	s_or_b32 exec_lo, exec_lo, s13
	v_dual_mul_f32 v6, s74, v6 :: v_dual_mov_b32 v3, v113
                                        ; implicit-def: $vgpr34
	s_delay_alu instid0(VALU_DEP_1) | instskip(NEXT) | instid1(VALU_DEP_1)
	v_and_b32_e32 v2, 0x7f800000, v6
	v_cmp_ne_u64_e32 vcc_lo, 0x7f800000, v[2:3]
	v_and_b32_e32 v2, 0x7fffff, v6
	s_and_saveexec_b32 s13, vcc_lo
	s_delay_alu instid0(SALU_CYCLE_1)
	s_xor_b32 s14, exec_lo, s13
	s_cbranch_execz .LBB6_5199
; %bb.5182:                             ;   in Loop: Header=BB6_4483 Depth=3
	v_and_b32_e32 v34, 0x7fffffff, v6
	v_dual_mov_b32 v35, v113 :: v_dual_lshrrev_b32 v7, 24, v6
	s_delay_alu instid0(VALU_DEP_1) | instskip(NEXT) | instid1(VALU_DEP_2)
	v_cmp_gt_u64_e32 vcc_lo, 0x47600001, v[34:35]
	v_and_b32_e32 v35, 0x80, v7
                                        ; implicit-def: $vgpr34
	s_and_saveexec_b32 s13, vcc_lo
	s_delay_alu instid0(SALU_CYCLE_1)
	s_xor_b32 s15, exec_lo, s13
	s_cbranch_execz .LBB6_5196
; %bb.5183:                             ;   in Loop: Header=BB6_4483 Depth=3
	v_mov_b32_e32 v34, 0
	s_mov_b32 s75, exec_lo
	v_cmpx_ne_u32_e32 0, v6
	s_cbranch_execz .LBB6_5195
; %bb.5184:                             ;   in Loop: Header=BB6_4483 Depth=3
	v_bfe_u32 v34, v6, 23, 8
	v_or_b32_e32 v37, 0x800000, v2
	s_delay_alu instid0(VALU_DEP_2) | instskip(SKIP_1) | instid1(VALU_DEP_2)
	v_sub_nc_u32_e32 v6, 0x71, v34
	v_cmp_gt_u32_e32 vcc_lo, 0x72, v34
	v_cndmask_b32_e32 v6, 0, v6, vcc_lo
	v_cmp_eq_u32_e32 vcc_lo, 0, v34
	s_delay_alu instid0(VALU_DEP_2) | instskip(NEXT) | instid1(VALU_DEP_1)
	v_cndmask_b32_e64 v36, v6, 0x70, vcc_lo
	v_dual_cndmask_b32 v2, v37, v2, vcc_lo :: v_dual_add_nc_u32 v6, 21, v36
	v_add_nc_u32_e32 v38, 20, v36
	s_delay_alu instid0(VALU_DEP_2) | instskip(NEXT) | instid1(VALU_DEP_2)
	v_lshlrev_b64_e64 v[6:7], v6, -1
	v_lshlrev_b64_e64 v[38:39], v38, 1
	s_delay_alu instid0(VALU_DEP_2) | instskip(SKIP_1) | instid1(VALU_DEP_4)
	v_bfi_b32 v6, v6, 0, v2
	v_lshrrev_b64 v[2:3], v36, v[2:3]
	v_bfi_b32 v7, v7, 0, 0
	s_delay_alu instid0(VALU_DEP_1) | instskip(NEXT) | instid1(VALU_DEP_3)
	v_cmp_eq_u64_e64 s13, v[6:7], v[38:39]
	v_mov_b64_e32 v[6:7], v[2:3]
	s_and_saveexec_b32 s76, s13
; %bb.5185:                             ;   in Loop: Header=BB6_4483 Depth=3
	v_bfe_u32 v6, v2, 21, 1
	v_mov_b32_e32 v7, v113
	s_delay_alu instid0(VALU_DEP_1) | instskip(NEXT) | instid1(VALU_DEP_1)
	v_add_nc_u64_e32 v[6:7], v[2:3], v[6:7]
	v_add_nc_u64_e32 v[6:7], -1, v[6:7]
; %bb.5186:                             ;   in Loop: Header=BB6_4483 Depth=3
	s_or_b32 exec_lo, exec_lo, s76
	v_add_nc_u32_e32 v3, 0xffffff81, v34
	v_lshrrev_b32_e32 v7, 23, v2
	s_mov_b32 s13, exec_lo
	s_delay_alu instid0(VALU_DEP_2) | instskip(NEXT) | instid1(VALU_DEP_1)
	v_cndmask_b32_e64 v3, v3, 0xffffff82, vcc_lo
	v_add3_u32 v7, v36, v3, v7
	v_and_b32_e32 v3, 0x1fffff, v6
                                        ; implicit-def: $vgpr6
	s_delay_alu instid0(VALU_DEP_1) | instskip(SKIP_1) | instid1(VALU_DEP_2)
	v_dual_add_nc_u32 v34, 14, v7 :: v_dual_add_nc_u32 v2, v3, v2
	v_mov_b32_e32 v3, v113
	v_cmpx_ne_u32_e32 0, v34
	s_xor_b32 s13, exec_lo, s13
; %bb.5187:                             ;   in Loop: Header=BB6_4483 Depth=3
	s_delay_alu instid0(VALU_DEP_2) | instskip(SKIP_2) | instid1(VALU_DEP_2)
	v_cmp_lt_u64_e32 vcc_lo, 0xffffff, v[2:3]
	v_add_nc_u32_e32 v6, 15, v7
	v_cndmask_b32_e64 v7, 0, 1, vcc_lo
	v_cndmask_b32_e32 v6, v34, v6, vcc_lo
	s_delay_alu instid0(VALU_DEP_2)
	v_lshrrev_b64 v[2:3], v7, v[2:3]
; %bb.5188:                             ;   in Loop: Header=BB6_4483 Depth=3
	s_and_not1_saveexec_b32 s13, s13
; %bb.5189:                             ;   in Loop: Header=BB6_4483 Depth=3
	s_delay_alu instid0(VALU_DEP_1)
	v_bfe_u32 v6, v2, 23, 1
; %bb.5190:                             ;   in Loop: Header=BB6_4483 Depth=3
	s_or_b32 exec_lo, exec_lo, s13
	s_delay_alu instid0(VALU_DEP_2) | instskip(NEXT) | instid1(VALU_DEP_2)
	v_lshrrev_b64 v[2:3], 21, v[2:3]
	v_cmp_gt_i32_e32 vcc_lo, 32, v6
	v_cmp_ne_u32_e64 s13, 0, v6
                                        ; implicit-def: $vgpr34
	s_delay_alu instid0(VALU_DEP_3) | instskip(NEXT) | instid1(VALU_DEP_1)
	v_dual_cndmask_b32 v3, 0, v3 :: v_dual_cndmask_b32 v2, 3, v2
	v_cmp_ne_u64_e32 vcc_lo, 0, v[2:3]
	s_or_b32 s13, s13, vcc_lo
	s_delay_alu instid0(SALU_CYCLE_1) | instskip(NEXT) | instid1(SALU_CYCLE_1)
	s_and_saveexec_b32 s76, s13
	s_xor_b32 s13, exec_lo, s76
; %bb.5191:                             ;   in Loop: Header=BB6_4483 Depth=3
	v_min_i32_e32 v3, 31, v6
	s_delay_alu instid0(VALU_DEP_1) | instskip(NEXT) | instid1(VALU_DEP_1)
	v_lshl_or_b32 v3, v3, 2, v35
                                        ; implicit-def: $vgpr35
	v_and_or_b32 v34, v2, 3, v3
; %bb.5192:                             ;   in Loop: Header=BB6_4483 Depth=3
	s_and_not1_saveexec_b32 s13, s13
; %bb.5193:                             ;   in Loop: Header=BB6_4483 Depth=3
	v_mov_b32_e32 v34, v35
; %bb.5194:                             ;   in Loop: Header=BB6_4483 Depth=3
	s_or_b32 exec_lo, exec_lo, s13
.LBB6_5195:                             ;   in Loop: Header=BB6_4483 Depth=3
	s_delay_alu instid0(SALU_CYCLE_1)
	s_or_b32 exec_lo, exec_lo, s75
                                        ; implicit-def: $vgpr35
.LBB6_5196:                             ;   in Loop: Header=BB6_4483 Depth=3
	s_and_not1_saveexec_b32 s13, s15
; %bb.5197:                             ;   in Loop: Header=BB6_4483 Depth=3
	v_or_b32_e32 v34, 0x7b, v35
; %bb.5198:                             ;   in Loop: Header=BB6_4483 Depth=3
	s_or_b32 exec_lo, exec_lo, s13
                                        ; implicit-def: $vgpr6
                                        ; implicit-def: $vgpr2_vgpr3
.LBB6_5199:                             ;   in Loop: Header=BB6_4483 Depth=3
	s_and_not1_saveexec_b32 s13, s14
	s_cbranch_execz .LBB6_5205
; %bb.5200:                             ;   in Loop: Header=BB6_4483 Depth=3
	s_mov_b32 s14, exec_lo
                                        ; implicit-def: $vgpr34
	v_cmpx_ne_u64_e32 0, v[2:3]
	s_xor_b32 s14, exec_lo, s14
; %bb.5201:                             ;   in Loop: Header=BB6_4483 Depth=3
	v_lshrrev_b32_e32 v2, 24, v6
                                        ; implicit-def: $vgpr6
	s_delay_alu instid0(VALU_DEP_1)
	v_or_b32_e32 v34, 0x7f, v2
; %bb.5202:                             ;   in Loop: Header=BB6_4483 Depth=3
	s_and_not1_saveexec_b32 s14, s14
; %bb.5203:                             ;   in Loop: Header=BB6_4483 Depth=3
	v_cmp_lt_i32_e32 vcc_lo, -1, v6
	v_cndmask_b32_e64 v34, -4, 0x7c, vcc_lo
; %bb.5204:                             ;   in Loop: Header=BB6_4483 Depth=3
	s_or_b32 exec_lo, exec_lo, s14
.LBB6_5205:                             ;   in Loop: Header=BB6_4483 Depth=3
	s_delay_alu instid0(SALU_CYCLE_1)
	s_or_b32 exec_lo, exec_lo, s13
	flat_load_i8 v2, v[0:1] offset:672 th:TH_LOAD_NT
	v_mov_b32_e32 v6, 0
	s_mov_b32 s13, exec_lo
	s_wait_loadcnt_dscnt 0x0
	s_wait_xcnt 0x0
	v_cmpx_ne_u16_e32 0, v2
	s_cbranch_execz .LBB6_5215
; %bb.5206:                             ;   in Loop: Header=BB6_4483 Depth=3
	v_bfrev_b32_e32 v6, 1
	s_mov_b32 s14, exec_lo
	v_cmpx_ne_u16_e32 0xff80, v2
	s_cbranch_execz .LBB6_5214
; %bb.5207:                             ;   in Loop: Header=BB6_4483 Depth=3
	v_and_b32_e32 v6, 0x7c, v2
	v_and_b32_e32 v3, 3, v2
	s_delay_alu instid0(VALU_DEP_2) | instskip(SKIP_1) | instid1(SALU_CYCLE_1)
	v_cmp_ne_u32_e32 vcc_lo, 0x7c, v6
                                        ; implicit-def: $vgpr6
	s_and_saveexec_b32 s15, vcc_lo
	s_xor_b32 s15, exec_lo, s15
	s_cbranch_execz .LBB6_5211
; %bb.5208:                             ;   in Loop: Header=BB6_4483 Depth=3
	v_and_b32_e32 v6, 0xff, v2
	s_mov_b32 s75, exec_lo
	s_delay_alu instid0(VALU_DEP_1) | instskip(NEXT) | instid1(VALU_DEP_1)
	v_bfe_u32 v6, v6, 2, 5
	v_cmpx_eq_u32_e32 0, v6
	s_cbranch_execz .LBB6_5210
; %bb.5209:                             ;   in Loop: Header=BB6_4483 Depth=3
	v_clz_i32_u32_e32 v3, v3
	s_delay_alu instid0(VALU_DEP_1) | instskip(SKIP_1) | instid1(VALU_DEP_2)
	v_min_u32_e32 v6, 32, v3
	v_mov_b32_e32 v3, v113
	v_subrev_nc_u32_e32 v7, 29, v6
	v_sub_nc_u32_e32 v6, 30, v6
	s_delay_alu instid0(VALU_DEP_2) | instskip(NEXT) | instid1(VALU_DEP_1)
	v_lshlrev_b64_e32 v[36:37], v7, v[2:3]
	v_and_b32_e32 v3, 3, v36
.LBB6_5210:                             ;   in Loop: Header=BB6_4483 Depth=3
	s_or_b32 exec_lo, exec_lo, s75
	v_bfe_i32 v2, v2, 0, 16
	s_delay_alu instid0(VALU_DEP_1) | instskip(NEXT) | instid1(VALU_DEP_1)
	v_and_b32_e32 v2, 0x80000000, v2
	v_lshl_add_u32 v2, v6, 23, v2
	s_delay_alu instid0(VALU_DEP_1) | instskip(NEXT) | instid1(VALU_DEP_1)
	v_lshl_or_b32 v2, v3, 21, v2
                                        ; implicit-def: $vgpr3
	v_add_nc_u32_e32 v6, 0x38000000, v2
                                        ; implicit-def: $vgpr2
.LBB6_5211:                             ;   in Loop: Header=BB6_4483 Depth=3
	s_and_not1_saveexec_b32 s15, s15
; %bb.5212:                             ;   in Loop: Header=BB6_4483 Depth=3
	v_cmp_lt_i16_e32 vcc_lo, -1, v2
	v_mov_b32_e32 v2, 0x7f800000
	s_delay_alu instid0(VALU_DEP_1) | instskip(SKIP_1) | instid1(VALU_DEP_2)
	v_cndmask_b32_e32 v2, 0xff800000, v2, vcc_lo
	v_cmp_eq_u32_e32 vcc_lo, 0, v3
	v_cndmask_b32_e32 v6, 0x7f800001, v2, vcc_lo
; %bb.5213:                             ;   in Loop: Header=BB6_4483 Depth=3
	s_or_b32 exec_lo, exec_lo, s15
.LBB6_5214:                             ;   in Loop: Header=BB6_4483 Depth=3
	s_delay_alu instid0(SALU_CYCLE_1)
	s_or_b32 exec_lo, exec_lo, s14
.LBB6_5215:                             ;   in Loop: Header=BB6_4483 Depth=3
	s_delay_alu instid0(SALU_CYCLE_1) | instskip(NEXT) | instid1(VALU_DEP_1)
	s_or_b32 exec_lo, exec_lo, s13
	v_dual_mul_f32 v6, s74, v6 :: v_dual_mov_b32 v3, v113
                                        ; implicit-def: $vgpr35
	s_delay_alu instid0(VALU_DEP_1) | instskip(NEXT) | instid1(VALU_DEP_1)
	v_and_b32_e32 v2, 0x7f800000, v6
	v_cmp_ne_u64_e32 vcc_lo, 0x7f800000, v[2:3]
	v_and_b32_e32 v2, 0x7fffff, v6
	s_and_saveexec_b32 s13, vcc_lo
	s_delay_alu instid0(SALU_CYCLE_1)
	s_xor_b32 s14, exec_lo, s13
	s_cbranch_execz .LBB6_5233
; %bb.5216:                             ;   in Loop: Header=BB6_4483 Depth=3
	v_and_b32_e32 v36, 0x7fffffff, v6
	v_dual_mov_b32 v37, v113 :: v_dual_lshrrev_b32 v7, 24, v6
                                        ; implicit-def: $vgpr35
	s_delay_alu instid0(VALU_DEP_1) | instskip(NEXT) | instid1(VALU_DEP_2)
	v_cmp_gt_u64_e32 vcc_lo, 0x47600001, v[36:37]
	v_and_b32_e32 v36, 0x80, v7
	s_and_saveexec_b32 s13, vcc_lo
	s_delay_alu instid0(SALU_CYCLE_1)
	s_xor_b32 s15, exec_lo, s13
	s_cbranch_execz .LBB6_5230
; %bb.5217:                             ;   in Loop: Header=BB6_4483 Depth=3
	v_mov_b32_e32 v35, 0
	s_mov_b32 s75, exec_lo
	v_cmpx_ne_u32_e32 0, v6
	s_cbranch_execz .LBB6_5229
; %bb.5218:                             ;   in Loop: Header=BB6_4483 Depth=3
	v_bfe_u32 v35, v6, 23, 8
	v_or_b32_e32 v38, 0x800000, v2
	s_delay_alu instid0(VALU_DEP_2) | instskip(SKIP_1) | instid1(VALU_DEP_2)
	v_sub_nc_u32_e32 v6, 0x71, v35
	v_cmp_gt_u32_e32 vcc_lo, 0x72, v35
	v_cndmask_b32_e32 v6, 0, v6, vcc_lo
	v_cmp_eq_u32_e32 vcc_lo, 0, v35
	s_delay_alu instid0(VALU_DEP_2) | instskip(NEXT) | instid1(VALU_DEP_1)
	v_cndmask_b32_e64 v37, v6, 0x70, vcc_lo
	v_dual_cndmask_b32 v2, v38, v2, vcc_lo :: v_dual_add_nc_u32 v6, 21, v37
	v_add_nc_u32_e32 v39, 20, v37
	s_delay_alu instid0(VALU_DEP_2) | instskip(NEXT) | instid1(VALU_DEP_2)
	v_lshlrev_b64_e64 v[6:7], v6, -1
	v_lshlrev_b64_e64 v[38:39], v39, 1
	s_delay_alu instid0(VALU_DEP_2) | instskip(SKIP_1) | instid1(VALU_DEP_4)
	v_bfi_b32 v6, v6, 0, v2
	v_lshrrev_b64 v[2:3], v37, v[2:3]
	v_bfi_b32 v7, v7, 0, 0
	s_delay_alu instid0(VALU_DEP_1) | instskip(NEXT) | instid1(VALU_DEP_3)
	v_cmp_eq_u64_e64 s13, v[6:7], v[38:39]
	v_mov_b64_e32 v[6:7], v[2:3]
	s_and_saveexec_b32 s76, s13
; %bb.5219:                             ;   in Loop: Header=BB6_4483 Depth=3
	v_bfe_u32 v6, v2, 21, 1
	v_mov_b32_e32 v7, v113
	s_delay_alu instid0(VALU_DEP_1) | instskip(NEXT) | instid1(VALU_DEP_1)
	v_add_nc_u64_e32 v[6:7], v[2:3], v[6:7]
	v_add_nc_u64_e32 v[6:7], -1, v[6:7]
; %bb.5220:                             ;   in Loop: Header=BB6_4483 Depth=3
	s_or_b32 exec_lo, exec_lo, s76
	v_add_nc_u32_e32 v3, 0xffffff81, v35
	v_lshrrev_b32_e32 v7, 23, v2
	s_mov_b32 s13, exec_lo
	s_delay_alu instid0(VALU_DEP_2) | instskip(NEXT) | instid1(VALU_DEP_1)
	v_cndmask_b32_e64 v3, v3, 0xffffff82, vcc_lo
	v_add3_u32 v7, v37, v3, v7
	v_and_b32_e32 v3, 0x1fffff, v6
                                        ; implicit-def: $vgpr6
	s_delay_alu instid0(VALU_DEP_1) | instskip(SKIP_1) | instid1(VALU_DEP_2)
	v_dual_add_nc_u32 v35, 14, v7 :: v_dual_add_nc_u32 v2, v3, v2
	v_mov_b32_e32 v3, v113
	v_cmpx_ne_u32_e32 0, v35
	s_xor_b32 s13, exec_lo, s13
; %bb.5221:                             ;   in Loop: Header=BB6_4483 Depth=3
	s_delay_alu instid0(VALU_DEP_2) | instskip(SKIP_2) | instid1(VALU_DEP_2)
	v_cmp_lt_u64_e32 vcc_lo, 0xffffff, v[2:3]
	v_add_nc_u32_e32 v6, 15, v7
	v_cndmask_b32_e64 v7, 0, 1, vcc_lo
	v_cndmask_b32_e32 v6, v35, v6, vcc_lo
	s_delay_alu instid0(VALU_DEP_2)
	v_lshrrev_b64 v[2:3], v7, v[2:3]
; %bb.5222:                             ;   in Loop: Header=BB6_4483 Depth=3
	s_and_not1_saveexec_b32 s13, s13
; %bb.5223:                             ;   in Loop: Header=BB6_4483 Depth=3
	s_delay_alu instid0(VALU_DEP_1)
	v_bfe_u32 v6, v2, 23, 1
; %bb.5224:                             ;   in Loop: Header=BB6_4483 Depth=3
	s_or_b32 exec_lo, exec_lo, s13
	s_delay_alu instid0(VALU_DEP_2) | instskip(NEXT) | instid1(VALU_DEP_2)
	v_lshrrev_b64 v[2:3], 21, v[2:3]
	v_cmp_gt_i32_e32 vcc_lo, 32, v6
	v_cmp_ne_u32_e64 s13, 0, v6
                                        ; implicit-def: $vgpr35
	s_delay_alu instid0(VALU_DEP_3) | instskip(NEXT) | instid1(VALU_DEP_1)
	v_dual_cndmask_b32 v3, 0, v3 :: v_dual_cndmask_b32 v2, 3, v2
	v_cmp_ne_u64_e32 vcc_lo, 0, v[2:3]
	s_or_b32 s13, s13, vcc_lo
	s_delay_alu instid0(SALU_CYCLE_1) | instskip(NEXT) | instid1(SALU_CYCLE_1)
	s_and_saveexec_b32 s76, s13
	s_xor_b32 s13, exec_lo, s76
; %bb.5225:                             ;   in Loop: Header=BB6_4483 Depth=3
	v_min_i32_e32 v3, 31, v6
	s_delay_alu instid0(VALU_DEP_1) | instskip(NEXT) | instid1(VALU_DEP_1)
	v_lshl_or_b32 v3, v3, 2, v36
                                        ; implicit-def: $vgpr36
	v_and_or_b32 v35, v2, 3, v3
; %bb.5226:                             ;   in Loop: Header=BB6_4483 Depth=3
	s_and_not1_saveexec_b32 s13, s13
; %bb.5227:                             ;   in Loop: Header=BB6_4483 Depth=3
	v_mov_b32_e32 v35, v36
; %bb.5228:                             ;   in Loop: Header=BB6_4483 Depth=3
	s_or_b32 exec_lo, exec_lo, s13
.LBB6_5229:                             ;   in Loop: Header=BB6_4483 Depth=3
	s_delay_alu instid0(SALU_CYCLE_1)
	s_or_b32 exec_lo, exec_lo, s75
                                        ; implicit-def: $vgpr36
.LBB6_5230:                             ;   in Loop: Header=BB6_4483 Depth=3
	s_and_not1_saveexec_b32 s13, s15
; %bb.5231:                             ;   in Loop: Header=BB6_4483 Depth=3
	v_or_b32_e32 v35, 0x7b, v36
; %bb.5232:                             ;   in Loop: Header=BB6_4483 Depth=3
	s_or_b32 exec_lo, exec_lo, s13
                                        ; implicit-def: $vgpr6
                                        ; implicit-def: $vgpr2_vgpr3
.LBB6_5233:                             ;   in Loop: Header=BB6_4483 Depth=3
	s_and_not1_saveexec_b32 s13, s14
	s_cbranch_execz .LBB6_5239
; %bb.5234:                             ;   in Loop: Header=BB6_4483 Depth=3
	s_mov_b32 s14, exec_lo
                                        ; implicit-def: $vgpr35
	v_cmpx_ne_u64_e32 0, v[2:3]
	s_xor_b32 s14, exec_lo, s14
; %bb.5235:                             ;   in Loop: Header=BB6_4483 Depth=3
	v_lshrrev_b32_e32 v2, 24, v6
                                        ; implicit-def: $vgpr6
	s_delay_alu instid0(VALU_DEP_1)
	v_or_b32_e32 v35, 0x7f, v2
; %bb.5236:                             ;   in Loop: Header=BB6_4483 Depth=3
	s_and_not1_saveexec_b32 s14, s14
; %bb.5237:                             ;   in Loop: Header=BB6_4483 Depth=3
	v_cmp_lt_i32_e32 vcc_lo, -1, v6
	v_cndmask_b32_e64 v35, -4, 0x7c, vcc_lo
; %bb.5238:                             ;   in Loop: Header=BB6_4483 Depth=3
	s_or_b32 exec_lo, exec_lo, s14
.LBB6_5239:                             ;   in Loop: Header=BB6_4483 Depth=3
	s_delay_alu instid0(SALU_CYCLE_1)
	s_or_b32 exec_lo, exec_lo, s13
	flat_load_i8 v2, v[0:1] offset:704 th:TH_LOAD_NT
	v_mov_b32_e32 v6, 0
	s_mov_b32 s13, exec_lo
	s_wait_loadcnt_dscnt 0x0
	s_wait_xcnt 0x0
	v_cmpx_ne_u16_e32 0, v2
	s_cbranch_execz .LBB6_5249
; %bb.5240:                             ;   in Loop: Header=BB6_4483 Depth=3
	v_bfrev_b32_e32 v6, 1
	s_mov_b32 s14, exec_lo
	v_cmpx_ne_u16_e32 0xff80, v2
	s_cbranch_execz .LBB6_5248
; %bb.5241:                             ;   in Loop: Header=BB6_4483 Depth=3
	v_and_b32_e32 v6, 0x7c, v2
	v_and_b32_e32 v3, 3, v2
	s_delay_alu instid0(VALU_DEP_2) | instskip(SKIP_1) | instid1(SALU_CYCLE_1)
	v_cmp_ne_u32_e32 vcc_lo, 0x7c, v6
                                        ; implicit-def: $vgpr6
	s_and_saveexec_b32 s15, vcc_lo
	s_xor_b32 s15, exec_lo, s15
	s_cbranch_execz .LBB6_5245
; %bb.5242:                             ;   in Loop: Header=BB6_4483 Depth=3
	v_and_b32_e32 v6, 0xff, v2
	s_mov_b32 s75, exec_lo
	s_delay_alu instid0(VALU_DEP_1) | instskip(NEXT) | instid1(VALU_DEP_1)
	v_bfe_u32 v6, v6, 2, 5
	v_cmpx_eq_u32_e32 0, v6
	s_cbranch_execz .LBB6_5244
; %bb.5243:                             ;   in Loop: Header=BB6_4483 Depth=3
	v_clz_i32_u32_e32 v3, v3
	s_delay_alu instid0(VALU_DEP_1) | instskip(SKIP_1) | instid1(VALU_DEP_2)
	v_min_u32_e32 v6, 32, v3
	v_mov_b32_e32 v3, v113
	v_subrev_nc_u32_e32 v7, 29, v6
	v_sub_nc_u32_e32 v6, 30, v6
	s_delay_alu instid0(VALU_DEP_2) | instskip(NEXT) | instid1(VALU_DEP_1)
	v_lshlrev_b64_e32 v[36:37], v7, v[2:3]
	v_and_b32_e32 v3, 3, v36
.LBB6_5244:                             ;   in Loop: Header=BB6_4483 Depth=3
	s_or_b32 exec_lo, exec_lo, s75
	v_bfe_i32 v2, v2, 0, 16
	s_delay_alu instid0(VALU_DEP_1) | instskip(NEXT) | instid1(VALU_DEP_1)
	v_and_b32_e32 v2, 0x80000000, v2
	v_lshl_add_u32 v2, v6, 23, v2
	s_delay_alu instid0(VALU_DEP_1) | instskip(NEXT) | instid1(VALU_DEP_1)
	v_lshl_or_b32 v2, v3, 21, v2
                                        ; implicit-def: $vgpr3
	v_add_nc_u32_e32 v6, 0x38000000, v2
                                        ; implicit-def: $vgpr2
.LBB6_5245:                             ;   in Loop: Header=BB6_4483 Depth=3
	s_and_not1_saveexec_b32 s15, s15
; %bb.5246:                             ;   in Loop: Header=BB6_4483 Depth=3
	v_cmp_lt_i16_e32 vcc_lo, -1, v2
	v_mov_b32_e32 v2, 0x7f800000
	s_delay_alu instid0(VALU_DEP_1) | instskip(SKIP_1) | instid1(VALU_DEP_2)
	v_cndmask_b32_e32 v2, 0xff800000, v2, vcc_lo
	v_cmp_eq_u32_e32 vcc_lo, 0, v3
	v_cndmask_b32_e32 v6, 0x7f800001, v2, vcc_lo
; %bb.5247:                             ;   in Loop: Header=BB6_4483 Depth=3
	s_or_b32 exec_lo, exec_lo, s15
.LBB6_5248:                             ;   in Loop: Header=BB6_4483 Depth=3
	s_delay_alu instid0(SALU_CYCLE_1)
	s_or_b32 exec_lo, exec_lo, s14
.LBB6_5249:                             ;   in Loop: Header=BB6_4483 Depth=3
	s_delay_alu instid0(SALU_CYCLE_1) | instskip(NEXT) | instid1(VALU_DEP_1)
	s_or_b32 exec_lo, exec_lo, s13
	v_dual_mul_f32 v6, s74, v6 :: v_dual_mov_b32 v3, v113
                                        ; implicit-def: $vgpr36
	s_delay_alu instid0(VALU_DEP_1) | instskip(NEXT) | instid1(VALU_DEP_1)
	v_and_b32_e32 v2, 0x7f800000, v6
	v_cmp_ne_u64_e32 vcc_lo, 0x7f800000, v[2:3]
	v_and_b32_e32 v2, 0x7fffff, v6
	s_and_saveexec_b32 s13, vcc_lo
	s_delay_alu instid0(SALU_CYCLE_1)
	s_xor_b32 s14, exec_lo, s13
	s_cbranch_execz .LBB6_5267
; %bb.5250:                             ;   in Loop: Header=BB6_4483 Depth=3
	v_and_b32_e32 v36, 0x7fffffff, v6
	v_dual_mov_b32 v37, v113 :: v_dual_lshrrev_b32 v7, 24, v6
	s_delay_alu instid0(VALU_DEP_1) | instskip(NEXT) | instid1(VALU_DEP_2)
	v_cmp_gt_u64_e32 vcc_lo, 0x47600001, v[36:37]
	v_and_b32_e32 v37, 0x80, v7
                                        ; implicit-def: $vgpr36
	s_and_saveexec_b32 s13, vcc_lo
	s_delay_alu instid0(SALU_CYCLE_1)
	s_xor_b32 s15, exec_lo, s13
	s_cbranch_execz .LBB6_5264
; %bb.5251:                             ;   in Loop: Header=BB6_4483 Depth=3
	v_mov_b32_e32 v36, 0
	s_mov_b32 s75, exec_lo
	v_cmpx_ne_u32_e32 0, v6
	s_cbranch_execz .LBB6_5263
; %bb.5252:                             ;   in Loop: Header=BB6_4483 Depth=3
	v_bfe_u32 v36, v6, 23, 8
	v_or_b32_e32 v39, 0x800000, v2
	s_delay_alu instid0(VALU_DEP_2) | instskip(SKIP_1) | instid1(VALU_DEP_2)
	v_sub_nc_u32_e32 v6, 0x71, v36
	v_cmp_gt_u32_e32 vcc_lo, 0x72, v36
	v_cndmask_b32_e32 v6, 0, v6, vcc_lo
	v_cmp_eq_u32_e32 vcc_lo, 0, v36
	s_delay_alu instid0(VALU_DEP_2) | instskip(SKIP_1) | instid1(VALU_DEP_2)
	v_cndmask_b32_e64 v38, v6, 0x70, vcc_lo
	v_cndmask_b32_e32 v2, v39, v2, vcc_lo
	v_dual_add_nc_u32 v6, 21, v38 :: v_dual_add_nc_u32 v48, 20, v38
	s_delay_alu instid0(VALU_DEP_1) | instskip(NEXT) | instid1(VALU_DEP_2)
	v_lshlrev_b64_e64 v[6:7], v6, -1
	v_lshlrev_b64_e64 v[48:49], v48, 1
	s_delay_alu instid0(VALU_DEP_2) | instskip(SKIP_1) | instid1(VALU_DEP_4)
	v_bfi_b32 v6, v6, 0, v2
	v_lshrrev_b64 v[2:3], v38, v[2:3]
	v_bfi_b32 v7, v7, 0, 0
	s_delay_alu instid0(VALU_DEP_1) | instskip(NEXT) | instid1(VALU_DEP_3)
	v_cmp_eq_u64_e64 s13, v[6:7], v[48:49]
	v_mov_b64_e32 v[6:7], v[2:3]
	s_and_saveexec_b32 s76, s13
; %bb.5253:                             ;   in Loop: Header=BB6_4483 Depth=3
	v_bfe_u32 v6, v2, 21, 1
	v_mov_b32_e32 v7, v113
	s_delay_alu instid0(VALU_DEP_1) | instskip(NEXT) | instid1(VALU_DEP_1)
	v_add_nc_u64_e32 v[6:7], v[2:3], v[6:7]
	v_add_nc_u64_e32 v[6:7], -1, v[6:7]
; %bb.5254:                             ;   in Loop: Header=BB6_4483 Depth=3
	s_or_b32 exec_lo, exec_lo, s76
	v_add_nc_u32_e32 v3, 0xffffff81, v36
	v_lshrrev_b32_e32 v7, 23, v2
	s_mov_b32 s13, exec_lo
	s_delay_alu instid0(VALU_DEP_2) | instskip(NEXT) | instid1(VALU_DEP_1)
	v_cndmask_b32_e64 v3, v3, 0xffffff82, vcc_lo
	v_add3_u32 v7, v38, v3, v7
	v_and_b32_e32 v3, 0x1fffff, v6
                                        ; implicit-def: $vgpr6
	s_delay_alu instid0(VALU_DEP_1) | instskip(SKIP_1) | instid1(VALU_DEP_2)
	v_dual_add_nc_u32 v36, 14, v7 :: v_dual_add_nc_u32 v2, v3, v2
	v_mov_b32_e32 v3, v113
	v_cmpx_ne_u32_e32 0, v36
	s_xor_b32 s13, exec_lo, s13
; %bb.5255:                             ;   in Loop: Header=BB6_4483 Depth=3
	s_delay_alu instid0(VALU_DEP_2) | instskip(SKIP_2) | instid1(VALU_DEP_2)
	v_cmp_lt_u64_e32 vcc_lo, 0xffffff, v[2:3]
	v_add_nc_u32_e32 v6, 15, v7
	v_cndmask_b32_e64 v7, 0, 1, vcc_lo
	v_cndmask_b32_e32 v6, v36, v6, vcc_lo
	s_delay_alu instid0(VALU_DEP_2)
	v_lshrrev_b64 v[2:3], v7, v[2:3]
; %bb.5256:                             ;   in Loop: Header=BB6_4483 Depth=3
	s_and_not1_saveexec_b32 s13, s13
; %bb.5257:                             ;   in Loop: Header=BB6_4483 Depth=3
	s_delay_alu instid0(VALU_DEP_1)
	v_bfe_u32 v6, v2, 23, 1
; %bb.5258:                             ;   in Loop: Header=BB6_4483 Depth=3
	s_or_b32 exec_lo, exec_lo, s13
	s_delay_alu instid0(VALU_DEP_2) | instskip(NEXT) | instid1(VALU_DEP_2)
	v_lshrrev_b64 v[2:3], 21, v[2:3]
	v_cmp_gt_i32_e32 vcc_lo, 32, v6
	v_cmp_ne_u32_e64 s13, 0, v6
                                        ; implicit-def: $vgpr36
	s_delay_alu instid0(VALU_DEP_3) | instskip(NEXT) | instid1(VALU_DEP_1)
	v_dual_cndmask_b32 v3, 0, v3 :: v_dual_cndmask_b32 v2, 3, v2
	v_cmp_ne_u64_e32 vcc_lo, 0, v[2:3]
	s_or_b32 s13, s13, vcc_lo
	s_delay_alu instid0(SALU_CYCLE_1) | instskip(NEXT) | instid1(SALU_CYCLE_1)
	s_and_saveexec_b32 s76, s13
	s_xor_b32 s13, exec_lo, s76
; %bb.5259:                             ;   in Loop: Header=BB6_4483 Depth=3
	v_min_i32_e32 v3, 31, v6
	s_delay_alu instid0(VALU_DEP_1) | instskip(NEXT) | instid1(VALU_DEP_1)
	v_lshl_or_b32 v3, v3, 2, v37
                                        ; implicit-def: $vgpr37
	v_and_or_b32 v36, v2, 3, v3
; %bb.5260:                             ;   in Loop: Header=BB6_4483 Depth=3
	s_and_not1_saveexec_b32 s13, s13
; %bb.5261:                             ;   in Loop: Header=BB6_4483 Depth=3
	v_mov_b32_e32 v36, v37
; %bb.5262:                             ;   in Loop: Header=BB6_4483 Depth=3
	s_or_b32 exec_lo, exec_lo, s13
.LBB6_5263:                             ;   in Loop: Header=BB6_4483 Depth=3
	s_delay_alu instid0(SALU_CYCLE_1)
	s_or_b32 exec_lo, exec_lo, s75
                                        ; implicit-def: $vgpr37
.LBB6_5264:                             ;   in Loop: Header=BB6_4483 Depth=3
	s_and_not1_saveexec_b32 s13, s15
; %bb.5265:                             ;   in Loop: Header=BB6_4483 Depth=3
	v_or_b32_e32 v36, 0x7b, v37
; %bb.5266:                             ;   in Loop: Header=BB6_4483 Depth=3
	s_or_b32 exec_lo, exec_lo, s13
                                        ; implicit-def: $vgpr6
                                        ; implicit-def: $vgpr2_vgpr3
.LBB6_5267:                             ;   in Loop: Header=BB6_4483 Depth=3
	s_and_not1_saveexec_b32 s13, s14
	s_cbranch_execz .LBB6_5273
; %bb.5268:                             ;   in Loop: Header=BB6_4483 Depth=3
	s_mov_b32 s14, exec_lo
                                        ; implicit-def: $vgpr36
	v_cmpx_ne_u64_e32 0, v[2:3]
	s_xor_b32 s14, exec_lo, s14
; %bb.5269:                             ;   in Loop: Header=BB6_4483 Depth=3
	v_lshrrev_b32_e32 v2, 24, v6
                                        ; implicit-def: $vgpr6
	s_delay_alu instid0(VALU_DEP_1)
	v_or_b32_e32 v36, 0x7f, v2
; %bb.5270:                             ;   in Loop: Header=BB6_4483 Depth=3
	s_and_not1_saveexec_b32 s14, s14
; %bb.5271:                             ;   in Loop: Header=BB6_4483 Depth=3
	v_cmp_lt_i32_e32 vcc_lo, -1, v6
	v_cndmask_b32_e64 v36, -4, 0x7c, vcc_lo
; %bb.5272:                             ;   in Loop: Header=BB6_4483 Depth=3
	s_or_b32 exec_lo, exec_lo, s14
.LBB6_5273:                             ;   in Loop: Header=BB6_4483 Depth=3
	s_delay_alu instid0(SALU_CYCLE_1)
	s_or_b32 exec_lo, exec_lo, s13
	flat_load_i8 v2, v[0:1] offset:736 th:TH_LOAD_NT
	v_mov_b32_e32 v6, 0
	s_mov_b32 s13, exec_lo
	s_wait_loadcnt_dscnt 0x0
	s_wait_xcnt 0x0
	v_cmpx_ne_u16_e32 0, v2
	s_cbranch_execz .LBB6_5283
; %bb.5274:                             ;   in Loop: Header=BB6_4483 Depth=3
	v_bfrev_b32_e32 v6, 1
	s_mov_b32 s14, exec_lo
	v_cmpx_ne_u16_e32 0xff80, v2
	s_cbranch_execz .LBB6_5282
; %bb.5275:                             ;   in Loop: Header=BB6_4483 Depth=3
	v_and_b32_e32 v6, 0x7c, v2
	v_and_b32_e32 v3, 3, v2
	s_delay_alu instid0(VALU_DEP_2) | instskip(SKIP_1) | instid1(SALU_CYCLE_1)
	v_cmp_ne_u32_e32 vcc_lo, 0x7c, v6
                                        ; implicit-def: $vgpr6
	s_and_saveexec_b32 s15, vcc_lo
	s_xor_b32 s15, exec_lo, s15
	s_cbranch_execz .LBB6_5279
; %bb.5276:                             ;   in Loop: Header=BB6_4483 Depth=3
	v_and_b32_e32 v6, 0xff, v2
	s_mov_b32 s75, exec_lo
	s_delay_alu instid0(VALU_DEP_1) | instskip(NEXT) | instid1(VALU_DEP_1)
	v_bfe_u32 v6, v6, 2, 5
	v_cmpx_eq_u32_e32 0, v6
	s_cbranch_execz .LBB6_5278
; %bb.5277:                             ;   in Loop: Header=BB6_4483 Depth=3
	v_clz_i32_u32_e32 v3, v3
	s_delay_alu instid0(VALU_DEP_1) | instskip(SKIP_1) | instid1(VALU_DEP_2)
	v_min_u32_e32 v6, 32, v3
	v_mov_b32_e32 v3, v113
	v_subrev_nc_u32_e32 v7, 29, v6
	v_sub_nc_u32_e32 v6, 30, v6
	s_delay_alu instid0(VALU_DEP_2) | instskip(NEXT) | instid1(VALU_DEP_1)
	v_lshlrev_b64_e32 v[38:39], v7, v[2:3]
	v_and_b32_e32 v3, 3, v38
.LBB6_5278:                             ;   in Loop: Header=BB6_4483 Depth=3
	s_or_b32 exec_lo, exec_lo, s75
	v_bfe_i32 v2, v2, 0, 16
	s_delay_alu instid0(VALU_DEP_1) | instskip(NEXT) | instid1(VALU_DEP_1)
	v_and_b32_e32 v2, 0x80000000, v2
	v_lshl_add_u32 v2, v6, 23, v2
	s_delay_alu instid0(VALU_DEP_1) | instskip(NEXT) | instid1(VALU_DEP_1)
	v_lshl_or_b32 v2, v3, 21, v2
                                        ; implicit-def: $vgpr3
	v_add_nc_u32_e32 v6, 0x38000000, v2
                                        ; implicit-def: $vgpr2
.LBB6_5279:                             ;   in Loop: Header=BB6_4483 Depth=3
	s_and_not1_saveexec_b32 s15, s15
; %bb.5280:                             ;   in Loop: Header=BB6_4483 Depth=3
	v_cmp_lt_i16_e32 vcc_lo, -1, v2
	v_mov_b32_e32 v2, 0x7f800000
	s_delay_alu instid0(VALU_DEP_1) | instskip(SKIP_1) | instid1(VALU_DEP_2)
	v_cndmask_b32_e32 v2, 0xff800000, v2, vcc_lo
	v_cmp_eq_u32_e32 vcc_lo, 0, v3
	v_cndmask_b32_e32 v6, 0x7f800001, v2, vcc_lo
; %bb.5281:                             ;   in Loop: Header=BB6_4483 Depth=3
	s_or_b32 exec_lo, exec_lo, s15
.LBB6_5282:                             ;   in Loop: Header=BB6_4483 Depth=3
	s_delay_alu instid0(SALU_CYCLE_1)
	s_or_b32 exec_lo, exec_lo, s14
.LBB6_5283:                             ;   in Loop: Header=BB6_4483 Depth=3
	s_delay_alu instid0(SALU_CYCLE_1) | instskip(NEXT) | instid1(VALU_DEP_1)
	s_or_b32 exec_lo, exec_lo, s13
	v_dual_mul_f32 v6, s74, v6 :: v_dual_mov_b32 v3, v113
                                        ; implicit-def: $vgpr37
	s_delay_alu instid0(VALU_DEP_1) | instskip(NEXT) | instid1(VALU_DEP_1)
	v_and_b32_e32 v2, 0x7f800000, v6
	v_cmp_ne_u64_e32 vcc_lo, 0x7f800000, v[2:3]
	v_and_b32_e32 v2, 0x7fffff, v6
	s_and_saveexec_b32 s13, vcc_lo
	s_delay_alu instid0(SALU_CYCLE_1)
	s_xor_b32 s14, exec_lo, s13
	s_cbranch_execz .LBB6_5301
; %bb.5284:                             ;   in Loop: Header=BB6_4483 Depth=3
	v_and_b32_e32 v38, 0x7fffffff, v6
	v_dual_mov_b32 v39, v113 :: v_dual_lshrrev_b32 v7, 24, v6
                                        ; implicit-def: $vgpr37
	s_delay_alu instid0(VALU_DEP_1) | instskip(NEXT) | instid1(VALU_DEP_2)
	v_cmp_gt_u64_e32 vcc_lo, 0x47600001, v[38:39]
	v_and_b32_e32 v38, 0x80, v7
	s_and_saveexec_b32 s13, vcc_lo
	s_delay_alu instid0(SALU_CYCLE_1)
	s_xor_b32 s15, exec_lo, s13
	s_cbranch_execz .LBB6_5298
; %bb.5285:                             ;   in Loop: Header=BB6_4483 Depth=3
	v_mov_b32_e32 v37, 0
	s_mov_b32 s75, exec_lo
	v_cmpx_ne_u32_e32 0, v6
	s_cbranch_execz .LBB6_5297
; %bb.5286:                             ;   in Loop: Header=BB6_4483 Depth=3
	v_bfe_u32 v37, v6, 23, 8
	v_or_b32_e32 v48, 0x800000, v2
	s_delay_alu instid0(VALU_DEP_2) | instskip(SKIP_1) | instid1(VALU_DEP_2)
	v_sub_nc_u32_e32 v6, 0x71, v37
	v_cmp_gt_u32_e32 vcc_lo, 0x72, v37
	v_cndmask_b32_e32 v6, 0, v6, vcc_lo
	v_cmp_eq_u32_e32 vcc_lo, 0, v37
	s_delay_alu instid0(VALU_DEP_2) | instskip(NEXT) | instid1(VALU_DEP_1)
	v_cndmask_b32_e64 v39, v6, 0x70, vcc_lo
	v_dual_cndmask_b32 v2, v48, v2, vcc_lo :: v_dual_add_nc_u32 v6, 21, v39
	v_add_nc_u32_e32 v49, 20, v39
	s_delay_alu instid0(VALU_DEP_2) | instskip(NEXT) | instid1(VALU_DEP_2)
	v_lshlrev_b64_e64 v[6:7], v6, -1
	v_lshlrev_b64_e64 v[48:49], v49, 1
	s_delay_alu instid0(VALU_DEP_2) | instskip(SKIP_1) | instid1(VALU_DEP_4)
	v_bfi_b32 v6, v6, 0, v2
	v_lshrrev_b64 v[2:3], v39, v[2:3]
	v_bfi_b32 v7, v7, 0, 0
	s_delay_alu instid0(VALU_DEP_1) | instskip(NEXT) | instid1(VALU_DEP_3)
	v_cmp_eq_u64_e64 s13, v[6:7], v[48:49]
	v_mov_b64_e32 v[6:7], v[2:3]
	s_and_saveexec_b32 s76, s13
; %bb.5287:                             ;   in Loop: Header=BB6_4483 Depth=3
	v_bfe_u32 v6, v2, 21, 1
	v_mov_b32_e32 v7, v113
	s_delay_alu instid0(VALU_DEP_1) | instskip(NEXT) | instid1(VALU_DEP_1)
	v_add_nc_u64_e32 v[6:7], v[2:3], v[6:7]
	v_add_nc_u64_e32 v[6:7], -1, v[6:7]
; %bb.5288:                             ;   in Loop: Header=BB6_4483 Depth=3
	s_or_b32 exec_lo, exec_lo, s76
	v_add_nc_u32_e32 v3, 0xffffff81, v37
	v_lshrrev_b32_e32 v7, 23, v2
	s_mov_b32 s13, exec_lo
	s_delay_alu instid0(VALU_DEP_2) | instskip(NEXT) | instid1(VALU_DEP_1)
	v_cndmask_b32_e64 v3, v3, 0xffffff82, vcc_lo
	v_add3_u32 v7, v39, v3, v7
	v_and_b32_e32 v3, 0x1fffff, v6
                                        ; implicit-def: $vgpr6
	s_delay_alu instid0(VALU_DEP_1) | instskip(SKIP_1) | instid1(VALU_DEP_2)
	v_dual_add_nc_u32 v37, 14, v7 :: v_dual_add_nc_u32 v2, v3, v2
	v_mov_b32_e32 v3, v113
	v_cmpx_ne_u32_e32 0, v37
	s_xor_b32 s13, exec_lo, s13
; %bb.5289:                             ;   in Loop: Header=BB6_4483 Depth=3
	s_delay_alu instid0(VALU_DEP_2) | instskip(SKIP_2) | instid1(VALU_DEP_2)
	v_cmp_lt_u64_e32 vcc_lo, 0xffffff, v[2:3]
	v_add_nc_u32_e32 v6, 15, v7
	v_cndmask_b32_e64 v7, 0, 1, vcc_lo
	v_cndmask_b32_e32 v6, v37, v6, vcc_lo
	s_delay_alu instid0(VALU_DEP_2)
	v_lshrrev_b64 v[2:3], v7, v[2:3]
; %bb.5290:                             ;   in Loop: Header=BB6_4483 Depth=3
	s_and_not1_saveexec_b32 s13, s13
; %bb.5291:                             ;   in Loop: Header=BB6_4483 Depth=3
	s_delay_alu instid0(VALU_DEP_1)
	v_bfe_u32 v6, v2, 23, 1
; %bb.5292:                             ;   in Loop: Header=BB6_4483 Depth=3
	s_or_b32 exec_lo, exec_lo, s13
	s_delay_alu instid0(VALU_DEP_2) | instskip(NEXT) | instid1(VALU_DEP_2)
	v_lshrrev_b64 v[2:3], 21, v[2:3]
	v_cmp_gt_i32_e32 vcc_lo, 32, v6
	v_cmp_ne_u32_e64 s13, 0, v6
                                        ; implicit-def: $vgpr37
	s_delay_alu instid0(VALU_DEP_3) | instskip(NEXT) | instid1(VALU_DEP_1)
	v_dual_cndmask_b32 v3, 0, v3 :: v_dual_cndmask_b32 v2, 3, v2
	v_cmp_ne_u64_e32 vcc_lo, 0, v[2:3]
	s_or_b32 s13, s13, vcc_lo
	s_delay_alu instid0(SALU_CYCLE_1) | instskip(NEXT) | instid1(SALU_CYCLE_1)
	s_and_saveexec_b32 s76, s13
	s_xor_b32 s13, exec_lo, s76
; %bb.5293:                             ;   in Loop: Header=BB6_4483 Depth=3
	v_min_i32_e32 v3, 31, v6
	s_delay_alu instid0(VALU_DEP_1) | instskip(NEXT) | instid1(VALU_DEP_1)
	v_lshl_or_b32 v3, v3, 2, v38
                                        ; implicit-def: $vgpr38
	v_and_or_b32 v37, v2, 3, v3
; %bb.5294:                             ;   in Loop: Header=BB6_4483 Depth=3
	s_and_not1_saveexec_b32 s13, s13
; %bb.5295:                             ;   in Loop: Header=BB6_4483 Depth=3
	v_mov_b32_e32 v37, v38
; %bb.5296:                             ;   in Loop: Header=BB6_4483 Depth=3
	s_or_b32 exec_lo, exec_lo, s13
.LBB6_5297:                             ;   in Loop: Header=BB6_4483 Depth=3
	s_delay_alu instid0(SALU_CYCLE_1)
	s_or_b32 exec_lo, exec_lo, s75
                                        ; implicit-def: $vgpr38
.LBB6_5298:                             ;   in Loop: Header=BB6_4483 Depth=3
	s_and_not1_saveexec_b32 s13, s15
; %bb.5299:                             ;   in Loop: Header=BB6_4483 Depth=3
	v_or_b32_e32 v37, 0x7b, v38
; %bb.5300:                             ;   in Loop: Header=BB6_4483 Depth=3
	s_or_b32 exec_lo, exec_lo, s13
                                        ; implicit-def: $vgpr6
                                        ; implicit-def: $vgpr2_vgpr3
.LBB6_5301:                             ;   in Loop: Header=BB6_4483 Depth=3
	s_and_not1_saveexec_b32 s13, s14
	s_cbranch_execz .LBB6_5307
; %bb.5302:                             ;   in Loop: Header=BB6_4483 Depth=3
	s_mov_b32 s14, exec_lo
                                        ; implicit-def: $vgpr37
	v_cmpx_ne_u64_e32 0, v[2:3]
	s_xor_b32 s14, exec_lo, s14
; %bb.5303:                             ;   in Loop: Header=BB6_4483 Depth=3
	v_lshrrev_b32_e32 v2, 24, v6
                                        ; implicit-def: $vgpr6
	s_delay_alu instid0(VALU_DEP_1)
	v_or_b32_e32 v37, 0x7f, v2
; %bb.5304:                             ;   in Loop: Header=BB6_4483 Depth=3
	s_and_not1_saveexec_b32 s14, s14
; %bb.5305:                             ;   in Loop: Header=BB6_4483 Depth=3
	v_cmp_lt_i32_e32 vcc_lo, -1, v6
	v_cndmask_b32_e64 v37, -4, 0x7c, vcc_lo
; %bb.5306:                             ;   in Loop: Header=BB6_4483 Depth=3
	s_or_b32 exec_lo, exec_lo, s14
.LBB6_5307:                             ;   in Loop: Header=BB6_4483 Depth=3
	s_delay_alu instid0(SALU_CYCLE_1)
	s_or_b32 exec_lo, exec_lo, s13
	flat_load_i8 v2, v[0:1] offset:768 th:TH_LOAD_NT
	v_mov_b32_e32 v6, 0
	s_mov_b32 s13, exec_lo
	s_wait_loadcnt_dscnt 0x0
	s_wait_xcnt 0x0
	v_cmpx_ne_u16_e32 0, v2
	s_cbranch_execz .LBB6_5317
; %bb.5308:                             ;   in Loop: Header=BB6_4483 Depth=3
	v_bfrev_b32_e32 v6, 1
	s_mov_b32 s14, exec_lo
	v_cmpx_ne_u16_e32 0xff80, v2
	s_cbranch_execz .LBB6_5316
; %bb.5309:                             ;   in Loop: Header=BB6_4483 Depth=3
	v_and_b32_e32 v6, 0x7c, v2
	v_and_b32_e32 v3, 3, v2
	s_delay_alu instid0(VALU_DEP_2) | instskip(SKIP_1) | instid1(SALU_CYCLE_1)
	v_cmp_ne_u32_e32 vcc_lo, 0x7c, v6
                                        ; implicit-def: $vgpr6
	s_and_saveexec_b32 s15, vcc_lo
	s_xor_b32 s15, exec_lo, s15
	s_cbranch_execz .LBB6_5313
; %bb.5310:                             ;   in Loop: Header=BB6_4483 Depth=3
	v_and_b32_e32 v6, 0xff, v2
	s_mov_b32 s75, exec_lo
	s_delay_alu instid0(VALU_DEP_1) | instskip(NEXT) | instid1(VALU_DEP_1)
	v_bfe_u32 v6, v6, 2, 5
	v_cmpx_eq_u32_e32 0, v6
	s_cbranch_execz .LBB6_5312
; %bb.5311:                             ;   in Loop: Header=BB6_4483 Depth=3
	v_clz_i32_u32_e32 v3, v3
	s_delay_alu instid0(VALU_DEP_1) | instskip(SKIP_1) | instid1(VALU_DEP_2)
	v_min_u32_e32 v6, 32, v3
	v_mov_b32_e32 v3, v113
	v_subrev_nc_u32_e32 v7, 29, v6
	v_sub_nc_u32_e32 v6, 30, v6
	s_delay_alu instid0(VALU_DEP_2) | instskip(NEXT) | instid1(VALU_DEP_1)
	v_lshlrev_b64_e32 v[38:39], v7, v[2:3]
	v_and_b32_e32 v3, 3, v38
.LBB6_5312:                             ;   in Loop: Header=BB6_4483 Depth=3
	s_or_b32 exec_lo, exec_lo, s75
	v_bfe_i32 v2, v2, 0, 16
	s_delay_alu instid0(VALU_DEP_1) | instskip(NEXT) | instid1(VALU_DEP_1)
	v_and_b32_e32 v2, 0x80000000, v2
	v_lshl_add_u32 v2, v6, 23, v2
	s_delay_alu instid0(VALU_DEP_1) | instskip(NEXT) | instid1(VALU_DEP_1)
	v_lshl_or_b32 v2, v3, 21, v2
                                        ; implicit-def: $vgpr3
	v_add_nc_u32_e32 v6, 0x38000000, v2
                                        ; implicit-def: $vgpr2
.LBB6_5313:                             ;   in Loop: Header=BB6_4483 Depth=3
	s_and_not1_saveexec_b32 s15, s15
; %bb.5314:                             ;   in Loop: Header=BB6_4483 Depth=3
	v_cmp_lt_i16_e32 vcc_lo, -1, v2
	v_mov_b32_e32 v2, 0x7f800000
	s_delay_alu instid0(VALU_DEP_1) | instskip(SKIP_1) | instid1(VALU_DEP_2)
	v_cndmask_b32_e32 v2, 0xff800000, v2, vcc_lo
	v_cmp_eq_u32_e32 vcc_lo, 0, v3
	v_cndmask_b32_e32 v6, 0x7f800001, v2, vcc_lo
; %bb.5315:                             ;   in Loop: Header=BB6_4483 Depth=3
	s_or_b32 exec_lo, exec_lo, s15
.LBB6_5316:                             ;   in Loop: Header=BB6_4483 Depth=3
	s_delay_alu instid0(SALU_CYCLE_1)
	s_or_b32 exec_lo, exec_lo, s14
.LBB6_5317:                             ;   in Loop: Header=BB6_4483 Depth=3
	s_delay_alu instid0(SALU_CYCLE_1) | instskip(NEXT) | instid1(VALU_DEP_1)
	s_or_b32 exec_lo, exec_lo, s13
	v_dual_mul_f32 v6, s74, v6 :: v_dual_mov_b32 v3, v113
                                        ; implicit-def: $vgpr38
	s_delay_alu instid0(VALU_DEP_1) | instskip(NEXT) | instid1(VALU_DEP_1)
	v_and_b32_e32 v2, 0x7f800000, v6
	v_cmp_ne_u64_e32 vcc_lo, 0x7f800000, v[2:3]
	v_and_b32_e32 v2, 0x7fffff, v6
	s_and_saveexec_b32 s13, vcc_lo
	s_delay_alu instid0(SALU_CYCLE_1)
	s_xor_b32 s14, exec_lo, s13
	s_cbranch_execz .LBB6_5335
; %bb.5318:                             ;   in Loop: Header=BB6_4483 Depth=3
	v_and_b32_e32 v38, 0x7fffffff, v6
	v_dual_mov_b32 v39, v113 :: v_dual_lshrrev_b32 v7, 24, v6
	s_delay_alu instid0(VALU_DEP_1) | instskip(NEXT) | instid1(VALU_DEP_2)
	v_cmp_gt_u64_e32 vcc_lo, 0x47600001, v[38:39]
	v_and_b32_e32 v39, 0x80, v7
                                        ; implicit-def: $vgpr38
	s_and_saveexec_b32 s13, vcc_lo
	s_delay_alu instid0(SALU_CYCLE_1)
	s_xor_b32 s15, exec_lo, s13
	s_cbranch_execz .LBB6_5332
; %bb.5319:                             ;   in Loop: Header=BB6_4483 Depth=3
	v_mov_b32_e32 v38, 0
	s_mov_b32 s75, exec_lo
	v_cmpx_ne_u32_e32 0, v6
	s_cbranch_execz .LBB6_5331
; %bb.5320:                             ;   in Loop: Header=BB6_4483 Depth=3
	v_bfe_u32 v38, v6, 23, 8
	v_or_b32_e32 v49, 0x800000, v2
	s_delay_alu instid0(VALU_DEP_2) | instskip(SKIP_1) | instid1(VALU_DEP_2)
	v_sub_nc_u32_e32 v6, 0x71, v38
	v_cmp_gt_u32_e32 vcc_lo, 0x72, v38
	v_cndmask_b32_e32 v6, 0, v6, vcc_lo
	v_cmp_eq_u32_e32 vcc_lo, 0, v38
	s_delay_alu instid0(VALU_DEP_2) | instskip(NEXT) | instid1(VALU_DEP_1)
	v_cndmask_b32_e64 v48, v6, 0x70, vcc_lo
	v_dual_cndmask_b32 v2, v49, v2, vcc_lo :: v_dual_add_nc_u32 v6, 21, v48
	v_add_nc_u32_e32 v50, 20, v48
	s_delay_alu instid0(VALU_DEP_2) | instskip(NEXT) | instid1(VALU_DEP_2)
	v_lshlrev_b64_e64 v[6:7], v6, -1
	v_lshlrev_b64_e64 v[50:51], v50, 1
	s_delay_alu instid0(VALU_DEP_2) | instskip(SKIP_1) | instid1(VALU_DEP_4)
	v_bfi_b32 v6, v6, 0, v2
	v_lshrrev_b64 v[2:3], v48, v[2:3]
	v_bfi_b32 v7, v7, 0, 0
	s_delay_alu instid0(VALU_DEP_1) | instskip(NEXT) | instid1(VALU_DEP_3)
	v_cmp_eq_u64_e64 s13, v[6:7], v[50:51]
	v_mov_b64_e32 v[6:7], v[2:3]
	s_and_saveexec_b32 s76, s13
; %bb.5321:                             ;   in Loop: Header=BB6_4483 Depth=3
	v_bfe_u32 v6, v2, 21, 1
	v_mov_b32_e32 v7, v113
	s_delay_alu instid0(VALU_DEP_1) | instskip(NEXT) | instid1(VALU_DEP_1)
	v_add_nc_u64_e32 v[6:7], v[2:3], v[6:7]
	v_add_nc_u64_e32 v[6:7], -1, v[6:7]
; %bb.5322:                             ;   in Loop: Header=BB6_4483 Depth=3
	s_or_b32 exec_lo, exec_lo, s76
	v_add_nc_u32_e32 v3, 0xffffff81, v38
	v_lshrrev_b32_e32 v7, 23, v2
	s_mov_b32 s13, exec_lo
	s_delay_alu instid0(VALU_DEP_2) | instskip(NEXT) | instid1(VALU_DEP_1)
	v_cndmask_b32_e64 v3, v3, 0xffffff82, vcc_lo
	v_add3_u32 v7, v48, v3, v7
	v_and_b32_e32 v3, 0x1fffff, v6
                                        ; implicit-def: $vgpr6
	s_delay_alu instid0(VALU_DEP_1) | instskip(SKIP_1) | instid1(VALU_DEP_2)
	v_dual_add_nc_u32 v38, 14, v7 :: v_dual_add_nc_u32 v2, v3, v2
	v_mov_b32_e32 v3, v113
	v_cmpx_ne_u32_e32 0, v38
	s_xor_b32 s13, exec_lo, s13
; %bb.5323:                             ;   in Loop: Header=BB6_4483 Depth=3
	s_delay_alu instid0(VALU_DEP_2) | instskip(SKIP_2) | instid1(VALU_DEP_2)
	v_cmp_lt_u64_e32 vcc_lo, 0xffffff, v[2:3]
	v_add_nc_u32_e32 v6, 15, v7
	v_cndmask_b32_e64 v7, 0, 1, vcc_lo
	v_cndmask_b32_e32 v6, v38, v6, vcc_lo
	s_delay_alu instid0(VALU_DEP_2)
	v_lshrrev_b64 v[2:3], v7, v[2:3]
; %bb.5324:                             ;   in Loop: Header=BB6_4483 Depth=3
	s_and_not1_saveexec_b32 s13, s13
; %bb.5325:                             ;   in Loop: Header=BB6_4483 Depth=3
	s_delay_alu instid0(VALU_DEP_1)
	v_bfe_u32 v6, v2, 23, 1
; %bb.5326:                             ;   in Loop: Header=BB6_4483 Depth=3
	s_or_b32 exec_lo, exec_lo, s13
	s_delay_alu instid0(VALU_DEP_2) | instskip(NEXT) | instid1(VALU_DEP_2)
	v_lshrrev_b64 v[2:3], 21, v[2:3]
	v_cmp_gt_i32_e32 vcc_lo, 32, v6
	v_cmp_ne_u32_e64 s13, 0, v6
                                        ; implicit-def: $vgpr38
	s_delay_alu instid0(VALU_DEP_3) | instskip(NEXT) | instid1(VALU_DEP_1)
	v_dual_cndmask_b32 v3, 0, v3 :: v_dual_cndmask_b32 v2, 3, v2
	v_cmp_ne_u64_e32 vcc_lo, 0, v[2:3]
	s_or_b32 s13, s13, vcc_lo
	s_delay_alu instid0(SALU_CYCLE_1) | instskip(NEXT) | instid1(SALU_CYCLE_1)
	s_and_saveexec_b32 s76, s13
	s_xor_b32 s13, exec_lo, s76
; %bb.5327:                             ;   in Loop: Header=BB6_4483 Depth=3
	v_min_i32_e32 v3, 31, v6
	s_delay_alu instid0(VALU_DEP_1) | instskip(NEXT) | instid1(VALU_DEP_1)
	v_lshl_or_b32 v3, v3, 2, v39
                                        ; implicit-def: $vgpr39
	v_and_or_b32 v38, v2, 3, v3
; %bb.5328:                             ;   in Loop: Header=BB6_4483 Depth=3
	s_and_not1_saveexec_b32 s13, s13
; %bb.5329:                             ;   in Loop: Header=BB6_4483 Depth=3
	v_mov_b32_e32 v38, v39
; %bb.5330:                             ;   in Loop: Header=BB6_4483 Depth=3
	s_or_b32 exec_lo, exec_lo, s13
.LBB6_5331:                             ;   in Loop: Header=BB6_4483 Depth=3
	s_delay_alu instid0(SALU_CYCLE_1)
	s_or_b32 exec_lo, exec_lo, s75
                                        ; implicit-def: $vgpr39
.LBB6_5332:                             ;   in Loop: Header=BB6_4483 Depth=3
	s_and_not1_saveexec_b32 s13, s15
; %bb.5333:                             ;   in Loop: Header=BB6_4483 Depth=3
	v_or_b32_e32 v38, 0x7b, v39
; %bb.5334:                             ;   in Loop: Header=BB6_4483 Depth=3
	s_or_b32 exec_lo, exec_lo, s13
                                        ; implicit-def: $vgpr6
                                        ; implicit-def: $vgpr2_vgpr3
.LBB6_5335:                             ;   in Loop: Header=BB6_4483 Depth=3
	s_and_not1_saveexec_b32 s13, s14
	s_cbranch_execz .LBB6_5341
; %bb.5336:                             ;   in Loop: Header=BB6_4483 Depth=3
	s_mov_b32 s14, exec_lo
                                        ; implicit-def: $vgpr38
	v_cmpx_ne_u64_e32 0, v[2:3]
	s_xor_b32 s14, exec_lo, s14
; %bb.5337:                             ;   in Loop: Header=BB6_4483 Depth=3
	v_lshrrev_b32_e32 v2, 24, v6
                                        ; implicit-def: $vgpr6
	s_delay_alu instid0(VALU_DEP_1)
	v_or_b32_e32 v38, 0x7f, v2
; %bb.5338:                             ;   in Loop: Header=BB6_4483 Depth=3
	s_and_not1_saveexec_b32 s14, s14
; %bb.5339:                             ;   in Loop: Header=BB6_4483 Depth=3
	v_cmp_lt_i32_e32 vcc_lo, -1, v6
	v_cndmask_b32_e64 v38, -4, 0x7c, vcc_lo
; %bb.5340:                             ;   in Loop: Header=BB6_4483 Depth=3
	s_or_b32 exec_lo, exec_lo, s14
.LBB6_5341:                             ;   in Loop: Header=BB6_4483 Depth=3
	s_delay_alu instid0(SALU_CYCLE_1)
	s_or_b32 exec_lo, exec_lo, s13
	flat_load_i8 v2, v[0:1] offset:800 th:TH_LOAD_NT
	v_mov_b32_e32 v6, 0
	s_mov_b32 s13, exec_lo
	s_wait_loadcnt_dscnt 0x0
	s_wait_xcnt 0x0
	v_cmpx_ne_u16_e32 0, v2
	s_cbranch_execz .LBB6_5351
; %bb.5342:                             ;   in Loop: Header=BB6_4483 Depth=3
	v_bfrev_b32_e32 v6, 1
	s_mov_b32 s14, exec_lo
	v_cmpx_ne_u16_e32 0xff80, v2
	s_cbranch_execz .LBB6_5350
; %bb.5343:                             ;   in Loop: Header=BB6_4483 Depth=3
	v_and_b32_e32 v6, 0x7c, v2
	v_and_b32_e32 v3, 3, v2
	s_delay_alu instid0(VALU_DEP_2) | instskip(SKIP_1) | instid1(SALU_CYCLE_1)
	v_cmp_ne_u32_e32 vcc_lo, 0x7c, v6
                                        ; implicit-def: $vgpr6
	s_and_saveexec_b32 s15, vcc_lo
	s_xor_b32 s15, exec_lo, s15
	s_cbranch_execz .LBB6_5347
; %bb.5344:                             ;   in Loop: Header=BB6_4483 Depth=3
	v_and_b32_e32 v6, 0xff, v2
	s_mov_b32 s75, exec_lo
	s_delay_alu instid0(VALU_DEP_1) | instskip(NEXT) | instid1(VALU_DEP_1)
	v_bfe_u32 v6, v6, 2, 5
	v_cmpx_eq_u32_e32 0, v6
	s_cbranch_execz .LBB6_5346
; %bb.5345:                             ;   in Loop: Header=BB6_4483 Depth=3
	v_clz_i32_u32_e32 v3, v3
	s_delay_alu instid0(VALU_DEP_1) | instskip(SKIP_1) | instid1(VALU_DEP_2)
	v_min_u32_e32 v6, 32, v3
	v_mov_b32_e32 v3, v113
	v_subrev_nc_u32_e32 v7, 29, v6
	v_sub_nc_u32_e32 v6, 30, v6
	s_delay_alu instid0(VALU_DEP_2) | instskip(NEXT) | instid1(VALU_DEP_1)
	v_lshlrev_b64_e32 v[48:49], v7, v[2:3]
	v_and_b32_e32 v3, 3, v48
.LBB6_5346:                             ;   in Loop: Header=BB6_4483 Depth=3
	s_or_b32 exec_lo, exec_lo, s75
	v_bfe_i32 v2, v2, 0, 16
	s_delay_alu instid0(VALU_DEP_1) | instskip(NEXT) | instid1(VALU_DEP_1)
	v_and_b32_e32 v2, 0x80000000, v2
	v_lshl_add_u32 v2, v6, 23, v2
	s_delay_alu instid0(VALU_DEP_1) | instskip(NEXT) | instid1(VALU_DEP_1)
	v_lshl_or_b32 v2, v3, 21, v2
                                        ; implicit-def: $vgpr3
	v_add_nc_u32_e32 v6, 0x38000000, v2
                                        ; implicit-def: $vgpr2
.LBB6_5347:                             ;   in Loop: Header=BB6_4483 Depth=3
	s_and_not1_saveexec_b32 s15, s15
; %bb.5348:                             ;   in Loop: Header=BB6_4483 Depth=3
	v_cmp_lt_i16_e32 vcc_lo, -1, v2
	v_mov_b32_e32 v2, 0x7f800000
	s_delay_alu instid0(VALU_DEP_1) | instskip(SKIP_1) | instid1(VALU_DEP_2)
	v_cndmask_b32_e32 v2, 0xff800000, v2, vcc_lo
	v_cmp_eq_u32_e32 vcc_lo, 0, v3
	v_cndmask_b32_e32 v6, 0x7f800001, v2, vcc_lo
; %bb.5349:                             ;   in Loop: Header=BB6_4483 Depth=3
	s_or_b32 exec_lo, exec_lo, s15
.LBB6_5350:                             ;   in Loop: Header=BB6_4483 Depth=3
	s_delay_alu instid0(SALU_CYCLE_1)
	s_or_b32 exec_lo, exec_lo, s14
.LBB6_5351:                             ;   in Loop: Header=BB6_4483 Depth=3
	s_delay_alu instid0(SALU_CYCLE_1) | instskip(NEXT) | instid1(VALU_DEP_1)
	s_or_b32 exec_lo, exec_lo, s13
	v_dual_mul_f32 v6, s74, v6 :: v_dual_mov_b32 v3, v113
                                        ; implicit-def: $vgpr39
	s_delay_alu instid0(VALU_DEP_1) | instskip(NEXT) | instid1(VALU_DEP_1)
	v_and_b32_e32 v2, 0x7f800000, v6
	v_cmp_ne_u64_e32 vcc_lo, 0x7f800000, v[2:3]
	v_and_b32_e32 v2, 0x7fffff, v6
	s_and_saveexec_b32 s13, vcc_lo
	s_delay_alu instid0(SALU_CYCLE_1)
	s_xor_b32 s14, exec_lo, s13
	s_cbranch_execz .LBB6_5369
; %bb.5352:                             ;   in Loop: Header=BB6_4483 Depth=3
	v_and_b32_e32 v48, 0x7fffffff, v6
	v_dual_mov_b32 v49, v113 :: v_dual_lshrrev_b32 v7, 24, v6
                                        ; implicit-def: $vgpr39
	s_delay_alu instid0(VALU_DEP_1) | instskip(NEXT) | instid1(VALU_DEP_2)
	v_cmp_gt_u64_e32 vcc_lo, 0x47600001, v[48:49]
	v_and_b32_e32 v48, 0x80, v7
	s_and_saveexec_b32 s13, vcc_lo
	s_delay_alu instid0(SALU_CYCLE_1)
	s_xor_b32 s15, exec_lo, s13
	s_cbranch_execz .LBB6_5366
; %bb.5353:                             ;   in Loop: Header=BB6_4483 Depth=3
	v_mov_b32_e32 v39, 0
	s_mov_b32 s75, exec_lo
	v_cmpx_ne_u32_e32 0, v6
	s_cbranch_execz .LBB6_5365
; %bb.5354:                             ;   in Loop: Header=BB6_4483 Depth=3
	v_bfe_u32 v39, v6, 23, 8
	v_or_b32_e32 v7, 0x800000, v2
	s_delay_alu instid0(VALU_DEP_2) | instskip(SKIP_2) | instid1(VALU_DEP_2)
	v_cmp_gt_u32_e64 s13, 0x72, v39
	v_sub_nc_u32_e32 v6, 0x71, v39
	v_cmp_eq_u32_e32 vcc_lo, 0, v39
	v_cndmask_b32_e64 v6, 0, v6, s13
	s_delay_alu instid0(VALU_DEP_1) | instskip(NEXT) | instid1(VALU_DEP_1)
	v_cndmask_b32_e64 v49, v6, 0x70, vcc_lo
	v_dual_cndmask_b32 v2, v7, v2, vcc_lo :: v_dual_add_nc_u32 v6, 21, v49
	v_add_nc_u32_e32 v50, 20, v49
	s_delay_alu instid0(VALU_DEP_2) | instskip(NEXT) | instid1(VALU_DEP_2)
	v_lshlrev_b64_e64 v[6:7], v6, -1
	v_lshlrev_b64_e64 v[50:51], v50, 1
	s_delay_alu instid0(VALU_DEP_2) | instskip(SKIP_1) | instid1(VALU_DEP_4)
	v_bfi_b32 v6, v6, 0, v2
	v_lshrrev_b64 v[2:3], v49, v[2:3]
	v_bfi_b32 v7, v7, 0, 0
	s_delay_alu instid0(VALU_DEP_1) | instskip(NEXT) | instid1(VALU_DEP_3)
	v_cmp_eq_u64_e64 s13, v[6:7], v[50:51]
	v_mov_b64_e32 v[6:7], v[2:3]
	s_and_saveexec_b32 s76, s13
; %bb.5355:                             ;   in Loop: Header=BB6_4483 Depth=3
	v_bfe_u32 v6, v2, 21, 1
	v_mov_b32_e32 v7, v113
	s_delay_alu instid0(VALU_DEP_1) | instskip(NEXT) | instid1(VALU_DEP_1)
	v_add_nc_u64_e32 v[6:7], v[2:3], v[6:7]
	v_add_nc_u64_e32 v[6:7], -1, v[6:7]
; %bb.5356:                             ;   in Loop: Header=BB6_4483 Depth=3
	s_or_b32 exec_lo, exec_lo, s76
	v_add_nc_u32_e32 v3, 0xffffff81, v39
	v_lshrrev_b32_e32 v7, 23, v2
	s_mov_b32 s13, exec_lo
	s_delay_alu instid0(VALU_DEP_2) | instskip(NEXT) | instid1(VALU_DEP_1)
	v_cndmask_b32_e64 v3, v3, 0xffffff82, vcc_lo
	v_add3_u32 v7, v49, v3, v7
	v_and_b32_e32 v3, 0x1fffff, v6
                                        ; implicit-def: $vgpr6
	s_delay_alu instid0(VALU_DEP_1) | instskip(SKIP_1) | instid1(VALU_DEP_2)
	v_dual_add_nc_u32 v39, 14, v7 :: v_dual_add_nc_u32 v2, v3, v2
	v_mov_b32_e32 v3, v113
	v_cmpx_ne_u32_e32 0, v39
	s_xor_b32 s13, exec_lo, s13
; %bb.5357:                             ;   in Loop: Header=BB6_4483 Depth=3
	s_delay_alu instid0(VALU_DEP_2) | instskip(SKIP_2) | instid1(VALU_DEP_2)
	v_cmp_lt_u64_e32 vcc_lo, 0xffffff, v[2:3]
	v_add_nc_u32_e32 v6, 15, v7
	v_cndmask_b32_e64 v7, 0, 1, vcc_lo
	v_cndmask_b32_e32 v6, v39, v6, vcc_lo
	s_delay_alu instid0(VALU_DEP_2)
	v_lshrrev_b64 v[2:3], v7, v[2:3]
; %bb.5358:                             ;   in Loop: Header=BB6_4483 Depth=3
	s_and_not1_saveexec_b32 s13, s13
; %bb.5359:                             ;   in Loop: Header=BB6_4483 Depth=3
	s_delay_alu instid0(VALU_DEP_1)
	v_bfe_u32 v6, v2, 23, 1
; %bb.5360:                             ;   in Loop: Header=BB6_4483 Depth=3
	s_or_b32 exec_lo, exec_lo, s13
	s_delay_alu instid0(VALU_DEP_2) | instskip(NEXT) | instid1(VALU_DEP_2)
	v_lshrrev_b64 v[2:3], 21, v[2:3]
	v_cmp_gt_i32_e32 vcc_lo, 32, v6
	v_cmp_ne_u32_e64 s13, 0, v6
                                        ; implicit-def: $vgpr39
	s_delay_alu instid0(VALU_DEP_3) | instskip(NEXT) | instid1(VALU_DEP_1)
	v_dual_cndmask_b32 v3, 0, v3 :: v_dual_cndmask_b32 v2, 3, v2
	v_cmp_ne_u64_e32 vcc_lo, 0, v[2:3]
	s_or_b32 s13, s13, vcc_lo
	s_delay_alu instid0(SALU_CYCLE_1) | instskip(NEXT) | instid1(SALU_CYCLE_1)
	s_and_saveexec_b32 s76, s13
	s_xor_b32 s13, exec_lo, s76
; %bb.5361:                             ;   in Loop: Header=BB6_4483 Depth=3
	v_min_i32_e32 v3, 31, v6
	s_delay_alu instid0(VALU_DEP_1) | instskip(NEXT) | instid1(VALU_DEP_1)
	v_lshl_or_b32 v3, v3, 2, v48
                                        ; implicit-def: $vgpr48
	v_and_or_b32 v39, v2, 3, v3
; %bb.5362:                             ;   in Loop: Header=BB6_4483 Depth=3
	s_and_not1_saveexec_b32 s13, s13
; %bb.5363:                             ;   in Loop: Header=BB6_4483 Depth=3
	v_mov_b32_e32 v39, v48
; %bb.5364:                             ;   in Loop: Header=BB6_4483 Depth=3
	s_or_b32 exec_lo, exec_lo, s13
.LBB6_5365:                             ;   in Loop: Header=BB6_4483 Depth=3
	s_delay_alu instid0(SALU_CYCLE_1)
	s_or_b32 exec_lo, exec_lo, s75
                                        ; implicit-def: $vgpr48
.LBB6_5366:                             ;   in Loop: Header=BB6_4483 Depth=3
	s_and_not1_saveexec_b32 s13, s15
; %bb.5367:                             ;   in Loop: Header=BB6_4483 Depth=3
	v_or_b32_e32 v39, 0x7b, v48
; %bb.5368:                             ;   in Loop: Header=BB6_4483 Depth=3
	s_or_b32 exec_lo, exec_lo, s13
                                        ; implicit-def: $vgpr6
                                        ; implicit-def: $vgpr2_vgpr3
.LBB6_5369:                             ;   in Loop: Header=BB6_4483 Depth=3
	s_and_not1_saveexec_b32 s13, s14
	s_cbranch_execz .LBB6_5375
; %bb.5370:                             ;   in Loop: Header=BB6_4483 Depth=3
	s_mov_b32 s14, exec_lo
                                        ; implicit-def: $vgpr39
	v_cmpx_ne_u64_e32 0, v[2:3]
	s_xor_b32 s14, exec_lo, s14
; %bb.5371:                             ;   in Loop: Header=BB6_4483 Depth=3
	v_lshrrev_b32_e32 v2, 24, v6
                                        ; implicit-def: $vgpr6
	s_delay_alu instid0(VALU_DEP_1)
	v_or_b32_e32 v39, 0x7f, v2
; %bb.5372:                             ;   in Loop: Header=BB6_4483 Depth=3
	s_and_not1_saveexec_b32 s14, s14
; %bb.5373:                             ;   in Loop: Header=BB6_4483 Depth=3
	v_cmp_lt_i32_e32 vcc_lo, -1, v6
	v_cndmask_b32_e64 v39, -4, 0x7c, vcc_lo
; %bb.5374:                             ;   in Loop: Header=BB6_4483 Depth=3
	s_or_b32 exec_lo, exec_lo, s14
.LBB6_5375:                             ;   in Loop: Header=BB6_4483 Depth=3
	s_delay_alu instid0(SALU_CYCLE_1)
	s_or_b32 exec_lo, exec_lo, s13
	flat_load_i8 v2, v[0:1] offset:832 th:TH_LOAD_NT
	v_mov_b32_e32 v6, 0
	s_mov_b32 s13, exec_lo
	s_wait_loadcnt_dscnt 0x0
	s_wait_xcnt 0x0
	v_cmpx_ne_u16_e32 0, v2
	s_cbranch_execz .LBB6_5385
; %bb.5376:                             ;   in Loop: Header=BB6_4483 Depth=3
	v_bfrev_b32_e32 v6, 1
	s_mov_b32 s14, exec_lo
	v_cmpx_ne_u16_e32 0xff80, v2
	s_cbranch_execz .LBB6_5384
; %bb.5377:                             ;   in Loop: Header=BB6_4483 Depth=3
	v_and_b32_e32 v6, 0x7c, v2
	v_and_b32_e32 v3, 3, v2
	s_delay_alu instid0(VALU_DEP_2) | instskip(SKIP_1) | instid1(SALU_CYCLE_1)
	v_cmp_ne_u32_e32 vcc_lo, 0x7c, v6
                                        ; implicit-def: $vgpr6
	s_and_saveexec_b32 s15, vcc_lo
	s_xor_b32 s15, exec_lo, s15
	s_cbranch_execz .LBB6_5381
; %bb.5378:                             ;   in Loop: Header=BB6_4483 Depth=3
	v_and_b32_e32 v6, 0xff, v2
	s_mov_b32 s75, exec_lo
	s_delay_alu instid0(VALU_DEP_1) | instskip(NEXT) | instid1(VALU_DEP_1)
	v_bfe_u32 v6, v6, 2, 5
	v_cmpx_eq_u32_e32 0, v6
	s_cbranch_execz .LBB6_5380
; %bb.5379:                             ;   in Loop: Header=BB6_4483 Depth=3
	v_clz_i32_u32_e32 v3, v3
	s_delay_alu instid0(VALU_DEP_1) | instskip(SKIP_1) | instid1(VALU_DEP_2)
	v_min_u32_e32 v6, 32, v3
	v_mov_b32_e32 v3, v113
	v_subrev_nc_u32_e32 v7, 29, v6
	v_sub_nc_u32_e32 v6, 30, v6
	s_delay_alu instid0(VALU_DEP_2) | instskip(NEXT) | instid1(VALU_DEP_1)
	v_lshlrev_b64_e32 v[48:49], v7, v[2:3]
	v_and_b32_e32 v3, 3, v48
.LBB6_5380:                             ;   in Loop: Header=BB6_4483 Depth=3
	s_or_b32 exec_lo, exec_lo, s75
	v_bfe_i32 v2, v2, 0, 16
	s_delay_alu instid0(VALU_DEP_1) | instskip(NEXT) | instid1(VALU_DEP_1)
	v_and_b32_e32 v2, 0x80000000, v2
	v_lshl_add_u32 v2, v6, 23, v2
	s_delay_alu instid0(VALU_DEP_1) | instskip(NEXT) | instid1(VALU_DEP_1)
	v_lshl_or_b32 v2, v3, 21, v2
                                        ; implicit-def: $vgpr3
	v_add_nc_u32_e32 v6, 0x38000000, v2
                                        ; implicit-def: $vgpr2
.LBB6_5381:                             ;   in Loop: Header=BB6_4483 Depth=3
	s_and_not1_saveexec_b32 s15, s15
; %bb.5382:                             ;   in Loop: Header=BB6_4483 Depth=3
	v_cmp_lt_i16_e32 vcc_lo, -1, v2
	v_mov_b32_e32 v2, 0x7f800000
	s_delay_alu instid0(VALU_DEP_1) | instskip(SKIP_1) | instid1(VALU_DEP_2)
	v_cndmask_b32_e32 v2, 0xff800000, v2, vcc_lo
	v_cmp_eq_u32_e32 vcc_lo, 0, v3
	v_cndmask_b32_e32 v6, 0x7f800001, v2, vcc_lo
; %bb.5383:                             ;   in Loop: Header=BB6_4483 Depth=3
	s_or_b32 exec_lo, exec_lo, s15
.LBB6_5384:                             ;   in Loop: Header=BB6_4483 Depth=3
	s_delay_alu instid0(SALU_CYCLE_1)
	s_or_b32 exec_lo, exec_lo, s14
.LBB6_5385:                             ;   in Loop: Header=BB6_4483 Depth=3
	s_delay_alu instid0(SALU_CYCLE_1) | instskip(NEXT) | instid1(VALU_DEP_1)
	s_or_b32 exec_lo, exec_lo, s13
	v_dual_mul_f32 v6, s74, v6 :: v_dual_mov_b32 v3, v113
                                        ; implicit-def: $vgpr48
	s_delay_alu instid0(VALU_DEP_1) | instskip(NEXT) | instid1(VALU_DEP_1)
	v_and_b32_e32 v2, 0x7f800000, v6
	v_cmp_ne_u64_e32 vcc_lo, 0x7f800000, v[2:3]
	v_and_b32_e32 v2, 0x7fffff, v6
	s_and_saveexec_b32 s13, vcc_lo
	s_delay_alu instid0(SALU_CYCLE_1)
	s_xor_b32 s14, exec_lo, s13
	s_cbranch_execz .LBB6_5403
; %bb.5386:                             ;   in Loop: Header=BB6_4483 Depth=3
	v_and_b32_e32 v48, 0x7fffffff, v6
	v_dual_mov_b32 v49, v113 :: v_dual_lshrrev_b32 v7, 24, v6
	s_delay_alu instid0(VALU_DEP_1) | instskip(NEXT) | instid1(VALU_DEP_2)
	v_cmp_gt_u64_e32 vcc_lo, 0x47600001, v[48:49]
	v_and_b32_e32 v49, 0x80, v7
                                        ; implicit-def: $vgpr48
	s_and_saveexec_b32 s13, vcc_lo
	s_delay_alu instid0(SALU_CYCLE_1)
	s_xor_b32 s15, exec_lo, s13
	s_cbranch_execz .LBB6_5400
; %bb.5387:                             ;   in Loop: Header=BB6_4483 Depth=3
	v_mov_b32_e32 v48, 0
	s_mov_b32 s75, exec_lo
	v_cmpx_ne_u32_e32 0, v6
	s_cbranch_execz .LBB6_5399
; %bb.5388:                             ;   in Loop: Header=BB6_4483 Depth=3
	v_bfe_u32 v48, v6, 23, 8
	v_or_b32_e32 v7, 0x800000, v2
	s_delay_alu instid0(VALU_DEP_2) | instskip(SKIP_2) | instid1(VALU_DEP_2)
	v_cmp_gt_u32_e64 s13, 0x72, v48
	v_sub_nc_u32_e32 v6, 0x71, v48
	v_cmp_eq_u32_e32 vcc_lo, 0, v48
	v_cndmask_b32_e64 v6, 0, v6, s13
	v_cndmask_b32_e32 v2, v7, v2, vcc_lo
	s_delay_alu instid0(VALU_DEP_2) | instskip(NEXT) | instid1(VALU_DEP_1)
	v_cndmask_b32_e64 v50, v6, 0x70, vcc_lo
	v_dual_add_nc_u32 v6, 21, v50 :: v_dual_add_nc_u32 v51, 20, v50
	s_delay_alu instid0(VALU_DEP_1) | instskip(NEXT) | instid1(VALU_DEP_2)
	v_lshlrev_b64_e64 v[6:7], v6, -1
	v_lshlrev_b64_e64 v[52:53], v51, 1
	s_delay_alu instid0(VALU_DEP_2) | instskip(SKIP_1) | instid1(VALU_DEP_4)
	v_bfi_b32 v6, v6, 0, v2
	v_lshrrev_b64 v[2:3], v50, v[2:3]
	v_bfi_b32 v7, v7, 0, 0
	s_delay_alu instid0(VALU_DEP_1) | instskip(NEXT) | instid1(VALU_DEP_3)
	v_cmp_eq_u64_e64 s13, v[6:7], v[52:53]
	v_mov_b64_e32 v[6:7], v[2:3]
	s_and_saveexec_b32 s76, s13
; %bb.5389:                             ;   in Loop: Header=BB6_4483 Depth=3
	v_bfe_u32 v6, v2, 21, 1
	v_mov_b32_e32 v7, v113
	s_delay_alu instid0(VALU_DEP_1) | instskip(NEXT) | instid1(VALU_DEP_1)
	v_add_nc_u64_e32 v[6:7], v[2:3], v[6:7]
	v_add_nc_u64_e32 v[6:7], -1, v[6:7]
; %bb.5390:                             ;   in Loop: Header=BB6_4483 Depth=3
	s_or_b32 exec_lo, exec_lo, s76
	v_add_nc_u32_e32 v3, 0xffffff81, v48
	v_lshrrev_b32_e32 v7, 23, v2
	s_mov_b32 s13, exec_lo
	s_delay_alu instid0(VALU_DEP_2) | instskip(NEXT) | instid1(VALU_DEP_1)
	v_cndmask_b32_e64 v3, v3, 0xffffff82, vcc_lo
	v_add3_u32 v7, v50, v3, v7
	v_and_b32_e32 v3, 0x1fffff, v6
                                        ; implicit-def: $vgpr6
	s_delay_alu instid0(VALU_DEP_1) | instskip(SKIP_1) | instid1(VALU_DEP_2)
	v_dual_add_nc_u32 v48, 14, v7 :: v_dual_add_nc_u32 v2, v3, v2
	v_mov_b32_e32 v3, v113
	v_cmpx_ne_u32_e32 0, v48
	s_xor_b32 s13, exec_lo, s13
; %bb.5391:                             ;   in Loop: Header=BB6_4483 Depth=3
	s_delay_alu instid0(VALU_DEP_2) | instskip(SKIP_2) | instid1(VALU_DEP_2)
	v_cmp_lt_u64_e32 vcc_lo, 0xffffff, v[2:3]
	v_add_nc_u32_e32 v6, 15, v7
	v_cndmask_b32_e64 v7, 0, 1, vcc_lo
	v_cndmask_b32_e32 v6, v48, v6, vcc_lo
	s_delay_alu instid0(VALU_DEP_2)
	v_lshrrev_b64 v[2:3], v7, v[2:3]
; %bb.5392:                             ;   in Loop: Header=BB6_4483 Depth=3
	s_and_not1_saveexec_b32 s13, s13
; %bb.5393:                             ;   in Loop: Header=BB6_4483 Depth=3
	s_delay_alu instid0(VALU_DEP_1)
	v_bfe_u32 v6, v2, 23, 1
; %bb.5394:                             ;   in Loop: Header=BB6_4483 Depth=3
	s_or_b32 exec_lo, exec_lo, s13
	s_delay_alu instid0(VALU_DEP_2) | instskip(NEXT) | instid1(VALU_DEP_2)
	v_lshrrev_b64 v[2:3], 21, v[2:3]
	v_cmp_gt_i32_e32 vcc_lo, 32, v6
	v_cmp_ne_u32_e64 s13, 0, v6
                                        ; implicit-def: $vgpr48
	s_delay_alu instid0(VALU_DEP_3) | instskip(NEXT) | instid1(VALU_DEP_1)
	v_dual_cndmask_b32 v3, 0, v3 :: v_dual_cndmask_b32 v2, 3, v2
	v_cmp_ne_u64_e32 vcc_lo, 0, v[2:3]
	s_or_b32 s13, s13, vcc_lo
	s_delay_alu instid0(SALU_CYCLE_1) | instskip(NEXT) | instid1(SALU_CYCLE_1)
	s_and_saveexec_b32 s76, s13
	s_xor_b32 s13, exec_lo, s76
; %bb.5395:                             ;   in Loop: Header=BB6_4483 Depth=3
	v_min_i32_e32 v3, 31, v6
	s_delay_alu instid0(VALU_DEP_1) | instskip(NEXT) | instid1(VALU_DEP_1)
	v_lshl_or_b32 v3, v3, 2, v49
                                        ; implicit-def: $vgpr49
	v_and_or_b32 v48, v2, 3, v3
; %bb.5396:                             ;   in Loop: Header=BB6_4483 Depth=3
	s_and_not1_saveexec_b32 s13, s13
; %bb.5397:                             ;   in Loop: Header=BB6_4483 Depth=3
	v_mov_b32_e32 v48, v49
; %bb.5398:                             ;   in Loop: Header=BB6_4483 Depth=3
	s_or_b32 exec_lo, exec_lo, s13
.LBB6_5399:                             ;   in Loop: Header=BB6_4483 Depth=3
	s_delay_alu instid0(SALU_CYCLE_1)
	s_or_b32 exec_lo, exec_lo, s75
                                        ; implicit-def: $vgpr49
.LBB6_5400:                             ;   in Loop: Header=BB6_4483 Depth=3
	s_and_not1_saveexec_b32 s13, s15
; %bb.5401:                             ;   in Loop: Header=BB6_4483 Depth=3
	v_or_b32_e32 v48, 0x7b, v49
; %bb.5402:                             ;   in Loop: Header=BB6_4483 Depth=3
	s_or_b32 exec_lo, exec_lo, s13
                                        ; implicit-def: $vgpr6
                                        ; implicit-def: $vgpr2_vgpr3
.LBB6_5403:                             ;   in Loop: Header=BB6_4483 Depth=3
	s_and_not1_saveexec_b32 s13, s14
	s_cbranch_execz .LBB6_5409
; %bb.5404:                             ;   in Loop: Header=BB6_4483 Depth=3
	s_mov_b32 s14, exec_lo
                                        ; implicit-def: $vgpr48
	v_cmpx_ne_u64_e32 0, v[2:3]
	s_xor_b32 s14, exec_lo, s14
; %bb.5405:                             ;   in Loop: Header=BB6_4483 Depth=3
	v_lshrrev_b32_e32 v2, 24, v6
                                        ; implicit-def: $vgpr6
	s_delay_alu instid0(VALU_DEP_1)
	v_or_b32_e32 v48, 0x7f, v2
; %bb.5406:                             ;   in Loop: Header=BB6_4483 Depth=3
	s_and_not1_saveexec_b32 s14, s14
; %bb.5407:                             ;   in Loop: Header=BB6_4483 Depth=3
	v_cmp_lt_i32_e32 vcc_lo, -1, v6
	v_cndmask_b32_e64 v48, -4, 0x7c, vcc_lo
; %bb.5408:                             ;   in Loop: Header=BB6_4483 Depth=3
	s_or_b32 exec_lo, exec_lo, s14
.LBB6_5409:                             ;   in Loop: Header=BB6_4483 Depth=3
	s_delay_alu instid0(SALU_CYCLE_1)
	s_or_b32 exec_lo, exec_lo, s13
	flat_load_i8 v2, v[0:1] offset:864 th:TH_LOAD_NT
	v_mov_b32_e32 v6, 0
	s_mov_b32 s13, exec_lo
	s_wait_loadcnt_dscnt 0x0
	s_wait_xcnt 0x0
	v_cmpx_ne_u16_e32 0, v2
	s_cbranch_execz .LBB6_5419
; %bb.5410:                             ;   in Loop: Header=BB6_4483 Depth=3
	v_bfrev_b32_e32 v6, 1
	s_mov_b32 s14, exec_lo
	v_cmpx_ne_u16_e32 0xff80, v2
	s_cbranch_execz .LBB6_5418
; %bb.5411:                             ;   in Loop: Header=BB6_4483 Depth=3
	v_and_b32_e32 v6, 0x7c, v2
	v_and_b32_e32 v3, 3, v2
	s_delay_alu instid0(VALU_DEP_2) | instskip(SKIP_1) | instid1(SALU_CYCLE_1)
	v_cmp_ne_u32_e32 vcc_lo, 0x7c, v6
                                        ; implicit-def: $vgpr6
	s_and_saveexec_b32 s15, vcc_lo
	s_xor_b32 s15, exec_lo, s15
	s_cbranch_execz .LBB6_5415
; %bb.5412:                             ;   in Loop: Header=BB6_4483 Depth=3
	v_and_b32_e32 v6, 0xff, v2
	s_mov_b32 s75, exec_lo
	s_delay_alu instid0(VALU_DEP_1) | instskip(NEXT) | instid1(VALU_DEP_1)
	v_bfe_u32 v6, v6, 2, 5
	v_cmpx_eq_u32_e32 0, v6
	s_cbranch_execz .LBB6_5414
; %bb.5413:                             ;   in Loop: Header=BB6_4483 Depth=3
	v_clz_i32_u32_e32 v3, v3
	s_delay_alu instid0(VALU_DEP_1) | instskip(SKIP_1) | instid1(VALU_DEP_2)
	v_min_u32_e32 v6, 32, v3
	v_mov_b32_e32 v3, v113
	v_subrev_nc_u32_e32 v7, 29, v6
	v_sub_nc_u32_e32 v6, 30, v6
	s_delay_alu instid0(VALU_DEP_2) | instskip(NEXT) | instid1(VALU_DEP_1)
	v_lshlrev_b64_e32 v[50:51], v7, v[2:3]
	v_and_b32_e32 v3, 3, v50
.LBB6_5414:                             ;   in Loop: Header=BB6_4483 Depth=3
	s_or_b32 exec_lo, exec_lo, s75
	v_bfe_i32 v2, v2, 0, 16
	s_delay_alu instid0(VALU_DEP_1) | instskip(NEXT) | instid1(VALU_DEP_1)
	v_and_b32_e32 v2, 0x80000000, v2
	v_lshl_add_u32 v2, v6, 23, v2
	s_delay_alu instid0(VALU_DEP_1) | instskip(NEXT) | instid1(VALU_DEP_1)
	v_lshl_or_b32 v2, v3, 21, v2
                                        ; implicit-def: $vgpr3
	v_add_nc_u32_e32 v6, 0x38000000, v2
                                        ; implicit-def: $vgpr2
.LBB6_5415:                             ;   in Loop: Header=BB6_4483 Depth=3
	s_and_not1_saveexec_b32 s15, s15
; %bb.5416:                             ;   in Loop: Header=BB6_4483 Depth=3
	v_cmp_lt_i16_e32 vcc_lo, -1, v2
	v_mov_b32_e32 v2, 0x7f800000
	s_delay_alu instid0(VALU_DEP_1) | instskip(SKIP_1) | instid1(VALU_DEP_2)
	v_cndmask_b32_e32 v2, 0xff800000, v2, vcc_lo
	v_cmp_eq_u32_e32 vcc_lo, 0, v3
	v_cndmask_b32_e32 v6, 0x7f800001, v2, vcc_lo
; %bb.5417:                             ;   in Loop: Header=BB6_4483 Depth=3
	s_or_b32 exec_lo, exec_lo, s15
.LBB6_5418:                             ;   in Loop: Header=BB6_4483 Depth=3
	s_delay_alu instid0(SALU_CYCLE_1)
	s_or_b32 exec_lo, exec_lo, s14
.LBB6_5419:                             ;   in Loop: Header=BB6_4483 Depth=3
	s_delay_alu instid0(SALU_CYCLE_1) | instskip(NEXT) | instid1(VALU_DEP_1)
	s_or_b32 exec_lo, exec_lo, s13
	v_dual_mul_f32 v6, s74, v6 :: v_dual_mov_b32 v3, v113
                                        ; implicit-def: $vgpr49
	s_delay_alu instid0(VALU_DEP_1) | instskip(NEXT) | instid1(VALU_DEP_1)
	v_and_b32_e32 v2, 0x7f800000, v6
	v_cmp_ne_u64_e32 vcc_lo, 0x7f800000, v[2:3]
	v_and_b32_e32 v2, 0x7fffff, v6
	s_and_saveexec_b32 s13, vcc_lo
	s_delay_alu instid0(SALU_CYCLE_1)
	s_xor_b32 s14, exec_lo, s13
	s_cbranch_execz .LBB6_5437
; %bb.5420:                             ;   in Loop: Header=BB6_4483 Depth=3
	v_and_b32_e32 v50, 0x7fffffff, v6
	v_dual_mov_b32 v51, v113 :: v_dual_lshrrev_b32 v7, 24, v6
                                        ; implicit-def: $vgpr49
	s_delay_alu instid0(VALU_DEP_1) | instskip(NEXT) | instid1(VALU_DEP_2)
	v_cmp_gt_u64_e32 vcc_lo, 0x47600001, v[50:51]
	v_and_b32_e32 v50, 0x80, v7
	s_and_saveexec_b32 s13, vcc_lo
	s_delay_alu instid0(SALU_CYCLE_1)
	s_xor_b32 s15, exec_lo, s13
	s_cbranch_execz .LBB6_5434
; %bb.5421:                             ;   in Loop: Header=BB6_4483 Depth=3
	v_mov_b32_e32 v49, 0
	s_mov_b32 s75, exec_lo
	v_cmpx_ne_u32_e32 0, v6
	s_cbranch_execz .LBB6_5433
; %bb.5422:                             ;   in Loop: Header=BB6_4483 Depth=3
	v_bfe_u32 v49, v6, 23, 8
	v_or_b32_e32 v7, 0x800000, v2
	s_delay_alu instid0(VALU_DEP_2) | instskip(SKIP_2) | instid1(VALU_DEP_2)
	v_cmp_gt_u32_e64 s13, 0x72, v49
	v_sub_nc_u32_e32 v6, 0x71, v49
	v_cmp_eq_u32_e32 vcc_lo, 0, v49
	v_cndmask_b32_e64 v6, 0, v6, s13
	s_delay_alu instid0(VALU_DEP_1) | instskip(NEXT) | instid1(VALU_DEP_1)
	v_cndmask_b32_e64 v51, v6, 0x70, vcc_lo
	v_dual_cndmask_b32 v2, v7, v2, vcc_lo :: v_dual_add_nc_u32 v6, 21, v51
	v_add_nc_u32_e32 v52, 20, v51
	s_delay_alu instid0(VALU_DEP_2) | instskip(NEXT) | instid1(VALU_DEP_2)
	v_lshlrev_b64_e64 v[6:7], v6, -1
	v_lshlrev_b64_e64 v[52:53], v52, 1
	s_delay_alu instid0(VALU_DEP_2) | instskip(SKIP_1) | instid1(VALU_DEP_4)
	v_bfi_b32 v6, v6, 0, v2
	v_lshrrev_b64 v[2:3], v51, v[2:3]
	v_bfi_b32 v7, v7, 0, 0
	s_delay_alu instid0(VALU_DEP_1) | instskip(NEXT) | instid1(VALU_DEP_3)
	v_cmp_eq_u64_e64 s13, v[6:7], v[52:53]
	v_mov_b64_e32 v[6:7], v[2:3]
	s_and_saveexec_b32 s76, s13
; %bb.5423:                             ;   in Loop: Header=BB6_4483 Depth=3
	v_bfe_u32 v6, v2, 21, 1
	v_mov_b32_e32 v7, v113
	s_delay_alu instid0(VALU_DEP_1) | instskip(NEXT) | instid1(VALU_DEP_1)
	v_add_nc_u64_e32 v[6:7], v[2:3], v[6:7]
	v_add_nc_u64_e32 v[6:7], -1, v[6:7]
; %bb.5424:                             ;   in Loop: Header=BB6_4483 Depth=3
	s_or_b32 exec_lo, exec_lo, s76
	v_add_nc_u32_e32 v3, 0xffffff81, v49
	v_lshrrev_b32_e32 v7, 23, v2
	s_mov_b32 s13, exec_lo
	s_delay_alu instid0(VALU_DEP_2) | instskip(NEXT) | instid1(VALU_DEP_1)
	v_cndmask_b32_e64 v3, v3, 0xffffff82, vcc_lo
	v_add3_u32 v7, v51, v3, v7
	v_and_b32_e32 v3, 0x1fffff, v6
                                        ; implicit-def: $vgpr6
	s_delay_alu instid0(VALU_DEP_1) | instskip(SKIP_1) | instid1(VALU_DEP_2)
	v_dual_add_nc_u32 v49, 14, v7 :: v_dual_add_nc_u32 v2, v3, v2
	v_mov_b32_e32 v3, v113
	v_cmpx_ne_u32_e32 0, v49
	s_xor_b32 s13, exec_lo, s13
; %bb.5425:                             ;   in Loop: Header=BB6_4483 Depth=3
	s_delay_alu instid0(VALU_DEP_2) | instskip(SKIP_2) | instid1(VALU_DEP_2)
	v_cmp_lt_u64_e32 vcc_lo, 0xffffff, v[2:3]
	v_add_nc_u32_e32 v6, 15, v7
	v_cndmask_b32_e64 v7, 0, 1, vcc_lo
	v_cndmask_b32_e32 v6, v49, v6, vcc_lo
	s_delay_alu instid0(VALU_DEP_2)
	v_lshrrev_b64 v[2:3], v7, v[2:3]
; %bb.5426:                             ;   in Loop: Header=BB6_4483 Depth=3
	s_and_not1_saveexec_b32 s13, s13
; %bb.5427:                             ;   in Loop: Header=BB6_4483 Depth=3
	s_delay_alu instid0(VALU_DEP_1)
	v_bfe_u32 v6, v2, 23, 1
; %bb.5428:                             ;   in Loop: Header=BB6_4483 Depth=3
	s_or_b32 exec_lo, exec_lo, s13
	s_delay_alu instid0(VALU_DEP_2) | instskip(NEXT) | instid1(VALU_DEP_2)
	v_lshrrev_b64 v[2:3], 21, v[2:3]
	v_cmp_gt_i32_e32 vcc_lo, 32, v6
	v_cmp_ne_u32_e64 s13, 0, v6
                                        ; implicit-def: $vgpr49
	s_delay_alu instid0(VALU_DEP_3) | instskip(NEXT) | instid1(VALU_DEP_1)
	v_dual_cndmask_b32 v3, 0, v3 :: v_dual_cndmask_b32 v2, 3, v2
	v_cmp_ne_u64_e32 vcc_lo, 0, v[2:3]
	s_or_b32 s13, s13, vcc_lo
	s_delay_alu instid0(SALU_CYCLE_1) | instskip(NEXT) | instid1(SALU_CYCLE_1)
	s_and_saveexec_b32 s76, s13
	s_xor_b32 s13, exec_lo, s76
; %bb.5429:                             ;   in Loop: Header=BB6_4483 Depth=3
	v_min_i32_e32 v3, 31, v6
	s_delay_alu instid0(VALU_DEP_1) | instskip(NEXT) | instid1(VALU_DEP_1)
	v_lshl_or_b32 v3, v3, 2, v50
                                        ; implicit-def: $vgpr50
	v_and_or_b32 v49, v2, 3, v3
; %bb.5430:                             ;   in Loop: Header=BB6_4483 Depth=3
	s_and_not1_saveexec_b32 s13, s13
; %bb.5431:                             ;   in Loop: Header=BB6_4483 Depth=3
	v_mov_b32_e32 v49, v50
; %bb.5432:                             ;   in Loop: Header=BB6_4483 Depth=3
	s_or_b32 exec_lo, exec_lo, s13
.LBB6_5433:                             ;   in Loop: Header=BB6_4483 Depth=3
	s_delay_alu instid0(SALU_CYCLE_1)
	s_or_b32 exec_lo, exec_lo, s75
                                        ; implicit-def: $vgpr50
.LBB6_5434:                             ;   in Loop: Header=BB6_4483 Depth=3
	s_and_not1_saveexec_b32 s13, s15
; %bb.5435:                             ;   in Loop: Header=BB6_4483 Depth=3
	v_or_b32_e32 v49, 0x7b, v50
; %bb.5436:                             ;   in Loop: Header=BB6_4483 Depth=3
	s_or_b32 exec_lo, exec_lo, s13
                                        ; implicit-def: $vgpr6
                                        ; implicit-def: $vgpr2_vgpr3
.LBB6_5437:                             ;   in Loop: Header=BB6_4483 Depth=3
	s_and_not1_saveexec_b32 s13, s14
	s_cbranch_execz .LBB6_5443
; %bb.5438:                             ;   in Loop: Header=BB6_4483 Depth=3
	s_mov_b32 s14, exec_lo
                                        ; implicit-def: $vgpr49
	v_cmpx_ne_u64_e32 0, v[2:3]
	s_xor_b32 s14, exec_lo, s14
; %bb.5439:                             ;   in Loop: Header=BB6_4483 Depth=3
	v_lshrrev_b32_e32 v2, 24, v6
                                        ; implicit-def: $vgpr6
	s_delay_alu instid0(VALU_DEP_1)
	v_or_b32_e32 v49, 0x7f, v2
; %bb.5440:                             ;   in Loop: Header=BB6_4483 Depth=3
	s_and_not1_saveexec_b32 s14, s14
; %bb.5441:                             ;   in Loop: Header=BB6_4483 Depth=3
	v_cmp_lt_i32_e32 vcc_lo, -1, v6
	v_cndmask_b32_e64 v49, -4, 0x7c, vcc_lo
; %bb.5442:                             ;   in Loop: Header=BB6_4483 Depth=3
	s_or_b32 exec_lo, exec_lo, s14
.LBB6_5443:                             ;   in Loop: Header=BB6_4483 Depth=3
	s_delay_alu instid0(SALU_CYCLE_1)
	s_or_b32 exec_lo, exec_lo, s13
	flat_load_i8 v2, v[0:1] offset:896 th:TH_LOAD_NT
	v_mov_b32_e32 v6, 0
	s_mov_b32 s13, exec_lo
	s_wait_loadcnt_dscnt 0x0
	s_wait_xcnt 0x0
	v_cmpx_ne_u16_e32 0, v2
	s_cbranch_execz .LBB6_5453
; %bb.5444:                             ;   in Loop: Header=BB6_4483 Depth=3
	v_bfrev_b32_e32 v6, 1
	s_mov_b32 s14, exec_lo
	v_cmpx_ne_u16_e32 0xff80, v2
	s_cbranch_execz .LBB6_5452
; %bb.5445:                             ;   in Loop: Header=BB6_4483 Depth=3
	v_and_b32_e32 v6, 0x7c, v2
	v_and_b32_e32 v3, 3, v2
	s_delay_alu instid0(VALU_DEP_2) | instskip(SKIP_1) | instid1(SALU_CYCLE_1)
	v_cmp_ne_u32_e32 vcc_lo, 0x7c, v6
                                        ; implicit-def: $vgpr6
	s_and_saveexec_b32 s15, vcc_lo
	s_xor_b32 s15, exec_lo, s15
	s_cbranch_execz .LBB6_5449
; %bb.5446:                             ;   in Loop: Header=BB6_4483 Depth=3
	v_and_b32_e32 v6, 0xff, v2
	s_mov_b32 s75, exec_lo
	s_delay_alu instid0(VALU_DEP_1) | instskip(NEXT) | instid1(VALU_DEP_1)
	v_bfe_u32 v6, v6, 2, 5
	v_cmpx_eq_u32_e32 0, v6
	s_cbranch_execz .LBB6_5448
; %bb.5447:                             ;   in Loop: Header=BB6_4483 Depth=3
	v_clz_i32_u32_e32 v3, v3
	s_delay_alu instid0(VALU_DEP_1) | instskip(SKIP_1) | instid1(VALU_DEP_2)
	v_min_u32_e32 v6, 32, v3
	v_mov_b32_e32 v3, v113
	v_subrev_nc_u32_e32 v7, 29, v6
	v_sub_nc_u32_e32 v6, 30, v6
	s_delay_alu instid0(VALU_DEP_2) | instskip(NEXT) | instid1(VALU_DEP_1)
	v_lshlrev_b64_e32 v[50:51], v7, v[2:3]
	v_and_b32_e32 v3, 3, v50
.LBB6_5448:                             ;   in Loop: Header=BB6_4483 Depth=3
	s_or_b32 exec_lo, exec_lo, s75
	v_bfe_i32 v2, v2, 0, 16
	s_delay_alu instid0(VALU_DEP_1) | instskip(NEXT) | instid1(VALU_DEP_1)
	v_and_b32_e32 v2, 0x80000000, v2
	v_lshl_add_u32 v2, v6, 23, v2
	s_delay_alu instid0(VALU_DEP_1) | instskip(NEXT) | instid1(VALU_DEP_1)
	v_lshl_or_b32 v2, v3, 21, v2
                                        ; implicit-def: $vgpr3
	v_add_nc_u32_e32 v6, 0x38000000, v2
                                        ; implicit-def: $vgpr2
.LBB6_5449:                             ;   in Loop: Header=BB6_4483 Depth=3
	s_and_not1_saveexec_b32 s15, s15
; %bb.5450:                             ;   in Loop: Header=BB6_4483 Depth=3
	v_cmp_lt_i16_e32 vcc_lo, -1, v2
	v_mov_b32_e32 v2, 0x7f800000
	s_delay_alu instid0(VALU_DEP_1) | instskip(SKIP_1) | instid1(VALU_DEP_2)
	v_cndmask_b32_e32 v2, 0xff800000, v2, vcc_lo
	v_cmp_eq_u32_e32 vcc_lo, 0, v3
	v_cndmask_b32_e32 v6, 0x7f800001, v2, vcc_lo
; %bb.5451:                             ;   in Loop: Header=BB6_4483 Depth=3
	s_or_b32 exec_lo, exec_lo, s15
.LBB6_5452:                             ;   in Loop: Header=BB6_4483 Depth=3
	s_delay_alu instid0(SALU_CYCLE_1)
	s_or_b32 exec_lo, exec_lo, s14
.LBB6_5453:                             ;   in Loop: Header=BB6_4483 Depth=3
	s_delay_alu instid0(SALU_CYCLE_1) | instskip(NEXT) | instid1(VALU_DEP_1)
	s_or_b32 exec_lo, exec_lo, s13
	v_dual_mul_f32 v6, s74, v6 :: v_dual_mov_b32 v3, v113
                                        ; implicit-def: $vgpr50
	s_delay_alu instid0(VALU_DEP_1) | instskip(NEXT) | instid1(VALU_DEP_1)
	v_and_b32_e32 v2, 0x7f800000, v6
	v_cmp_ne_u64_e32 vcc_lo, 0x7f800000, v[2:3]
	v_and_b32_e32 v2, 0x7fffff, v6
	s_and_saveexec_b32 s13, vcc_lo
	s_delay_alu instid0(SALU_CYCLE_1)
	s_xor_b32 s14, exec_lo, s13
	s_cbranch_execz .LBB6_5471
; %bb.5454:                             ;   in Loop: Header=BB6_4483 Depth=3
	v_and_b32_e32 v50, 0x7fffffff, v6
	v_dual_mov_b32 v51, v113 :: v_dual_lshrrev_b32 v7, 24, v6
	s_delay_alu instid0(VALU_DEP_1) | instskip(NEXT) | instid1(VALU_DEP_2)
	v_cmp_gt_u64_e32 vcc_lo, 0x47600001, v[50:51]
	v_and_b32_e32 v51, 0x80, v7
                                        ; implicit-def: $vgpr50
	s_and_saveexec_b32 s13, vcc_lo
	s_delay_alu instid0(SALU_CYCLE_1)
	s_xor_b32 s15, exec_lo, s13
	s_cbranch_execz .LBB6_5468
; %bb.5455:                             ;   in Loop: Header=BB6_4483 Depth=3
	v_mov_b32_e32 v50, 0
	s_mov_b32 s75, exec_lo
	v_cmpx_ne_u32_e32 0, v6
	s_cbranch_execz .LBB6_5467
; %bb.5456:                             ;   in Loop: Header=BB6_4483 Depth=3
	v_bfe_u32 v50, v6, 23, 8
	v_or_b32_e32 v7, 0x800000, v2
	s_delay_alu instid0(VALU_DEP_2) | instskip(SKIP_2) | instid1(VALU_DEP_2)
	v_cmp_gt_u32_e64 s13, 0x72, v50
	v_sub_nc_u32_e32 v6, 0x71, v50
	v_cmp_eq_u32_e32 vcc_lo, 0, v50
	v_cndmask_b32_e64 v6, 0, v6, s13
	s_delay_alu instid0(VALU_DEP_1) | instskip(NEXT) | instid1(VALU_DEP_1)
	v_cndmask_b32_e64 v52, v6, 0x70, vcc_lo
	v_dual_cndmask_b32 v2, v7, v2, vcc_lo :: v_dual_add_nc_u32 v6, 21, v52
	v_add_nc_u32_e32 v53, 20, v52
	s_delay_alu instid0(VALU_DEP_2) | instskip(NEXT) | instid1(VALU_DEP_2)
	v_lshlrev_b64_e64 v[6:7], v6, -1
	v_lshlrev_b64_e64 v[54:55], v53, 1
	s_delay_alu instid0(VALU_DEP_2) | instskip(SKIP_1) | instid1(VALU_DEP_4)
	v_bfi_b32 v6, v6, 0, v2
	v_lshrrev_b64 v[2:3], v52, v[2:3]
	v_bfi_b32 v7, v7, 0, 0
	s_delay_alu instid0(VALU_DEP_1) | instskip(NEXT) | instid1(VALU_DEP_3)
	v_cmp_eq_u64_e64 s13, v[6:7], v[54:55]
	v_mov_b64_e32 v[6:7], v[2:3]
	s_and_saveexec_b32 s76, s13
; %bb.5457:                             ;   in Loop: Header=BB6_4483 Depth=3
	v_bfe_u32 v6, v2, 21, 1
	v_mov_b32_e32 v7, v113
	s_delay_alu instid0(VALU_DEP_1) | instskip(NEXT) | instid1(VALU_DEP_1)
	v_add_nc_u64_e32 v[6:7], v[2:3], v[6:7]
	v_add_nc_u64_e32 v[6:7], -1, v[6:7]
; %bb.5458:                             ;   in Loop: Header=BB6_4483 Depth=3
	s_or_b32 exec_lo, exec_lo, s76
	v_add_nc_u32_e32 v3, 0xffffff81, v50
	v_lshrrev_b32_e32 v7, 23, v2
	s_mov_b32 s13, exec_lo
	s_delay_alu instid0(VALU_DEP_2) | instskip(NEXT) | instid1(VALU_DEP_1)
	v_cndmask_b32_e64 v3, v3, 0xffffff82, vcc_lo
	v_add3_u32 v7, v52, v3, v7
	v_and_b32_e32 v3, 0x1fffff, v6
                                        ; implicit-def: $vgpr6
	s_delay_alu instid0(VALU_DEP_1) | instskip(SKIP_1) | instid1(VALU_DEP_2)
	v_dual_add_nc_u32 v50, 14, v7 :: v_dual_add_nc_u32 v2, v3, v2
	v_mov_b32_e32 v3, v113
	v_cmpx_ne_u32_e32 0, v50
	s_xor_b32 s13, exec_lo, s13
; %bb.5459:                             ;   in Loop: Header=BB6_4483 Depth=3
	s_delay_alu instid0(VALU_DEP_2) | instskip(SKIP_2) | instid1(VALU_DEP_2)
	v_cmp_lt_u64_e32 vcc_lo, 0xffffff, v[2:3]
	v_add_nc_u32_e32 v6, 15, v7
	v_cndmask_b32_e64 v7, 0, 1, vcc_lo
	v_cndmask_b32_e32 v6, v50, v6, vcc_lo
	s_delay_alu instid0(VALU_DEP_2)
	v_lshrrev_b64 v[2:3], v7, v[2:3]
; %bb.5460:                             ;   in Loop: Header=BB6_4483 Depth=3
	s_and_not1_saveexec_b32 s13, s13
; %bb.5461:                             ;   in Loop: Header=BB6_4483 Depth=3
	s_delay_alu instid0(VALU_DEP_1)
	v_bfe_u32 v6, v2, 23, 1
; %bb.5462:                             ;   in Loop: Header=BB6_4483 Depth=3
	s_or_b32 exec_lo, exec_lo, s13
	s_delay_alu instid0(VALU_DEP_2) | instskip(NEXT) | instid1(VALU_DEP_2)
	v_lshrrev_b64 v[2:3], 21, v[2:3]
	v_cmp_gt_i32_e32 vcc_lo, 32, v6
	v_cmp_ne_u32_e64 s13, 0, v6
                                        ; implicit-def: $vgpr50
	s_delay_alu instid0(VALU_DEP_3) | instskip(NEXT) | instid1(VALU_DEP_1)
	v_dual_cndmask_b32 v3, 0, v3 :: v_dual_cndmask_b32 v2, 3, v2
	v_cmp_ne_u64_e32 vcc_lo, 0, v[2:3]
	s_or_b32 s13, s13, vcc_lo
	s_delay_alu instid0(SALU_CYCLE_1) | instskip(NEXT) | instid1(SALU_CYCLE_1)
	s_and_saveexec_b32 s76, s13
	s_xor_b32 s13, exec_lo, s76
; %bb.5463:                             ;   in Loop: Header=BB6_4483 Depth=3
	v_min_i32_e32 v3, 31, v6
	s_delay_alu instid0(VALU_DEP_1) | instskip(NEXT) | instid1(VALU_DEP_1)
	v_lshl_or_b32 v3, v3, 2, v51
                                        ; implicit-def: $vgpr51
	v_and_or_b32 v50, v2, 3, v3
; %bb.5464:                             ;   in Loop: Header=BB6_4483 Depth=3
	s_and_not1_saveexec_b32 s13, s13
; %bb.5465:                             ;   in Loop: Header=BB6_4483 Depth=3
	v_mov_b32_e32 v50, v51
; %bb.5466:                             ;   in Loop: Header=BB6_4483 Depth=3
	s_or_b32 exec_lo, exec_lo, s13
.LBB6_5467:                             ;   in Loop: Header=BB6_4483 Depth=3
	s_delay_alu instid0(SALU_CYCLE_1)
	s_or_b32 exec_lo, exec_lo, s75
                                        ; implicit-def: $vgpr51
.LBB6_5468:                             ;   in Loop: Header=BB6_4483 Depth=3
	s_and_not1_saveexec_b32 s13, s15
; %bb.5469:                             ;   in Loop: Header=BB6_4483 Depth=3
	v_or_b32_e32 v50, 0x7b, v51
; %bb.5470:                             ;   in Loop: Header=BB6_4483 Depth=3
	s_or_b32 exec_lo, exec_lo, s13
                                        ; implicit-def: $vgpr6
                                        ; implicit-def: $vgpr2_vgpr3
.LBB6_5471:                             ;   in Loop: Header=BB6_4483 Depth=3
	s_and_not1_saveexec_b32 s13, s14
	s_cbranch_execz .LBB6_5477
; %bb.5472:                             ;   in Loop: Header=BB6_4483 Depth=3
	s_mov_b32 s14, exec_lo
                                        ; implicit-def: $vgpr50
	v_cmpx_ne_u64_e32 0, v[2:3]
	s_xor_b32 s14, exec_lo, s14
; %bb.5473:                             ;   in Loop: Header=BB6_4483 Depth=3
	v_lshrrev_b32_e32 v2, 24, v6
                                        ; implicit-def: $vgpr6
	s_delay_alu instid0(VALU_DEP_1)
	v_or_b32_e32 v50, 0x7f, v2
; %bb.5474:                             ;   in Loop: Header=BB6_4483 Depth=3
	s_and_not1_saveexec_b32 s14, s14
; %bb.5475:                             ;   in Loop: Header=BB6_4483 Depth=3
	v_cmp_lt_i32_e32 vcc_lo, -1, v6
	v_cndmask_b32_e64 v50, -4, 0x7c, vcc_lo
; %bb.5476:                             ;   in Loop: Header=BB6_4483 Depth=3
	s_or_b32 exec_lo, exec_lo, s14
.LBB6_5477:                             ;   in Loop: Header=BB6_4483 Depth=3
	s_delay_alu instid0(SALU_CYCLE_1)
	s_or_b32 exec_lo, exec_lo, s13
	flat_load_i8 v2, v[0:1] offset:928 th:TH_LOAD_NT
	v_mov_b32_e32 v6, 0
	s_mov_b32 s13, exec_lo
	s_wait_loadcnt_dscnt 0x0
	s_wait_xcnt 0x0
	v_cmpx_ne_u16_e32 0, v2
	s_cbranch_execz .LBB6_5487
; %bb.5478:                             ;   in Loop: Header=BB6_4483 Depth=3
	v_bfrev_b32_e32 v6, 1
	s_mov_b32 s14, exec_lo
	v_cmpx_ne_u16_e32 0xff80, v2
	s_cbranch_execz .LBB6_5486
; %bb.5479:                             ;   in Loop: Header=BB6_4483 Depth=3
	v_and_b32_e32 v6, 0x7c, v2
	v_and_b32_e32 v3, 3, v2
	s_delay_alu instid0(VALU_DEP_2) | instskip(SKIP_1) | instid1(SALU_CYCLE_1)
	v_cmp_ne_u32_e32 vcc_lo, 0x7c, v6
                                        ; implicit-def: $vgpr6
	s_and_saveexec_b32 s15, vcc_lo
	s_xor_b32 s15, exec_lo, s15
	s_cbranch_execz .LBB6_5483
; %bb.5480:                             ;   in Loop: Header=BB6_4483 Depth=3
	v_and_b32_e32 v6, 0xff, v2
	s_mov_b32 s75, exec_lo
	s_delay_alu instid0(VALU_DEP_1) | instskip(NEXT) | instid1(VALU_DEP_1)
	v_bfe_u32 v6, v6, 2, 5
	v_cmpx_eq_u32_e32 0, v6
	s_cbranch_execz .LBB6_5482
; %bb.5481:                             ;   in Loop: Header=BB6_4483 Depth=3
	v_clz_i32_u32_e32 v3, v3
	s_delay_alu instid0(VALU_DEP_1) | instskip(SKIP_1) | instid1(VALU_DEP_2)
	v_min_u32_e32 v6, 32, v3
	v_mov_b32_e32 v3, v113
	v_subrev_nc_u32_e32 v7, 29, v6
	v_sub_nc_u32_e32 v6, 30, v6
	s_delay_alu instid0(VALU_DEP_2) | instskip(NEXT) | instid1(VALU_DEP_1)
	v_lshlrev_b64_e32 v[52:53], v7, v[2:3]
	v_and_b32_e32 v3, 3, v52
.LBB6_5482:                             ;   in Loop: Header=BB6_4483 Depth=3
	s_or_b32 exec_lo, exec_lo, s75
	v_bfe_i32 v2, v2, 0, 16
	s_delay_alu instid0(VALU_DEP_1) | instskip(NEXT) | instid1(VALU_DEP_1)
	v_and_b32_e32 v2, 0x80000000, v2
	v_lshl_add_u32 v2, v6, 23, v2
	s_delay_alu instid0(VALU_DEP_1) | instskip(NEXT) | instid1(VALU_DEP_1)
	v_lshl_or_b32 v2, v3, 21, v2
                                        ; implicit-def: $vgpr3
	v_add_nc_u32_e32 v6, 0x38000000, v2
                                        ; implicit-def: $vgpr2
.LBB6_5483:                             ;   in Loop: Header=BB6_4483 Depth=3
	s_and_not1_saveexec_b32 s15, s15
; %bb.5484:                             ;   in Loop: Header=BB6_4483 Depth=3
	v_cmp_lt_i16_e32 vcc_lo, -1, v2
	v_mov_b32_e32 v2, 0x7f800000
	s_delay_alu instid0(VALU_DEP_1) | instskip(SKIP_1) | instid1(VALU_DEP_2)
	v_cndmask_b32_e32 v2, 0xff800000, v2, vcc_lo
	v_cmp_eq_u32_e32 vcc_lo, 0, v3
	v_cndmask_b32_e32 v6, 0x7f800001, v2, vcc_lo
; %bb.5485:                             ;   in Loop: Header=BB6_4483 Depth=3
	s_or_b32 exec_lo, exec_lo, s15
.LBB6_5486:                             ;   in Loop: Header=BB6_4483 Depth=3
	s_delay_alu instid0(SALU_CYCLE_1)
	s_or_b32 exec_lo, exec_lo, s14
.LBB6_5487:                             ;   in Loop: Header=BB6_4483 Depth=3
	s_delay_alu instid0(SALU_CYCLE_1) | instskip(NEXT) | instid1(VALU_DEP_1)
	s_or_b32 exec_lo, exec_lo, s13
	v_dual_mul_f32 v6, s74, v6 :: v_dual_mov_b32 v3, v113
                                        ; implicit-def: $vgpr51
	s_delay_alu instid0(VALU_DEP_1) | instskip(NEXT) | instid1(VALU_DEP_1)
	v_and_b32_e32 v2, 0x7f800000, v6
	v_cmp_ne_u64_e32 vcc_lo, 0x7f800000, v[2:3]
	v_and_b32_e32 v2, 0x7fffff, v6
	s_and_saveexec_b32 s13, vcc_lo
	s_delay_alu instid0(SALU_CYCLE_1)
	s_xor_b32 s14, exec_lo, s13
	s_cbranch_execz .LBB6_5505
; %bb.5488:                             ;   in Loop: Header=BB6_4483 Depth=3
	v_and_b32_e32 v52, 0x7fffffff, v6
	v_dual_mov_b32 v53, v113 :: v_dual_lshrrev_b32 v7, 24, v6
                                        ; implicit-def: $vgpr51
	s_delay_alu instid0(VALU_DEP_1) | instskip(NEXT) | instid1(VALU_DEP_2)
	v_cmp_gt_u64_e32 vcc_lo, 0x47600001, v[52:53]
	v_and_b32_e32 v52, 0x80, v7
	s_and_saveexec_b32 s13, vcc_lo
	s_delay_alu instid0(SALU_CYCLE_1)
	s_xor_b32 s15, exec_lo, s13
	s_cbranch_execz .LBB6_5502
; %bb.5489:                             ;   in Loop: Header=BB6_4483 Depth=3
	v_mov_b32_e32 v51, 0
	s_mov_b32 s75, exec_lo
	v_cmpx_ne_u32_e32 0, v6
	s_cbranch_execz .LBB6_5501
; %bb.5490:                             ;   in Loop: Header=BB6_4483 Depth=3
	v_bfe_u32 v51, v6, 23, 8
	v_or_b32_e32 v7, 0x800000, v2
	s_delay_alu instid0(VALU_DEP_2) | instskip(SKIP_2) | instid1(VALU_DEP_2)
	v_cmp_gt_u32_e64 s13, 0x72, v51
	v_sub_nc_u32_e32 v6, 0x71, v51
	v_cmp_eq_u32_e32 vcc_lo, 0, v51
	v_cndmask_b32_e64 v6, 0, v6, s13
	s_delay_alu instid0(VALU_DEP_1) | instskip(NEXT) | instid1(VALU_DEP_1)
	v_cndmask_b32_e64 v53, v6, 0x70, vcc_lo
	v_dual_cndmask_b32 v2, v7, v2, vcc_lo :: v_dual_add_nc_u32 v6, 21, v53
	v_add_nc_u32_e32 v54, 20, v53
	s_delay_alu instid0(VALU_DEP_2) | instskip(NEXT) | instid1(VALU_DEP_2)
	v_lshlrev_b64_e64 v[6:7], v6, -1
	v_lshlrev_b64_e64 v[54:55], v54, 1
	s_delay_alu instid0(VALU_DEP_2) | instskip(SKIP_1) | instid1(VALU_DEP_4)
	v_bfi_b32 v6, v6, 0, v2
	v_lshrrev_b64 v[2:3], v53, v[2:3]
	v_bfi_b32 v7, v7, 0, 0
	s_delay_alu instid0(VALU_DEP_1) | instskip(NEXT) | instid1(VALU_DEP_3)
	v_cmp_eq_u64_e64 s13, v[6:7], v[54:55]
	v_mov_b64_e32 v[6:7], v[2:3]
	s_and_saveexec_b32 s76, s13
; %bb.5491:                             ;   in Loop: Header=BB6_4483 Depth=3
	v_bfe_u32 v6, v2, 21, 1
	v_mov_b32_e32 v7, v113
	s_delay_alu instid0(VALU_DEP_1) | instskip(NEXT) | instid1(VALU_DEP_1)
	v_add_nc_u64_e32 v[6:7], v[2:3], v[6:7]
	v_add_nc_u64_e32 v[6:7], -1, v[6:7]
; %bb.5492:                             ;   in Loop: Header=BB6_4483 Depth=3
	s_or_b32 exec_lo, exec_lo, s76
	v_add_nc_u32_e32 v3, 0xffffff81, v51
	v_lshrrev_b32_e32 v7, 23, v2
	s_mov_b32 s13, exec_lo
	s_delay_alu instid0(VALU_DEP_2) | instskip(NEXT) | instid1(VALU_DEP_1)
	v_cndmask_b32_e64 v3, v3, 0xffffff82, vcc_lo
	v_add3_u32 v7, v53, v3, v7
	v_and_b32_e32 v3, 0x1fffff, v6
                                        ; implicit-def: $vgpr6
	s_delay_alu instid0(VALU_DEP_1) | instskip(SKIP_1) | instid1(VALU_DEP_2)
	v_dual_add_nc_u32 v51, 14, v7 :: v_dual_add_nc_u32 v2, v3, v2
	v_mov_b32_e32 v3, v113
	v_cmpx_ne_u32_e32 0, v51
	s_xor_b32 s13, exec_lo, s13
; %bb.5493:                             ;   in Loop: Header=BB6_4483 Depth=3
	s_delay_alu instid0(VALU_DEP_2) | instskip(SKIP_2) | instid1(VALU_DEP_2)
	v_cmp_lt_u64_e32 vcc_lo, 0xffffff, v[2:3]
	v_add_nc_u32_e32 v6, 15, v7
	v_cndmask_b32_e64 v7, 0, 1, vcc_lo
	v_cndmask_b32_e32 v6, v51, v6, vcc_lo
	s_delay_alu instid0(VALU_DEP_2)
	v_lshrrev_b64 v[2:3], v7, v[2:3]
; %bb.5494:                             ;   in Loop: Header=BB6_4483 Depth=3
	s_and_not1_saveexec_b32 s13, s13
; %bb.5495:                             ;   in Loop: Header=BB6_4483 Depth=3
	s_delay_alu instid0(VALU_DEP_1)
	v_bfe_u32 v6, v2, 23, 1
; %bb.5496:                             ;   in Loop: Header=BB6_4483 Depth=3
	s_or_b32 exec_lo, exec_lo, s13
	s_delay_alu instid0(VALU_DEP_2) | instskip(NEXT) | instid1(VALU_DEP_2)
	v_lshrrev_b64 v[2:3], 21, v[2:3]
	v_cmp_gt_i32_e32 vcc_lo, 32, v6
	v_cmp_ne_u32_e64 s13, 0, v6
                                        ; implicit-def: $vgpr51
	s_delay_alu instid0(VALU_DEP_3) | instskip(NEXT) | instid1(VALU_DEP_1)
	v_dual_cndmask_b32 v3, 0, v3 :: v_dual_cndmask_b32 v2, 3, v2
	v_cmp_ne_u64_e32 vcc_lo, 0, v[2:3]
	s_or_b32 s13, s13, vcc_lo
	s_delay_alu instid0(SALU_CYCLE_1) | instskip(NEXT) | instid1(SALU_CYCLE_1)
	s_and_saveexec_b32 s76, s13
	s_xor_b32 s13, exec_lo, s76
; %bb.5497:                             ;   in Loop: Header=BB6_4483 Depth=3
	v_min_i32_e32 v3, 31, v6
	s_delay_alu instid0(VALU_DEP_1) | instskip(NEXT) | instid1(VALU_DEP_1)
	v_lshl_or_b32 v3, v3, 2, v52
                                        ; implicit-def: $vgpr52
	v_and_or_b32 v51, v2, 3, v3
; %bb.5498:                             ;   in Loop: Header=BB6_4483 Depth=3
	s_and_not1_saveexec_b32 s13, s13
; %bb.5499:                             ;   in Loop: Header=BB6_4483 Depth=3
	v_mov_b32_e32 v51, v52
; %bb.5500:                             ;   in Loop: Header=BB6_4483 Depth=3
	s_or_b32 exec_lo, exec_lo, s13
.LBB6_5501:                             ;   in Loop: Header=BB6_4483 Depth=3
	s_delay_alu instid0(SALU_CYCLE_1)
	s_or_b32 exec_lo, exec_lo, s75
                                        ; implicit-def: $vgpr52
.LBB6_5502:                             ;   in Loop: Header=BB6_4483 Depth=3
	s_and_not1_saveexec_b32 s13, s15
; %bb.5503:                             ;   in Loop: Header=BB6_4483 Depth=3
	v_or_b32_e32 v51, 0x7b, v52
; %bb.5504:                             ;   in Loop: Header=BB6_4483 Depth=3
	s_or_b32 exec_lo, exec_lo, s13
                                        ; implicit-def: $vgpr6
                                        ; implicit-def: $vgpr2_vgpr3
.LBB6_5505:                             ;   in Loop: Header=BB6_4483 Depth=3
	s_and_not1_saveexec_b32 s13, s14
	s_cbranch_execz .LBB6_5511
; %bb.5506:                             ;   in Loop: Header=BB6_4483 Depth=3
	s_mov_b32 s14, exec_lo
                                        ; implicit-def: $vgpr51
	v_cmpx_ne_u64_e32 0, v[2:3]
	s_xor_b32 s14, exec_lo, s14
; %bb.5507:                             ;   in Loop: Header=BB6_4483 Depth=3
	v_lshrrev_b32_e32 v2, 24, v6
                                        ; implicit-def: $vgpr6
	s_delay_alu instid0(VALU_DEP_1)
	v_or_b32_e32 v51, 0x7f, v2
; %bb.5508:                             ;   in Loop: Header=BB6_4483 Depth=3
	s_and_not1_saveexec_b32 s14, s14
; %bb.5509:                             ;   in Loop: Header=BB6_4483 Depth=3
	v_cmp_lt_i32_e32 vcc_lo, -1, v6
	v_cndmask_b32_e64 v51, -4, 0x7c, vcc_lo
; %bb.5510:                             ;   in Loop: Header=BB6_4483 Depth=3
	s_or_b32 exec_lo, exec_lo, s14
.LBB6_5511:                             ;   in Loop: Header=BB6_4483 Depth=3
	s_delay_alu instid0(SALU_CYCLE_1)
	s_or_b32 exec_lo, exec_lo, s13
	flat_load_i8 v2, v[0:1] offset:960 th:TH_LOAD_NT
	v_mov_b32_e32 v6, 0
	s_mov_b32 s13, exec_lo
	s_wait_loadcnt_dscnt 0x0
	s_wait_xcnt 0x0
	v_cmpx_ne_u16_e32 0, v2
	s_cbranch_execz .LBB6_5521
; %bb.5512:                             ;   in Loop: Header=BB6_4483 Depth=3
	v_bfrev_b32_e32 v6, 1
	s_mov_b32 s14, exec_lo
	v_cmpx_ne_u16_e32 0xff80, v2
	s_cbranch_execz .LBB6_5520
; %bb.5513:                             ;   in Loop: Header=BB6_4483 Depth=3
	v_and_b32_e32 v6, 0x7c, v2
	v_and_b32_e32 v3, 3, v2
	s_delay_alu instid0(VALU_DEP_2) | instskip(SKIP_1) | instid1(SALU_CYCLE_1)
	v_cmp_ne_u32_e32 vcc_lo, 0x7c, v6
                                        ; implicit-def: $vgpr6
	s_and_saveexec_b32 s15, vcc_lo
	s_xor_b32 s15, exec_lo, s15
	s_cbranch_execz .LBB6_5517
; %bb.5514:                             ;   in Loop: Header=BB6_4483 Depth=3
	v_and_b32_e32 v6, 0xff, v2
	s_mov_b32 s75, exec_lo
	s_delay_alu instid0(VALU_DEP_1) | instskip(NEXT) | instid1(VALU_DEP_1)
	v_bfe_u32 v6, v6, 2, 5
	v_cmpx_eq_u32_e32 0, v6
	s_cbranch_execz .LBB6_5516
; %bb.5515:                             ;   in Loop: Header=BB6_4483 Depth=3
	v_clz_i32_u32_e32 v3, v3
	s_delay_alu instid0(VALU_DEP_1) | instskip(SKIP_1) | instid1(VALU_DEP_2)
	v_min_u32_e32 v6, 32, v3
	v_mov_b32_e32 v3, v113
	v_subrev_nc_u32_e32 v7, 29, v6
	v_sub_nc_u32_e32 v6, 30, v6
	s_delay_alu instid0(VALU_DEP_2) | instskip(NEXT) | instid1(VALU_DEP_1)
	v_lshlrev_b64_e32 v[52:53], v7, v[2:3]
	v_and_b32_e32 v3, 3, v52
.LBB6_5516:                             ;   in Loop: Header=BB6_4483 Depth=3
	s_or_b32 exec_lo, exec_lo, s75
	v_bfe_i32 v2, v2, 0, 16
	s_delay_alu instid0(VALU_DEP_1) | instskip(NEXT) | instid1(VALU_DEP_1)
	v_and_b32_e32 v2, 0x80000000, v2
	v_lshl_add_u32 v2, v6, 23, v2
	s_delay_alu instid0(VALU_DEP_1) | instskip(NEXT) | instid1(VALU_DEP_1)
	v_lshl_or_b32 v2, v3, 21, v2
                                        ; implicit-def: $vgpr3
	v_add_nc_u32_e32 v6, 0x38000000, v2
                                        ; implicit-def: $vgpr2
.LBB6_5517:                             ;   in Loop: Header=BB6_4483 Depth=3
	s_and_not1_saveexec_b32 s15, s15
; %bb.5518:                             ;   in Loop: Header=BB6_4483 Depth=3
	v_cmp_lt_i16_e32 vcc_lo, -1, v2
	v_mov_b32_e32 v2, 0x7f800000
	s_delay_alu instid0(VALU_DEP_1) | instskip(SKIP_1) | instid1(VALU_DEP_2)
	v_cndmask_b32_e32 v2, 0xff800000, v2, vcc_lo
	v_cmp_eq_u32_e32 vcc_lo, 0, v3
	v_cndmask_b32_e32 v6, 0x7f800001, v2, vcc_lo
; %bb.5519:                             ;   in Loop: Header=BB6_4483 Depth=3
	s_or_b32 exec_lo, exec_lo, s15
.LBB6_5520:                             ;   in Loop: Header=BB6_4483 Depth=3
	s_delay_alu instid0(SALU_CYCLE_1)
	s_or_b32 exec_lo, exec_lo, s14
.LBB6_5521:                             ;   in Loop: Header=BB6_4483 Depth=3
	s_delay_alu instid0(SALU_CYCLE_1) | instskip(NEXT) | instid1(VALU_DEP_1)
	s_or_b32 exec_lo, exec_lo, s13
	v_dual_mul_f32 v7, s74, v6 :: v_dual_mov_b32 v3, v113
                                        ; implicit-def: $vgpr6
	s_delay_alu instid0(VALU_DEP_1) | instskip(NEXT) | instid1(VALU_DEP_1)
	v_and_b32_e32 v2, 0x7f800000, v7
	v_cmp_ne_u64_e32 vcc_lo, 0x7f800000, v[2:3]
	v_and_b32_e32 v2, 0x7fffff, v7
	s_and_saveexec_b32 s13, vcc_lo
	s_delay_alu instid0(SALU_CYCLE_1)
	s_xor_b32 s14, exec_lo, s13
	s_cbranch_execz .LBB6_5539
; %bb.5522:                             ;   in Loop: Header=BB6_4483 Depth=3
	v_and_b32_e32 v52, 0x7fffffff, v7
	v_dual_mov_b32 v53, v113 :: v_dual_lshrrev_b32 v6, 24, v7
	s_delay_alu instid0(VALU_DEP_1) | instskip(NEXT) | instid1(VALU_DEP_2)
	v_cmp_gt_u64_e32 vcc_lo, 0x47600001, v[52:53]
	v_and_b32_e32 v52, 0x80, v6
                                        ; implicit-def: $vgpr6
	s_and_saveexec_b32 s13, vcc_lo
	s_delay_alu instid0(SALU_CYCLE_1)
	s_xor_b32 s15, exec_lo, s13
	s_cbranch_execz .LBB6_5536
; %bb.5523:                             ;   in Loop: Header=BB6_4483 Depth=3
	v_mov_b32_e32 v6, 0
	s_mov_b32 s75, exec_lo
	v_cmpx_ne_u32_e32 0, v7
	s_cbranch_execz .LBB6_5535
; %bb.5524:                             ;   in Loop: Header=BB6_4483 Depth=3
	v_bfe_u32 v53, v7, 23, 8
	v_or_b32_e32 v7, 0x800000, v2
	s_delay_alu instid0(VALU_DEP_2) | instskip(SKIP_2) | instid1(VALU_DEP_2)
	v_cmp_gt_u32_e64 s13, 0x72, v53
	v_sub_nc_u32_e32 v6, 0x71, v53
	v_cmp_eq_u32_e32 vcc_lo, 0, v53
	v_cndmask_b32_e64 v6, 0, v6, s13
	v_cndmask_b32_e32 v2, v7, v2, vcc_lo
	s_delay_alu instid0(VALU_DEP_2) | instskip(NEXT) | instid1(VALU_DEP_1)
	v_cndmask_b32_e64 v54, v6, 0x70, vcc_lo
	v_dual_add_nc_u32 v6, 21, v54 :: v_dual_add_nc_u32 v55, 20, v54
	s_delay_alu instid0(VALU_DEP_1) | instskip(NEXT) | instid1(VALU_DEP_2)
	v_lshlrev_b64_e64 v[6:7], v6, -1
	v_lshlrev_b64_e64 v[64:65], v55, 1
	s_delay_alu instid0(VALU_DEP_2) | instskip(SKIP_1) | instid1(VALU_DEP_4)
	v_bfi_b32 v6, v6, 0, v2
	v_lshrrev_b64 v[2:3], v54, v[2:3]
	v_bfi_b32 v7, v7, 0, 0
	s_delay_alu instid0(VALU_DEP_1) | instskip(NEXT) | instid1(VALU_DEP_3)
	v_cmp_eq_u64_e64 s13, v[6:7], v[64:65]
	v_mov_b64_e32 v[6:7], v[2:3]
	s_and_saveexec_b32 s76, s13
; %bb.5525:                             ;   in Loop: Header=BB6_4483 Depth=3
	v_bfe_u32 v6, v2, 21, 1
	v_mov_b32_e32 v7, v113
	s_delay_alu instid0(VALU_DEP_1) | instskip(NEXT) | instid1(VALU_DEP_1)
	v_add_nc_u64_e32 v[6:7], v[2:3], v[6:7]
	v_add_nc_u64_e32 v[6:7], -1, v[6:7]
; %bb.5526:                             ;   in Loop: Header=BB6_4483 Depth=3
	s_or_b32 exec_lo, exec_lo, s76
	v_add_nc_u32_e32 v3, 0xffffff81, v53
	v_lshrrev_b32_e32 v7, 23, v2
	s_mov_b32 s13, exec_lo
	s_delay_alu instid0(VALU_DEP_2) | instskip(NEXT) | instid1(VALU_DEP_1)
	v_cndmask_b32_e64 v3, v3, 0xffffff82, vcc_lo
	v_add3_u32 v53, v54, v3, v7
	v_and_b32_e32 v3, 0x1fffff, v6
                                        ; implicit-def: $vgpr7
	s_delay_alu instid0(VALU_DEP_1) | instskip(SKIP_1) | instid1(VALU_DEP_2)
	v_dual_add_nc_u32 v6, 14, v53 :: v_dual_add_nc_u32 v2, v3, v2
	v_mov_b32_e32 v3, v113
	v_cmpx_ne_u32_e32 0, v6
	s_xor_b32 s13, exec_lo, s13
; %bb.5527:                             ;   in Loop: Header=BB6_4483 Depth=3
	s_delay_alu instid0(VALU_DEP_2) | instskip(SKIP_1) | instid1(VALU_DEP_1)
	v_cmp_lt_u64_e32 vcc_lo, 0xffffff, v[2:3]
	v_add_nc_u32_e32 v7, 15, v53
	v_cndmask_b32_e32 v7, v6, v7, vcc_lo
	v_cndmask_b32_e64 v6, 0, 1, vcc_lo
	s_delay_alu instid0(VALU_DEP_1)
	v_lshrrev_b64 v[2:3], v6, v[2:3]
; %bb.5528:                             ;   in Loop: Header=BB6_4483 Depth=3
	s_and_not1_saveexec_b32 s13, s13
; %bb.5529:                             ;   in Loop: Header=BB6_4483 Depth=3
	s_delay_alu instid0(VALU_DEP_1)
	v_bfe_u32 v7, v2, 23, 1
; %bb.5530:                             ;   in Loop: Header=BB6_4483 Depth=3
	s_or_b32 exec_lo, exec_lo, s13
	s_delay_alu instid0(VALU_DEP_2) | instskip(NEXT) | instid1(VALU_DEP_2)
	v_lshrrev_b64 v[2:3], 21, v[2:3]
	v_cmp_gt_i32_e32 vcc_lo, 32, v7
	v_cmp_ne_u32_e64 s13, 0, v7
                                        ; implicit-def: $vgpr6
	s_delay_alu instid0(VALU_DEP_3) | instskip(NEXT) | instid1(VALU_DEP_1)
	v_dual_cndmask_b32 v3, 0, v3 :: v_dual_cndmask_b32 v2, 3, v2
	v_cmp_ne_u64_e32 vcc_lo, 0, v[2:3]
	s_or_b32 s13, s13, vcc_lo
	s_delay_alu instid0(SALU_CYCLE_1) | instskip(NEXT) | instid1(SALU_CYCLE_1)
	s_and_saveexec_b32 s76, s13
	s_xor_b32 s13, exec_lo, s76
; %bb.5531:                             ;   in Loop: Header=BB6_4483 Depth=3
	v_min_i32_e32 v3, 31, v7
	s_delay_alu instid0(VALU_DEP_1) | instskip(NEXT) | instid1(VALU_DEP_1)
	v_lshl_or_b32 v3, v3, 2, v52
                                        ; implicit-def: $vgpr52
	v_and_or_b32 v6, v2, 3, v3
; %bb.5532:                             ;   in Loop: Header=BB6_4483 Depth=3
	s_and_not1_saveexec_b32 s13, s13
; %bb.5533:                             ;   in Loop: Header=BB6_4483 Depth=3
	v_mov_b32_e32 v6, v52
; %bb.5534:                             ;   in Loop: Header=BB6_4483 Depth=3
	s_or_b32 exec_lo, exec_lo, s13
.LBB6_5535:                             ;   in Loop: Header=BB6_4483 Depth=3
	s_delay_alu instid0(SALU_CYCLE_1)
	s_or_b32 exec_lo, exec_lo, s75
                                        ; implicit-def: $vgpr52
.LBB6_5536:                             ;   in Loop: Header=BB6_4483 Depth=3
	s_and_not1_saveexec_b32 s13, s15
; %bb.5537:                             ;   in Loop: Header=BB6_4483 Depth=3
	v_or_b32_e32 v6, 0x7b, v52
; %bb.5538:                             ;   in Loop: Header=BB6_4483 Depth=3
	s_or_b32 exec_lo, exec_lo, s13
                                        ; implicit-def: $vgpr7
                                        ; implicit-def: $vgpr2_vgpr3
.LBB6_5539:                             ;   in Loop: Header=BB6_4483 Depth=3
	s_and_not1_saveexec_b32 s13, s14
	s_cbranch_execz .LBB6_5545
; %bb.5540:                             ;   in Loop: Header=BB6_4483 Depth=3
	s_mov_b32 s14, exec_lo
                                        ; implicit-def: $vgpr6
	v_cmpx_ne_u64_e32 0, v[2:3]
	s_xor_b32 s14, exec_lo, s14
; %bb.5541:                             ;   in Loop: Header=BB6_4483 Depth=3
	v_lshrrev_b32_e32 v2, 24, v7
                                        ; implicit-def: $vgpr7
	s_delay_alu instid0(VALU_DEP_1)
	v_or_b32_e32 v6, 0x7f, v2
; %bb.5542:                             ;   in Loop: Header=BB6_4483 Depth=3
	s_and_not1_saveexec_b32 s14, s14
; %bb.5543:                             ;   in Loop: Header=BB6_4483 Depth=3
	v_cmp_lt_i32_e32 vcc_lo, -1, v7
	v_cndmask_b32_e64 v6, -4, 0x7c, vcc_lo
; %bb.5544:                             ;   in Loop: Header=BB6_4483 Depth=3
	s_or_b32 exec_lo, exec_lo, s14
.LBB6_5545:                             ;   in Loop: Header=BB6_4483 Depth=3
	s_delay_alu instid0(SALU_CYCLE_1)
	s_or_b32 exec_lo, exec_lo, s13
	flat_load_i8 v0, v[0:1] offset:992 th:TH_LOAD_NT
	v_mov_b32_e32 v2, 0
	s_mov_b32 s13, exec_lo
	s_wait_loadcnt_dscnt 0x0
	s_wait_xcnt 0x0
	v_cmpx_ne_u16_e32 0, v0
	s_cbranch_execz .LBB6_5555
; %bb.5546:                             ;   in Loop: Header=BB6_4483 Depth=3
	v_bfrev_b32_e32 v2, 1
	s_mov_b32 s14, exec_lo
	v_cmpx_ne_u16_e32 0xff80, v0
	s_cbranch_execz .LBB6_5554
; %bb.5547:                             ;   in Loop: Header=BB6_4483 Depth=3
	v_and_b32_e32 v2, 0x7c, v0
	v_and_b32_e32 v1, 3, v0
	s_delay_alu instid0(VALU_DEP_2) | instskip(SKIP_1) | instid1(SALU_CYCLE_1)
	v_cmp_ne_u32_e32 vcc_lo, 0x7c, v2
                                        ; implicit-def: $vgpr2
	s_and_saveexec_b32 s15, vcc_lo
	s_xor_b32 s15, exec_lo, s15
	s_cbranch_execz .LBB6_5551
; %bb.5548:                             ;   in Loop: Header=BB6_4483 Depth=3
	v_and_b32_e32 v2, 0xff, v0
	s_mov_b32 s75, exec_lo
	s_delay_alu instid0(VALU_DEP_1) | instskip(NEXT) | instid1(VALU_DEP_1)
	v_bfe_u32 v2, v2, 2, 5
	v_cmpx_eq_u32_e32 0, v2
	s_cbranch_execz .LBB6_5550
; %bb.5549:                             ;   in Loop: Header=BB6_4483 Depth=3
	v_clz_i32_u32_e32 v1, v1
	s_delay_alu instid0(VALU_DEP_1) | instskip(SKIP_1) | instid1(VALU_DEP_2)
	v_min_u32_e32 v2, 32, v1
	v_mov_b32_e32 v1, v113
	v_subrev_nc_u32_e32 v3, 29, v2
	v_sub_nc_u32_e32 v2, 30, v2
	s_delay_alu instid0(VALU_DEP_2) | instskip(NEXT) | instid1(VALU_DEP_1)
	v_lshlrev_b64_e32 v[52:53], v3, v[0:1]
	v_and_b32_e32 v1, 3, v52
.LBB6_5550:                             ;   in Loop: Header=BB6_4483 Depth=3
	s_or_b32 exec_lo, exec_lo, s75
	v_bfe_i32 v0, v0, 0, 16
	s_delay_alu instid0(VALU_DEP_1) | instskip(NEXT) | instid1(VALU_DEP_1)
	v_and_b32_e32 v0, 0x80000000, v0
	v_lshl_add_u32 v0, v2, 23, v0
	s_delay_alu instid0(VALU_DEP_1) | instskip(NEXT) | instid1(VALU_DEP_1)
	v_lshl_or_b32 v0, v1, 21, v0
                                        ; implicit-def: $vgpr1
	v_add_nc_u32_e32 v2, 0x38000000, v0
                                        ; implicit-def: $vgpr0
.LBB6_5551:                             ;   in Loop: Header=BB6_4483 Depth=3
	s_and_not1_saveexec_b32 s15, s15
; %bb.5552:                             ;   in Loop: Header=BB6_4483 Depth=3
	v_cmp_lt_i16_e32 vcc_lo, -1, v0
	v_mov_b32_e32 v0, 0x7f800000
	s_delay_alu instid0(VALU_DEP_1) | instskip(SKIP_1) | instid1(VALU_DEP_2)
	v_cndmask_b32_e32 v0, 0xff800000, v0, vcc_lo
	v_cmp_eq_u32_e32 vcc_lo, 0, v1
	v_cndmask_b32_e32 v2, 0x7f800001, v0, vcc_lo
; %bb.5553:                             ;   in Loop: Header=BB6_4483 Depth=3
	s_or_b32 exec_lo, exec_lo, s15
.LBB6_5554:                             ;   in Loop: Header=BB6_4483 Depth=3
	s_delay_alu instid0(SALU_CYCLE_1)
	s_or_b32 exec_lo, exec_lo, s14
.LBB6_5555:                             ;   in Loop: Header=BB6_4483 Depth=3
	s_delay_alu instid0(SALU_CYCLE_1) | instskip(NEXT) | instid1(VALU_DEP_1)
	s_or_b32 exec_lo, exec_lo, s13
	v_dual_mul_f32 v3, s74, v2 :: v_dual_mov_b32 v1, v113
                                        ; implicit-def: $vgpr2
	s_delay_alu instid0(VALU_DEP_1) | instskip(NEXT) | instid1(VALU_DEP_1)
	v_and_b32_e32 v0, 0x7f800000, v3
	v_cmp_ne_u64_e32 vcc_lo, 0x7f800000, v[0:1]
	v_and_b32_e32 v0, 0x7fffff, v3
	s_and_saveexec_b32 s13, vcc_lo
	s_delay_alu instid0(SALU_CYCLE_1)
	s_xor_b32 s14, exec_lo, s13
	s_cbranch_execz .LBB6_5573
; %bb.5556:                             ;   in Loop: Header=BB6_4483 Depth=3
	v_dual_mov_b32 v53, v113 :: v_dual_lshrrev_b32 v2, 24, v3
	v_and_b32_e32 v52, 0x7fffffff, v3
	s_mov_b32 s13, exec_lo
	s_delay_alu instid0(VALU_DEP_2) | instskip(NEXT) | instid1(VALU_DEP_2)
	v_and_b32_e32 v7, 0x80, v2
                                        ; implicit-def: $vgpr2
	v_cmpx_gt_u64_e32 0x47600001, v[52:53]
	s_xor_b32 s15, exec_lo, s13
	s_cbranch_execz .LBB6_5570
; %bb.5557:                             ;   in Loop: Header=BB6_4483 Depth=3
	v_mov_b32_e32 v2, 0
	s_mov_b32 s74, exec_lo
	v_cmpx_ne_u32_e32 0, v3
	s_cbranch_execz .LBB6_5569
; %bb.5558:                             ;   in Loop: Header=BB6_4483 Depth=3
	v_bfe_u32 v52, v3, 23, 8
	v_or_b32_e32 v3, 0x800000, v0
	s_delay_alu instid0(VALU_DEP_2) | instskip(SKIP_2) | instid1(VALU_DEP_2)
	v_cmp_gt_u32_e64 s13, 0x72, v52
	v_sub_nc_u32_e32 v2, 0x71, v52
	v_cmp_eq_u32_e32 vcc_lo, 0, v52
	v_dual_cndmask_b32 v2, 0, v2, s13 :: v_dual_cndmask_b32 v0, v3, v0, vcc_lo
	s_delay_alu instid0(VALU_DEP_1) | instskip(NEXT) | instid1(VALU_DEP_1)
	v_cndmask_b32_e64 v53, v2, 0x70, vcc_lo
	v_dual_add_nc_u32 v2, 21, v53 :: v_dual_add_nc_u32 v54, 20, v53
	s_delay_alu instid0(VALU_DEP_1) | instskip(NEXT) | instid1(VALU_DEP_2)
	v_lshlrev_b64_e64 v[2:3], v2, -1
	v_lshlrev_b64_e64 v[54:55], v54, 1
	s_delay_alu instid0(VALU_DEP_2) | instskip(SKIP_1) | instid1(VALU_DEP_4)
	v_bfi_b32 v2, v2, 0, v0
	v_lshrrev_b64 v[0:1], v53, v[0:1]
	v_bfi_b32 v3, v3, 0, 0
	s_delay_alu instid0(VALU_DEP_1) | instskip(NEXT) | instid1(VALU_DEP_3)
	v_cmp_eq_u64_e64 s13, v[2:3], v[54:55]
	v_mov_b64_e32 v[2:3], v[0:1]
	s_and_saveexec_b32 s75, s13
; %bb.5559:                             ;   in Loop: Header=BB6_4483 Depth=3
	v_bfe_u32 v2, v0, 21, 1
	v_mov_b32_e32 v3, v113
	s_delay_alu instid0(VALU_DEP_1) | instskip(NEXT) | instid1(VALU_DEP_1)
	v_add_nc_u64_e32 v[2:3], v[0:1], v[2:3]
	v_add_nc_u64_e32 v[2:3], -1, v[2:3]
; %bb.5560:                             ;   in Loop: Header=BB6_4483 Depth=3
	s_or_b32 exec_lo, exec_lo, s75
	v_add_nc_u32_e32 v1, 0xffffff81, v52
	v_lshrrev_b32_e32 v3, 23, v0
	s_mov_b32 s13, exec_lo
	s_delay_alu instid0(VALU_DEP_2) | instskip(NEXT) | instid1(VALU_DEP_1)
	v_cndmask_b32_e64 v1, v1, 0xffffff82, vcc_lo
	v_add3_u32 v52, v53, v1, v3
	v_and_b32_e32 v1, 0x1fffff, v2
                                        ; implicit-def: $vgpr3
	s_delay_alu instid0(VALU_DEP_2) | instskip(NEXT) | instid1(VALU_DEP_2)
	v_add_nc_u32_e32 v2, 14, v52
	v_add_nc_u32_e32 v0, v1, v0
	v_mov_b32_e32 v1, v113
	s_delay_alu instid0(VALU_DEP_3)
	v_cmpx_ne_u32_e32 0, v2
	s_xor_b32 s13, exec_lo, s13
; %bb.5561:                             ;   in Loop: Header=BB6_4483 Depth=3
	s_delay_alu instid0(VALU_DEP_2) | instskip(SKIP_1) | instid1(VALU_DEP_1)
	v_cmp_lt_u64_e32 vcc_lo, 0xffffff, v[0:1]
	v_add_nc_u32_e32 v3, 15, v52
	v_cndmask_b32_e32 v3, v2, v3, vcc_lo
	v_cndmask_b32_e64 v2, 0, 1, vcc_lo
	s_delay_alu instid0(VALU_DEP_1)
	v_lshrrev_b64 v[0:1], v2, v[0:1]
; %bb.5562:                             ;   in Loop: Header=BB6_4483 Depth=3
	s_and_not1_saveexec_b32 s13, s13
; %bb.5563:                             ;   in Loop: Header=BB6_4483 Depth=3
	s_delay_alu instid0(VALU_DEP_1)
	v_bfe_u32 v3, v0, 23, 1
; %bb.5564:                             ;   in Loop: Header=BB6_4483 Depth=3
	s_or_b32 exec_lo, exec_lo, s13
	s_delay_alu instid0(VALU_DEP_2) | instskip(NEXT) | instid1(VALU_DEP_2)
	v_lshrrev_b64 v[0:1], 21, v[0:1]
	v_cmp_gt_i32_e32 vcc_lo, 32, v3
	v_cmp_ne_u32_e64 s13, 0, v3
                                        ; implicit-def: $vgpr2
	s_delay_alu instid0(VALU_DEP_3) | instskip(NEXT) | instid1(VALU_DEP_1)
	v_dual_cndmask_b32 v1, 0, v1 :: v_dual_cndmask_b32 v0, 3, v0
	v_cmp_ne_u64_e32 vcc_lo, 0, v[0:1]
	s_or_b32 s13, s13, vcc_lo
	s_delay_alu instid0(SALU_CYCLE_1) | instskip(NEXT) | instid1(SALU_CYCLE_1)
	s_and_saveexec_b32 s75, s13
	s_xor_b32 s13, exec_lo, s75
; %bb.5565:                             ;   in Loop: Header=BB6_4483 Depth=3
	v_min_i32_e32 v1, 31, v3
	s_delay_alu instid0(VALU_DEP_1) | instskip(NEXT) | instid1(VALU_DEP_1)
	v_lshl_or_b32 v1, v1, 2, v7
                                        ; implicit-def: $vgpr7
	v_and_or_b32 v2, v0, 3, v1
; %bb.5566:                             ;   in Loop: Header=BB6_4483 Depth=3
	s_and_not1_saveexec_b32 s13, s13
; %bb.5567:                             ;   in Loop: Header=BB6_4483 Depth=3
	v_mov_b32_e32 v2, v7
; %bb.5568:                             ;   in Loop: Header=BB6_4483 Depth=3
	s_or_b32 exec_lo, exec_lo, s13
.LBB6_5569:                             ;   in Loop: Header=BB6_4483 Depth=3
	s_delay_alu instid0(SALU_CYCLE_1)
	s_or_b32 exec_lo, exec_lo, s74
                                        ; implicit-def: $vgpr7
.LBB6_5570:                             ;   in Loop: Header=BB6_4483 Depth=3
	s_and_not1_saveexec_b32 s13, s15
; %bb.5571:                             ;   in Loop: Header=BB6_4483 Depth=3
	v_or_b32_e32 v2, 0x7b, v7
; %bb.5572:                             ;   in Loop: Header=BB6_4483 Depth=3
	s_or_b32 exec_lo, exec_lo, s13
                                        ; implicit-def: $vgpr3
                                        ; implicit-def: $vgpr0_vgpr1
.LBB6_5573:                             ;   in Loop: Header=BB6_4483 Depth=3
	s_and_not1_saveexec_b32 s13, s14
	s_cbranch_execz .LBB6_4482
; %bb.5574:                             ;   in Loop: Header=BB6_4483 Depth=3
	s_mov_b32 s14, exec_lo
                                        ; implicit-def: $vgpr2
	v_cmpx_ne_u64_e32 0, v[0:1]
	s_xor_b32 s14, exec_lo, s14
; %bb.5575:                             ;   in Loop: Header=BB6_4483 Depth=3
	v_lshrrev_b32_e32 v0, 24, v3
                                        ; implicit-def: $vgpr3
	s_delay_alu instid0(VALU_DEP_1)
	v_or_b32_e32 v2, 0x7f, v0
; %bb.5576:                             ;   in Loop: Header=BB6_4483 Depth=3
	s_and_not1_saveexec_b32 s14, s14
	s_cbranch_execz .LBB6_4481
; %bb.5577:                             ;   in Loop: Header=BB6_4483 Depth=3
	v_cmp_lt_i32_e32 vcc_lo, -1, v3
	v_cndmask_b32_e64 v2, -4, 0x7c, vcc_lo
	s_branch .LBB6_4481
.LBB6_5578:                             ;   in Loop: Header=BB6_57 Depth=2
	s_or_b32 exec_lo, exec_lo, s73
.LBB6_5579:                             ;   in Loop: Header=BB6_57 Depth=2
	s_delay_alu instid0(SALU_CYCLE_1) | instskip(SKIP_1) | instid1(VALU_DEP_1)
	s_or_b32 exec_lo, exec_lo, s72
	v_lshlrev_b32_e32 v0, 10, v13
	v_cmp_ne_u32_e32 vcc_lo, v9, v0
	s_and_b32 exec_lo, exec_lo, vcc_lo
	s_cbranch_execz .LBB6_5625
; %bb.5580:                             ;   in Loop: Header=BB6_57 Depth=2
	v_dual_lshlrev_b32 v1, 5, v11 :: v_dual_lshlrev_b32 v2, 5, v12
	s_delay_alu instid0(VALU_DEP_1) | instskip(NEXT) | instid1(VALU_DEP_1)
	v_sub_nc_u32_e32 v1, v10, v1
	v_sub_nc_u32_e32 v1, v1, v2
	s_delay_alu instid0(VALU_DEP_1) | instskip(NEXT) | instid1(VALU_DEP_1)
	v_add_nc_u32_e32 v2, v0, v1
	v_sub_nc_u32_e32 v10, v9, v2
	s_delay_alu instid0(VALU_DEP_1)
	v_cmp_lt_i32_e32 vcc_lo, 0, v10
	s_and_b32 exec_lo, exec_lo, vcc_lo
	s_cbranch_execz .LBB6_5625
; %bb.5581:                             ;   in Loop: Header=BB6_57 Depth=2
	s_trap 2
	ds_load_b64 v[0:1], v0
	v_add_nc_u32_e32 v2, v2, v8
	s_mov_b32 s72, 0
	s_delay_alu instid0(VALU_DEP_1)
	v_ashrrev_i32_e32 v3, 31, v2
	s_branch .LBB6_5584
.LBB6_5582:                             ;   in Loop: Header=BB6_5584 Depth=3
	s_or_b32 exec_lo, exec_lo, s14
.LBB6_5583:                             ;   in Loop: Header=BB6_5584 Depth=3
	s_delay_alu instid0(SALU_CYCLE_1)
	s_or_b32 exec_lo, exec_lo, s13
	scratch_load_b64 v[6:7], off, s33 offset:288 ; 8-byte Folded Reload
	flat_store_b8 v[4:5], v8 th:TH_STORE_NT
	s_wait_loadcnt 0x0
	v_sub_nc_u32_e32 v10, v10, v6
	v_add_nc_u64_e32 v[2:3], v[2:3], v[6:7]
	s_delay_alu instid0(VALU_DEP_2)
	v_cmp_gt_i32_e32 vcc_lo, 1, v10
	s_or_b32 s72, vcc_lo, s72
	s_wait_xcnt 0x0
	s_and_not1_b32 exec_lo, exec_lo, s72
	s_cbranch_execz .LBB6_5625
.LBB6_5584:                             ;   Parent Loop BB6_47 Depth=1
                                        ;     Parent Loop BB6_57 Depth=2
                                        ; =>    This Inner Loop Header: Depth=3
	s_trap 2
	s_wait_dscnt 0x0
	ds_load_b64 v[4:5], v0
	s_mov_b32 s13, 0
	s_wait_dscnt 0x0
	v_and_b32_e32 v6, 0xff, v4
	v_readfirstlane_b32 s14, v4
	v_readfirstlane_b32 s15, v5
	s_delay_alu instid0(VALU_DEP_3)
	v_cmp_eq_u32_e32 vcc_lo, 0, v6
	s_cbranch_vccnz .LBB6_5592
; %bb.5585:                             ;   in Loop: Header=BB6_5584 Depth=3
	s_bfe_i32 s74, s14, 0x80000
	s_delay_alu instid0(SALU_CYCLE_1) | instskip(NEXT) | instid1(SALU_CYCLE_1)
	s_and_b32 s13, 0xffff, s74
	s_cmp_eq_u32 s13, 0xff80
	s_brev_b32 s13, 1
	s_cbranch_scc1 .LBB6_5592
; %bb.5586:                             ;   in Loop: Header=BB6_5584 Depth=3
	s_and_b32 s13, s14, 0x7c
	s_and_b32 s73, s14, 3
	s_mov_b32 s75, -1
	s_cmp_lg_u32 s13, 0x7c
	s_sext_i32_i16 s74, s74
                                        ; implicit-def: $sgpr13
	s_cbranch_scc0 .LBB6_5590
; %bb.5587:                             ;   in Loop: Header=BB6_5584 Depth=3
	s_bfe_u32 s13, s14, 0x50002
	s_mov_b32 s75, s73
	s_cmp_lg_u32 s13, 0
	s_cbranch_scc1 .LBB6_5589
; %bb.5588:                             ;   in Loop: Header=BB6_5584 Depth=3
	s_clz_i32_u32 s13, s73
	s_delay_alu instid0(SALU_CYCLE_1) | instskip(NEXT) | instid1(SALU_CYCLE_1)
	s_min_u32 s13, s13, 32
	s_sub_co_i32 s75, s13, 29
	s_sub_co_i32 s13, 30, s13
	s_lshl_b64 s[14:15], s[14:15], s75
	s_delay_alu instid0(SALU_CYCLE_1)
	s_and_b32 s75, s14, 3
.LBB6_5589:                             ;   in Loop: Header=BB6_5584 Depth=3
	s_and_b32 s14, s74, 0x80000000
	s_lshl_b32 s13, s13, 23
	s_lshl_b32 s15, s75, 21
	s_add_co_i32 s13, s13, s14
	s_mov_b32 s75, 0
	s_or_b32 s13, s13, s15
	s_delay_alu instid0(SALU_CYCLE_1)
	s_add_co_i32 s13, s13, 0x38000000
.LBB6_5590:                             ;   in Loop: Header=BB6_5584 Depth=3
	s_and_b32 vcc_lo, exec_lo, s75
	s_cbranch_vccz .LBB6_5592
; %bb.5591:                             ;   in Loop: Header=BB6_5584 Depth=3
	s_cmp_gt_i32 s74, -1
	s_cselect_b32 s13, s47, 0xff800000
	s_cmp_eq_u32 s73, 0
	s_cselect_b32 s13, s13, 0x7f800001
.LBB6_5592:                             ;   in Loop: Header=BB6_5584 Depth=3
	v_add_nc_u64_e32 v[4:5], v[0:1], v[2:3]
	v_mov_b32_e32 v8, 0
	s_mov_b32 s14, exec_lo
	flat_load_i8 v6, v[4:5] th:TH_LOAD_NT
	s_wait_loadcnt_dscnt 0x0
	s_wait_xcnt 0x0
	v_cmpx_ne_u16_e32 0, v6
	s_cbranch_execz .LBB6_5602
; %bb.5593:                             ;   in Loop: Header=BB6_5584 Depth=3
	v_bfrev_b32_e32 v8, 1
	s_mov_b32 s15, exec_lo
	v_cmpx_ne_u16_e32 0xff80, v6
	s_cbranch_execz .LBB6_5601
; %bb.5594:                             ;   in Loop: Header=BB6_5584 Depth=3
	v_and_b32_e32 v8, 0x7c, v6
	v_and_b32_e32 v7, 3, v6
	s_delay_alu instid0(VALU_DEP_2) | instskip(SKIP_1) | instid1(SALU_CYCLE_1)
	v_cmp_ne_u32_e32 vcc_lo, 0x7c, v8
                                        ; implicit-def: $vgpr8
	s_and_saveexec_b32 s73, vcc_lo
	s_xor_b32 s73, exec_lo, s73
	s_cbranch_execz .LBB6_5598
; %bb.5595:                             ;   in Loop: Header=BB6_5584 Depth=3
	v_and_b32_e32 v8, 0xff, v6
	s_mov_b32 s74, exec_lo
	s_delay_alu instid0(VALU_DEP_1) | instskip(NEXT) | instid1(VALU_DEP_1)
	v_bfe_u32 v8, v8, 2, 5
	v_cmpx_eq_u32_e32 0, v8
	s_cbranch_execz .LBB6_5597
; %bb.5596:                             ;   in Loop: Header=BB6_5584 Depth=3
	v_clz_i32_u32_e32 v7, v7
	s_delay_alu instid0(VALU_DEP_1) | instskip(SKIP_1) | instid1(VALU_DEP_2)
	v_min_u32_e32 v8, 32, v7
	v_mov_b32_e32 v7, v113
	v_subrev_nc_u32_e32 v9, 29, v8
	v_sub_nc_u32_e32 v8, 30, v8
	s_delay_alu instid0(VALU_DEP_2) | instskip(NEXT) | instid1(VALU_DEP_1)
	v_lshlrev_b64_e32 v[12:13], v9, v[6:7]
	v_and_b32_e32 v7, 3, v12
.LBB6_5597:                             ;   in Loop: Header=BB6_5584 Depth=3
	s_or_b32 exec_lo, exec_lo, s74
	v_bfe_i32 v6, v6, 0, 16
	s_delay_alu instid0(VALU_DEP_1) | instskip(NEXT) | instid1(VALU_DEP_1)
	v_and_b32_e32 v6, 0x80000000, v6
	v_lshl_add_u32 v6, v8, 23, v6
	s_delay_alu instid0(VALU_DEP_1) | instskip(NEXT) | instid1(VALU_DEP_1)
	v_lshl_or_b32 v6, v7, 21, v6
                                        ; implicit-def: $vgpr7
	v_add_nc_u32_e32 v8, 0x38000000, v6
                                        ; implicit-def: $vgpr6
.LBB6_5598:                             ;   in Loop: Header=BB6_5584 Depth=3
	s_and_not1_saveexec_b32 s73, s73
; %bb.5599:                             ;   in Loop: Header=BB6_5584 Depth=3
	v_cmp_lt_i16_e32 vcc_lo, -1, v6
	v_mov_b32_e32 v6, 0x7f800000
	s_delay_alu instid0(VALU_DEP_1) | instskip(SKIP_1) | instid1(VALU_DEP_2)
	v_cndmask_b32_e32 v6, 0xff800000, v6, vcc_lo
	v_cmp_eq_u32_e32 vcc_lo, 0, v7
	v_cndmask_b32_e32 v8, 0x7f800001, v6, vcc_lo
; %bb.5600:                             ;   in Loop: Header=BB6_5584 Depth=3
	s_or_b32 exec_lo, exec_lo, s73
.LBB6_5601:                             ;   in Loop: Header=BB6_5584 Depth=3
	s_delay_alu instid0(SALU_CYCLE_1)
	s_or_b32 exec_lo, exec_lo, s15
.LBB6_5602:                             ;   in Loop: Header=BB6_5584 Depth=3
	s_delay_alu instid0(SALU_CYCLE_1) | instskip(NEXT) | instid1(VALU_DEP_1)
	s_or_b32 exec_lo, exec_lo, s14
	v_dual_mul_f32 v9, s13, v8 :: v_dual_mov_b32 v7, v113
                                        ; implicit-def: $vgpr8
	s_delay_alu instid0(VALU_DEP_1) | instskip(NEXT) | instid1(VALU_DEP_1)
	v_and_b32_e32 v6, 0x7f800000, v9
	v_cmp_ne_u64_e32 vcc_lo, 0x7f800000, v[6:7]
	v_and_b32_e32 v6, 0x7fffff, v9
	s_and_saveexec_b32 s13, vcc_lo
	s_delay_alu instid0(SALU_CYCLE_1)
	s_xor_b32 s14, exec_lo, s13
	s_cbranch_execz .LBB6_5620
; %bb.5603:                             ;   in Loop: Header=BB6_5584 Depth=3
	v_dual_mov_b32 v13, v113 :: v_dual_lshrrev_b32 v8, 24, v9
	v_and_b32_e32 v12, 0x7fffffff, v9
	s_mov_b32 s13, exec_lo
	s_delay_alu instid0(VALU_DEP_2) | instskip(NEXT) | instid1(VALU_DEP_2)
	v_and_b32_e32 v11, 0x80, v8
                                        ; implicit-def: $vgpr8
	v_cmpx_gt_u64_e32 0x47600001, v[12:13]
	s_xor_b32 s15, exec_lo, s13
	s_cbranch_execz .LBB6_5617
; %bb.5604:                             ;   in Loop: Header=BB6_5584 Depth=3
	v_mov_b32_e32 v8, 0
	s_mov_b32 s73, exec_lo
	v_cmpx_ne_u32_e32 0, v9
	s_cbranch_execz .LBB6_5616
; %bb.5605:                             ;   in Loop: Header=BB6_5584 Depth=3
	v_bfe_u32 v12, v9, 23, 8
	v_or_b32_e32 v14, 0x800000, v6
	s_delay_alu instid0(VALU_DEP_2) | instskip(SKIP_1) | instid1(VALU_DEP_2)
	v_sub_nc_u32_e32 v8, 0x71, v12
	v_cmp_gt_u32_e32 vcc_lo, 0x72, v12
	v_cndmask_b32_e32 v8, 0, v8, vcc_lo
	v_cmp_eq_u32_e32 vcc_lo, 0, v12
	s_delay_alu instid0(VALU_DEP_2) | instskip(NEXT) | instid1(VALU_DEP_1)
	v_cndmask_b32_e64 v13, v8, 0x70, vcc_lo
	v_dual_cndmask_b32 v6, v14, v6, vcc_lo :: v_dual_add_nc_u32 v8, 21, v13
	v_add_nc_u32_e32 v15, 20, v13
	s_delay_alu instid0(VALU_DEP_2) | instskip(NEXT) | instid1(VALU_DEP_2)
	v_lshlrev_b64_e64 v[8:9], v8, -1
	v_lshlrev_b64_e64 v[14:15], v15, 1
	s_delay_alu instid0(VALU_DEP_2) | instskip(SKIP_1) | instid1(VALU_DEP_4)
	v_bfi_b32 v8, v8, 0, v6
	v_lshrrev_b64 v[6:7], v13, v[6:7]
	v_bfi_b32 v9, v9, 0, 0
	s_delay_alu instid0(VALU_DEP_1) | instskip(NEXT) | instid1(VALU_DEP_3)
	v_cmp_eq_u64_e64 s13, v[8:9], v[14:15]
	v_mov_b64_e32 v[8:9], v[6:7]
	s_and_saveexec_b32 s74, s13
; %bb.5606:                             ;   in Loop: Header=BB6_5584 Depth=3
	v_bfe_u32 v8, v6, 21, 1
	v_mov_b32_e32 v9, v113
	s_delay_alu instid0(VALU_DEP_1) | instskip(NEXT) | instid1(VALU_DEP_1)
	v_add_nc_u64_e32 v[8:9], v[6:7], v[8:9]
	v_add_nc_u64_e32 v[8:9], -1, v[8:9]
; %bb.5607:                             ;   in Loop: Header=BB6_5584 Depth=3
	s_or_b32 exec_lo, exec_lo, s74
	v_add_nc_u32_e32 v7, 0xffffff81, v12
	v_lshrrev_b32_e32 v9, 23, v6
	s_mov_b32 s13, exec_lo
	s_delay_alu instid0(VALU_DEP_2) | instskip(NEXT) | instid1(VALU_DEP_1)
	v_cndmask_b32_e64 v7, v7, 0xffffff82, vcc_lo
	v_add3_u32 v12, v13, v7, v9
	v_and_b32_e32 v7, 0x1fffff, v8
                                        ; implicit-def: $vgpr9
	s_delay_alu instid0(VALU_DEP_1) | instskip(SKIP_1) | instid1(VALU_DEP_2)
	v_dual_add_nc_u32 v8, 14, v12 :: v_dual_add_nc_u32 v6, v7, v6
	v_mov_b32_e32 v7, v113
	v_cmpx_ne_u32_e32 0, v8
	s_xor_b32 s13, exec_lo, s13
; %bb.5608:                             ;   in Loop: Header=BB6_5584 Depth=3
	s_delay_alu instid0(VALU_DEP_2) | instskip(SKIP_1) | instid1(VALU_DEP_1)
	v_cmp_lt_u64_e32 vcc_lo, 0xffffff, v[6:7]
	v_add_nc_u32_e32 v9, 15, v12
	v_cndmask_b32_e32 v9, v8, v9, vcc_lo
	v_cndmask_b32_e64 v8, 0, 1, vcc_lo
	s_delay_alu instid0(VALU_DEP_1)
	v_lshrrev_b64 v[6:7], v8, v[6:7]
; %bb.5609:                             ;   in Loop: Header=BB6_5584 Depth=3
	s_and_not1_saveexec_b32 s13, s13
; %bb.5610:                             ;   in Loop: Header=BB6_5584 Depth=3
	s_delay_alu instid0(VALU_DEP_1)
	v_bfe_u32 v9, v6, 23, 1
; %bb.5611:                             ;   in Loop: Header=BB6_5584 Depth=3
	s_or_b32 exec_lo, exec_lo, s13
	s_delay_alu instid0(VALU_DEP_2) | instskip(NEXT) | instid1(VALU_DEP_2)
	v_lshrrev_b64 v[6:7], 21, v[6:7]
	v_cmp_gt_i32_e32 vcc_lo, 32, v9
	v_cmp_ne_u32_e64 s13, 0, v9
                                        ; implicit-def: $vgpr8
	s_delay_alu instid0(VALU_DEP_3) | instskip(NEXT) | instid1(VALU_DEP_1)
	v_dual_cndmask_b32 v7, 0, v7 :: v_dual_cndmask_b32 v6, 3, v6
	v_cmp_ne_u64_e32 vcc_lo, 0, v[6:7]
	s_or_b32 s13, s13, vcc_lo
	s_delay_alu instid0(SALU_CYCLE_1) | instskip(NEXT) | instid1(SALU_CYCLE_1)
	s_and_saveexec_b32 s74, s13
	s_xor_b32 s13, exec_lo, s74
; %bb.5612:                             ;   in Loop: Header=BB6_5584 Depth=3
	v_min_i32_e32 v7, 31, v9
	s_delay_alu instid0(VALU_DEP_1) | instskip(NEXT) | instid1(VALU_DEP_1)
	v_lshl_or_b32 v7, v7, 2, v11
                                        ; implicit-def: $vgpr11
	v_and_or_b32 v8, v6, 3, v7
; %bb.5613:                             ;   in Loop: Header=BB6_5584 Depth=3
	s_and_not1_saveexec_b32 s13, s13
; %bb.5614:                             ;   in Loop: Header=BB6_5584 Depth=3
	v_mov_b32_e32 v8, v11
; %bb.5615:                             ;   in Loop: Header=BB6_5584 Depth=3
	s_or_b32 exec_lo, exec_lo, s13
.LBB6_5616:                             ;   in Loop: Header=BB6_5584 Depth=3
	s_delay_alu instid0(SALU_CYCLE_1)
	s_or_b32 exec_lo, exec_lo, s73
                                        ; implicit-def: $vgpr11
.LBB6_5617:                             ;   in Loop: Header=BB6_5584 Depth=3
	s_and_not1_saveexec_b32 s13, s15
; %bb.5618:                             ;   in Loop: Header=BB6_5584 Depth=3
	v_or_b32_e32 v8, 0x7b, v11
; %bb.5619:                             ;   in Loop: Header=BB6_5584 Depth=3
	s_or_b32 exec_lo, exec_lo, s13
                                        ; implicit-def: $vgpr9
                                        ; implicit-def: $vgpr6_vgpr7
.LBB6_5620:                             ;   in Loop: Header=BB6_5584 Depth=3
	s_and_not1_saveexec_b32 s13, s14
	s_cbranch_execz .LBB6_5583
; %bb.5621:                             ;   in Loop: Header=BB6_5584 Depth=3
	s_mov_b32 s14, exec_lo
                                        ; implicit-def: $vgpr8
	v_cmpx_ne_u64_e32 0, v[6:7]
	s_xor_b32 s14, exec_lo, s14
; %bb.5622:                             ;   in Loop: Header=BB6_5584 Depth=3
	v_lshrrev_b32_e32 v6, 24, v9
                                        ; implicit-def: $vgpr9
	s_delay_alu instid0(VALU_DEP_1)
	v_or_b32_e32 v8, 0x7f, v6
; %bb.5623:                             ;   in Loop: Header=BB6_5584 Depth=3
	s_and_not1_saveexec_b32 s14, s14
	s_cbranch_execz .LBB6_5582
; %bb.5624:                             ;   in Loop: Header=BB6_5584 Depth=3
	v_cmp_lt_i32_e32 vcc_lo, -1, v9
	v_cndmask_b32_e64 v8, -4, 0x7c, vcc_lo
	s_branch .LBB6_5582
.LBB6_5625:                             ;   in Loop: Header=BB6_57 Depth=2
	s_or_b32 exec_lo, exec_lo, s63
	v_cmp_lt_i32_e64 s13, 0, v67
	s_and_saveexec_b32 s14, s2
	s_cbranch_execnz .LBB6_5626
; %bb.31184:                            ;   in Loop: Header=BB6_57 Depth=2
	s_add_pc_i64 .LBB6_128-.Lpost_addpc62
.Lpost_addpc62:
.LBB6_5626:                             ;   in Loop: Header=BB6_57 Depth=2
	s_and_saveexec_b32 s15, s3
	s_delay_alu instid0(SALU_CYCLE_1)
	s_xor_b32 s15, exec_lo, s15
	s_cbranch_execz .LBB6_5641
; %bb.5627:                             ;   in Loop: Header=BB6_57 Depth=2
	s_and_saveexec_b32 s63, s6
	s_cbranch_execz .LBB6_5640
; %bb.5628:                             ;   in Loop: Header=BB6_57 Depth=2
	s_mov_b32 s73, exec_lo
	s_mov_b32 s72, exec_lo
	v_mbcnt_lo_u32_b32 v0, s73, 0
	global_wb scope:SCOPE_DEV
	s_wait_storecnt 0x0
	s_wait_loadcnt_dscnt 0x0
	global_inv scope:SCOPE_DEV
	v_cmpx_eq_u32_e32 0, v0
	s_cbranch_execz .LBB6_5630
; %bb.5629:                             ;   in Loop: Header=BB6_57 Depth=2
	s_bcnt1_i32_b32 s73, s73
	s_delay_alu instid0(SALU_CYCLE_1)
	v_dual_mov_b32 v1, v113 :: v_dual_mov_b32 v0, s73
	s_wait_loadcnt 0x0
	ds_add_u64 v0, v[0:1]
	s_trap 2
.LBB6_5630:                             ;   in Loop: Header=BB6_57 Depth=2
	s_or_b32 exec_lo, exec_lo, s72
	s_trap 2
	ds_load_b64 v[0:1], v0
	s_wait_dscnt 0x0
	s_clause 0x1
	scratch_load_b64 v[2:3], off, s33 offset:208 th:TH_LOAD_LU
	scratch_load_b64 v[4:5], off, s33 offset:272
	s_mov_b32 s72, exec_lo
	s_wait_loadcnt 0x0
	v_add_nc_u64_e32 v[2:3], v[2:3], v[4:5]
	scratch_store_b64 off, v[2:3], s33 offset:208 ; 8-byte Folded Spill
	s_wait_xcnt 0x0
	v_cmpx_lt_u64_e64 v[0:1], v[2:3]
	s_cbranch_execz .LBB6_5639
; %bb.5631:                             ;   in Loop: Header=BB6_57 Depth=2
	s_mov_b32 s73, 0
	s_mov_b32 s76, 0
                                        ; implicit-def: $sgpr74
                                        ; implicit-def: $sgpr75
	s_branch .LBB6_5633
.LBB6_5632:                             ;   in Loop: Header=BB6_5633 Depth=3
	s_wait_xcnt 0x0
	s_or_b32 exec_lo, exec_lo, s78
	s_delay_alu instid0(SALU_CYCLE_1) | instskip(NEXT) | instid1(SALU_CYCLE_1)
	s_and_b32 s77, exec_lo, s79
	s_or_b32 s73, s77, s73
	s_and_not1_b32 s74, s74, exec_lo
	s_and_b32 s77, s75, exec_lo
	s_delay_alu instid0(SALU_CYCLE_1)
	s_or_b32 s74, s74, s77
	s_and_not1_b32 exec_lo, exec_lo, s73
	s_cbranch_execz .LBB6_5637
.LBB6_5633:                             ;   Parent Loop BB6_47 Depth=1
                                        ;     Parent Loop BB6_57 Depth=2
                                        ; =>    This Inner Loop Header: Depth=3
	s_add_co_i32 s76, s76, 1
	s_delay_alu instid0(SALU_CYCLE_1) | instskip(SKIP_1) | instid1(SALU_CYCLE_1)
	s_cmp_lg_u32 s76, 0x2710
	s_cselect_b32 s77, -1, 0
	s_and_b32 vcc_lo, exec_lo, s77
	s_cbranch_vccz .LBB6_5635
; %bb.5634:                             ;   in Loop: Header=BB6_5633 Depth=3
	s_mov_b32 s79, -1
	s_or_b32 s75, s75, exec_lo
	s_and_saveexec_b32 s78, s77
	s_cbranch_execz .LBB6_5632
	s_branch .LBB6_5636
.LBB6_5635:                             ;   in Loop: Header=BB6_5633 Depth=3
	s_trap 2
	ds_load_b64 v[0:1], v0
	s_and_not1_b32 s77, s77, exec_lo
	s_mov_b32 s76, 0
	s_wait_storecnt_dscnt 0x0
	flat_load_b32 v0, v[0:1] scope:SCOPE_SYS
	s_wait_loadcnt_dscnt 0x0
	global_inv scope:SCOPE_SYS
	v_cmp_eq_u32_e32 vcc_lo, 0, v0
	s_and_b32 s78, vcc_lo, exec_lo
	s_delay_alu instid0(SALU_CYCLE_1)
	s_or_b32 s77, s77, s78
	s_mov_b32 s79, -1
	s_or_b32 s75, s75, exec_lo
	s_wait_xcnt 0x0
	s_and_saveexec_b32 s78, s77
	s_cbranch_execz .LBB6_5632
.LBB6_5636:                             ;   in Loop: Header=BB6_5633 Depth=3
	s_sleep 1
	s_trap 2
	ds_load_b64 v[0:1], v0
	s_wait_dscnt 0x0
	scratch_load_b64 v[2:3], off, s33 offset:208 ; 8-byte Folded Reload
	s_and_not1_b32 s75, s75, exec_lo
	s_wait_loadcnt 0x0
	v_cmp_ge_u64_e32 vcc_lo, v[0:1], v[2:3]
	s_or_not1_b32 s79, vcc_lo, exec_lo
	s_branch .LBB6_5632
.LBB6_5637:                             ;   in Loop: Header=BB6_57 Depth=2
	s_or_b32 exec_lo, exec_lo, s73
	s_and_saveexec_b32 s73, s74
	s_delay_alu instid0(SALU_CYCLE_1)
	s_xor_b32 s73, exec_lo, s73
	s_cbranch_execz .LBB6_5639
; %bb.5638:                             ;   in Loop: Header=BB6_57 Depth=2
	v_mov_b32_e32 v0, 1
	ds_store_b32 v0, v0
	s_trap 2
.LBB6_5639:                             ;   in Loop: Header=BB6_57 Depth=2
	s_or_b32 exec_lo, exec_lo, s72
	;;#ASMSTART
	s_wakeup
	;;#ASMEND
.LBB6_5640:                             ;   in Loop: Header=BB6_57 Depth=2
	s_or_b32 exec_lo, exec_lo, s63
.LBB6_5641:                             ;   in Loop: Header=BB6_57 Depth=2
	s_and_not1_saveexec_b32 s15, s15
	s_cbranch_execz .LBB6_5643
; %bb.5642:                             ;   in Loop: Header=BB6_57 Depth=2
	global_wb scope:SCOPE_DEV
	s_wait_storecnt 0x0
	s_wait_loadcnt_dscnt 0x0
	global_inv scope:SCOPE_DEV
	s_barrier_signal -1
	s_barrier_wait -1
.LBB6_5643:                             ;   in Loop: Header=BB6_57 Depth=2
	s_or_b32 exec_lo, exec_lo, s15
	s_delay_alu instid0(SALU_CYCLE_1) | instskip(SKIP_1) | instid1(SALU_CYCLE_1)
	s_or_b32 exec_lo, exec_lo, s14
                                        ; implicit-def: $vgpr0
	s_and_saveexec_b32 s14, s12
	s_xor_b32 s14, exec_lo, s14
	s_cbranch_execz .LBB6_5644
; %bb.31186:                            ;   in Loop: Header=BB6_57 Depth=2
	s_add_pc_i64 .LBB6_129-.Lpost_addpc63
.Lpost_addpc63:
.LBB6_5644:                             ;   in Loop: Header=BB6_57 Depth=2
	s_and_not1_saveexec_b32 s13, s14
	s_cbranch_execz .LBB6_5663
.LBB6_5645:                             ;   in Loop: Header=BB6_57 Depth=2
	s_and_saveexec_b32 s14, s3
	s_delay_alu instid0(SALU_CYCLE_1)
	s_xor_b32 s14, exec_lo, s14
	s_cbranch_execz .LBB6_5660
; %bb.5646:                             ;   in Loop: Header=BB6_57 Depth=2
	s_and_saveexec_b32 s15, s6
	s_cbranch_execz .LBB6_5659
; %bb.5647:                             ;   in Loop: Header=BB6_57 Depth=2
	s_mov_b32 s72, exec_lo
	s_mov_b32 s63, exec_lo
	v_mbcnt_lo_u32_b32 v0, s72, 0
	;;#ASMSTART
	s_waitcnt lgkmcnt(0) vmcnt(0)
	;;#ASMEND
	s_delay_alu instid0(VALU_DEP_1)
	v_cmpx_eq_u32_e32 0, v0
	s_cbranch_execz .LBB6_5649
; %bb.5648:                             ;   in Loop: Header=BB6_57 Depth=2
	s_bcnt1_i32_b32 s72, s72
	s_delay_alu instid0(SALU_CYCLE_1)
	v_dual_mov_b32 v1, v113 :: v_dual_mov_b32 v0, s72
	s_wait_storecnt 0x0
	s_wait_loadcnt_dscnt 0x0
	ds_add_u64 v0, v[0:1]
	s_trap 2
.LBB6_5649:                             ;   in Loop: Header=BB6_57 Depth=2
	s_or_b32 exec_lo, exec_lo, s63
	s_trap 2
	ds_load_b64 v[0:1], v0
	s_wait_dscnt 0x0
	s_clause 0x1
	scratch_load_b64 v[2:3], off, s33 offset:208 th:TH_LOAD_LU
	scratch_load_b64 v[4:5], off, s33 offset:272
	s_mov_b32 s63, exec_lo
	s_wait_loadcnt 0x0
	v_add_nc_u64_e32 v[2:3], v[2:3], v[4:5]
	scratch_store_b64 off, v[2:3], s33 offset:208 ; 8-byte Folded Spill
	s_wait_xcnt 0x0
	v_cmpx_lt_u64_e64 v[0:1], v[2:3]
	s_cbranch_execz .LBB6_5658
; %bb.5650:                             ;   in Loop: Header=BB6_57 Depth=2
	s_mov_b32 s72, 0
	s_mov_b32 s75, 0
                                        ; implicit-def: $sgpr73
                                        ; implicit-def: $sgpr74
	s_branch .LBB6_5652
.LBB6_5651:                             ;   in Loop: Header=BB6_5652 Depth=3
	s_wait_xcnt 0x0
	s_or_b32 exec_lo, exec_lo, s77
	s_delay_alu instid0(SALU_CYCLE_1) | instskip(NEXT) | instid1(SALU_CYCLE_1)
	s_and_b32 s76, exec_lo, s78
	s_or_b32 s72, s76, s72
	s_and_not1_b32 s73, s73, exec_lo
	s_and_b32 s76, s74, exec_lo
	s_delay_alu instid0(SALU_CYCLE_1)
	s_or_b32 s73, s73, s76
	s_and_not1_b32 exec_lo, exec_lo, s72
	s_cbranch_execz .LBB6_5656
.LBB6_5652:                             ;   Parent Loop BB6_47 Depth=1
                                        ;     Parent Loop BB6_57 Depth=2
                                        ; =>    This Inner Loop Header: Depth=3
	s_add_co_i32 s75, s75, 1
	s_delay_alu instid0(SALU_CYCLE_1) | instskip(SKIP_1) | instid1(SALU_CYCLE_1)
	s_cmp_lg_u32 s75, 0x2710
	s_cselect_b32 s76, -1, 0
	s_and_b32 vcc_lo, exec_lo, s76
	s_cbranch_vccz .LBB6_5654
; %bb.5653:                             ;   in Loop: Header=BB6_5652 Depth=3
	s_mov_b32 s78, -1
	s_or_b32 s74, s74, exec_lo
	s_and_saveexec_b32 s77, s76
	s_cbranch_execz .LBB6_5651
	s_branch .LBB6_5655
.LBB6_5654:                             ;   in Loop: Header=BB6_5652 Depth=3
	s_trap 2
	ds_load_b64 v[0:1], v0
	s_and_not1_b32 s76, s76, exec_lo
	s_mov_b32 s75, 0
	s_wait_storecnt_dscnt 0x0
	flat_load_b32 v0, v[0:1] scope:SCOPE_SYS
	s_wait_loadcnt_dscnt 0x0
	global_inv scope:SCOPE_SYS
	v_cmp_eq_u32_e32 vcc_lo, 0, v0
	s_and_b32 s77, vcc_lo, exec_lo
	s_delay_alu instid0(SALU_CYCLE_1)
	s_or_b32 s76, s76, s77
	s_mov_b32 s78, -1
	s_or_b32 s74, s74, exec_lo
	s_wait_xcnt 0x0
	s_and_saveexec_b32 s77, s76
	s_cbranch_execz .LBB6_5651
.LBB6_5655:                             ;   in Loop: Header=BB6_5652 Depth=3
	s_sleep 1
	s_trap 2
	ds_load_b64 v[0:1], v0
	s_wait_dscnt 0x0
	scratch_load_b64 v[2:3], off, s33 offset:208 ; 8-byte Folded Reload
	s_and_not1_b32 s74, s74, exec_lo
	s_wait_loadcnt 0x0
	v_cmp_ge_u64_e32 vcc_lo, v[0:1], v[2:3]
	s_or_not1_b32 s78, vcc_lo, exec_lo
	s_branch .LBB6_5651
.LBB6_5656:                             ;   in Loop: Header=BB6_57 Depth=2
	s_or_b32 exec_lo, exec_lo, s72
	s_and_saveexec_b32 s72, s73
	s_delay_alu instid0(SALU_CYCLE_1)
	s_xor_b32 s72, exec_lo, s72
	s_cbranch_execz .LBB6_5658
; %bb.5657:                             ;   in Loop: Header=BB6_57 Depth=2
	v_mov_b32_e32 v0, 1
	ds_store_b32 v0, v0
	s_trap 2
.LBB6_5658:                             ;   in Loop: Header=BB6_57 Depth=2
	s_or_b32 exec_lo, exec_lo, s63
	;;#ASMSTART
	s_wakeup
	;;#ASMEND
.LBB6_5659:                             ;   in Loop: Header=BB6_57 Depth=2
	s_or_b32 exec_lo, exec_lo, s15
.LBB6_5660:                             ;   in Loop: Header=BB6_57 Depth=2
	s_and_not1_saveexec_b32 s14, s14
	s_cbranch_execz .LBB6_5662
; %bb.5661:                             ;   in Loop: Header=BB6_57 Depth=2
	;;#ASMSTART
	s_waitcnt lgkmcnt(0) vmcnt(0)
	;;#ASMEND
	s_barrier_signal -1
	s_barrier_wait -1
.LBB6_5662:                             ;   in Loop: Header=BB6_57 Depth=2
	s_or_b32 exec_lo, exec_lo, s14
	scratch_load_b32 v0, off, s33 offset:204 ; 4-byte Folded Reload
	s_wait_loadcnt 0x0
	v_and_b32_e32 v0, 16, v0
.LBB6_5663:                             ;   in Loop: Header=BB6_57 Depth=2
	s_wait_xcnt 0x0
	s_or_b32 exec_lo, exec_lo, s13
	s_delay_alu instid0(SALU_CYCLE_1) | instskip(NEXT) | instid1(VALU_DEP_1)
	s_mov_b32 s13, exec_lo
	v_cmpx_ne_u32_e32 0, v0
	s_cbranch_execnz .LBB6_5664
; %bb.31188:                            ;   in Loop: Header=BB6_57 Depth=2
	s_add_pc_i64 .LBB6_56-.Lpost_addpc64
.Lpost_addpc64:
.LBB6_5664:                             ;   in Loop: Header=BB6_57 Depth=2
	s_and_saveexec_b32 s14, s5
	s_cbranch_execnz .LBB6_5665
; %bb.31190:                            ;   in Loop: Header=BB6_57 Depth=2
	s_add_pc_i64 .LBB6_55-.Lpost_addpc65
.Lpost_addpc65:
.LBB6_5665:                             ;   in Loop: Header=BB6_57 Depth=2
	scratch_load_b64 v[0:1], off, s33 offset:328 ; 8-byte Folded Reload
	v_mov_b32_e32 v2, 1
	global_wb scope:SCOPE_SYS
	s_wait_storecnt 0x0
	s_wait_xcnt 0x0
	s_wait_loadcnt_dscnt 0x0
	flat_store_b32 v[0:1], v2 scope:SCOPE_SYS
; %bb.31148:                            ;   in Loop: Header=BB6_57 Depth=2
	s_add_pc_i64 .LBB6_55-.Lpost_addpc44
.Lpost_addpc44:
.LBB6_5666:                             ;   in Loop: Header=BB6_47 Depth=1
	s_or_b32 exec_lo, exec_lo, s29
.LBB6_5667:                             ;   in Loop: Header=BB6_47 Depth=1
	s_delay_alu instid0(SALU_CYCLE_1) | instskip(NEXT) | instid1(SALU_CYCLE_1)
	s_or_b32 exec_lo, exec_lo, s18
	s_mov_b32 s14, exec_lo
	v_cmpx_gt_i32_e32 2, v0
	s_cbranch_execz .LBB6_5739
; %bb.5668:                             ;   in Loop: Header=BB6_47 Depth=1
	v_cmp_eq_u32_e64 s18, 0, v0
	s_mov_b32 s15, 0
	s_branch .LBB6_5671
.LBB6_5669:                             ;   in Loop: Header=BB6_5671 Depth=2
	s_wait_xcnt 0x0
	s_or_b32 exec_lo, exec_lo, s18
	s_clause 0x1
	scratch_load_b64 v[2:3], off, s33 offset:264 th:TH_LOAD_LU
	scratch_load_b64 v[0:1], off, s33 offset:196
	s_wait_loadcnt 0x1
	v_add_nc_u64_e32 v[2:3], 2, v[2:3]
	scratch_store_b64 off, v[2:3], s33 offset:264 ; 8-byte Folded Spill
	global_wb scope:SCOPE_SYS
	s_wait_storecnt 0x0
	s_wait_xcnt 0x0
	s_wait_loadcnt_dscnt 0x0
	flat_store_b64 v[0:1], v[2:3] scope:SCOPE_SYS
.LBB6_5670:                             ;   in Loop: Header=BB6_5671 Depth=2
	s_wait_xcnt 0x0
	s_or_b32 exec_lo, exec_lo, s13
	v_add_nc_u32_e32 v44, v68, v44
	s_mov_b32 s18, 0
	s_and_not1_b32 exec_lo, exec_lo, s15
	s_cbranch_execz .LBB6_5738
.LBB6_5671:                             ;   Parent Loop BB6_47 Depth=1
                                        ; =>  This Loop Header: Depth=2
                                        ;       Child Loop BB6_5677 Depth 3
                                        ;       Child Loop BB6_5701 Depth 3
	;; [unrolled: 1-line block ×3, first 2 shown]
	scratch_load_b32 v1, off, s33 offset:204 ; 4-byte Folded Reload
	v_sub_nc_u32_e32 v0, v66, v44
	s_mov_b32 s29, exec_lo
	s_wait_loadcnt 0x0
	v_and_b32_e32 v1, 8, v1
	s_delay_alu instid0(VALU_DEP_2) | instskip(SKIP_1) | instid1(VALU_DEP_2)
	v_min_i32_e32 v68, v68, v0
	s_wait_xcnt 0x0
	v_cmpx_ne_u32_e32 0, v1
	s_cbranch_execz .LBB6_5693
; %bb.5672:                             ;   in Loop: Header=BB6_5671 Depth=2
	scratch_load_b64 v[0:1], off, s33 offset:188 ; 8-byte Folded Reload
	s_mov_b32 s42, exec_lo
	s_wait_loadcnt 0x0
	v_add_nc_u64_e32 v[2:3], 8, v[0:1]
	scratch_load_b64 v[0:1], off, s33 offset:264 ; 8-byte Folded Reload
	s_wait_loadcnt 0x0
	v_add_nc_u64_e32 v[0:1], 2, v[0:1]
	s_wait_xcnt 0x0
	s_delay_alu instid0(VALU_DEP_1)
	v_cmpx_lt_u64_e64 v[2:3], v[0:1]
	s_cbranch_execz .LBB6_5684
; %bb.5673:                             ;   in Loop: Header=BB6_5671 Depth=2
	scratch_load_b32 v2, off, s33 offset:204 ; 4-byte Folded Reload
	s_mov_b32 s43, 0
	s_mov_b32 s74, 0
                                        ; implicit-def: $sgpr63
                                        ; implicit-def: $sgpr72
                                        ; implicit-def: $sgpr73
	s_wait_loadcnt 0x0
	v_and_b32_e32 v2, 64, v2
	s_delay_alu instid0(VALU_DEP_1)
	v_cmp_eq_u32_e32 vcc_lo, 0, v2
	s_branch .LBB6_5677
.LBB6_5674:                             ;   in Loop: Header=BB6_5677 Depth=3
	scratch_load_b64 v[4:5], off, s33 offset:188 ; 8-byte Folded Reload
	s_or_b32 s77, s77, exec_lo
	s_wait_loadcnt 0x0
	v_add_nc_u64_e32 v[4:5], 8, v[4:5]
	s_delay_alu instid0(VALU_DEP_1)
	v_cmp_ge_u64_e64 s13, v[4:5], v[0:1]
	s_or_not1_b32 s76, s13, exec_lo
.LBB6_5675:                             ;   in Loop: Header=BB6_5677 Depth=3
	s_wait_xcnt 0x0
	s_or_b32 exec_lo, exec_lo, s79
	s_delay_alu instid0(SALU_CYCLE_1)
	s_and_not1_b32 s13, s73, exec_lo
	s_and_b32 s73, s77, exec_lo
	s_and_not1_b32 s72, s72, exec_lo
	s_and_b32 s76, s76, exec_lo
	s_or_b32 s73, s13, s73
	s_or_b32 s72, s72, s76
.LBB6_5676:                             ;   in Loop: Header=BB6_5677 Depth=3
	s_or_b32 exec_lo, exec_lo, s75
	s_delay_alu instid0(SALU_CYCLE_1) | instskip(NEXT) | instid1(SALU_CYCLE_1)
	s_and_b32 s13, exec_lo, s72
	s_or_b32 s43, s13, s43
	s_and_not1_b32 s13, s63, exec_lo
	s_and_b32 s63, s73, exec_lo
	s_delay_alu instid0(SALU_CYCLE_1)
	s_or_b32 s63, s13, s63
	s_and_not1_b32 exec_lo, exec_lo, s43
	s_cbranch_execz .LBB6_5681
.LBB6_5677:                             ;   Parent Loop BB6_47 Depth=1
                                        ;     Parent Loop BB6_5671 Depth=2
                                        ; =>    This Inner Loop Header: Depth=3
	s_sleep 1
	scratch_load_b64 v[2:3], off, s33 offset:196 ; 8-byte Folded Reload
	s_or_b32 s73, s73, exec_lo
	s_or_b32 s72, s72, exec_lo
	s_wait_loadcnt 0x0
	flat_load_b64 v[2:3], v[2:3] scope:SCOPE_SYS
	s_wait_loadcnt_dscnt 0x0
	scratch_store_b64 off, v[2:3], s33 offset:188 ; 8-byte Folded Spill
                                        ; implicit-def: $vgpr2
	s_wait_xcnt 0x0
	s_and_saveexec_b32 s75, vcc_lo
	s_cbranch_execz .LBB6_5676
; %bb.5678:                             ;   in Loop: Header=BB6_5677 Depth=3
	s_cmp_lt_i32 s74, 0x270f
	s_mov_b32 s76, -1
	s_cselect_b32 s78, -1, 0
	s_cmp_gt_i32 s74, 0x270e
	s_cbranch_scc0 .LBB6_5680
; %bb.5679:                             ;   in Loop: Header=BB6_5677 Depth=3
	s_trap 2
	ds_load_b64 v[2:3], v0
	s_and_not1_b32 s74, s78, exec_lo
	s_mov_b32 s77, 0
	s_wait_storecnt_dscnt 0x0
	flat_load_b32 v2, v[2:3] scope:SCOPE_SYS
	s_wait_loadcnt_dscnt 0x0
	global_inv scope:SCOPE_SYS
	v_cmp_eq_u32_e64 s13, 0, v2
	s_and_b32 s13, s13, exec_lo
	s_delay_alu instid0(SALU_CYCLE_1)
	s_or_b32 s78, s74, s13
	s_mov_b32 s74, 0
	s_wait_xcnt 0x0
	s_and_saveexec_b32 s79, s78
	s_cbranch_execz .LBB6_5675
	s_branch .LBB6_5674
.LBB6_5680:                             ;   in Loop: Header=BB6_5677 Depth=3
	s_add_co_i32 s74, s74, 1
	s_mov_b32 s77, -1
                                        ; implicit-def: $vgpr2
	s_and_saveexec_b32 s79, s78
	s_cbranch_execz .LBB6_5675
	s_branch .LBB6_5674
.LBB6_5681:                             ;   in Loop: Header=BB6_5671 Depth=2
	s_or_b32 exec_lo, exec_lo, s43
	s_xor_b32 s13, s63, -1
	s_delay_alu instid0(SALU_CYCLE_1) | instskip(NEXT) | instid1(SALU_CYCLE_1)
	s_and_saveexec_b32 s43, s13
	s_xor_b32 s13, exec_lo, s43
	s_cbranch_execz .LBB6_5683
; %bb.5682:                             ;   in Loop: Header=BB6_5671 Depth=2
	scratch_load_b32 v3, off, s33 offset:204 ; 4-byte Folded Reload
	s_wait_loadcnt 0x0
	v_or_b32_e32 v3, 64, v3
	scratch_store_b32 off, v3, s33 offset:204 ; 4-byte Folded Spill
	s_wait_storecnt 0x0
	ds_store_b32 v0, v2
	s_trap 2
.LBB6_5683:                             ;   in Loop: Header=BB6_5671 Depth=2
	s_wait_xcnt 0x0
	s_or_b32 exec_lo, exec_lo, s13
.LBB6_5684:                             ;   in Loop: Header=BB6_5671 Depth=2
	s_delay_alu instid0(SALU_CYCLE_1)
	s_or_b32 exec_lo, exec_lo, s42
	s_clause 0x1
	scratch_load_b32 v2, off, s33 offset:204
	scratch_load_b64 v[4:5], off, s33 offset:264 th:TH_LOAD_LU
	s_mov_b32 s13, -1
	;;#ASMSTART
	s_wakeup
	;;#ASMEND
	s_wait_loadcnt 0x1
	v_and_b32_e32 v3, 0x100, v2
	s_wait_loadcnt 0x0
	v_and_b32_e32 v2, 7, v4
                                        ; implicit-def: $vgpr4_vgpr5
	s_delay_alu instid0(VALU_DEP_2)
	v_cmp_ne_u32_e32 vcc_lo, 0, v3
	v_mov_b32_e32 v3, v113
	s_wait_xcnt 0x0
	s_and_saveexec_b32 s42, vcc_lo
	s_cbranch_execz .LBB6_5688
; %bb.5685:                             ;   in Loop: Header=BB6_5671 Depth=2
	scratch_load_b128 v[4:7], off, s33 offset:312 ; 16-byte Folded Reload
	v_ashrrev_i32_e32 v69, 31, v68
	s_wait_loadcnt 0x0
	v_mad_nc_u64_u32 v[6:7], v2, 24, v[4:5]
	s_clause 0x1
	flat_load_b32 v4, v[6:7]
	flat_store_b64 v[6:7], v[68:69] offset:8
	s_wait_loadcnt_dscnt 0x1
	v_cmp_eq_u32_e64 s13, 1, v4
	v_cmp_ne_u32_e32 vcc_lo, 1, v4
                                        ; implicit-def: $vgpr4_vgpr5
	s_wait_xcnt 0x0
	s_and_saveexec_b32 s43, s13
	s_cbranch_execz .LBB6_5687
; %bb.5686:                             ;   in Loop: Header=BB6_5671 Depth=2
	flat_load_b32 v4, v[6:7] offset:4 scope:SCOPE_SYS
	s_wait_loadcnt_dscnt 0x0
	v_ashrrev_i32_e32 v5, 31, v4
.LBB6_5687:                             ;   in Loop: Header=BB6_5671 Depth=2
	s_wait_xcnt 0x0
	s_or_b32 exec_lo, exec_lo, s43
	s_delay_alu instid0(SALU_CYCLE_1)
	s_or_not1_b32 s13, vcc_lo, exec_lo
.LBB6_5688:                             ;   in Loop: Header=BB6_5671 Depth=2
	s_or_b32 exec_lo, exec_lo, s42
	s_and_saveexec_b32 s42, s13
	s_cbranch_execz .LBB6_5690
; %bb.5689:                             ;   in Loop: Header=BB6_5671 Depth=2
	scratch_load_b64 v[4:5], off, s33 offset:360 ; 8-byte Folded Reload
	s_wait_loadcnt 0x0
	v_mul_u64_e32 v[4:5], v[2:3], v[4:5]
.LBB6_5690:                             ;   in Loop: Header=BB6_5671 Depth=2
	s_wait_xcnt 0x0
	s_or_b32 exec_lo, exec_lo, s42
	scratch_load_b32 v2, off, s33 offset:204 ; 4-byte Folded Reload
	s_mov_b32 s13, exec_lo
	s_wait_loadcnt 0x0
	v_and_b32_e32 v6, 0x2000, v2
	scratch_load_b64 v[2:3], off, s33 offset:304 ; 8-byte Folded Reload
	s_wait_loadcnt 0x0
	v_add_nc_u64_e32 v[2:3], v[2:3], v[4:5]
	ds_store_b64 v0, v[2:3] offset:784
	s_wait_xcnt 0x0
	v_cmpx_ne_u32_e32 0, v6
	s_cbranch_execz .LBB6_5692
; %bb.5691:                             ;   in Loop: Header=BB6_5671 Depth=2
	ds_load_b64 v[2:3], v0 offset:872
	s_wait_dscnt 0x0
	v_add_nc_u64_e32 v[2:3], 1, v[2:3]
	ds_store_b64 v0, v[2:3] offset:872
.LBB6_5692:                             ;   in Loop: Header=BB6_5671 Depth=2
	s_or_b32 exec_lo, exec_lo, s13
	scratch_store_b64 off, v[0:1], s33 offset:264 ; 8-byte Folded Spill
.LBB6_5693:                             ;   in Loop: Header=BB6_5671 Depth=2
	s_wait_xcnt 0x0
	s_or_b32 exec_lo, exec_lo, s29
	s_xor_b32 s13, s18, -1
	s_delay_alu instid0(SALU_CYCLE_1) | instskip(NEXT) | instid1(SALU_CYCLE_1)
	s_and_b32 s13, exec_lo, s13
	s_or_b32 s15, s13, s15
	s_and_saveexec_b32 s13, s2
	s_cbranch_execz .LBB6_5712
; %bb.5694:                             ;   in Loop: Header=BB6_5671 Depth=2
	s_and_saveexec_b32 s18, s3
	s_delay_alu instid0(SALU_CYCLE_1)
	s_xor_b32 s18, exec_lo, s18
	s_cbranch_execz .LBB6_5709
; %bb.5695:                             ;   in Loop: Header=BB6_5671 Depth=2
	s_and_saveexec_b32 s29, s6
	s_cbranch_execz .LBB6_5708
; %bb.5696:                             ;   in Loop: Header=BB6_5671 Depth=2
	s_mov_b32 s43, exec_lo
	s_mov_b32 s42, exec_lo
	v_mbcnt_lo_u32_b32 v0, s43, 0
	global_wb scope:SCOPE_DEV
	s_wait_storecnt_dscnt 0x0
	global_inv scope:SCOPE_DEV
	v_cmpx_eq_u32_e32 0, v0
	s_cbranch_execz .LBB6_5698
; %bb.5697:                             ;   in Loop: Header=BB6_5671 Depth=2
	s_bcnt1_i32_b32 s43, s43
	s_delay_alu instid0(SALU_CYCLE_1)
	v_dual_mov_b32 v1, v113 :: v_dual_mov_b32 v0, s43
	s_wait_loadcnt 0x0
	ds_add_u64 v0, v[0:1]
	s_trap 2
.LBB6_5698:                             ;   in Loop: Header=BB6_5671 Depth=2
	s_or_b32 exec_lo, exec_lo, s42
	s_trap 2
	ds_load_b64 v[0:1], v0
	s_wait_dscnt 0x0
	s_clause 0x1
	scratch_load_b64 v[2:3], off, s33 offset:208 th:TH_LOAD_LU
	scratch_load_b64 v[4:5], off, s33 offset:272
	s_mov_b32 s42, exec_lo
	s_wait_loadcnt 0x0
	v_add_nc_u64_e32 v[2:3], v[2:3], v[4:5]
	scratch_store_b64 off, v[2:3], s33 offset:208 ; 8-byte Folded Spill
	s_wait_xcnt 0x0
	v_cmpx_lt_u64_e64 v[0:1], v[2:3]
	s_cbranch_execz .LBB6_5707
; %bb.5699:                             ;   in Loop: Header=BB6_5671 Depth=2
	s_mov_b32 s43, 0
	s_mov_b32 s73, 0
                                        ; implicit-def: $sgpr63
                                        ; implicit-def: $sgpr72
	s_branch .LBB6_5701
.LBB6_5700:                             ;   in Loop: Header=BB6_5701 Depth=3
	s_wait_xcnt 0x0
	s_or_b32 exec_lo, exec_lo, s75
	s_delay_alu instid0(SALU_CYCLE_1) | instskip(NEXT) | instid1(SALU_CYCLE_1)
	s_and_b32 s74, exec_lo, s76
	s_or_b32 s43, s74, s43
	s_and_not1_b32 s63, s63, exec_lo
	s_and_b32 s74, s72, exec_lo
	s_delay_alu instid0(SALU_CYCLE_1)
	s_or_b32 s63, s63, s74
	s_and_not1_b32 exec_lo, exec_lo, s43
	s_cbranch_execz .LBB6_5705
.LBB6_5701:                             ;   Parent Loop BB6_47 Depth=1
                                        ;     Parent Loop BB6_5671 Depth=2
                                        ; =>    This Inner Loop Header: Depth=3
	s_add_co_i32 s73, s73, 1
	s_delay_alu instid0(SALU_CYCLE_1) | instskip(SKIP_1) | instid1(SALU_CYCLE_1)
	s_cmp_lg_u32 s73, 0x2710
	s_cselect_b32 s74, -1, 0
	s_and_b32 vcc_lo, exec_lo, s74
	s_cbranch_vccz .LBB6_5703
; %bb.5702:                             ;   in Loop: Header=BB6_5701 Depth=3
	s_mov_b32 s76, -1
	s_or_b32 s72, s72, exec_lo
	s_and_saveexec_b32 s75, s74
	s_cbranch_execz .LBB6_5700
	s_branch .LBB6_5704
.LBB6_5703:                             ;   in Loop: Header=BB6_5701 Depth=3
	s_trap 2
	ds_load_b64 v[0:1], v0
	s_and_not1_b32 s74, s74, exec_lo
	s_mov_b32 s73, 0
	s_wait_storecnt_dscnt 0x0
	flat_load_b32 v0, v[0:1] scope:SCOPE_SYS
	s_wait_loadcnt_dscnt 0x0
	global_inv scope:SCOPE_SYS
	v_cmp_eq_u32_e32 vcc_lo, 0, v0
	s_and_b32 s75, vcc_lo, exec_lo
	s_delay_alu instid0(SALU_CYCLE_1)
	s_or_b32 s74, s74, s75
	s_mov_b32 s76, -1
	s_or_b32 s72, s72, exec_lo
	s_wait_xcnt 0x0
	s_and_saveexec_b32 s75, s74
	s_cbranch_execz .LBB6_5700
.LBB6_5704:                             ;   in Loop: Header=BB6_5701 Depth=3
	s_sleep 1
	s_trap 2
	ds_load_b64 v[0:1], v0
	s_wait_dscnt 0x0
	scratch_load_b64 v[2:3], off, s33 offset:208 ; 8-byte Folded Reload
	s_and_not1_b32 s72, s72, exec_lo
	s_wait_loadcnt 0x0
	v_cmp_ge_u64_e32 vcc_lo, v[0:1], v[2:3]
	s_or_not1_b32 s76, vcc_lo, exec_lo
	s_branch .LBB6_5700
.LBB6_5705:                             ;   in Loop: Header=BB6_5671 Depth=2
	s_or_b32 exec_lo, exec_lo, s43
	s_and_saveexec_b32 s43, s63
	s_delay_alu instid0(SALU_CYCLE_1)
	s_xor_b32 s43, exec_lo, s43
	s_cbranch_execz .LBB6_5707
; %bb.5706:                             ;   in Loop: Header=BB6_5671 Depth=2
	v_mov_b32_e32 v0, 1
	ds_store_b32 v0, v0
	s_trap 2
.LBB6_5707:                             ;   in Loop: Header=BB6_5671 Depth=2
	s_or_b32 exec_lo, exec_lo, s42
	;;#ASMSTART
	s_wakeup
	;;#ASMEND
.LBB6_5708:                             ;   in Loop: Header=BB6_5671 Depth=2
	s_or_b32 exec_lo, exec_lo, s29
.LBB6_5709:                             ;   in Loop: Header=BB6_5671 Depth=2
	s_and_not1_saveexec_b32 s18, s18
	s_cbranch_execz .LBB6_5711
; %bb.5710:                             ;   in Loop: Header=BB6_5671 Depth=2
	global_wb scope:SCOPE_DEV
	s_wait_storecnt 0x0
	s_wait_loadcnt_dscnt 0x0
	global_inv scope:SCOPE_DEV
	s_barrier_signal -1
	s_barrier_wait -1
.LBB6_5711:                             ;   in Loop: Header=BB6_5671 Depth=2
	s_or_b32 exec_lo, exec_lo, s18
.LBB6_5712:                             ;   in Loop: Header=BB6_5671 Depth=2
	s_delay_alu instid0(SALU_CYCLE_1) | instskip(SKIP_1) | instid1(SALU_CYCLE_1)
	s_or_b32 exec_lo, exec_lo, s13
                                        ; implicit-def: $vgpr0
	s_and_saveexec_b32 s13, s12
	s_xor_b32 s18, exec_lo, s13
	s_cbranch_execz .LBB6_5716
; %bb.5713:                             ;   in Loop: Header=BB6_5671 Depth=2
	s_trap 2
	scratch_load_b32 v1, off, s33 offset:204 ; 4-byte Folded Reload
	ds_load_b32 v0, v0
	v_cmp_lt_i32_e32 vcc_lo, 0, v68
	s_wait_dscnt 0x0
	v_readfirstlane_b32 s13, v0
	s_cmp_eq_u32 s13, 0
	s_cselect_b32 s29, -1, 0
	s_delay_alu instid0(SALU_CYCLE_1) | instskip(SKIP_2) | instid1(VALU_DEP_1)
	s_and_b32 s29, vcc_lo, s29
	s_wait_loadcnt 0x0
	v_and_b32_e32 v0, 16, v1
	v_cmp_ne_u32_e64 s13, 0, v0
	v_and_b32_e32 v0, 16, v1
	s_and_b32 s29, s13, s29
	s_wait_xcnt 0x0
	s_and_saveexec_b32 s13, s29
	s_cbranch_execz .LBB6_5715
; %bb.5714:                             ;   in Loop: Header=BB6_5671 Depth=2
	v_mov_b32_e32 v0, 1
	global_wb scope:SCOPE_SYS
	s_wait_storecnt 0x0
	global_inv scope:SCOPE_SYS
.LBB6_5715:                             ;   in Loop: Header=BB6_5671 Depth=2
	s_or_b32 exec_lo, exec_lo, s13
	s_and_not1_saveexec_b32 s13, s18
	s_cbranch_execz .LBB6_5735
	s_branch .LBB6_5717
.LBB6_5716:                             ;   in Loop: Header=BB6_5671 Depth=2
	s_and_not1_saveexec_b32 s13, s18
	s_cbranch_execz .LBB6_5735
.LBB6_5717:                             ;   in Loop: Header=BB6_5671 Depth=2
	s_and_saveexec_b32 s18, s3
	s_delay_alu instid0(SALU_CYCLE_1)
	s_xor_b32 s18, exec_lo, s18
	s_cbranch_execz .LBB6_5732
; %bb.5718:                             ;   in Loop: Header=BB6_5671 Depth=2
	s_and_saveexec_b32 s29, s6
	s_cbranch_execz .LBB6_5731
; %bb.5719:                             ;   in Loop: Header=BB6_5671 Depth=2
	s_mov_b32 s43, exec_lo
	s_mov_b32 s42, exec_lo
	v_mbcnt_lo_u32_b32 v0, s43, 0
	;;#ASMSTART
	s_waitcnt lgkmcnt(0) vmcnt(0)
	;;#ASMEND
	s_delay_alu instid0(VALU_DEP_1)
	v_cmpx_eq_u32_e32 0, v0
	s_cbranch_execz .LBB6_5721
; %bb.5720:                             ;   in Loop: Header=BB6_5671 Depth=2
	s_bcnt1_i32_b32 s43, s43
	s_delay_alu instid0(SALU_CYCLE_1)
	v_dual_mov_b32 v1, v113 :: v_dual_mov_b32 v0, s43
	s_wait_storecnt 0x0
	s_wait_loadcnt_dscnt 0x0
	ds_add_u64 v0, v[0:1]
	s_trap 2
.LBB6_5721:                             ;   in Loop: Header=BB6_5671 Depth=2
	s_or_b32 exec_lo, exec_lo, s42
	s_trap 2
	ds_load_b64 v[0:1], v0
	s_wait_dscnt 0x0
	s_clause 0x1
	scratch_load_b64 v[2:3], off, s33 offset:208 th:TH_LOAD_LU
	scratch_load_b64 v[4:5], off, s33 offset:272
	s_mov_b32 s42, exec_lo
	s_wait_loadcnt 0x0
	v_add_nc_u64_e32 v[2:3], v[2:3], v[4:5]
	scratch_store_b64 off, v[2:3], s33 offset:208 ; 8-byte Folded Spill
	s_wait_xcnt 0x0
	v_cmpx_lt_u64_e64 v[0:1], v[2:3]
	s_cbranch_execz .LBB6_5730
; %bb.5722:                             ;   in Loop: Header=BB6_5671 Depth=2
	s_mov_b32 s43, 0
	s_mov_b32 s73, 0
                                        ; implicit-def: $sgpr63
                                        ; implicit-def: $sgpr72
	s_branch .LBB6_5724
.LBB6_5723:                             ;   in Loop: Header=BB6_5724 Depth=3
	s_wait_xcnt 0x0
	s_or_b32 exec_lo, exec_lo, s75
	s_delay_alu instid0(SALU_CYCLE_1) | instskip(NEXT) | instid1(SALU_CYCLE_1)
	s_and_b32 s74, exec_lo, s76
	s_or_b32 s43, s74, s43
	s_and_not1_b32 s63, s63, exec_lo
	s_and_b32 s74, s72, exec_lo
	s_delay_alu instid0(SALU_CYCLE_1)
	s_or_b32 s63, s63, s74
	s_and_not1_b32 exec_lo, exec_lo, s43
	s_cbranch_execz .LBB6_5728
.LBB6_5724:                             ;   Parent Loop BB6_47 Depth=1
                                        ;     Parent Loop BB6_5671 Depth=2
                                        ; =>    This Inner Loop Header: Depth=3
	s_add_co_i32 s73, s73, 1
	s_delay_alu instid0(SALU_CYCLE_1) | instskip(SKIP_1) | instid1(SALU_CYCLE_1)
	s_cmp_lg_u32 s73, 0x2710
	s_cselect_b32 s74, -1, 0
	s_and_b32 vcc_lo, exec_lo, s74
	s_cbranch_vccz .LBB6_5726
; %bb.5725:                             ;   in Loop: Header=BB6_5724 Depth=3
	s_mov_b32 s76, -1
	s_or_b32 s72, s72, exec_lo
	s_and_saveexec_b32 s75, s74
	s_cbranch_execz .LBB6_5723
	s_branch .LBB6_5727
.LBB6_5726:                             ;   in Loop: Header=BB6_5724 Depth=3
	s_trap 2
	ds_load_b64 v[0:1], v0
	s_and_not1_b32 s74, s74, exec_lo
	s_mov_b32 s73, 0
	s_wait_storecnt_dscnt 0x0
	flat_load_b32 v0, v[0:1] scope:SCOPE_SYS
	s_wait_loadcnt_dscnt 0x0
	global_inv scope:SCOPE_SYS
	v_cmp_eq_u32_e32 vcc_lo, 0, v0
	s_and_b32 s75, vcc_lo, exec_lo
	s_delay_alu instid0(SALU_CYCLE_1)
	s_or_b32 s74, s74, s75
	s_mov_b32 s76, -1
	s_or_b32 s72, s72, exec_lo
	s_wait_xcnt 0x0
	s_and_saveexec_b32 s75, s74
	s_cbranch_execz .LBB6_5723
.LBB6_5727:                             ;   in Loop: Header=BB6_5724 Depth=3
	s_sleep 1
	s_trap 2
	ds_load_b64 v[0:1], v0
	s_wait_dscnt 0x0
	scratch_load_b64 v[2:3], off, s33 offset:208 ; 8-byte Folded Reload
	s_and_not1_b32 s72, s72, exec_lo
	s_wait_loadcnt 0x0
	v_cmp_ge_u64_e32 vcc_lo, v[0:1], v[2:3]
	s_or_not1_b32 s76, vcc_lo, exec_lo
	s_branch .LBB6_5723
.LBB6_5728:                             ;   in Loop: Header=BB6_5671 Depth=2
	s_or_b32 exec_lo, exec_lo, s43
	s_and_saveexec_b32 s43, s63
	s_delay_alu instid0(SALU_CYCLE_1)
	s_xor_b32 s43, exec_lo, s43
	s_cbranch_execz .LBB6_5730
; %bb.5729:                             ;   in Loop: Header=BB6_5671 Depth=2
	v_mov_b32_e32 v0, 1
	ds_store_b32 v0, v0
	s_trap 2
.LBB6_5730:                             ;   in Loop: Header=BB6_5671 Depth=2
	s_or_b32 exec_lo, exec_lo, s42
	;;#ASMSTART
	s_wakeup
	;;#ASMEND
.LBB6_5731:                             ;   in Loop: Header=BB6_5671 Depth=2
	s_or_b32 exec_lo, exec_lo, s29
.LBB6_5732:                             ;   in Loop: Header=BB6_5671 Depth=2
	s_and_not1_saveexec_b32 s18, s18
	s_cbranch_execz .LBB6_5734
; %bb.5733:                             ;   in Loop: Header=BB6_5671 Depth=2
	;;#ASMSTART
	s_waitcnt lgkmcnt(0) vmcnt(0)
	;;#ASMEND
	s_barrier_signal -1
	s_barrier_wait -1
.LBB6_5734:                             ;   in Loop: Header=BB6_5671 Depth=2
	s_or_b32 exec_lo, exec_lo, s18
	scratch_load_b32 v0, off, s33 offset:204 ; 4-byte Folded Reload
	s_wait_loadcnt 0x0
	v_and_b32_e32 v0, 16, v0
.LBB6_5735:                             ;   in Loop: Header=BB6_5671 Depth=2
	s_wait_xcnt 0x0
	s_or_b32 exec_lo, exec_lo, s13
	s_delay_alu instid0(SALU_CYCLE_1) | instskip(NEXT) | instid1(VALU_DEP_1)
	s_mov_b32 s13, exec_lo
	v_cmpx_ne_u32_e32 0, v0
	s_cbranch_execz .LBB6_5670
; %bb.5736:                             ;   in Loop: Header=BB6_5671 Depth=2
	s_and_saveexec_b32 s18, s5
	s_cbranch_execz .LBB6_5669
; %bb.5737:                             ;   in Loop: Header=BB6_5671 Depth=2
	scratch_load_b64 v[0:1], off, s33 offset:328 ; 8-byte Folded Reload
	v_mov_b32_e32 v2, 1
	global_wb scope:SCOPE_SYS
	s_wait_storecnt 0x0
	s_wait_xcnt 0x0
	s_wait_loadcnt_dscnt 0x0
	flat_store_b32 v[0:1], v2 scope:SCOPE_SYS
	s_branch .LBB6_5669
.LBB6_5738:                             ;   in Loop: Header=BB6_47 Depth=1
	s_or_b32 exec_lo, exec_lo, s15
.LBB6_5739:                             ;   in Loop: Header=BB6_47 Depth=1
	s_delay_alu instid0(SALU_CYCLE_1) | instskip(NEXT) | instid1(SALU_CYCLE_1)
	s_or_b32 exec_lo, exec_lo, s14
	s_and_not1_b32 vcc_lo, exec_lo, s57
	s_cbranch_vccz .LBB6_5740
; %bb.31192:                            ;   in Loop: Header=BB6_47 Depth=1
	s_add_pc_i64 .LBB6_14105-.Lpost_addpc66
.Lpost_addpc66:
.LBB6_5740:                             ;   in Loop: Header=BB6_47 Depth=1
	s_mov_b32 s18, 2
	s_branch .LBB6_5743
.LBB6_5741:                             ;   in Loop: Header=BB6_5743 Depth=2
	s_or_b32 exec_lo, exec_lo, s15
.LBB6_5742:                             ;   in Loop: Header=BB6_5743 Depth=2
	s_delay_alu instid0(SALU_CYCLE_1) | instskip(SKIP_1) | instid1(SALU_CYCLE_1)
	s_or_b32 exec_lo, exec_lo, s14
	s_add_co_i32 s18, s18, 1
	s_cmp_eq_u32 s18, s16
	s_cbranch_scc0 .LBB6_5743
; %bb.31194:                            ;   in Loop: Header=BB6_47 Depth=1
	s_add_pc_i64 .LBB6_14105-.Lpost_addpc67
.Lpost_addpc67:
.LBB6_5743:                             ;   Parent Loop BB6_47 Depth=1
                                        ; =>  This Loop Header: Depth=2
                                        ;       Child Loop BB6_5746 Depth 3
                                        ;         Child Loop BB6_5754 Depth 4
                                        ;         Child Loop BB6_5782 Depth 4
	;; [unrolled: 1-line block ×9, first 2 shown]
                                        ;       Child Loop BB6_14033 Depth 3
                                        ;         Child Loop BB6_14039 Depth 4
                                        ;         Child Loop BB6_14067 Depth 4
	;; [unrolled: 1-line block ×3, first 2 shown]
	s_clause 0x1
	scratch_load_b64 v[2:3], off, s33 offset:516
	scratch_load_b64 v[0:1], off, s33 offset:508
	s_sub_co_i32 s13, s46, s18
	s_mov_b32 s42, 0
	s_cmp_ge_i32 s13, s16
	v_mov_b32_e32 v12, 0
	s_cselect_b32 s14, s16, 0
	s_delay_alu instid0(SALU_CYCLE_1) | instskip(NEXT) | instid1(SALU_CYCLE_1)
	s_sub_co_i32 s14, s13, s14
	s_ashr_i32 s15, s14, 31
	s_wait_loadcnt 0x1
	v_mul_u64_e32 v[4:5], s[14:15], v[2:3]
	s_wait_loadcnt 0x0
	s_delay_alu instid0(VALU_DEP_1) | instskip(SKIP_2) | instid1(VALU_DEP_1)
	v_sub_nc_u64_e32 v[0:1], v[0:1], v[4:5]
	scratch_store_b64 off, v[4:5], s33 offset:412 ; 8-byte Folded Spill
	v_min_i64 v[2:3], v[2:3], v[0:1]
	v_max_i32_e32 v61, 0, v2
	v_cmp_lt_i32_e32 vcc_lo, 0, v2
	s_delay_alu instid0(VALU_DEP_2) | instskip(SKIP_1) | instid1(VALU_DEP_1)
	v_add_nc_u32_e32 v0, 31, v61
	s_and_b32 s13, s60, vcc_lo
	v_lshrrev_b32_e32 v0, 1, v0
	s_delay_alu instid0(VALU_DEP_1) | instskip(NEXT) | instid1(VALU_DEP_1)
	v_and_b32_e32 v1, 0x3ffffff0, v0
	v_dual_mov_b32 v0, 0 :: v_dual_max_i32 v10, s56, v1
	s_wait_xcnt 0x0
	s_and_saveexec_b32 s29, s13
	s_cbranch_execnz .LBB6_5744
; %bb.31196:                            ;   in Loop: Header=BB6_5743 Depth=2
	s_add_pc_i64 .LBB6_14030-.Lpost_addpc68
.Lpost_addpc68:
.LBB6_5744:                             ;   in Loop: Header=BB6_5743 Depth=2
	v_mov_b32_e32 v12, 0
	s_mov_b32 s63, 1
	s_mov_b32 s43, -1
	scratch_store_b32 off, v61, s33 offset:432 ; 4-byte Folded Spill
	s_branch .LBB6_5746
.LBB6_5745:                             ;   in Loop: Header=BB6_5746 Depth=3
	s_wait_xcnt 0x0
	s_or_b32 exec_lo, exec_lo, s13
	v_dual_add_nc_u32 v12, v10, v12 :: v_dual_mov_b32 v0, s63
	s_xor_b32 s13, s43, -1
	s_mov_b32 s43, 0
	s_mov_b32 s63, 2
	s_delay_alu instid0(VALU_DEP_1) | instskip(SKIP_1) | instid1(SALU_CYCLE_1)
	v_cmp_ge_i32_e32 vcc_lo, v12, v61
	s_or_b32 s13, s13, vcc_lo
	s_and_b32 s13, exec_lo, s13
	s_delay_alu instid0(SALU_CYCLE_1) | instskip(NEXT) | instid1(SALU_CYCLE_1)
	s_or_b32 s42, s13, s42
	s_and_not1_b32 exec_lo, exec_lo, s42
	s_cbranch_execnz .LBB6_5746
; %bb.31198:                            ;   in Loop: Header=BB6_5743 Depth=2
	s_add_pc_i64 .LBB6_14029-.Lpost_addpc69
.Lpost_addpc69:
.LBB6_5746:                             ;   Parent Loop BB6_47 Depth=1
                                        ;     Parent Loop BB6_5743 Depth=2
                                        ; =>    This Loop Header: Depth=3
                                        ;         Child Loop BB6_5754 Depth 4
                                        ;         Child Loop BB6_5782 Depth 4
	;; [unrolled: 1-line block ×9, first 2 shown]
	s_wait_xcnt 0x0
	s_and_saveexec_b32 s13, s0
	s_cbranch_execz .LBB6_5748
; %bb.5747:                             ;   in Loop: Header=BB6_5746 Depth=3
	s_trap 2
	scratch_load_b64 v[2:3], off, s33 offset:404 ; 8-byte Folded Reload
	ds_load_b64 v[0:1], v0
	v_ashrrev_i32_e32 v13, 31, v12
	s_wait_loadcnt_dscnt 0x0
	v_add_nc_u64_e32 v[0:1], v[0:1], v[2:3]
	scratch_load_b64 v[2:3], off, s33 offset:412 ; 8-byte Folded Reload
	s_wait_loadcnt 0x0
	v_add_nc_u64_e32 v[0:1], v[0:1], v[2:3]
	s_delay_alu instid0(VALU_DEP_1)
	v_add_nc_u64_e32 v[0:1], v[0:1], v[12:13]
	ds_store_b64 v0, v[0:1]
	v_mov_b64_e32 v[0:1], 0
	ds_store_b64 v0, v[0:1]
.LBB6_5748:                             ;   in Loop: Header=BB6_5746 Depth=3
	s_wait_xcnt 0x0
	s_or_b32 exec_lo, exec_lo, s13
	scratch_load_b32 v1, off, s33 offset:204 ; 4-byte Folded Reload
	v_sub_nc_u32_e32 v0, v61, v12
	s_mov_b32 s14, exec_lo
	s_wait_loadcnt 0x0
	v_and_b32_e32 v1, 12, v1
	s_delay_alu instid0(VALU_DEP_2) | instskip(SKIP_1) | instid1(VALU_DEP_2)
	v_min_i32_e32 v10, v10, v0
	s_wait_xcnt 0x0
	v_cmpx_ne_u32_e32 0, v1
	s_cbranch_execz .LBB6_5774
; %bb.5749:                             ;   in Loop: Header=BB6_5746 Depth=3
	scratch_load_b32 v0, off, s33 offset:204 ; 4-byte Folded Reload
	s_mov_b32 s15, exec_lo
	s_wait_loadcnt 0x0
	v_dual_mov_b32 v3, v113 :: v_dual_bitop2_b32 v2, 8, v0 bitop3:0x40
	scratch_load_b64 v[0:1], off, s33 offset:188 ; 8-byte Folded Reload
	s_wait_loadcnt 0x0
	v_add_nc_u64_e32 v[4:5], v[0:1], v[2:3]
	scratch_load_b64 v[0:1], off, s33 offset:264 ; 8-byte Folded Reload
	s_wait_loadcnt 0x0
	v_add_nc_u64_e32 v[0:1], 2, v[0:1]
	s_wait_xcnt 0x0
	s_delay_alu instid0(VALU_DEP_1)
	v_cmpx_lt_u64_e64 v[4:5], v[0:1]
	s_cbranch_execz .LBB6_5761
; %bb.5750:                             ;   in Loop: Header=BB6_5746 Depth=3
	scratch_load_b32 v4, off, s33 offset:204 ; 4-byte Folded Reload
	s_mov_b32 s72, 0
	s_mov_b32 s76, 0
                                        ; implicit-def: $sgpr73
                                        ; implicit-def: $sgpr74
                                        ; implicit-def: $sgpr75
	s_wait_loadcnt 0x0
	v_and_b32_e32 v4, 64, v4
	s_delay_alu instid0(VALU_DEP_1)
	v_cmp_eq_u32_e32 vcc_lo, 0, v4
	s_branch .LBB6_5754
.LBB6_5751:                             ;   in Loop: Header=BB6_5754 Depth=4
	scratch_load_b64 v[6:7], off, s33 offset:188 ; 8-byte Folded Reload
	s_or_b32 s79, s79, exec_lo
	s_wait_loadcnt 0x0
	v_add_nc_u64_e32 v[6:7], v[6:7], v[2:3]
	s_delay_alu instid0(VALU_DEP_1)
	v_cmp_ge_u64_e64 s13, v[6:7], v[0:1]
	s_or_not1_b32 s78, s13, exec_lo
.LBB6_5752:                             ;   in Loop: Header=BB6_5754 Depth=4
	s_wait_xcnt 0x0
	s_or_b32 exec_lo, exec_lo, s89
	s_delay_alu instid0(SALU_CYCLE_1)
	s_and_not1_b32 s13, s75, exec_lo
	s_and_b32 s75, s79, exec_lo
	s_and_not1_b32 s74, s74, exec_lo
	s_and_b32 s78, s78, exec_lo
	s_or_b32 s75, s13, s75
	s_or_b32 s74, s74, s78
.LBB6_5753:                             ;   in Loop: Header=BB6_5754 Depth=4
	s_or_b32 exec_lo, exec_lo, s77
	s_delay_alu instid0(SALU_CYCLE_1) | instskip(NEXT) | instid1(SALU_CYCLE_1)
	s_and_b32 s13, exec_lo, s74
	s_or_b32 s72, s13, s72
	s_and_not1_b32 s13, s73, exec_lo
	s_and_b32 s73, s75, exec_lo
	s_delay_alu instid0(SALU_CYCLE_1)
	s_or_b32 s73, s13, s73
	s_and_not1_b32 exec_lo, exec_lo, s72
	s_cbranch_execz .LBB6_5758
.LBB6_5754:                             ;   Parent Loop BB6_47 Depth=1
                                        ;     Parent Loop BB6_5743 Depth=2
                                        ;       Parent Loop BB6_5746 Depth=3
                                        ; =>      This Inner Loop Header: Depth=4
	s_sleep 1
	scratch_load_b64 v[4:5], off, s33 offset:196 ; 8-byte Folded Reload
	s_or_b32 s75, s75, exec_lo
	s_or_b32 s74, s74, exec_lo
	s_wait_loadcnt 0x0
	flat_load_b64 v[4:5], v[4:5] scope:SCOPE_SYS
	s_wait_loadcnt_dscnt 0x0
	scratch_store_b64 off, v[4:5], s33 offset:188 ; 8-byte Folded Spill
                                        ; implicit-def: $vgpr4
	s_wait_xcnt 0x0
	s_and_saveexec_b32 s77, vcc_lo
	s_cbranch_execz .LBB6_5753
; %bb.5755:                             ;   in Loop: Header=BB6_5754 Depth=4
	s_cmp_lt_i32 s76, 0x270f
	s_mov_b32 s78, -1
	s_cselect_b32 s88, -1, 0
	s_cmp_gt_i32 s76, 0x270e
	s_cbranch_scc0 .LBB6_5757
; %bb.5756:                             ;   in Loop: Header=BB6_5754 Depth=4
	s_trap 2
	ds_load_b64 v[4:5], v0
	s_and_not1_b32 s76, s88, exec_lo
	s_mov_b32 s79, 0
	s_wait_storecnt_dscnt 0x0
	flat_load_b32 v4, v[4:5] scope:SCOPE_SYS
	s_wait_loadcnt_dscnt 0x0
	global_inv scope:SCOPE_SYS
	v_cmp_eq_u32_e64 s13, 0, v4
	s_and_b32 s13, s13, exec_lo
	s_delay_alu instid0(SALU_CYCLE_1)
	s_or_b32 s88, s76, s13
	s_mov_b32 s76, 0
	s_wait_xcnt 0x0
	s_and_saveexec_b32 s89, s88
	s_cbranch_execz .LBB6_5752
	s_branch .LBB6_5751
.LBB6_5757:                             ;   in Loop: Header=BB6_5754 Depth=4
	s_add_co_i32 s76, s76, 1
	s_mov_b32 s79, -1
                                        ; implicit-def: $vgpr4
	s_and_saveexec_b32 s89, s88
	s_cbranch_execz .LBB6_5752
	s_branch .LBB6_5751
.LBB6_5758:                             ;   in Loop: Header=BB6_5746 Depth=3
	s_or_b32 exec_lo, exec_lo, s72
	s_xor_b32 s13, s73, -1
	s_delay_alu instid0(SALU_CYCLE_1) | instskip(NEXT) | instid1(SALU_CYCLE_1)
	s_and_saveexec_b32 s72, s13
	s_xor_b32 s13, exec_lo, s72
	s_cbranch_execz .LBB6_5760
; %bb.5759:                             ;   in Loop: Header=BB6_5746 Depth=3
	scratch_load_b32 v3, off, s33 offset:204 ; 4-byte Folded Reload
	s_wait_loadcnt 0x0
	v_or_b32_e32 v3, 64, v3
	scratch_store_b32 off, v3, s33 offset:204 ; 4-byte Folded Spill
	s_wait_storecnt 0x0
	ds_store_b32 v0, v4
	s_trap 2
.LBB6_5760:                             ;   in Loop: Header=BB6_5746 Depth=3
	s_wait_xcnt 0x0
	s_or_b32 exec_lo, exec_lo, s13
.LBB6_5761:                             ;   in Loop: Header=BB6_5746 Depth=3
	s_delay_alu instid0(SALU_CYCLE_1)
	s_or_b32 exec_lo, exec_lo, s15
	scratch_load_b32 v3, off, s33 offset:204 ; 4-byte Folded Reload
	s_mov_b32 s13, exec_lo
	;;#ASMSTART
	s_wakeup
	;;#ASMEND
                                        ; implicit-def: $vgpr4_vgpr5
	s_wait_loadcnt 0x0
	v_and_b32_e32 v3, 0x108, v3
	s_wait_xcnt 0x0
	s_delay_alu instid0(VALU_DEP_1)
	v_cmpx_ne_u32_e32 0x108, v3
	s_xor_b32 s13, exec_lo, s13
	s_cbranch_execz .LBB6_5763
; %bb.5762:                             ;   in Loop: Header=BB6_5746 Depth=3
	scratch_load_b64 v[4:5], off, s33 offset:264 th:TH_LOAD_LU ; 8-byte Folded Reload
                                        ; implicit-def: $vgpr6_vgpr7
                                        ; kill: killed $vgpr6_vgpr7
	s_wait_loadcnt 0x0
	v_dual_mov_b32 v5, v113 :: v_dual_bitop2_b32 v4, 7, v4 bitop3:0x40
.LBB6_5763:                             ;   in Loop: Header=BB6_5746 Depth=3
	s_wait_xcnt 0x0
	s_and_not1_saveexec_b32 s13, s13
	s_cbranch_execz .LBB6_5765
; %bb.5764:                             ;   in Loop: Header=BB6_5746 Depth=3
	s_clause 0x1
	scratch_load_b64 v[4:5], off, s33 offset:264 th:TH_LOAD_LU
	scratch_load_b128 v[6:9], off, s33 offset:312
	s_wait_loadcnt 0x1
	v_dual_mov_b32 v5, v113 :: v_dual_ashrrev_i32 v11, 31, v10
	v_and_b32_e32 v4, 7, v4
	s_wait_loadcnt 0x0
	s_delay_alu instid0(VALU_DEP_1)
	v_mad_nc_u64_u32 v[6:7], v4, 24, v[6:7]
	flat_store_b64 v[6:7], v[10:11] offset:8
.LBB6_5765:                             ;   in Loop: Header=BB6_5746 Depth=3
	s_wait_xcnt 0x0
	s_or_b32 exec_lo, exec_lo, s13
	scratch_load_b32 v3, off, s33 offset:204 ; 4-byte Folded Reload
	s_mov_b32 s13, -1
	s_mov_b32 s15, exec_lo
                                        ; implicit-def: $vgpr6_vgpr7
	s_wait_loadcnt 0x0
	v_and_b32_e32 v3, 0x100, v3
	s_wait_xcnt 0x0
	s_delay_alu instid0(VALU_DEP_1)
	v_cmpx_ne_u32_e32 0, v3
	s_cbranch_execz .LBB6_5769
; %bb.5766:                             ;   in Loop: Header=BB6_5746 Depth=3
	scratch_load_b128 v[6:9], off, s33 offset:312 ; 16-byte Folded Reload
	s_mov_b32 s72, exec_lo
	s_wait_loadcnt 0x0
	v_mad_nc_u64_u32 v[8:9], v4, 24, v[6:7]
                                        ; implicit-def: $vgpr6_vgpr7
	s_delay_alu instid0(VALU_DEP_1)
	v_mad_u32 v9, v5, 24, v9
	flat_load_b32 v3, v[8:9]
	s_wait_loadcnt_dscnt 0x0
	v_cmp_ne_u32_e32 vcc_lo, 1, v3
	s_wait_xcnt 0x0
	v_cmpx_eq_u32_e32 1, v3
	s_cbranch_execz .LBB6_5768
; %bb.5767:                             ;   in Loop: Header=BB6_5746 Depth=3
	flat_load_b32 v6, v[8:9] offset:4 scope:SCOPE_SYS
	s_wait_loadcnt_dscnt 0x0
	v_ashrrev_i32_e32 v7, 31, v6
.LBB6_5768:                             ;   in Loop: Header=BB6_5746 Depth=3
	s_wait_xcnt 0x0
	s_or_b32 exec_lo, exec_lo, s72
	s_delay_alu instid0(SALU_CYCLE_1)
	s_or_not1_b32 s13, vcc_lo, exec_lo
.LBB6_5769:                             ;   in Loop: Header=BB6_5746 Depth=3
	s_or_b32 exec_lo, exec_lo, s15
	s_and_saveexec_b32 s15, s13
	s_cbranch_execz .LBB6_5771
; %bb.5770:                             ;   in Loop: Header=BB6_5746 Depth=3
	scratch_load_b64 v[6:7], off, s33 offset:360 ; 8-byte Folded Reload
	s_wait_loadcnt 0x0
	v_mul_u64_e32 v[6:7], v[4:5], v[6:7]
.LBB6_5771:                             ;   in Loop: Header=BB6_5746 Depth=3
	s_wait_xcnt 0x0
	s_or_b32 exec_lo, exec_lo, s15
	v_cmp_eq_u32_e32 vcc_lo, 0, v2
	v_mov_b32_e32 v2, 0x90
	s_mov_b32 s13, exec_lo
	s_delay_alu instid0(VALU_DEP_1)
	v_cndmask_b32_e32 v4, 0xc8, v2, vcc_lo
	scratch_load_b32 v2, off, s33 offset:204 ; 4-byte Folded Reload
	v_add_nc_u32_e32 v4, v0, v4
	s_wait_loadcnt 0x0
	v_and_b32_e32 v5, 0x2000, v2
	scratch_load_b64 v[2:3], off, s33 offset:304 ; 8-byte Folded Reload
	s_wait_loadcnt 0x0
	v_add_nc_u64_e32 v[2:3], v[2:3], v[6:7]
	ds_store_b64 v4, v[2:3] offset:584
	s_wait_xcnt 0x0
	v_cmpx_ne_u32_e32 0, v5
	s_cbranch_execz .LBB6_5773
; %bb.5772:                             ;   in Loop: Header=BB6_5746 Depth=3
	ds_load_b64 v[2:3], v0 offset:872
	s_wait_dscnt 0x0
	v_add_nc_u64_e32 v[2:3], 1, v[2:3]
	ds_store_b64 v0, v[2:3] offset:872
.LBB6_5773:                             ;   in Loop: Header=BB6_5746 Depth=3
	s_or_b32 exec_lo, exec_lo, s13
	scratch_store_b64 off, v[0:1], s33 offset:264 ; 8-byte Folded Spill
.LBB6_5774:                             ;   in Loop: Header=BB6_5746 Depth=3
	s_wait_xcnt 0x0
	s_or_b32 exec_lo, exec_lo, s14
	s_and_saveexec_b32 s13, s2
	s_cbranch_execz .LBB6_5793
; %bb.5775:                             ;   in Loop: Header=BB6_5746 Depth=3
	s_and_saveexec_b32 s14, s3
	s_delay_alu instid0(SALU_CYCLE_1)
	s_xor_b32 s14, exec_lo, s14
	s_cbranch_execz .LBB6_5790
; %bb.5776:                             ;   in Loop: Header=BB6_5746 Depth=3
	s_and_saveexec_b32 s15, s6
	s_cbranch_execz .LBB6_5789
; %bb.5777:                             ;   in Loop: Header=BB6_5746 Depth=3
	s_mov_b32 s73, exec_lo
	s_mov_b32 s72, exec_lo
	v_mbcnt_lo_u32_b32 v0, s73, 0
	global_wb scope:SCOPE_DEV
	s_wait_storecnt_dscnt 0x0
	global_inv scope:SCOPE_DEV
	v_cmpx_eq_u32_e32 0, v0
	s_cbranch_execz .LBB6_5779
; %bb.5778:                             ;   in Loop: Header=BB6_5746 Depth=3
	s_bcnt1_i32_b32 s73, s73
	s_delay_alu instid0(SALU_CYCLE_1)
	v_dual_mov_b32 v1, v113 :: v_dual_mov_b32 v0, s73
	s_wait_loadcnt 0x0
	ds_add_u64 v0, v[0:1]
	s_trap 2
.LBB6_5779:                             ;   in Loop: Header=BB6_5746 Depth=3
	s_or_b32 exec_lo, exec_lo, s72
	s_trap 2
	ds_load_b64 v[0:1], v0
	s_wait_dscnt 0x0
	s_clause 0x1
	scratch_load_b64 v[2:3], off, s33 offset:208 th:TH_LOAD_LU
	scratch_load_b64 v[4:5], off, s33 offset:272
	s_mov_b32 s72, exec_lo
	s_wait_loadcnt 0x0
	v_add_nc_u64_e32 v[2:3], v[2:3], v[4:5]
	scratch_store_b64 off, v[2:3], s33 offset:208 ; 8-byte Folded Spill
	s_wait_xcnt 0x0
	v_cmpx_lt_u64_e64 v[0:1], v[2:3]
	s_cbranch_execz .LBB6_5788
; %bb.5780:                             ;   in Loop: Header=BB6_5746 Depth=3
	s_mov_b32 s73, 0
	s_mov_b32 s76, 0
                                        ; implicit-def: $sgpr74
                                        ; implicit-def: $sgpr75
	s_branch .LBB6_5782
.LBB6_5781:                             ;   in Loop: Header=BB6_5782 Depth=4
	s_wait_xcnt 0x0
	s_or_b32 exec_lo, exec_lo, s78
	s_delay_alu instid0(SALU_CYCLE_1) | instskip(NEXT) | instid1(SALU_CYCLE_1)
	s_and_b32 s77, exec_lo, s79
	s_or_b32 s73, s77, s73
	s_and_not1_b32 s74, s74, exec_lo
	s_and_b32 s77, s75, exec_lo
	s_delay_alu instid0(SALU_CYCLE_1)
	s_or_b32 s74, s74, s77
	s_and_not1_b32 exec_lo, exec_lo, s73
	s_cbranch_execz .LBB6_5786
.LBB6_5782:                             ;   Parent Loop BB6_47 Depth=1
                                        ;     Parent Loop BB6_5743 Depth=2
                                        ;       Parent Loop BB6_5746 Depth=3
                                        ; =>      This Inner Loop Header: Depth=4
	s_add_co_i32 s76, s76, 1
	s_delay_alu instid0(SALU_CYCLE_1) | instskip(SKIP_1) | instid1(SALU_CYCLE_1)
	s_cmp_lg_u32 s76, 0x2710
	s_cselect_b32 s77, -1, 0
	s_and_b32 vcc_lo, exec_lo, s77
	s_cbranch_vccz .LBB6_5784
; %bb.5783:                             ;   in Loop: Header=BB6_5782 Depth=4
	s_mov_b32 s79, -1
	s_or_b32 s75, s75, exec_lo
	s_and_saveexec_b32 s78, s77
	s_cbranch_execz .LBB6_5781
	s_branch .LBB6_5785
.LBB6_5784:                             ;   in Loop: Header=BB6_5782 Depth=4
	s_trap 2
	ds_load_b64 v[0:1], v0
	s_and_not1_b32 s77, s77, exec_lo
	s_mov_b32 s76, 0
	s_wait_storecnt_dscnt 0x0
	flat_load_b32 v0, v[0:1] scope:SCOPE_SYS
	s_wait_loadcnt_dscnt 0x0
	global_inv scope:SCOPE_SYS
	v_cmp_eq_u32_e32 vcc_lo, 0, v0
	s_and_b32 s78, vcc_lo, exec_lo
	s_delay_alu instid0(SALU_CYCLE_1)
	s_or_b32 s77, s77, s78
	s_mov_b32 s79, -1
	s_or_b32 s75, s75, exec_lo
	s_wait_xcnt 0x0
	s_and_saveexec_b32 s78, s77
	s_cbranch_execz .LBB6_5781
.LBB6_5785:                             ;   in Loop: Header=BB6_5782 Depth=4
	s_sleep 1
	s_trap 2
	ds_load_b64 v[0:1], v0
	s_wait_dscnt 0x0
	scratch_load_b64 v[2:3], off, s33 offset:208 ; 8-byte Folded Reload
	s_and_not1_b32 s75, s75, exec_lo
	s_wait_loadcnt 0x0
	v_cmp_ge_u64_e32 vcc_lo, v[0:1], v[2:3]
	s_or_not1_b32 s79, vcc_lo, exec_lo
	s_branch .LBB6_5781
.LBB6_5786:                             ;   in Loop: Header=BB6_5746 Depth=3
	s_or_b32 exec_lo, exec_lo, s73
	s_and_saveexec_b32 s73, s74
	s_delay_alu instid0(SALU_CYCLE_1)
	s_xor_b32 s73, exec_lo, s73
	s_cbranch_execz .LBB6_5788
; %bb.5787:                             ;   in Loop: Header=BB6_5746 Depth=3
	v_mov_b32_e32 v0, 1
	ds_store_b32 v0, v0
	s_trap 2
.LBB6_5788:                             ;   in Loop: Header=BB6_5746 Depth=3
	s_or_b32 exec_lo, exec_lo, s72
	;;#ASMSTART
	s_wakeup
	;;#ASMEND
.LBB6_5789:                             ;   in Loop: Header=BB6_5746 Depth=3
	s_or_b32 exec_lo, exec_lo, s15
.LBB6_5790:                             ;   in Loop: Header=BB6_5746 Depth=3
	s_and_not1_saveexec_b32 s14, s14
	s_cbranch_execz .LBB6_5792
; %bb.5791:                             ;   in Loop: Header=BB6_5746 Depth=3
	global_wb scope:SCOPE_DEV
	s_wait_storecnt 0x0
	s_wait_loadcnt_dscnt 0x0
	global_inv scope:SCOPE_DEV
	s_barrier_signal -1
	s_barrier_wait -1
.LBB6_5792:                             ;   in Loop: Header=BB6_5746 Depth=3
	s_or_b32 exec_lo, exec_lo, s14
.LBB6_5793:                             ;   in Loop: Header=BB6_5746 Depth=3
	s_delay_alu instid0(SALU_CYCLE_1)
	s_or_b32 exec_lo, exec_lo, s13
	s_trap 2
	scratch_load_b32 v1, off, s33 offset:204 ; 4-byte Folded Reload
	ds_load_b32 v0, v0
	s_xor_b32 s13, s1, -1
	s_wait_loadcnt 0x0
	v_and_b32_e32 v1, 0x4000, v1
	s_delay_alu instid0(VALU_DEP_1)
	v_cmp_ne_u32_e32 vcc_lo, 0, v1
	s_and_b32 s14, s13, vcc_lo
	s_wait_xcnt 0x0
	s_and_saveexec_b32 s13, s14
	s_cbranch_execz .LBB6_5812
; %bb.5794:                             ;   in Loop: Header=BB6_5746 Depth=3
	s_and_saveexec_b32 s14, s3
	s_delay_alu instid0(SALU_CYCLE_1)
	s_xor_b32 s14, exec_lo, s14
	s_cbranch_execz .LBB6_5809
; %bb.5795:                             ;   in Loop: Header=BB6_5746 Depth=3
	s_and_saveexec_b32 s15, s6
	s_cbranch_execz .LBB6_5808
; %bb.5796:                             ;   in Loop: Header=BB6_5746 Depth=3
	s_mov_b32 s73, exec_lo
	s_mov_b32 s72, exec_lo
	v_mbcnt_lo_u32_b32 v1, s73, 0
	global_wb scope:SCOPE_DEV
	s_wait_storecnt_dscnt 0x0
	global_inv scope:SCOPE_DEV
	v_cmpx_eq_u32_e32 0, v1
	s_cbranch_execz .LBB6_5798
; %bb.5797:                             ;   in Loop: Header=BB6_5746 Depth=3
	s_bcnt1_i32_b32 s73, s73
	s_delay_alu instid0(SALU_CYCLE_1)
	v_dual_mov_b32 v3, v113 :: v_dual_mov_b32 v2, s73
	s_wait_loadcnt 0x0
	ds_add_u64 v0, v[2:3]
	s_trap 2
.LBB6_5798:                             ;   in Loop: Header=BB6_5746 Depth=3
	s_or_b32 exec_lo, exec_lo, s72
	s_trap 2
	ds_load_b64 v[2:3], v0
	s_wait_dscnt 0x0
	s_clause 0x1
	scratch_load_b64 v[4:5], off, s33 offset:208 th:TH_LOAD_LU
	scratch_load_b64 v[6:7], off, s33 offset:272
	s_mov_b32 s72, exec_lo
	s_wait_loadcnt 0x0
	v_add_nc_u64_e32 v[4:5], v[4:5], v[6:7]
	scratch_store_b64 off, v[4:5], s33 offset:208 ; 8-byte Folded Spill
	s_wait_xcnt 0x0
	v_cmpx_lt_u64_e64 v[2:3], v[4:5]
	s_cbranch_execz .LBB6_5807
; %bb.5799:                             ;   in Loop: Header=BB6_5746 Depth=3
	s_mov_b32 s73, 0
	s_mov_b32 s76, 0
                                        ; implicit-def: $sgpr74
                                        ; implicit-def: $sgpr75
	s_branch .LBB6_5801
.LBB6_5800:                             ;   in Loop: Header=BB6_5801 Depth=4
	s_wait_xcnt 0x0
	s_or_b32 exec_lo, exec_lo, s78
	s_delay_alu instid0(SALU_CYCLE_1) | instskip(NEXT) | instid1(SALU_CYCLE_1)
	s_and_b32 s77, exec_lo, s79
	s_or_b32 s73, s77, s73
	s_and_not1_b32 s74, s74, exec_lo
	s_and_b32 s77, s75, exec_lo
	s_delay_alu instid0(SALU_CYCLE_1)
	s_or_b32 s74, s74, s77
	s_and_not1_b32 exec_lo, exec_lo, s73
	s_cbranch_execz .LBB6_5805
.LBB6_5801:                             ;   Parent Loop BB6_47 Depth=1
                                        ;     Parent Loop BB6_5743 Depth=2
                                        ;       Parent Loop BB6_5746 Depth=3
                                        ; =>      This Inner Loop Header: Depth=4
	s_add_co_i32 s76, s76, 1
	s_delay_alu instid0(SALU_CYCLE_1) | instskip(SKIP_1) | instid1(SALU_CYCLE_1)
	s_cmp_lg_u32 s76, 0x2710
	s_cselect_b32 s77, -1, 0
	s_and_b32 vcc_lo, exec_lo, s77
	s_cbranch_vccz .LBB6_5803
; %bb.5802:                             ;   in Loop: Header=BB6_5801 Depth=4
	s_mov_b32 s79, -1
	s_or_b32 s75, s75, exec_lo
	s_and_saveexec_b32 s78, s77
	s_cbranch_execz .LBB6_5800
	s_branch .LBB6_5804
.LBB6_5803:                             ;   in Loop: Header=BB6_5801 Depth=4
	s_trap 2
	ds_load_b64 v[2:3], v0
	s_and_not1_b32 s77, s77, exec_lo
	s_mov_b32 s76, 0
	s_wait_storecnt_dscnt 0x0
	flat_load_b32 v1, v[2:3] scope:SCOPE_SYS
	s_wait_loadcnt_dscnt 0x0
	global_inv scope:SCOPE_SYS
	v_cmp_eq_u32_e32 vcc_lo, 0, v1
	s_and_b32 s78, vcc_lo, exec_lo
	s_delay_alu instid0(SALU_CYCLE_1)
	s_or_b32 s77, s77, s78
	s_mov_b32 s79, -1
	s_or_b32 s75, s75, exec_lo
	s_wait_xcnt 0x0
	s_and_saveexec_b32 s78, s77
	s_cbranch_execz .LBB6_5800
.LBB6_5804:                             ;   in Loop: Header=BB6_5801 Depth=4
	s_sleep 1
	s_trap 2
	ds_load_b64 v[2:3], v0
	s_wait_dscnt 0x0
	scratch_load_b64 v[4:5], off, s33 offset:208 ; 8-byte Folded Reload
	s_and_not1_b32 s75, s75, exec_lo
	s_wait_loadcnt 0x0
	v_cmp_ge_u64_e32 vcc_lo, v[2:3], v[4:5]
	s_or_not1_b32 s79, vcc_lo, exec_lo
	s_branch .LBB6_5800
.LBB6_5805:                             ;   in Loop: Header=BB6_5746 Depth=3
	s_or_b32 exec_lo, exec_lo, s73
	s_and_saveexec_b32 s73, s74
	s_delay_alu instid0(SALU_CYCLE_1)
	s_xor_b32 s73, exec_lo, s73
	s_cbranch_execz .LBB6_5807
; %bb.5806:                             ;   in Loop: Header=BB6_5746 Depth=3
	v_mov_b32_e32 v1, 1
	ds_store_b32 v0, v1
	s_trap 2
.LBB6_5807:                             ;   in Loop: Header=BB6_5746 Depth=3
	s_or_b32 exec_lo, exec_lo, s72
	;;#ASMSTART
	s_wakeup
	;;#ASMEND
.LBB6_5808:                             ;   in Loop: Header=BB6_5746 Depth=3
	s_or_b32 exec_lo, exec_lo, s15
.LBB6_5809:                             ;   in Loop: Header=BB6_5746 Depth=3
	s_and_not1_saveexec_b32 s14, s14
	s_cbranch_execz .LBB6_5811
; %bb.5810:                             ;   in Loop: Header=BB6_5746 Depth=3
	global_wb scope:SCOPE_DEV
	s_wait_storecnt 0x0
	s_wait_loadcnt_dscnt 0x0
	global_inv scope:SCOPE_DEV
	s_barrier_signal -1
	s_barrier_wait -1
.LBB6_5811:                             ;   in Loop: Header=BB6_5746 Depth=3
	s_or_b32 exec_lo, exec_lo, s14
.LBB6_5812:                             ;   in Loop: Header=BB6_5746 Depth=3
	s_delay_alu instid0(SALU_CYCLE_1)
	s_or_b32 exec_lo, exec_lo, s13
	s_trap 2
	s_wait_dscnt 0x0
	ds_load_b64 v[56:57], v0
	s_wait_dscnt 0x0
	v_cmp_eq_u64_e32 vcc_lo, 0, v[56:57]
	s_cbranch_vccnz .LBB6_5820
; %bb.5813:                             ;   in Loop: Header=BB6_5746 Depth=3
	s_clause 0x1
	scratch_store_b64 off, v[12:13], s33 offset:352
	scratch_store_b64 off, v[10:11], s33 offset:344
	s_trap 2
	ds_load_b64 v[58:59], v0
	s_wait_dscnt 0x0
	v_cmp_eq_u64_e32 vcc_lo, 0, v[58:59]
	s_cbranch_vccnz .LBB6_5825
; %bb.5814:                             ;   in Loop: Header=BB6_5746 Depth=3
	s_mov_b32 s13, -1
	s_wait_xcnt 0x0
	s_and_saveexec_b32 s14, s11
	s_cbranch_execz .LBB6_5816
; %bb.5815:                             ;   in Loop: Header=BB6_5746 Depth=3
	ds_load_b32 v1, v0 offset:720
	s_wait_dscnt 0x0
	v_and_b32_e32 v1, 15, v1
	s_delay_alu instid0(VALU_DEP_1)
	v_cmp_eq_u32_e32 vcc_lo, 0, v1
	s_or_not1_b32 s13, vcc_lo, exec_lo
.LBB6_5816:                             ;   in Loop: Header=BB6_5746 Depth=3
	s_or_b32 exec_lo, exec_lo, s14
	s_and_saveexec_b32 s14, s10
	s_cbranch_execz .LBB6_5818
; %bb.5817:                             ;   in Loop: Header=BB6_5746 Depth=3
	ds_load_b32 v1, v0 offset:784
	s_wait_dscnt 0x0
	v_and_b32_e32 v1, 15, v1
	s_delay_alu instid0(VALU_DEP_1) | instskip(SKIP_3) | instid1(SALU_CYCLE_1)
	v_cmp_eq_u32_e32 vcc_lo, 0, v1
	s_and_b32 s15, s13, vcc_lo
	s_and_not1_b32 s13, s13, exec_lo
	s_and_b32 s15, s15, exec_lo
	s_or_b32 s13, s13, s15
.LBB6_5818:                             ;   in Loop: Header=BB6_5746 Depth=3
	s_or_b32 exec_lo, exec_lo, s14
	s_clause 0x1
	scratch_load_b64 v[2:3], off, s33 offset:344
	scratch_load_b32 v5, off, s33 offset:384
	v_cmp_eq_u32_e32 vcc_lo, 0, v0
	s_xor_b32 s13, s13, -1
	v_mov_b32_e32 v8, 0
	v_cndmask_b32_e64 v1, 0, 1, s13
	s_mov_b32 s13, -1
	s_wait_loadcnt 0x1
	v_cndmask_b32_e32 v63, 0, v2, vcc_lo
	s_delay_alu instid0(VALU_DEP_2) | instskip(NEXT) | instid1(VALU_DEP_2)
	v_cmp_ne_u32_e32 vcc_lo, 0, v1
	v_mov_b32_e32 v3, v63
	s_cbranch_vccz .LBB6_5826
; %bb.5819:                             ;   in Loop: Header=BB6_5746 Depth=3
	s_wait_xcnt 0x0
	s_and_saveexec_b32 s72, s13
	s_cbranch_execz .LBB6_31150
; %bb.31200:                            ;   in Loop: Header=BB6_5746 Depth=3
	s_add_pc_i64 .LBB6_11389-.Lpost_addpc70
.Lpost_addpc70:
.LBB6_31150:                            ;   in Loop: Header=BB6_5746 Depth=3
	s_add_pc_i64 .LBB6_13987-.Lpost_addpc45
.Lpost_addpc45:
.LBB6_5820:                             ;   in Loop: Header=BB6_5746 Depth=3
	s_mov_b32 s13, 0
	s_and_saveexec_b32 s14, s2
	s_cbranch_execz .LBB6_5821
; %bb.31202:                            ;   in Loop: Header=BB6_5746 Depth=3
	s_add_pc_i64 .LBB6_13988-.Lpost_addpc71
.Lpost_addpc71:
.LBB6_5821:                             ;   in Loop: Header=BB6_5746 Depth=3
	s_or_b32 exec_lo, exec_lo, s14
                                        ; implicit-def: $vgpr0
	s_and_saveexec_b32 s14, s12
	s_delay_alu instid0(SALU_CYCLE_1)
	s_xor_b32 s14, exec_lo, s14
	s_cbranch_execnz .LBB6_5822
; %bb.31204:                            ;   in Loop: Header=BB6_5746 Depth=3
	s_add_pc_i64 .LBB6_14006-.Lpost_addpc72
.Lpost_addpc72:
.LBB6_5822:                             ;   in Loop: Header=BB6_5746 Depth=3
	scratch_load_b32 v1, off, s33 offset:204 ; 4-byte Folded Reload
	s_wait_loadcnt 0x0
	v_and_b32_e32 v0, 16, v1
	s_delay_alu instid0(VALU_DEP_1)
	v_cmp_ne_u32_e32 vcc_lo, 0, v0
	v_and_b32_e32 v0, 16, v1
	s_and_b32 s15, vcc_lo, s13
	s_wait_xcnt 0x0
	s_and_saveexec_b32 s13, s15
	s_cbranch_execz .LBB6_5824
; %bb.5823:                             ;   in Loop: Header=BB6_5746 Depth=3
	v_mov_b32_e32 v0, 1
	global_wb scope:SCOPE_SYS
	s_wait_storecnt_dscnt 0x0
	global_inv scope:SCOPE_SYS
.LBB6_5824:                             ;   in Loop: Header=BB6_5746 Depth=3
	s_or_b32 exec_lo, exec_lo, s13
	s_and_not1_saveexec_b32 s13, s14
	s_cbranch_execnz .LBB6_31152
; %bb.31206:                            ;   in Loop: Header=BB6_5746 Depth=3
	s_add_pc_i64 .LBB6_14025-.Lpost_addpc73
.Lpost_addpc73:
.LBB6_31152:                            ;   in Loop: Header=BB6_5746 Depth=3
	s_add_pc_i64 .LBB6_14007-.Lpost_addpc46
.Lpost_addpc46:
.LBB6_5825:                             ;   in Loop: Header=BB6_5746 Depth=3
	s_mov_b32 s13, 0
	s_clause 0x1
	scratch_load_b64 v[10:11], off, s33 offset:344
	scratch_load_b64 v[12:13], off, s33 offset:352
	s_wait_xcnt 0x0
	s_and_saveexec_b32 s14, s2
	s_cbranch_execz .LBB6_5821
; %bb.31154:                            ;   in Loop: Header=BB6_5746 Depth=3
	s_add_pc_i64 .LBB6_13988-.Lpost_addpc47
.Lpost_addpc47:
.LBB6_5826:                             ;   in Loop: Header=BB6_5746 Depth=3
	v_ashrrev_i32_e32 v0, 31, v63
	s_mov_b32 s14, exec_lo
	s_delay_alu instid0(VALU_DEP_1) | instskip(NEXT) | instid1(VALU_DEP_1)
	v_lshrrev_b32_e32 v0, 21, v0
	v_add_nc_u32_e32 v0, v63, v0
	s_wait_loadcnt 0x0
	s_delay_alu instid0(VALU_DEP_1) | instskip(SKIP_4) | instid1(VALU_DEP_1)
	v_ashrrev_i32_e32 v5, 11, v0
	scratch_load_b32 v0, off, s33 offset:420 ; 4-byte Folded Reload
	s_wait_loadcnt 0x0
	v_sub_nc_u32_e32 v4, v5, v0
	s_wait_xcnt 0x0
	v_cmpx_lt_i32_e32 0, v4
	s_cbranch_execz .LBB6_10318
; %bb.5827:                             ;   in Loop: Header=BB6_5746 Depth=3
	s_trap 2
	scratch_load_b64 v[2:3], off, s33 offset:524 ; 8-byte Folded Reload
	ds_load_b64 v[0:1], v0
	v_mov_b32_e32 v78, v63
	s_wait_dscnt 0x0
	v_readfirstlane_b32 s72, v0
	v_readfirstlane_b32 s73, v1
	s_and_b32 s15, s72, 3
	s_bfe_i32 s13, s72, 0x80000
	s_clz_i32_u32 s76, s15
	s_bfe_u32 s74, s72, 0x50002
	s_min_u32 s76, s76, 32
	s_and_b32 s75, s72, 0x7c
	s_sub_co_i32 s79, s76, 29
	s_lshl_b32 s77, s72, 24
	s_sext_i32_i8 s78, s72
	s_lshl_b64 s[72:73], s[72:73], s79
	s_and_b32 s77, s77, 0x80000000
	s_sub_co_i32 s73, 30, s76
	s_and_b32 s72, s72, 3
	s_cmp_gt_i32 s78, -1
	s_cselect_b32 s76, s47, 0xff800000
	s_cmp_eq_u32 s15, 0
	s_cselect_b32 s76, s76, 0x7f800001
	s_cmp_eq_u32 s74, 0
	s_cselect_b32 s73, s73, s74
	s_cselect_b32 s15, s72, s15
	s_lshl_b32 s72, s73, 23
	s_lshl_b32 s15, s15, 21
	s_add_co_i32 s72, s72, s77
	s_delay_alu instid0(SALU_CYCLE_1) | instskip(NEXT) | instid1(SALU_CYCLE_1)
	s_or_b32 s15, s72, s15
	s_add_co_i32 s72, s15, 0x38000000
	s_cmp_eq_u32 s75, 0x7c
	s_mov_b32 s15, 0
	s_cselect_b32 s72, s76, s72
	s_and_b32 s73, s13, 0xff
	s_wait_loadcnt 0x0
	v_add_nc_u64_e32 v[60:61], v[56:57], v[2:3]
	v_add_nc_u64_e32 v[62:63], v[58:59], v[2:3]
	;; [unrolled: 1-line block ×3, first 2 shown]
	s_branch .LBB6_5830
.LBB6_5828:                             ;   in Loop: Header=BB6_5830 Depth=4
	s_or_b32 exec_lo, exec_lo, s74
.LBB6_5829:                             ;   in Loop: Header=BB6_5830 Depth=4
	s_delay_alu instid0(SALU_CYCLE_1)
	s_or_b32 exec_lo, exec_lo, s13
	v_lshl_or_b32 v1, v70, 8, v54
	v_dual_lshlrev_b32 v2, 16, v81 :: v_dual_lshlrev_b32 v3, 24, v12
	v_lshl_or_b32 v10, v67, 8, v19
	v_lshlrev_b32_e32 v12, 16, v82
	v_dual_lshlrev_b32 v14, 24, v14 :: v_dual_lshlrev_b32 v19, 16, v64
	s_delay_alu instid0(VALU_DEP_4)
	v_or3_b32 v11, v1, v2, v3
	v_lshlrev_b32_e32 v1, 24, v85
	v_lshl_or_b32 v2, v49, 8, v13
	v_lshlrev_b32_e32 v3, 16, v65
	v_lshlrev_b32_e32 v13, 24, v69
	v_lshl_or_b32 v33, v52, 8, v36
	v_lshl_or_b32 v36, v102, 8, v99
	v_dual_lshlrev_b32 v37, 16, v116 :: v_dual_lshlrev_b32 v49, 16, v118
	v_dual_lshlrev_b32 v16, 24, v16 :: v_dual_lshlrev_b32 v50, 24, v41
	v_lshl_or_b32 v23, v114, 8, v23
	v_or3_b32 v10, v10, v12, v1
	v_or3_b32 v12, v2, v3, v13
	v_lshl_or_b32 v1, v84, 8, v17
	v_lshlrev_b32_e32 v2, 16, v97
	v_lshlrev_b32_e32 v3, 24, v101
	v_or3_b32 v13, v33, v19, v14
	v_or3_b32 v65, v36, v37, v16
	;; [unrolled: 1-line block ×3, first 2 shown]
	v_dual_lshlrev_b32 v14, 24, v18 :: v_dual_lshlrev_b32 v16, 16, v96
	v_lshl_or_b32 v17, v86, 8, v71
	v_lshl_or_b32 v18, v53, 8, v48
	v_dual_lshlrev_b32 v19, 16, v66 :: v_dual_lshlrev_b32 v20, 24, v20
	v_lshl_or_b32 v6, v24, 8, v6
	v_dual_lshlrev_b32 v23, 16, v27 :: v_dual_lshlrev_b32 v24, 24, v32
	;; [unrolled: 2-line block ×3, first 2 shown]
	v_or3_b32 v66, v1, v2, v3
	v_dual_lshlrev_b32 v1, 24, v22 :: v_dual_lshlrev_b32 v2, 16, v44
	v_lshl_or_b32 v3, v42, 8, v40
	v_or3_b32 v67, v17, v16, v14
	v_or3_b32 v17, v18, v19, v20
	;; [unrolled: 1-line block ×5, first 2 shown]
	v_lshl_or_b32 v6, v35, 8, v28
	v_dual_lshlrev_b32 v14, 16, v38 :: v_dual_lshlrev_b32 v8, 24, v8
	v_lshl_or_b32 v15, v31, 8, v15
	v_dual_lshlrev_b32 v20, 16, v39 :: v_dual_lshlrev_b32 v22, 16, v30
	v_dual_lshlrev_b32 v21, 24, v51 :: v_dual_lshlrev_b32 v23, 24, v34
	v_lshl_or_b32 v9, v25, 8, v9
	v_dual_lshlrev_b32 v24, 24, v0 :: v_dual_lshlrev_b32 v25, 16, v29
	v_lshl_or_b32 v7, v26, 8, v7
	s_clause 0x1
	global_store_b128 v[62:63], v[16:19], off th:TH_STORE_NT
	global_store_b128 v[62:63], v[64:67], off offset:512 th:TH_STORE_NT
	v_or3_b32 v1, v6, v14, v8
	v_or3_b32 v0, v15, v20, v21
	;; [unrolled: 1-line block ×4, first 2 shown]
	scratch_load_b64 v[6:7], off, s33 offset:272 ; 8-byte Folded Reload
	s_clause 0x1
	global_store_b128 v[62:63], v[10:13], off offset:1024 th:TH_STORE_NT
	global_store_b128 v[62:63], v[0:3], off offset:1536 th:TH_STORE_NT
	scratch_load_b64 v[0:1], off, s33 offset:296 ; 8-byte Folded Reload
	s_wait_loadcnt 0x1
	v_sub_nc_u32_e32 v4, v4, v6
	s_wait_loadcnt 0x0
	v_add_nc_u64_e32 v[60:61], v[60:61], v[0:1]
	v_add_nc_u64_e32 v[72:73], v[72:73], v[0:1]
	s_delay_alu instid0(VALU_DEP_3)
	v_cmp_gt_i32_e32 vcc_lo, 1, v4
	v_add_nc_u64_e32 v[62:63], v[62:63], v[0:1]
	s_or_b32 s15, vcc_lo, s15
	s_wait_xcnt 0x0
	s_and_not1_b32 exec_lo, exec_lo, s15
	s_cbranch_execz .LBB6_10317
.LBB6_5830:                             ;   Parent Loop BB6_47 Depth=1
                                        ;     Parent Loop BB6_5743 Depth=2
                                        ;       Parent Loop BB6_5746 Depth=3
                                        ; =>      This Inner Loop Header: Depth=4
	s_cmp_lt_i32 s73, 0x80
	s_cbranch_scc1 .LBB6_5834
; %bb.5831:                             ;   in Loop: Header=BB6_5830 Depth=4
	s_and_b32 s13, 0xffff, s73
	s_delay_alu instid0(SALU_CYCLE_1)
	s_cmp_eq_u32 s13, 0x80
	s_mov_b32 s13, -1
	s_cbranch_scc0 .LBB6_5833
; %bb.5832:                             ;   in Loop: Header=BB6_5830 Depth=4
	s_mov_b32 s13, 0
.LBB6_5833:                             ;   in Loop: Header=BB6_5830 Depth=4
	s_brev_b32 s74, 1
	s_branch .LBB6_5836
.LBB6_5834:                             ;   in Loop: Header=BB6_5830 Depth=4
	s_mov_b32 s13, 0
	s_brev_b32 s74, 1
	s_cbranch_execz .LBB6_5836
; %bb.5835:                             ;   in Loop: Header=BB6_5830 Depth=4
	s_and_b32 s13, 0xffff, s73
	s_mov_b32 s74, 0
	s_cmp_lg_u32 s13, 0
	s_cselect_b32 s13, -1, 0
.LBB6_5836:                             ;   in Loop: Header=BB6_5830 Depth=4
	s_delay_alu instid0(SALU_CYCLE_1)
	s_and_not1_b32 vcc_lo, exec_lo, s13
	s_cbranch_vccnz .LBB6_5838
; %bb.5837:                             ;   in Loop: Header=BB6_5830 Depth=4
	s_mov_b32 s74, s72
.LBB6_5838:                             ;   in Loop: Header=BB6_5830 Depth=4
	global_load_b128 v[8:11], v[60:61], off th:TH_LOAD_NT
	s_wait_loadcnt 0x0
	v_and_b32_e32 v0, 0xff, v8
	s_delay_alu instid0(VALU_DEP_1)
	v_cmp_ne_u16_e32 vcc_lo, 0, v0
	v_mov_b32_e32 v0, 0
	s_wait_xcnt 0x0
	s_and_saveexec_b32 s13, vcc_lo
	s_cbranch_execz .LBB6_5848
; %bb.5839:                             ;   in Loop: Header=BB6_5830 Depth=4
	v_bfe_i32 v2, v8, 0, 8
	v_bfrev_b32_e32 v0, 1
	s_mov_b32 s75, exec_lo
	s_delay_alu instid0(VALU_DEP_2)
	v_cmpx_ne_u16_e32 0xff80, v2
	s_cbranch_execz .LBB6_5847
; %bb.5840:                             ;   in Loop: Header=BB6_5830 Depth=4
	v_and_b32_e32 v0, 0x7c, v8
	v_and_b32_e32 v1, 3, v8
	s_delay_alu instid0(VALU_DEP_2) | instskip(SKIP_1) | instid1(SALU_CYCLE_1)
	v_cmp_ne_u32_e32 vcc_lo, 0x7c, v0
                                        ; implicit-def: $vgpr0
	s_and_saveexec_b32 s76, vcc_lo
	s_xor_b32 s76, exec_lo, s76
	s_cbranch_execz .LBB6_5844
; %bb.5841:                             ;   in Loop: Header=BB6_5830 Depth=4
	v_bfe_u32 v0, v8, 2, 5
	s_mov_b32 s77, exec_lo
	s_delay_alu instid0(VALU_DEP_1)
	v_cmpx_eq_u32_e32 0, v0
; %bb.5842:                             ;   in Loop: Header=BB6_5830 Depth=4
	v_clz_i32_u32_e32 v0, v1
	s_delay_alu instid0(VALU_DEP_1) | instskip(NEXT) | instid1(VALU_DEP_1)
	v_min_u32_e32 v0, 32, v0
	v_subrev_nc_u32_e32 v1, 29, v0
	s_delay_alu instid0(VALU_DEP_1) | instskip(NEXT) | instid1(VALU_DEP_1)
	v_lshlrev_b64_e32 v[2:3], v1, v[8:9]
	v_dual_sub_nc_u32 v0, 30, v0 :: v_dual_bitop2_b32 v1, 3, v2 bitop3:0x40
; %bb.5843:                             ;   in Loop: Header=BB6_5830 Depth=4
	s_or_b32 exec_lo, exec_lo, s77
	v_lshlrev_b32_e32 v2, 24, v8
	s_delay_alu instid0(VALU_DEP_1) | instskip(NEXT) | instid1(VALU_DEP_1)
	v_and_b32_e32 v2, 0x80000000, v2
	v_lshl_add_u32 v0, v0, 23, v2
                                        ; implicit-def: $vgpr2
	s_delay_alu instid0(VALU_DEP_1) | instskip(NEXT) | instid1(VALU_DEP_1)
	v_lshl_or_b32 v0, v1, 21, v0
                                        ; implicit-def: $vgpr1
	v_add_nc_u32_e32 v0, 0x38000000, v0
.LBB6_5844:                             ;   in Loop: Header=BB6_5830 Depth=4
	s_and_not1_saveexec_b32 s76, s76
; %bb.5845:                             ;   in Loop: Header=BB6_5830 Depth=4
	v_cmp_lt_i16_e32 vcc_lo, -1, v2
	v_mov_b32_e32 v0, 0x7f800000
	s_delay_alu instid0(VALU_DEP_1) | instskip(SKIP_1) | instid1(VALU_DEP_2)
	v_cndmask_b32_e32 v0, 0xff800000, v0, vcc_lo
	v_cmp_eq_u32_e32 vcc_lo, 0, v1
	v_cndmask_b32_e32 v0, 0x7f800001, v0, vcc_lo
; %bb.5846:                             ;   in Loop: Header=BB6_5830 Depth=4
	s_or_b32 exec_lo, exec_lo, s76
.LBB6_5847:                             ;   in Loop: Header=BB6_5830 Depth=4
	s_delay_alu instid0(SALU_CYCLE_1)
	s_or_b32 exec_lo, exec_lo, s75
.LBB6_5848:                             ;   in Loop: Header=BB6_5830 Depth=4
	s_delay_alu instid0(SALU_CYCLE_1) | instskip(NEXT) | instid1(VALU_DEP_1)
	s_or_b32 exec_lo, exec_lo, s13
	v_dual_mul_f32 v0, s74, v0 :: v_dual_mov_b32 v3, v113
                                        ; implicit-def: $vgpr6
	s_mov_b32 s13, exec_lo
	s_delay_alu instid0(VALU_DEP_1) | instskip(SKIP_2) | instid1(VALU_DEP_3)
	v_and_b32_e32 v2, 0x7f800000, v0
	v_and_b32_e32 v112, 0x7fffff, v0
	v_lshrrev_b32_e32 v1, 24, v0
	v_cmpx_ne_u64_e32 0x7f800000, v[2:3]
	s_xor_b32 s75, exec_lo, s13
	s_cbranch_execz .LBB6_5862
; %bb.5849:                             ;   in Loop: Header=BB6_5830 Depth=4
	v_and_b32_e32 v2, 0x7fffffff, v0
	v_mov_b32_e32 v3, v113
	v_and_b32_e32 v7, 0x80, v1
                                        ; implicit-def: $vgpr6
	s_mov_b32 s13, exec_lo
	s_delay_alu instid0(VALU_DEP_2)
	v_cmpx_gt_u64_e32 0x47600001, v[2:3]
	s_xor_b32 s76, exec_lo, s13
	s_cbranch_execz .LBB6_5859
; %bb.5850:                             ;   in Loop: Header=BB6_5830 Depth=4
	v_mov_b32_e32 v6, 0
	s_mov_b32 s77, exec_lo
	v_cmpx_ne_u32_e32 0, v0
	s_cbranch_execz .LBB6_5858
; %bb.5851:                             ;   in Loop: Header=BB6_5830 Depth=4
	v_bfe_u32 v6, v0, 23, 8
	v_or_b32_e32 v2, 0x800000, v112
	s_mov_b32 s78, exec_lo
	s_delay_alu instid0(VALU_DEP_2) | instskip(SKIP_1) | instid1(VALU_DEP_2)
	v_dual_mov_b32 v3, v113 :: v_dual_sub_nc_u32 v0, 0x71, v6
	v_cmp_gt_u32_e32 vcc_lo, 0x72, v6
	v_cndmask_b32_e32 v0, 0, v0, vcc_lo
	v_cmp_eq_u32_e32 vcc_lo, 0, v6
	s_delay_alu instid0(VALU_DEP_2) | instskip(SKIP_1) | instid1(VALU_DEP_2)
	v_cndmask_b32_e64 v12, v0, 0x70, vcc_lo
	v_cndmask_b32_e32 v2, v2, v112, vcc_lo
	v_dual_add_nc_u32 v0, 21, v12 :: v_dual_add_nc_u32 v13, 20, v12
	s_delay_alu instid0(VALU_DEP_1) | instskip(NEXT) | instid1(VALU_DEP_2)
	v_lshlrev_b64_e64 v[0:1], v0, -1
	v_lshlrev_b64_e64 v[14:15], v13, 1
	s_delay_alu instid0(VALU_DEP_2) | instskip(NEXT) | instid1(VALU_DEP_3)
	v_bfi_b32 v17, v1, 0, 0
	v_bfi_b32 v16, v0, 0, v2
	v_lshrrev_b64 v[0:1], v12, v[2:3]
	s_delay_alu instid0(VALU_DEP_1) | instskip(NEXT) | instid1(VALU_DEP_3)
	v_mov_b64_e32 v[2:3], v[0:1]
	v_cmpx_eq_u64_e64 v[16:17], v[14:15]
; %bb.5852:                             ;   in Loop: Header=BB6_5830 Depth=4
	v_bfe_u32 v2, v0, 21, 1
	v_mov_b32_e32 v3, v113
	s_delay_alu instid0(VALU_DEP_1) | instskip(NEXT) | instid1(VALU_DEP_1)
	v_add_nc_u64_e32 v[2:3], v[0:1], v[2:3]
	v_add_nc_u64_e32 v[2:3], -1, v[2:3]
; %bb.5853:                             ;   in Loop: Header=BB6_5830 Depth=4
	s_or_b32 exec_lo, exec_lo, s78
	v_add_nc_u32_e32 v1, 0xffffff81, v6
	v_lshrrev_b32_e32 v3, 23, v0
	s_mov_b32 s13, exec_lo
	s_delay_alu instid0(VALU_DEP_2) | instskip(NEXT) | instid1(VALU_DEP_1)
	v_cndmask_b32_e64 v1, v1, 0xffffff82, vcc_lo
	v_add3_u32 v3, v12, v1, v3
	v_and_b32_e32 v1, 0x1fffff, v2
                                        ; implicit-def: $vgpr2
	s_delay_alu instid0(VALU_DEP_1) | instskip(NEXT) | instid1(VALU_DEP_1)
	v_dual_add_nc_u32 v6, 14, v3 :: v_dual_add_nc_u32 v112, v1, v0
                                        ; implicit-def: $vgpr0_vgpr1
	v_cmpx_ne_u32_e32 0, v6
	s_xor_b32 s13, exec_lo, s13
; %bb.5854:                             ;   in Loop: Header=BB6_5830 Depth=4
	s_delay_alu instid0(VALU_DEP_2) | instskip(SKIP_1) | instid1(VALU_DEP_1)
	v_cmp_lt_u64_e32 vcc_lo, 0xffffff, v[112:113]
	v_add_nc_u32_e32 v0, 15, v3
	v_cndmask_b32_e32 v2, v6, v0, vcc_lo
	v_cndmask_b32_e64 v0, 0, 1, vcc_lo
	s_delay_alu instid0(VALU_DEP_1)
	v_lshrrev_b64 v[0:1], v0, v[112:113]
; %bb.5855:                             ;   in Loop: Header=BB6_5830 Depth=4
	s_and_not1_saveexec_b32 s13, s13
; %bb.5856:                             ;   in Loop: Header=BB6_5830 Depth=4
	v_mov_b64_e32 v[0:1], v[112:113]
	v_bfe_u32 v2, v112, 23, 1
; %bb.5857:                             ;   in Loop: Header=BB6_5830 Depth=4
	s_or_b32 exec_lo, exec_lo, s13
	s_delay_alu instid0(VALU_DEP_2) | instskip(NEXT) | instid1(VALU_DEP_2)
	v_lshrrev_b64 v[0:1], 21, v[0:1]
	v_cmp_gt_i32_e32 vcc_lo, 32, v2
	v_min_i32_e32 v3, 31, v2
	v_cmp_eq_u32_e64 s13, 0, v2
	s_delay_alu instid0(VALU_DEP_2) | instskip(SKIP_1) | instid1(VALU_DEP_2)
	v_dual_cndmask_b32 v1, 0, v1, vcc_lo :: v_dual_lshlrev_b32 v3, 2, v3
	v_cndmask_b32_e32 v0, 3, v0, vcc_lo
	v_and_b32_e32 v3, 0xfc, v3
	s_delay_alu instid0(VALU_DEP_2) | instskip(NEXT) | instid1(VALU_DEP_2)
	v_cmp_eq_u64_e32 vcc_lo, 0, v[0:1]
	v_and_or_b32 v0, v0, 3, v3
	s_and_b32 s13, s13, vcc_lo
	s_delay_alu instid0(VALU_DEP_1) | instid1(SALU_CYCLE_1)
	v_cndmask_b32_e64 v0, v0, 0, s13
	s_delay_alu instid0(VALU_DEP_1)
	v_or_b32_e32 v6, v0, v7
.LBB6_5858:                             ;   in Loop: Header=BB6_5830 Depth=4
	s_or_b32 exec_lo, exec_lo, s77
                                        ; implicit-def: $vgpr7
.LBB6_5859:                             ;   in Loop: Header=BB6_5830 Depth=4
	s_and_not1_saveexec_b32 s13, s76
; %bb.5860:                             ;   in Loop: Header=BB6_5830 Depth=4
	v_or_b32_e32 v6, 0x7b, v7
; %bb.5861:                             ;   in Loop: Header=BB6_5830 Depth=4
	s_or_b32 exec_lo, exec_lo, s13
                                        ; implicit-def: $vgpr0
                                        ; implicit-def: $vgpr1
.LBB6_5862:                             ;   in Loop: Header=BB6_5830 Depth=4
	s_and_not1_saveexec_b32 s13, s75
	s_cbranch_execz .LBB6_5868
; %bb.5863:                             ;   in Loop: Header=BB6_5830 Depth=4
	s_mov_b32 s75, exec_lo
                                        ; implicit-def: $vgpr6
	v_cmpx_ne_u64_e32 0, v[112:113]
	s_xor_b32 s75, exec_lo, s75
; %bb.5864:                             ;   in Loop: Header=BB6_5830 Depth=4
	v_or_b32_e32 v6, 0x7f, v1
                                        ; implicit-def: $vgpr0
; %bb.5865:                             ;   in Loop: Header=BB6_5830 Depth=4
	s_and_not1_saveexec_b32 s75, s75
; %bb.5866:                             ;   in Loop: Header=BB6_5830 Depth=4
	v_cmp_lt_i32_e32 vcc_lo, -1, v0
	v_mov_b32_e32 v0, 0x7c
	s_delay_alu instid0(VALU_DEP_1)
	v_cndmask_b32_e32 v6, 0xfc, v0, vcc_lo
; %bb.5867:                             ;   in Loop: Header=BB6_5830 Depth=4
	s_or_b32 exec_lo, exec_lo, s75
.LBB6_5868:                             ;   in Loop: Header=BB6_5830 Depth=4
	s_delay_alu instid0(SALU_CYCLE_1) | instskip(SKIP_3) | instid1(VALU_DEP_2)
	s_or_b32 exec_lo, exec_lo, s13
	v_lshrrev_b16 v0, 8, v8
	v_mov_b32_e32 v2, 0
	s_mov_b32 s13, exec_lo
	v_cmpx_ne_u16_e32 0, v0
	s_cbranch_execz .LBB6_5878
; %bb.5869:                             ;   in Loop: Header=BB6_5830 Depth=4
	v_bfrev_b32_e32 v2, 1
	s_mov_b32 s75, exec_lo
	v_cmpx_ne_u16_e32 0x80, v0
	s_cbranch_execz .LBB6_5877
; %bb.5870:                             ;   in Loop: Header=BB6_5830 Depth=4
	v_and_b32_e32 v3, 0xffff, v0
	s_delay_alu instid0(VALU_DEP_1) | instskip(SKIP_1) | instid1(VALU_DEP_2)
	v_and_b32_e32 v2, 0x7c, v3
	v_and_b32_e32 v1, 3, v3
	v_cmp_ne_u32_e32 vcc_lo, 0x7c, v2
                                        ; implicit-def: $vgpr2
	s_and_saveexec_b32 s76, vcc_lo
	s_delay_alu instid0(SALU_CYCLE_1)
	s_xor_b32 s76, exec_lo, s76
	s_cbranch_execz .LBB6_5874
; %bb.5871:                             ;   in Loop: Header=BB6_5830 Depth=4
	v_bfe_u32 v2, v3, 2, 5
	s_mov_b32 s77, exec_lo
	s_delay_alu instid0(VALU_DEP_1)
	v_cmpx_eq_u32_e32 0, v2
	s_cbranch_execz .LBB6_5873
; %bb.5872:                             ;   in Loop: Header=BB6_5830 Depth=4
	v_clz_i32_u32_e32 v1, v1
	s_delay_alu instid0(VALU_DEP_1) | instskip(SKIP_1) | instid1(VALU_DEP_2)
	v_min_u32_e32 v2, 32, v1
	v_mov_b32_e32 v1, v113
	v_subrev_nc_u32_e32 v3, 29, v2
	v_sub_nc_u32_e32 v2, 30, v2
	s_delay_alu instid0(VALU_DEP_2) | instskip(NEXT) | instid1(VALU_DEP_1)
	v_lshlrev_b64_e32 v[0:1], v3, v[0:1]
	v_and_b32_e32 v1, 3, v0
.LBB6_5873:                             ;   in Loop: Header=BB6_5830 Depth=4
	s_or_b32 exec_lo, exec_lo, s77
	v_lshlrev_b32_e32 v0, 16, v8
	s_delay_alu instid0(VALU_DEP_1) | instskip(NEXT) | instid1(VALU_DEP_1)
	v_and_b32_e32 v0, 0x80000000, v0
	v_lshl_add_u32 v0, v2, 23, v0
	s_delay_alu instid0(VALU_DEP_1) | instskip(NEXT) | instid1(VALU_DEP_1)
	v_lshl_or_b32 v0, v1, 21, v0
                                        ; implicit-def: $vgpr1
	v_add_nc_u32_e32 v2, 0x38000000, v0
.LBB6_5874:                             ;   in Loop: Header=BB6_5830 Depth=4
	s_and_not1_saveexec_b32 s76, s76
; %bb.5875:                             ;   in Loop: Header=BB6_5830 Depth=4
	v_cmp_lt_i16_e32 vcc_lo, -1, v8
	v_mov_b32_e32 v0, 0x7f800000
	s_delay_alu instid0(VALU_DEP_1) | instskip(SKIP_1) | instid1(VALU_DEP_2)
	v_cndmask_b32_e32 v0, 0xff800000, v0, vcc_lo
	v_cmp_eq_u32_e32 vcc_lo, 0, v1
	v_cndmask_b32_e32 v2, 0x7f800001, v0, vcc_lo
; %bb.5876:                             ;   in Loop: Header=BB6_5830 Depth=4
	s_or_b32 exec_lo, exec_lo, s76
.LBB6_5877:                             ;   in Loop: Header=BB6_5830 Depth=4
	s_delay_alu instid0(SALU_CYCLE_1)
	s_or_b32 exec_lo, exec_lo, s75
.LBB6_5878:                             ;   in Loop: Header=BB6_5830 Depth=4
	s_delay_alu instid0(SALU_CYCLE_1) | instskip(NEXT) | instid1(VALU_DEP_1)
	s_or_b32 exec_lo, exec_lo, s13
	v_dual_mul_f32 v0, s74, v2 :: v_dual_mov_b32 v3, v113
                                        ; implicit-def: $vgpr24
	s_mov_b32 s13, exec_lo
	s_delay_alu instid0(VALU_DEP_1) | instskip(SKIP_2) | instid1(VALU_DEP_3)
	v_and_b32_e32 v2, 0x7f800000, v0
	v_and_b32_e32 v112, 0x7fffff, v0
	v_lshrrev_b32_e32 v1, 24, v0
	v_cmpx_ne_u64_e32 0x7f800000, v[2:3]
	s_xor_b32 s75, exec_lo, s13
	s_cbranch_execz .LBB6_5892
; %bb.5879:                             ;   in Loop: Header=BB6_5830 Depth=4
	v_and_b32_e32 v2, 0x7fffffff, v0
	v_mov_b32_e32 v3, v113
	v_and_b32_e32 v7, 0x80, v1
                                        ; implicit-def: $vgpr24
	s_mov_b32 s13, exec_lo
	s_delay_alu instid0(VALU_DEP_2)
	v_cmpx_gt_u64_e32 0x47600001, v[2:3]
	s_xor_b32 s76, exec_lo, s13
	s_cbranch_execz .LBB6_5889
; %bb.5880:                             ;   in Loop: Header=BB6_5830 Depth=4
	v_mov_b32_e32 v24, 0
	s_mov_b32 s77, exec_lo
	v_cmpx_ne_u32_e32 0, v0
	s_cbranch_execz .LBB6_5888
; %bb.5881:                             ;   in Loop: Header=BB6_5830 Depth=4
	v_bfe_u32 v12, v0, 23, 8
	v_or_b32_e32 v2, 0x800000, v112
	s_mov_b32 s78, exec_lo
	s_delay_alu instid0(VALU_DEP_2) | instskip(SKIP_1) | instid1(VALU_DEP_2)
	v_dual_mov_b32 v3, v113 :: v_dual_sub_nc_u32 v0, 0x71, v12
	v_cmp_gt_u32_e32 vcc_lo, 0x72, v12
	v_cndmask_b32_e32 v0, 0, v0, vcc_lo
	v_cmp_eq_u32_e32 vcc_lo, 0, v12
	s_delay_alu instid0(VALU_DEP_2) | instskip(NEXT) | instid1(VALU_DEP_1)
	v_cndmask_b32_e64 v13, v0, 0x70, vcc_lo
	v_dual_cndmask_b32 v2, v2, v112, vcc_lo :: v_dual_add_nc_u32 v0, 21, v13
	v_add_nc_u32_e32 v14, 20, v13
	s_delay_alu instid0(VALU_DEP_2) | instskip(NEXT) | instid1(VALU_DEP_2)
	v_lshlrev_b64_e64 v[0:1], v0, -1
	v_lshlrev_b64_e64 v[14:15], v14, 1
	s_delay_alu instid0(VALU_DEP_2) | instskip(NEXT) | instid1(VALU_DEP_3)
	v_bfi_b32 v17, v1, 0, 0
	v_bfi_b32 v16, v0, 0, v2
	v_lshrrev_b64 v[0:1], v13, v[2:3]
	s_delay_alu instid0(VALU_DEP_1) | instskip(NEXT) | instid1(VALU_DEP_3)
	v_mov_b64_e32 v[2:3], v[0:1]
	v_cmpx_eq_u64_e64 v[16:17], v[14:15]
; %bb.5882:                             ;   in Loop: Header=BB6_5830 Depth=4
	v_bfe_u32 v2, v0, 21, 1
	v_mov_b32_e32 v3, v113
	s_delay_alu instid0(VALU_DEP_1) | instskip(NEXT) | instid1(VALU_DEP_1)
	v_add_nc_u64_e32 v[2:3], v[0:1], v[2:3]
	v_add_nc_u64_e32 v[2:3], -1, v[2:3]
; %bb.5883:                             ;   in Loop: Header=BB6_5830 Depth=4
	s_or_b32 exec_lo, exec_lo, s78
	v_add_nc_u32_e32 v1, 0xffffff81, v12
	v_lshrrev_b32_e32 v3, 23, v0
	s_mov_b32 s13, exec_lo
	s_delay_alu instid0(VALU_DEP_2) | instskip(NEXT) | instid1(VALU_DEP_1)
	v_cndmask_b32_e64 v1, v1, 0xffffff82, vcc_lo
	v_add3_u32 v3, v13, v1, v3
	v_and_b32_e32 v1, 0x1fffff, v2
                                        ; implicit-def: $vgpr2
	s_delay_alu instid0(VALU_DEP_1) | instskip(NEXT) | instid1(VALU_DEP_1)
	v_dual_add_nc_u32 v12, 14, v3 :: v_dual_add_nc_u32 v112, v1, v0
                                        ; implicit-def: $vgpr0_vgpr1
	v_cmpx_ne_u32_e32 0, v12
	s_xor_b32 s13, exec_lo, s13
; %bb.5884:                             ;   in Loop: Header=BB6_5830 Depth=4
	s_delay_alu instid0(VALU_DEP_2) | instskip(SKIP_1) | instid1(VALU_DEP_1)
	v_cmp_lt_u64_e32 vcc_lo, 0xffffff, v[112:113]
	v_add_nc_u32_e32 v0, 15, v3
	v_cndmask_b32_e32 v2, v12, v0, vcc_lo
	v_cndmask_b32_e64 v0, 0, 1, vcc_lo
	s_delay_alu instid0(VALU_DEP_1)
	v_lshrrev_b64 v[0:1], v0, v[112:113]
; %bb.5885:                             ;   in Loop: Header=BB6_5830 Depth=4
	s_and_not1_saveexec_b32 s13, s13
; %bb.5886:                             ;   in Loop: Header=BB6_5830 Depth=4
	v_mov_b64_e32 v[0:1], v[112:113]
	v_bfe_u32 v2, v112, 23, 1
; %bb.5887:                             ;   in Loop: Header=BB6_5830 Depth=4
	s_or_b32 exec_lo, exec_lo, s13
	s_delay_alu instid0(VALU_DEP_2) | instskip(NEXT) | instid1(VALU_DEP_2)
	v_lshrrev_b64 v[0:1], 21, v[0:1]
	v_cmp_gt_i32_e32 vcc_lo, 32, v2
	v_min_i32_e32 v3, 31, v2
	v_cmp_eq_u32_e64 s13, 0, v2
	s_delay_alu instid0(VALU_DEP_2) | instskip(SKIP_1) | instid1(VALU_DEP_2)
	v_dual_cndmask_b32 v1, 0, v1, vcc_lo :: v_dual_lshlrev_b32 v3, 2, v3
	v_cndmask_b32_e32 v0, 3, v0, vcc_lo
	v_and_b32_e32 v3, 0xfc, v3
	s_delay_alu instid0(VALU_DEP_2) | instskip(NEXT) | instid1(VALU_DEP_2)
	v_cmp_eq_u64_e32 vcc_lo, 0, v[0:1]
	v_and_or_b32 v0, v0, 3, v3
	s_and_b32 s13, s13, vcc_lo
	s_delay_alu instid0(VALU_DEP_1) | instid1(SALU_CYCLE_1)
	v_cndmask_b32_e64 v0, v0, 0, s13
	s_delay_alu instid0(VALU_DEP_1)
	v_or_b32_e32 v24, v0, v7
.LBB6_5888:                             ;   in Loop: Header=BB6_5830 Depth=4
	s_or_b32 exec_lo, exec_lo, s77
                                        ; implicit-def: $vgpr7
.LBB6_5889:                             ;   in Loop: Header=BB6_5830 Depth=4
	s_and_not1_saveexec_b32 s13, s76
; %bb.5890:                             ;   in Loop: Header=BB6_5830 Depth=4
	v_or_b32_e32 v24, 0x7b, v7
; %bb.5891:                             ;   in Loop: Header=BB6_5830 Depth=4
	s_or_b32 exec_lo, exec_lo, s13
                                        ; implicit-def: $vgpr0
                                        ; implicit-def: $vgpr1
.LBB6_5892:                             ;   in Loop: Header=BB6_5830 Depth=4
	s_and_not1_saveexec_b32 s13, s75
	s_cbranch_execz .LBB6_5898
; %bb.5893:                             ;   in Loop: Header=BB6_5830 Depth=4
	s_mov_b32 s75, exec_lo
                                        ; implicit-def: $vgpr24
	v_cmpx_ne_u64_e32 0, v[112:113]
	s_xor_b32 s75, exec_lo, s75
; %bb.5894:                             ;   in Loop: Header=BB6_5830 Depth=4
	v_or_b32_e32 v24, 0x7f, v1
                                        ; implicit-def: $vgpr0
; %bb.5895:                             ;   in Loop: Header=BB6_5830 Depth=4
	s_and_not1_saveexec_b32 s75, s75
; %bb.5896:                             ;   in Loop: Header=BB6_5830 Depth=4
	v_cmp_lt_i32_e32 vcc_lo, -1, v0
	v_mov_b32_e32 v0, 0x7c
	s_delay_alu instid0(VALU_DEP_1)
	v_cndmask_b32_e32 v24, 0xfc, v0, vcc_lo
; %bb.5897:                             ;   in Loop: Header=BB6_5830 Depth=4
	s_or_b32 exec_lo, exec_lo, s75
.LBB6_5898:                             ;   in Loop: Header=BB6_5830 Depth=4
	s_delay_alu instid0(SALU_CYCLE_1) | instskip(SKIP_2) | instid1(VALU_DEP_1)
	s_or_b32 exec_lo, exec_lo, s13
	v_dual_mov_b32 v1, 0 :: v_dual_lshrrev_b32 v0, 16, v8
	s_mov_b32 s13, exec_lo
	v_and_b32_e32 v2, 0xff, v0
	s_delay_alu instid0(VALU_DEP_1)
	v_cmpx_ne_u16_e32 0, v2
	s_cbranch_execz .LBB6_5908
; %bb.5899:                             ;   in Loop: Header=BB6_5830 Depth=4
	v_bfrev_b32_e32 v1, 1
	s_mov_b32 s75, exec_lo
	v_cmpx_ne_u16_e32 0x80, v2
	s_cbranch_execz .LBB6_5907
; %bb.5900:                             ;   in Loop: Header=BB6_5830 Depth=4
	v_and_b32_e32 v1, 0x7c0000, v8
	v_bfe_u32 v2, v8, 16, 2
	s_delay_alu instid0(VALU_DEP_2) | instskip(SKIP_1) | instid1(SALU_CYCLE_1)
	v_cmp_ne_u32_e32 vcc_lo, 0x7c0000, v1
                                        ; implicit-def: $vgpr1
	s_and_saveexec_b32 s76, vcc_lo
	s_xor_b32 s76, exec_lo, s76
	s_cbranch_execz .LBB6_5904
; %bb.5901:                             ;   in Loop: Header=BB6_5830 Depth=4
	v_bfe_u32 v1, v8, 18, 5
	s_mov_b32 s77, exec_lo
	s_delay_alu instid0(VALU_DEP_1)
	v_cmpx_eq_u32_e32 0, v1
; %bb.5902:                             ;   in Loop: Header=BB6_5830 Depth=4
	v_clz_i32_u32_e32 v1, v2
	s_delay_alu instid0(VALU_DEP_1) | instskip(NEXT) | instid1(VALU_DEP_1)
	v_min_u32_e32 v1, 32, v1
	v_subrev_nc_u32_e32 v2, 29, v1
	s_delay_alu instid0(VALU_DEP_1) | instskip(NEXT) | instid1(VALU_DEP_1)
	v_lshlrev_b64_e32 v[2:3], v2, v[0:1]
	v_dual_sub_nc_u32 v1, 30, v1 :: v_dual_bitop2_b32 v2, 3, v2 bitop3:0x40
; %bb.5903:                             ;   in Loop: Header=BB6_5830 Depth=4
	s_or_b32 exec_lo, exec_lo, s77
	v_lshlrev_b32_e32 v0, 24, v0
	s_delay_alu instid0(VALU_DEP_1) | instskip(NEXT) | instid1(VALU_DEP_1)
	v_and_b32_e32 v0, 0x80000000, v0
	v_lshl_add_u32 v0, v1, 23, v0
	s_delay_alu instid0(VALU_DEP_1) | instskip(NEXT) | instid1(VALU_DEP_1)
	v_lshl_or_b32 v0, v2, 21, v0
                                        ; implicit-def: $vgpr2
	v_add_nc_u32_e32 v1, 0x38000000, v0
                                        ; implicit-def: $vgpr0
.LBB6_5904:                             ;   in Loop: Header=BB6_5830 Depth=4
	s_and_not1_saveexec_b32 s76, s76
; %bb.5905:                             ;   in Loop: Header=BB6_5830 Depth=4
	v_bfe_i32 v0, v0, 0, 8
	s_delay_alu instid0(VALU_DEP_1) | instskip(SKIP_1) | instid1(VALU_DEP_1)
	v_cmp_lt_i16_e32 vcc_lo, -1, v0
	v_mov_b32_e32 v0, 0x7f800000
	v_cndmask_b32_e32 v0, 0xff800000, v0, vcc_lo
	v_cmp_eq_u32_e32 vcc_lo, 0, v2
	s_delay_alu instid0(VALU_DEP_2)
	v_cndmask_b32_e32 v1, 0x7f800001, v0, vcc_lo
; %bb.5906:                             ;   in Loop: Header=BB6_5830 Depth=4
	s_or_b32 exec_lo, exec_lo, s76
.LBB6_5907:                             ;   in Loop: Header=BB6_5830 Depth=4
	s_delay_alu instid0(SALU_CYCLE_1)
	s_or_b32 exec_lo, exec_lo, s75
.LBB6_5908:                             ;   in Loop: Header=BB6_5830 Depth=4
	s_delay_alu instid0(SALU_CYCLE_1) | instskip(NEXT) | instid1(VALU_DEP_1)
	s_or_b32 exec_lo, exec_lo, s13
	v_dual_mul_f32 v0, s74, v1 :: v_dual_mov_b32 v3, v113
                                        ; implicit-def: $vgpr27
	s_mov_b32 s13, exec_lo
	s_delay_alu instid0(VALU_DEP_1) | instskip(SKIP_2) | instid1(VALU_DEP_3)
	v_and_b32_e32 v2, 0x7f800000, v0
	v_and_b32_e32 v112, 0x7fffff, v0
	v_lshrrev_b32_e32 v1, 24, v0
	v_cmpx_ne_u64_e32 0x7f800000, v[2:3]
	s_xor_b32 s75, exec_lo, s13
	s_cbranch_execz .LBB6_5922
; %bb.5909:                             ;   in Loop: Header=BB6_5830 Depth=4
	v_and_b32_e32 v2, 0x7fffffff, v0
	v_mov_b32_e32 v3, v113
	v_and_b32_e32 v7, 0x80, v1
                                        ; implicit-def: $vgpr27
	s_mov_b32 s13, exec_lo
	s_delay_alu instid0(VALU_DEP_2)
	v_cmpx_gt_u64_e32 0x47600001, v[2:3]
	s_xor_b32 s76, exec_lo, s13
	s_cbranch_execz .LBB6_5919
; %bb.5910:                             ;   in Loop: Header=BB6_5830 Depth=4
	v_mov_b32_e32 v27, 0
	s_mov_b32 s77, exec_lo
	v_cmpx_ne_u32_e32 0, v0
	s_cbranch_execz .LBB6_5918
; %bb.5911:                             ;   in Loop: Header=BB6_5830 Depth=4
	v_bfe_u32 v12, v0, 23, 8
	v_or_b32_e32 v2, 0x800000, v112
	s_mov_b32 s78, exec_lo
	s_delay_alu instid0(VALU_DEP_2) | instskip(SKIP_1) | instid1(VALU_DEP_2)
	v_dual_mov_b32 v3, v113 :: v_dual_sub_nc_u32 v0, 0x71, v12
	v_cmp_gt_u32_e32 vcc_lo, 0x72, v12
	v_cndmask_b32_e32 v0, 0, v0, vcc_lo
	v_cmp_eq_u32_e32 vcc_lo, 0, v12
	s_delay_alu instid0(VALU_DEP_2) | instskip(NEXT) | instid1(VALU_DEP_1)
	v_cndmask_b32_e64 v13, v0, 0x70, vcc_lo
	v_dual_cndmask_b32 v2, v2, v112, vcc_lo :: v_dual_add_nc_u32 v0, 21, v13
	v_add_nc_u32_e32 v14, 20, v13
	s_delay_alu instid0(VALU_DEP_2) | instskip(NEXT) | instid1(VALU_DEP_2)
	v_lshlrev_b64_e64 v[0:1], v0, -1
	v_lshlrev_b64_e64 v[14:15], v14, 1
	s_delay_alu instid0(VALU_DEP_2) | instskip(NEXT) | instid1(VALU_DEP_3)
	v_bfi_b32 v17, v1, 0, 0
	v_bfi_b32 v16, v0, 0, v2
	v_lshrrev_b64 v[0:1], v13, v[2:3]
	s_delay_alu instid0(VALU_DEP_1) | instskip(NEXT) | instid1(VALU_DEP_3)
	v_mov_b64_e32 v[2:3], v[0:1]
	v_cmpx_eq_u64_e64 v[16:17], v[14:15]
; %bb.5912:                             ;   in Loop: Header=BB6_5830 Depth=4
	v_bfe_u32 v2, v0, 21, 1
	v_mov_b32_e32 v3, v113
	s_delay_alu instid0(VALU_DEP_1) | instskip(NEXT) | instid1(VALU_DEP_1)
	v_add_nc_u64_e32 v[2:3], v[0:1], v[2:3]
	v_add_nc_u64_e32 v[2:3], -1, v[2:3]
; %bb.5913:                             ;   in Loop: Header=BB6_5830 Depth=4
	s_or_b32 exec_lo, exec_lo, s78
	v_add_nc_u32_e32 v1, 0xffffff81, v12
	v_lshrrev_b32_e32 v3, 23, v0
	s_mov_b32 s13, exec_lo
	s_delay_alu instid0(VALU_DEP_2) | instskip(NEXT) | instid1(VALU_DEP_1)
	v_cndmask_b32_e64 v1, v1, 0xffffff82, vcc_lo
	v_add3_u32 v3, v13, v1, v3
	v_and_b32_e32 v1, 0x1fffff, v2
                                        ; implicit-def: $vgpr2
	s_delay_alu instid0(VALU_DEP_1) | instskip(NEXT) | instid1(VALU_DEP_1)
	v_dual_add_nc_u32 v12, 14, v3 :: v_dual_add_nc_u32 v112, v1, v0
                                        ; implicit-def: $vgpr0_vgpr1
	v_cmpx_ne_u32_e32 0, v12
	s_xor_b32 s13, exec_lo, s13
; %bb.5914:                             ;   in Loop: Header=BB6_5830 Depth=4
	s_delay_alu instid0(VALU_DEP_2) | instskip(SKIP_1) | instid1(VALU_DEP_1)
	v_cmp_lt_u64_e32 vcc_lo, 0xffffff, v[112:113]
	v_add_nc_u32_e32 v0, 15, v3
	v_cndmask_b32_e32 v2, v12, v0, vcc_lo
	v_cndmask_b32_e64 v0, 0, 1, vcc_lo
	s_delay_alu instid0(VALU_DEP_1)
	v_lshrrev_b64 v[0:1], v0, v[112:113]
; %bb.5915:                             ;   in Loop: Header=BB6_5830 Depth=4
	s_and_not1_saveexec_b32 s13, s13
; %bb.5916:                             ;   in Loop: Header=BB6_5830 Depth=4
	v_mov_b64_e32 v[0:1], v[112:113]
	v_bfe_u32 v2, v112, 23, 1
; %bb.5917:                             ;   in Loop: Header=BB6_5830 Depth=4
	s_or_b32 exec_lo, exec_lo, s13
	s_delay_alu instid0(VALU_DEP_2) | instskip(NEXT) | instid1(VALU_DEP_2)
	v_lshrrev_b64 v[0:1], 21, v[0:1]
	v_cmp_gt_i32_e32 vcc_lo, 32, v2
	v_min_i32_e32 v3, 31, v2
	v_cmp_eq_u32_e64 s13, 0, v2
	s_delay_alu instid0(VALU_DEP_2) | instskip(SKIP_1) | instid1(VALU_DEP_2)
	v_dual_cndmask_b32 v1, 0, v1, vcc_lo :: v_dual_lshlrev_b32 v3, 2, v3
	v_cndmask_b32_e32 v0, 3, v0, vcc_lo
	v_and_b32_e32 v3, 0xfc, v3
	s_delay_alu instid0(VALU_DEP_2) | instskip(NEXT) | instid1(VALU_DEP_2)
	v_cmp_eq_u64_e32 vcc_lo, 0, v[0:1]
	v_and_or_b32 v0, v0, 3, v3
	s_and_b32 s13, s13, vcc_lo
	s_delay_alu instid0(VALU_DEP_1) | instid1(SALU_CYCLE_1)
	v_cndmask_b32_e64 v0, v0, 0, s13
	s_delay_alu instid0(VALU_DEP_1)
	v_or_b32_e32 v27, v0, v7
.LBB6_5918:                             ;   in Loop: Header=BB6_5830 Depth=4
	s_or_b32 exec_lo, exec_lo, s77
                                        ; implicit-def: $vgpr7
.LBB6_5919:                             ;   in Loop: Header=BB6_5830 Depth=4
	s_and_not1_saveexec_b32 s13, s76
; %bb.5920:                             ;   in Loop: Header=BB6_5830 Depth=4
	v_or_b32_e32 v27, 0x7b, v7
; %bb.5921:                             ;   in Loop: Header=BB6_5830 Depth=4
	s_or_b32 exec_lo, exec_lo, s13
                                        ; implicit-def: $vgpr0
                                        ; implicit-def: $vgpr1
.LBB6_5922:                             ;   in Loop: Header=BB6_5830 Depth=4
	s_and_not1_saveexec_b32 s13, s75
	s_cbranch_execz .LBB6_5928
; %bb.5923:                             ;   in Loop: Header=BB6_5830 Depth=4
	s_mov_b32 s75, exec_lo
                                        ; implicit-def: $vgpr27
	v_cmpx_ne_u64_e32 0, v[112:113]
	s_xor_b32 s75, exec_lo, s75
; %bb.5924:                             ;   in Loop: Header=BB6_5830 Depth=4
	v_or_b32_e32 v27, 0x7f, v1
                                        ; implicit-def: $vgpr0
; %bb.5925:                             ;   in Loop: Header=BB6_5830 Depth=4
	s_and_not1_saveexec_b32 s75, s75
; %bb.5926:                             ;   in Loop: Header=BB6_5830 Depth=4
	v_cmp_lt_i32_e32 vcc_lo, -1, v0
	v_mov_b32_e32 v0, 0x7c
	s_delay_alu instid0(VALU_DEP_1)
	v_cndmask_b32_e32 v27, 0xfc, v0, vcc_lo
; %bb.5927:                             ;   in Loop: Header=BB6_5830 Depth=4
	s_or_b32 exec_lo, exec_lo, s75
.LBB6_5928:                             ;   in Loop: Header=BB6_5830 Depth=4
	s_delay_alu instid0(SALU_CYCLE_1)
	s_or_b32 exec_lo, exec_lo, s13
	v_mov_b32_e32 v1, 0
	s_mov_b32 s13, exec_lo
	v_cmpx_lt_u32_e32 0xffffff, v8
	s_cbranch_execz .LBB6_5938
; %bb.5929:                             ;   in Loop: Header=BB6_5830 Depth=4
	v_lshrrev_b32_e32 v0, 24, v8
	v_bfrev_b32_e32 v1, 1
	s_mov_b32 s75, exec_lo
	s_delay_alu instid0(VALU_DEP_2)
	v_cmpx_ne_u32_e32 0x80, v0
	s_cbranch_execz .LBB6_5937
; %bb.5930:                             ;   in Loop: Header=BB6_5830 Depth=4
	v_and_b32_e32 v1, 0x7c000000, v8
	v_bfe_u32 v2, v8, 24, 2
	s_delay_alu instid0(VALU_DEP_2) | instskip(SKIP_1) | instid1(SALU_CYCLE_1)
	v_cmp_ne_u32_e32 vcc_lo, 0x7c000000, v1
                                        ; implicit-def: $vgpr1
	s_and_saveexec_b32 s76, vcc_lo
	s_xor_b32 s76, exec_lo, s76
	s_cbranch_execz .LBB6_5934
; %bb.5931:                             ;   in Loop: Header=BB6_5830 Depth=4
	v_bfe_u32 v1, v8, 26, 5
	s_mov_b32 s77, exec_lo
	s_delay_alu instid0(VALU_DEP_1)
	v_cmpx_eq_u32_e32 0, v1
; %bb.5932:                             ;   in Loop: Header=BB6_5830 Depth=4
	v_clz_i32_u32_e32 v1, v2
	s_delay_alu instid0(VALU_DEP_1) | instskip(NEXT) | instid1(VALU_DEP_1)
	v_min_u32_e32 v2, 32, v1
	v_subrev_nc_u32_e32 v1, 29, v2
	s_delay_alu instid0(VALU_DEP_1) | instskip(NEXT) | instid1(VALU_DEP_1)
	v_lshlrev_b64_e32 v[0:1], v1, v[0:1]
	v_dual_sub_nc_u32 v1, 30, v2 :: v_dual_bitop2_b32 v2, 3, v0 bitop3:0x40
; %bb.5933:                             ;   in Loop: Header=BB6_5830 Depth=4
	s_or_b32 exec_lo, exec_lo, s77
	v_and_b32_e32 v0, 0x80000000, v8
	s_delay_alu instid0(VALU_DEP_1) | instskip(NEXT) | instid1(VALU_DEP_1)
	v_lshl_add_u32 v0, v1, 23, v0
	v_lshl_or_b32 v0, v2, 21, v0
                                        ; implicit-def: $vgpr2
	s_delay_alu instid0(VALU_DEP_1)
	v_add_nc_u32_e32 v1, 0x38000000, v0
.LBB6_5934:                             ;   in Loop: Header=BB6_5830 Depth=4
	s_and_not1_saveexec_b32 s76, s76
; %bb.5935:                             ;   in Loop: Header=BB6_5830 Depth=4
	v_cmp_lt_i32_e32 vcc_lo, -1, v8
	v_mov_b32_e32 v0, 0x7f800000
	s_delay_alu instid0(VALU_DEP_1) | instskip(SKIP_1) | instid1(VALU_DEP_2)
	v_cndmask_b32_e32 v0, 0xff800000, v0, vcc_lo
	v_cmp_eq_u32_e32 vcc_lo, 0, v2
	v_cndmask_b32_e32 v1, 0x7f800001, v0, vcc_lo
; %bb.5936:                             ;   in Loop: Header=BB6_5830 Depth=4
	s_or_b32 exec_lo, exec_lo, s76
.LBB6_5937:                             ;   in Loop: Header=BB6_5830 Depth=4
	s_delay_alu instid0(SALU_CYCLE_1)
	s_or_b32 exec_lo, exec_lo, s75
.LBB6_5938:                             ;   in Loop: Header=BB6_5830 Depth=4
	s_delay_alu instid0(SALU_CYCLE_1) | instskip(NEXT) | instid1(VALU_DEP_1)
	s_or_b32 exec_lo, exec_lo, s13
	v_dual_mul_f32 v0, s74, v1 :: v_dual_mov_b32 v3, v113
                                        ; implicit-def: $vgpr32
	s_mov_b32 s13, exec_lo
	s_delay_alu instid0(VALU_DEP_1) | instskip(SKIP_2) | instid1(VALU_DEP_3)
	v_and_b32_e32 v2, 0x7f800000, v0
	v_and_b32_e32 v112, 0x7fffff, v0
	v_lshrrev_b32_e32 v1, 24, v0
	v_cmpx_ne_u64_e32 0x7f800000, v[2:3]
	s_xor_b32 s75, exec_lo, s13
	s_cbranch_execz .LBB6_5952
; %bb.5939:                             ;   in Loop: Header=BB6_5830 Depth=4
	v_and_b32_e32 v2, 0x7fffffff, v0
	v_mov_b32_e32 v3, v113
	v_and_b32_e32 v7, 0x80, v1
                                        ; implicit-def: $vgpr32
	s_mov_b32 s13, exec_lo
	s_delay_alu instid0(VALU_DEP_2)
	v_cmpx_gt_u64_e32 0x47600001, v[2:3]
	s_xor_b32 s76, exec_lo, s13
	s_cbranch_execz .LBB6_5949
; %bb.5940:                             ;   in Loop: Header=BB6_5830 Depth=4
	v_mov_b32_e32 v32, 0
	s_mov_b32 s77, exec_lo
	v_cmpx_ne_u32_e32 0, v0
	s_cbranch_execz .LBB6_5948
; %bb.5941:                             ;   in Loop: Header=BB6_5830 Depth=4
	v_bfe_u32 v12, v0, 23, 8
	v_or_b32_e32 v2, 0x800000, v112
	s_mov_b32 s78, exec_lo
	s_delay_alu instid0(VALU_DEP_2) | instskip(SKIP_1) | instid1(VALU_DEP_2)
	v_dual_mov_b32 v3, v113 :: v_dual_sub_nc_u32 v0, 0x71, v12
	v_cmp_gt_u32_e32 vcc_lo, 0x72, v12
	v_cndmask_b32_e32 v0, 0, v0, vcc_lo
	v_cmp_eq_u32_e32 vcc_lo, 0, v12
	s_delay_alu instid0(VALU_DEP_2) | instskip(NEXT) | instid1(VALU_DEP_1)
	v_cndmask_b32_e64 v13, v0, 0x70, vcc_lo
	v_dual_cndmask_b32 v2, v2, v112, vcc_lo :: v_dual_add_nc_u32 v0, 21, v13
	v_add_nc_u32_e32 v14, 20, v13
	s_delay_alu instid0(VALU_DEP_2) | instskip(NEXT) | instid1(VALU_DEP_2)
	v_lshlrev_b64_e64 v[0:1], v0, -1
	v_lshlrev_b64_e64 v[14:15], v14, 1
	s_delay_alu instid0(VALU_DEP_2) | instskip(NEXT) | instid1(VALU_DEP_3)
	v_bfi_b32 v17, v1, 0, 0
	v_bfi_b32 v16, v0, 0, v2
	v_lshrrev_b64 v[0:1], v13, v[2:3]
	s_delay_alu instid0(VALU_DEP_1) | instskip(NEXT) | instid1(VALU_DEP_3)
	v_mov_b64_e32 v[2:3], v[0:1]
	v_cmpx_eq_u64_e64 v[16:17], v[14:15]
; %bb.5942:                             ;   in Loop: Header=BB6_5830 Depth=4
	v_bfe_u32 v2, v0, 21, 1
	v_mov_b32_e32 v3, v113
	s_delay_alu instid0(VALU_DEP_1) | instskip(NEXT) | instid1(VALU_DEP_1)
	v_add_nc_u64_e32 v[2:3], v[0:1], v[2:3]
	v_add_nc_u64_e32 v[2:3], -1, v[2:3]
; %bb.5943:                             ;   in Loop: Header=BB6_5830 Depth=4
	s_or_b32 exec_lo, exec_lo, s78
	v_add_nc_u32_e32 v1, 0xffffff81, v12
	v_lshrrev_b32_e32 v3, 23, v0
	s_mov_b32 s13, exec_lo
	s_delay_alu instid0(VALU_DEP_2) | instskip(NEXT) | instid1(VALU_DEP_1)
	v_cndmask_b32_e64 v1, v1, 0xffffff82, vcc_lo
	v_add3_u32 v3, v13, v1, v3
	v_and_b32_e32 v1, 0x1fffff, v2
                                        ; implicit-def: $vgpr2
	s_delay_alu instid0(VALU_DEP_1) | instskip(NEXT) | instid1(VALU_DEP_1)
	v_dual_add_nc_u32 v12, 14, v3 :: v_dual_add_nc_u32 v112, v1, v0
                                        ; implicit-def: $vgpr0_vgpr1
	v_cmpx_ne_u32_e32 0, v12
	s_xor_b32 s13, exec_lo, s13
; %bb.5944:                             ;   in Loop: Header=BB6_5830 Depth=4
	s_delay_alu instid0(VALU_DEP_2) | instskip(SKIP_1) | instid1(VALU_DEP_1)
	v_cmp_lt_u64_e32 vcc_lo, 0xffffff, v[112:113]
	v_add_nc_u32_e32 v0, 15, v3
	v_cndmask_b32_e32 v2, v12, v0, vcc_lo
	v_cndmask_b32_e64 v0, 0, 1, vcc_lo
	s_delay_alu instid0(VALU_DEP_1)
	v_lshrrev_b64 v[0:1], v0, v[112:113]
; %bb.5945:                             ;   in Loop: Header=BB6_5830 Depth=4
	s_and_not1_saveexec_b32 s13, s13
; %bb.5946:                             ;   in Loop: Header=BB6_5830 Depth=4
	v_mov_b64_e32 v[0:1], v[112:113]
	v_bfe_u32 v2, v112, 23, 1
; %bb.5947:                             ;   in Loop: Header=BB6_5830 Depth=4
	s_or_b32 exec_lo, exec_lo, s13
	s_delay_alu instid0(VALU_DEP_2) | instskip(NEXT) | instid1(VALU_DEP_2)
	v_lshrrev_b64 v[0:1], 21, v[0:1]
	v_cmp_gt_i32_e32 vcc_lo, 32, v2
	v_min_i32_e32 v3, 31, v2
	v_cmp_eq_u32_e64 s13, 0, v2
	s_delay_alu instid0(VALU_DEP_2) | instskip(SKIP_1) | instid1(VALU_DEP_2)
	v_dual_cndmask_b32 v1, 0, v1, vcc_lo :: v_dual_lshlrev_b32 v3, 2, v3
	v_cndmask_b32_e32 v0, 3, v0, vcc_lo
	v_and_b32_e32 v3, 0xfc, v3
	s_delay_alu instid0(VALU_DEP_2) | instskip(NEXT) | instid1(VALU_DEP_2)
	v_cmp_eq_u64_e32 vcc_lo, 0, v[0:1]
	v_and_or_b32 v0, v0, 3, v3
	s_and_b32 s13, s13, vcc_lo
	s_delay_alu instid0(VALU_DEP_1) | instid1(SALU_CYCLE_1)
	v_cndmask_b32_e64 v0, v0, 0, s13
	s_delay_alu instid0(VALU_DEP_1)
	v_or_b32_e32 v32, v0, v7
.LBB6_5948:                             ;   in Loop: Header=BB6_5830 Depth=4
	s_or_b32 exec_lo, exec_lo, s77
                                        ; implicit-def: $vgpr7
.LBB6_5949:                             ;   in Loop: Header=BB6_5830 Depth=4
	s_and_not1_saveexec_b32 s13, s76
; %bb.5950:                             ;   in Loop: Header=BB6_5830 Depth=4
	v_or_b32_e32 v32, 0x7b, v7
; %bb.5951:                             ;   in Loop: Header=BB6_5830 Depth=4
	s_or_b32 exec_lo, exec_lo, s13
                                        ; implicit-def: $vgpr0
                                        ; implicit-def: $vgpr1
.LBB6_5952:                             ;   in Loop: Header=BB6_5830 Depth=4
	s_and_not1_saveexec_b32 s13, s75
	s_cbranch_execz .LBB6_5958
; %bb.5953:                             ;   in Loop: Header=BB6_5830 Depth=4
	s_mov_b32 s75, exec_lo
                                        ; implicit-def: $vgpr32
	v_cmpx_ne_u64_e32 0, v[112:113]
	s_xor_b32 s75, exec_lo, s75
; %bb.5954:                             ;   in Loop: Header=BB6_5830 Depth=4
	v_or_b32_e32 v32, 0x7f, v1
                                        ; implicit-def: $vgpr0
; %bb.5955:                             ;   in Loop: Header=BB6_5830 Depth=4
	s_and_not1_saveexec_b32 s75, s75
; %bb.5956:                             ;   in Loop: Header=BB6_5830 Depth=4
	v_cmp_lt_i32_e32 vcc_lo, -1, v0
	v_mov_b32_e32 v0, 0x7c
	s_delay_alu instid0(VALU_DEP_1)
	v_cndmask_b32_e32 v32, 0xfc, v0, vcc_lo
; %bb.5957:                             ;   in Loop: Header=BB6_5830 Depth=4
	s_or_b32 exec_lo, exec_lo, s75
.LBB6_5958:                             ;   in Loop: Header=BB6_5830 Depth=4
	s_delay_alu instid0(SALU_CYCLE_1) | instskip(SKIP_3) | instid1(VALU_DEP_2)
	s_or_b32 exec_lo, exec_lo, s13
	v_and_b32_e32 v1, 0xff, v9
	v_dual_mov_b32 v112, v9 :: v_dual_mov_b32 v0, 0
	s_mov_b32 s13, exec_lo
	v_cmpx_ne_u16_e32 0, v1
	s_cbranch_execz .LBB6_5968
; %bb.5959:                             ;   in Loop: Header=BB6_5830 Depth=4
	v_bfrev_b32_e32 v0, 1
	s_mov_b32 s75, exec_lo
	v_cmpx_ne_u16_e32 0x80, v1
	s_cbranch_execz .LBB6_5967
; %bb.5960:                             ;   in Loop: Header=BB6_5830 Depth=4
	v_and_b32_e32 v0, 0x7c, v9
	v_and_b32_e32 v1, 3, v9
	s_delay_alu instid0(VALU_DEP_2) | instskip(SKIP_1) | instid1(SALU_CYCLE_1)
	v_cmp_ne_u32_e32 vcc_lo, 0x7c, v0
                                        ; implicit-def: $vgpr0
	s_and_saveexec_b32 s76, vcc_lo
	s_xor_b32 s76, exec_lo, s76
	s_cbranch_execz .LBB6_5964
; %bb.5961:                             ;   in Loop: Header=BB6_5830 Depth=4
	v_bfe_u32 v0, v9, 2, 5
	s_mov_b32 s77, exec_lo
	s_delay_alu instid0(VALU_DEP_1)
	v_cmpx_eq_u32_e32 0, v0
; %bb.5962:                             ;   in Loop: Header=BB6_5830 Depth=4
	v_clz_i32_u32_e32 v0, v1
	s_delay_alu instid0(VALU_DEP_1) | instskip(NEXT) | instid1(VALU_DEP_1)
	v_min_u32_e32 v0, 32, v0
	v_subrev_nc_u32_e32 v1, 29, v0
	s_delay_alu instid0(VALU_DEP_1) | instskip(NEXT) | instid1(VALU_DEP_1)
	v_lshlrev_b64_e32 v[2:3], v1, v[112:113]
	v_dual_sub_nc_u32 v0, 30, v0 :: v_dual_bitop2_b32 v1, 3, v2 bitop3:0x40
; %bb.5963:                             ;   in Loop: Header=BB6_5830 Depth=4
	s_or_b32 exec_lo, exec_lo, s77
	v_lshlrev_b32_e32 v2, 24, v9
	s_delay_alu instid0(VALU_DEP_1) | instskip(NEXT) | instid1(VALU_DEP_1)
	v_and_b32_e32 v2, 0x80000000, v2
	v_lshl_add_u32 v0, v0, 23, v2
	s_delay_alu instid0(VALU_DEP_1) | instskip(NEXT) | instid1(VALU_DEP_1)
	v_lshl_or_b32 v0, v1, 21, v0
                                        ; implicit-def: $vgpr1
	v_add_nc_u32_e32 v0, 0x38000000, v0
.LBB6_5964:                             ;   in Loop: Header=BB6_5830 Depth=4
	s_and_not1_saveexec_b32 s76, s76
; %bb.5965:                             ;   in Loop: Header=BB6_5830 Depth=4
	v_bfe_i32 v0, v9, 0, 8
	s_delay_alu instid0(VALU_DEP_1) | instskip(SKIP_1) | instid1(VALU_DEP_1)
	v_cmp_lt_i16_e32 vcc_lo, -1, v0
	v_mov_b32_e32 v0, 0x7f800000
	v_cndmask_b32_e32 v0, 0xff800000, v0, vcc_lo
	v_cmp_eq_u32_e32 vcc_lo, 0, v1
	s_delay_alu instid0(VALU_DEP_2)
	v_cndmask_b32_e32 v0, 0x7f800001, v0, vcc_lo
; %bb.5966:                             ;   in Loop: Header=BB6_5830 Depth=4
	s_or_b32 exec_lo, exec_lo, s76
.LBB6_5967:                             ;   in Loop: Header=BB6_5830 Depth=4
	s_delay_alu instid0(SALU_CYCLE_1)
	s_or_b32 exec_lo, exec_lo, s75
.LBB6_5968:                             ;   in Loop: Header=BB6_5830 Depth=4
	s_delay_alu instid0(SALU_CYCLE_1) | instskip(NEXT) | instid1(VALU_DEP_1)
	s_or_b32 exec_lo, exec_lo, s13
	v_dual_mul_f32 v2, s74, v0 :: v_dual_mov_b32 v13, v113
	v_mov_b32_e32 v1, v113
                                        ; implicit-def: $vgpr48
	s_mov_b32 s13, exec_lo
	s_delay_alu instid0(VALU_DEP_2) | instskip(SKIP_2) | instid1(VALU_DEP_3)
	v_and_b32_e32 v12, 0x7f800000, v2
	v_and_b32_e32 v0, 0x7fffff, v2
	v_lshrrev_b32_e32 v3, 24, v2
	v_cmpx_ne_u64_e32 0x7f800000, v[12:13]
	s_xor_b32 s75, exec_lo, s13
	s_cbranch_execz .LBB6_5982
; %bb.5969:                             ;   in Loop: Header=BB6_5830 Depth=4
	v_and_b32_e32 v12, 0x7fffffff, v2
	v_mov_b32_e32 v13, v113
	v_and_b32_e32 v7, 0x80, v3
                                        ; implicit-def: $vgpr48
	s_mov_b32 s13, exec_lo
	s_delay_alu instid0(VALU_DEP_2)
	v_cmpx_gt_u64_e32 0x47600001, v[12:13]
	s_xor_b32 s76, exec_lo, s13
	s_cbranch_execz .LBB6_5979
; %bb.5970:                             ;   in Loop: Header=BB6_5830 Depth=4
	v_mov_b32_e32 v48, 0
	s_mov_b32 s77, exec_lo
	v_cmpx_ne_u32_e32 0, v2
	s_cbranch_execz .LBB6_5978
; %bb.5971:                             ;   in Loop: Header=BB6_5830 Depth=4
	v_bfe_u32 v12, v2, 23, 8
	v_or_b32_e32 v14, 0x800000, v0
	s_delay_alu instid0(VALU_DEP_2) | instskip(SKIP_1) | instid1(VALU_DEP_2)
	v_sub_nc_u32_e32 v2, 0x71, v12
	v_cmp_gt_u32_e32 vcc_lo, 0x72, v12
	v_cndmask_b32_e32 v2, 0, v2, vcc_lo
	v_cmp_eq_u32_e32 vcc_lo, 0, v12
	s_delay_alu instid0(VALU_DEP_2) | instskip(NEXT) | instid1(VALU_DEP_1)
	v_cndmask_b32_e64 v13, v2, 0x70, vcc_lo
	v_dual_cndmask_b32 v0, v14, v0, vcc_lo :: v_dual_add_nc_u32 v2, 21, v13
	v_add_nc_u32_e32 v15, 20, v13
	s_delay_alu instid0(VALU_DEP_2) | instskip(NEXT) | instid1(VALU_DEP_2)
	v_lshlrev_b64_e64 v[2:3], v2, -1
	v_lshlrev_b64_e64 v[14:15], v15, 1
	s_delay_alu instid0(VALU_DEP_2) | instskip(SKIP_1) | instid1(VALU_DEP_4)
	v_bfi_b32 v2, v2, 0, v0
	v_lshrrev_b64 v[0:1], v13, v[0:1]
	v_bfi_b32 v3, v3, 0, 0
	s_delay_alu instid0(VALU_DEP_1) | instskip(NEXT) | instid1(VALU_DEP_3)
	v_cmp_eq_u64_e64 s13, v[2:3], v[14:15]
	v_mov_b64_e32 v[2:3], v[0:1]
	s_and_saveexec_b32 s78, s13
; %bb.5972:                             ;   in Loop: Header=BB6_5830 Depth=4
	v_bfe_u32 v2, v0, 21, 1
	v_mov_b32_e32 v3, v113
	s_delay_alu instid0(VALU_DEP_1) | instskip(NEXT) | instid1(VALU_DEP_1)
	v_add_nc_u64_e32 v[2:3], v[0:1], v[2:3]
	v_add_nc_u64_e32 v[2:3], -1, v[2:3]
; %bb.5973:                             ;   in Loop: Header=BB6_5830 Depth=4
	s_or_b32 exec_lo, exec_lo, s78
	v_add_nc_u32_e32 v1, 0xffffff81, v12
	v_lshrrev_b32_e32 v3, 23, v0
	s_mov_b32 s13, exec_lo
	s_delay_alu instid0(VALU_DEP_2) | instskip(NEXT) | instid1(VALU_DEP_1)
	v_cndmask_b32_e64 v1, v1, 0xffffff82, vcc_lo
	v_add3_u32 v3, v13, v1, v3
	v_and_b32_e32 v1, 0x1fffff, v2
                                        ; implicit-def: $vgpr2
	s_delay_alu instid0(VALU_DEP_1) | instskip(SKIP_1) | instid1(VALU_DEP_2)
	v_dual_add_nc_u32 v12, 14, v3 :: v_dual_add_nc_u32 v0, v1, v0
	v_mov_b32_e32 v1, v113
	v_cmpx_ne_u32_e32 0, v12
	s_xor_b32 s13, exec_lo, s13
; %bb.5974:                             ;   in Loop: Header=BB6_5830 Depth=4
	s_delay_alu instid0(VALU_DEP_2) | instskip(SKIP_2) | instid1(VALU_DEP_2)
	v_cmp_lt_u64_e32 vcc_lo, 0xffffff, v[0:1]
	v_add_nc_u32_e32 v2, 15, v3
	v_cndmask_b32_e64 v3, 0, 1, vcc_lo
	v_cndmask_b32_e32 v2, v12, v2, vcc_lo
	s_delay_alu instid0(VALU_DEP_2)
	v_lshrrev_b64 v[0:1], v3, v[0:1]
; %bb.5975:                             ;   in Loop: Header=BB6_5830 Depth=4
	s_and_not1_saveexec_b32 s13, s13
; %bb.5976:                             ;   in Loop: Header=BB6_5830 Depth=4
	s_delay_alu instid0(VALU_DEP_1)
	v_bfe_u32 v2, v0, 23, 1
; %bb.5977:                             ;   in Loop: Header=BB6_5830 Depth=4
	s_or_b32 exec_lo, exec_lo, s13
	s_delay_alu instid0(VALU_DEP_2) | instskip(NEXT) | instid1(VALU_DEP_2)
	v_lshrrev_b64 v[0:1], 21, v[0:1]
	v_cmp_gt_i32_e32 vcc_lo, 32, v2
	v_min_i32_e32 v3, 31, v2
	v_cmp_eq_u32_e64 s13, 0, v2
	s_delay_alu instid0(VALU_DEP_2) | instskip(SKIP_1) | instid1(VALU_DEP_2)
	v_dual_cndmask_b32 v1, 0, v1, vcc_lo :: v_dual_lshlrev_b32 v3, 2, v3
	v_cndmask_b32_e32 v0, 3, v0, vcc_lo
	v_and_b32_e32 v3, 0xfc, v3
	s_delay_alu instid0(VALU_DEP_2) | instskip(NEXT) | instid1(VALU_DEP_2)
	v_cmp_eq_u64_e32 vcc_lo, 0, v[0:1]
	v_and_or_b32 v0, v0, 3, v3
	s_and_b32 s13, s13, vcc_lo
	s_delay_alu instid0(VALU_DEP_1) | instid1(SALU_CYCLE_1)
	v_cndmask_b32_e64 v0, v0, 0, s13
	s_delay_alu instid0(VALU_DEP_1)
	v_or_b32_e32 v48, v0, v7
.LBB6_5978:                             ;   in Loop: Header=BB6_5830 Depth=4
	s_or_b32 exec_lo, exec_lo, s77
                                        ; implicit-def: $vgpr7
.LBB6_5979:                             ;   in Loop: Header=BB6_5830 Depth=4
	s_and_not1_saveexec_b32 s13, s76
; %bb.5980:                             ;   in Loop: Header=BB6_5830 Depth=4
	v_or_b32_e32 v48, 0x7b, v7
; %bb.5981:                             ;   in Loop: Header=BB6_5830 Depth=4
	s_or_b32 exec_lo, exec_lo, s13
                                        ; implicit-def: $vgpr2
                                        ; implicit-def: $vgpr0_vgpr1
                                        ; implicit-def: $vgpr3
.LBB6_5982:                             ;   in Loop: Header=BB6_5830 Depth=4
	s_and_not1_saveexec_b32 s13, s75
	s_cbranch_execz .LBB6_5988
; %bb.5983:                             ;   in Loop: Header=BB6_5830 Depth=4
	s_mov_b32 s75, exec_lo
                                        ; implicit-def: $vgpr48
	v_cmpx_ne_u64_e32 0, v[0:1]
	s_xor_b32 s75, exec_lo, s75
; %bb.5984:                             ;   in Loop: Header=BB6_5830 Depth=4
	v_or_b32_e32 v48, 0x7f, v3
                                        ; implicit-def: $vgpr2
; %bb.5985:                             ;   in Loop: Header=BB6_5830 Depth=4
	s_and_not1_saveexec_b32 s75, s75
; %bb.5986:                             ;   in Loop: Header=BB6_5830 Depth=4
	v_cmp_lt_i32_e32 vcc_lo, -1, v2
	v_mov_b32_e32 v0, 0x7c
	s_delay_alu instid0(VALU_DEP_1)
	v_cndmask_b32_e32 v48, 0xfc, v0, vcc_lo
; %bb.5987:                             ;   in Loop: Header=BB6_5830 Depth=4
	s_or_b32 exec_lo, exec_lo, s75
.LBB6_5988:                             ;   in Loop: Header=BB6_5830 Depth=4
	s_delay_alu instid0(SALU_CYCLE_1) | instskip(SKIP_3) | instid1(VALU_DEP_2)
	s_or_b32 exec_lo, exec_lo, s13
	v_lshrrev_b16 v0, 8, v112
	v_mov_b32_e32 v2, 0
	s_mov_b32 s13, exec_lo
	v_cmpx_ne_u16_e32 0, v0
	s_cbranch_execz .LBB6_5998
; %bb.5989:                             ;   in Loop: Header=BB6_5830 Depth=4
	v_bfrev_b32_e32 v2, 1
	s_mov_b32 s75, exec_lo
	v_cmpx_ne_u16_e32 0x80, v0
	s_cbranch_execz .LBB6_5997
; %bb.5990:                             ;   in Loop: Header=BB6_5830 Depth=4
	v_and_b32_e32 v3, 0xffff, v0
	s_delay_alu instid0(VALU_DEP_1) | instskip(SKIP_1) | instid1(VALU_DEP_2)
	v_and_b32_e32 v2, 0x7c, v3
	v_and_b32_e32 v1, 3, v3
	v_cmp_ne_u32_e32 vcc_lo, 0x7c, v2
                                        ; implicit-def: $vgpr2
	s_and_saveexec_b32 s76, vcc_lo
	s_delay_alu instid0(SALU_CYCLE_1)
	s_xor_b32 s76, exec_lo, s76
	s_cbranch_execz .LBB6_5994
; %bb.5991:                             ;   in Loop: Header=BB6_5830 Depth=4
	v_bfe_u32 v2, v3, 2, 5
	s_mov_b32 s77, exec_lo
	s_delay_alu instid0(VALU_DEP_1)
	v_cmpx_eq_u32_e32 0, v2
	s_cbranch_execz .LBB6_5993
; %bb.5992:                             ;   in Loop: Header=BB6_5830 Depth=4
	v_clz_i32_u32_e32 v1, v1
	s_delay_alu instid0(VALU_DEP_1) | instskip(SKIP_1) | instid1(VALU_DEP_2)
	v_min_u32_e32 v2, 32, v1
	v_mov_b32_e32 v1, v113
	v_subrev_nc_u32_e32 v3, 29, v2
	v_sub_nc_u32_e32 v2, 30, v2
	s_delay_alu instid0(VALU_DEP_2) | instskip(NEXT) | instid1(VALU_DEP_1)
	v_lshlrev_b64_e32 v[0:1], v3, v[0:1]
	v_and_b32_e32 v1, 3, v0
.LBB6_5993:                             ;   in Loop: Header=BB6_5830 Depth=4
	s_or_b32 exec_lo, exec_lo, s77
	v_lshlrev_b32_e32 v0, 16, v112
	s_delay_alu instid0(VALU_DEP_1) | instskip(NEXT) | instid1(VALU_DEP_1)
	v_and_b32_e32 v0, 0x80000000, v0
	v_lshl_add_u32 v0, v2, 23, v0
	s_delay_alu instid0(VALU_DEP_1) | instskip(NEXT) | instid1(VALU_DEP_1)
	v_lshl_or_b32 v0, v1, 21, v0
                                        ; implicit-def: $vgpr1
	v_add_nc_u32_e32 v2, 0x38000000, v0
.LBB6_5994:                             ;   in Loop: Header=BB6_5830 Depth=4
	s_and_not1_saveexec_b32 s76, s76
; %bb.5995:                             ;   in Loop: Header=BB6_5830 Depth=4
	v_cmp_lt_i16_e32 vcc_lo, -1, v112
	v_mov_b32_e32 v0, 0x7f800000
	s_delay_alu instid0(VALU_DEP_1) | instskip(SKIP_1) | instid1(VALU_DEP_2)
	v_cndmask_b32_e32 v0, 0xff800000, v0, vcc_lo
	v_cmp_eq_u32_e32 vcc_lo, 0, v1
	v_cndmask_b32_e32 v2, 0x7f800001, v0, vcc_lo
; %bb.5996:                             ;   in Loop: Header=BB6_5830 Depth=4
	s_or_b32 exec_lo, exec_lo, s76
.LBB6_5997:                             ;   in Loop: Header=BB6_5830 Depth=4
	s_delay_alu instid0(SALU_CYCLE_1)
	s_or_b32 exec_lo, exec_lo, s75
.LBB6_5998:                             ;   in Loop: Header=BB6_5830 Depth=4
	s_delay_alu instid0(SALU_CYCLE_1) | instskip(NEXT) | instid1(VALU_DEP_1)
	s_or_b32 exec_lo, exec_lo, s13
	v_dual_mul_f32 v0, s74, v2 :: v_dual_mov_b32 v3, v113
                                        ; implicit-def: $vgpr53
	s_mov_b32 s13, exec_lo
	s_delay_alu instid0(VALU_DEP_1) | instskip(SKIP_2) | instid1(VALU_DEP_3)
	v_and_b32_e32 v2, 0x7f800000, v0
	v_and_b32_e32 v112, 0x7fffff, v0
	v_lshrrev_b32_e32 v1, 24, v0
	v_cmpx_ne_u64_e32 0x7f800000, v[2:3]
	s_xor_b32 s75, exec_lo, s13
	s_cbranch_execz .LBB6_6012
; %bb.5999:                             ;   in Loop: Header=BB6_5830 Depth=4
	v_and_b32_e32 v2, 0x7fffffff, v0
	v_mov_b32_e32 v3, v113
	v_and_b32_e32 v7, 0x80, v1
                                        ; implicit-def: $vgpr53
	s_mov_b32 s13, exec_lo
	s_delay_alu instid0(VALU_DEP_2)
	v_cmpx_gt_u64_e32 0x47600001, v[2:3]
	s_xor_b32 s76, exec_lo, s13
	s_cbranch_execz .LBB6_6009
; %bb.6000:                             ;   in Loop: Header=BB6_5830 Depth=4
	v_mov_b32_e32 v53, 0
	s_mov_b32 s77, exec_lo
	v_cmpx_ne_u32_e32 0, v0
	s_cbranch_execz .LBB6_6008
; %bb.6001:                             ;   in Loop: Header=BB6_5830 Depth=4
	v_bfe_u32 v12, v0, 23, 8
	v_or_b32_e32 v2, 0x800000, v112
	s_mov_b32 s78, exec_lo
	s_delay_alu instid0(VALU_DEP_2) | instskip(SKIP_1) | instid1(VALU_DEP_2)
	v_dual_mov_b32 v3, v113 :: v_dual_sub_nc_u32 v0, 0x71, v12
	v_cmp_gt_u32_e32 vcc_lo, 0x72, v12
	v_cndmask_b32_e32 v0, 0, v0, vcc_lo
	v_cmp_eq_u32_e32 vcc_lo, 0, v12
	s_delay_alu instid0(VALU_DEP_2) | instskip(NEXT) | instid1(VALU_DEP_1)
	v_cndmask_b32_e64 v13, v0, 0x70, vcc_lo
	v_dual_cndmask_b32 v2, v2, v112, vcc_lo :: v_dual_add_nc_u32 v0, 21, v13
	v_add_nc_u32_e32 v14, 20, v13
	s_delay_alu instid0(VALU_DEP_2) | instskip(NEXT) | instid1(VALU_DEP_2)
	v_lshlrev_b64_e64 v[0:1], v0, -1
	v_lshlrev_b64_e64 v[14:15], v14, 1
	s_delay_alu instid0(VALU_DEP_2) | instskip(NEXT) | instid1(VALU_DEP_3)
	v_bfi_b32 v17, v1, 0, 0
	v_bfi_b32 v16, v0, 0, v2
	v_lshrrev_b64 v[0:1], v13, v[2:3]
	s_delay_alu instid0(VALU_DEP_1) | instskip(NEXT) | instid1(VALU_DEP_3)
	v_mov_b64_e32 v[2:3], v[0:1]
	v_cmpx_eq_u64_e64 v[16:17], v[14:15]
; %bb.6002:                             ;   in Loop: Header=BB6_5830 Depth=4
	v_bfe_u32 v2, v0, 21, 1
	v_mov_b32_e32 v3, v113
	s_delay_alu instid0(VALU_DEP_1) | instskip(NEXT) | instid1(VALU_DEP_1)
	v_add_nc_u64_e32 v[2:3], v[0:1], v[2:3]
	v_add_nc_u64_e32 v[2:3], -1, v[2:3]
; %bb.6003:                             ;   in Loop: Header=BB6_5830 Depth=4
	s_or_b32 exec_lo, exec_lo, s78
	v_add_nc_u32_e32 v1, 0xffffff81, v12
	v_lshrrev_b32_e32 v3, 23, v0
	s_mov_b32 s13, exec_lo
	s_delay_alu instid0(VALU_DEP_2) | instskip(NEXT) | instid1(VALU_DEP_1)
	v_cndmask_b32_e64 v1, v1, 0xffffff82, vcc_lo
	v_add3_u32 v3, v13, v1, v3
	v_and_b32_e32 v1, 0x1fffff, v2
                                        ; implicit-def: $vgpr2
	s_delay_alu instid0(VALU_DEP_1) | instskip(NEXT) | instid1(VALU_DEP_1)
	v_dual_add_nc_u32 v12, 14, v3 :: v_dual_add_nc_u32 v112, v1, v0
                                        ; implicit-def: $vgpr0_vgpr1
	v_cmpx_ne_u32_e32 0, v12
	s_xor_b32 s13, exec_lo, s13
; %bb.6004:                             ;   in Loop: Header=BB6_5830 Depth=4
	s_delay_alu instid0(VALU_DEP_2) | instskip(SKIP_1) | instid1(VALU_DEP_1)
	v_cmp_lt_u64_e32 vcc_lo, 0xffffff, v[112:113]
	v_add_nc_u32_e32 v0, 15, v3
	v_cndmask_b32_e32 v2, v12, v0, vcc_lo
	v_cndmask_b32_e64 v0, 0, 1, vcc_lo
	s_delay_alu instid0(VALU_DEP_1)
	v_lshrrev_b64 v[0:1], v0, v[112:113]
; %bb.6005:                             ;   in Loop: Header=BB6_5830 Depth=4
	s_and_not1_saveexec_b32 s13, s13
; %bb.6006:                             ;   in Loop: Header=BB6_5830 Depth=4
	v_mov_b64_e32 v[0:1], v[112:113]
	v_bfe_u32 v2, v112, 23, 1
; %bb.6007:                             ;   in Loop: Header=BB6_5830 Depth=4
	s_or_b32 exec_lo, exec_lo, s13
	s_delay_alu instid0(VALU_DEP_2) | instskip(NEXT) | instid1(VALU_DEP_2)
	v_lshrrev_b64 v[0:1], 21, v[0:1]
	v_cmp_gt_i32_e32 vcc_lo, 32, v2
	v_min_i32_e32 v3, 31, v2
	v_cmp_eq_u32_e64 s13, 0, v2
	s_delay_alu instid0(VALU_DEP_2) | instskip(SKIP_1) | instid1(VALU_DEP_2)
	v_dual_cndmask_b32 v1, 0, v1, vcc_lo :: v_dual_lshlrev_b32 v3, 2, v3
	v_cndmask_b32_e32 v0, 3, v0, vcc_lo
	v_and_b32_e32 v3, 0xfc, v3
	s_delay_alu instid0(VALU_DEP_2) | instskip(NEXT) | instid1(VALU_DEP_2)
	v_cmp_eq_u64_e32 vcc_lo, 0, v[0:1]
	v_and_or_b32 v0, v0, 3, v3
	s_and_b32 s13, s13, vcc_lo
	s_delay_alu instid0(VALU_DEP_1) | instid1(SALU_CYCLE_1)
	v_cndmask_b32_e64 v0, v0, 0, s13
	s_delay_alu instid0(VALU_DEP_1)
	v_or_b32_e32 v53, v0, v7
.LBB6_6008:                             ;   in Loop: Header=BB6_5830 Depth=4
	s_or_b32 exec_lo, exec_lo, s77
                                        ; implicit-def: $vgpr7
.LBB6_6009:                             ;   in Loop: Header=BB6_5830 Depth=4
	s_and_not1_saveexec_b32 s13, s76
; %bb.6010:                             ;   in Loop: Header=BB6_5830 Depth=4
	v_or_b32_e32 v53, 0x7b, v7
; %bb.6011:                             ;   in Loop: Header=BB6_5830 Depth=4
	s_or_b32 exec_lo, exec_lo, s13
                                        ; implicit-def: $vgpr0
                                        ; implicit-def: $vgpr1
.LBB6_6012:                             ;   in Loop: Header=BB6_5830 Depth=4
	s_and_not1_saveexec_b32 s13, s75
	s_cbranch_execz .LBB6_6018
; %bb.6013:                             ;   in Loop: Header=BB6_5830 Depth=4
	s_mov_b32 s75, exec_lo
                                        ; implicit-def: $vgpr53
	v_cmpx_ne_u64_e32 0, v[112:113]
	s_xor_b32 s75, exec_lo, s75
; %bb.6014:                             ;   in Loop: Header=BB6_5830 Depth=4
	v_or_b32_e32 v53, 0x7f, v1
                                        ; implicit-def: $vgpr0
; %bb.6015:                             ;   in Loop: Header=BB6_5830 Depth=4
	s_and_not1_saveexec_b32 s75, s75
; %bb.6016:                             ;   in Loop: Header=BB6_5830 Depth=4
	v_cmp_lt_i32_e32 vcc_lo, -1, v0
	v_mov_b32_e32 v0, 0x7c
	s_delay_alu instid0(VALU_DEP_1)
	v_cndmask_b32_e32 v53, 0xfc, v0, vcc_lo
; %bb.6017:                             ;   in Loop: Header=BB6_5830 Depth=4
	s_or_b32 exec_lo, exec_lo, s75
.LBB6_6018:                             ;   in Loop: Header=BB6_5830 Depth=4
	s_delay_alu instid0(SALU_CYCLE_1) | instskip(SKIP_2) | instid1(VALU_DEP_1)
	s_or_b32 exec_lo, exec_lo, s13
	v_dual_mov_b32 v1, 0 :: v_dual_lshrrev_b32 v0, 16, v9
	s_mov_b32 s13, exec_lo
	v_and_b32_e32 v2, 0xff, v0
	s_delay_alu instid0(VALU_DEP_1)
	v_cmpx_ne_u16_e32 0, v2
	s_cbranch_execz .LBB6_6028
; %bb.6019:                             ;   in Loop: Header=BB6_5830 Depth=4
	v_bfrev_b32_e32 v1, 1
	s_mov_b32 s75, exec_lo
	v_cmpx_ne_u16_e32 0x80, v2
	s_cbranch_execz .LBB6_6027
; %bb.6020:                             ;   in Loop: Header=BB6_5830 Depth=4
	v_and_b32_e32 v1, 0x7c0000, v9
	v_bfe_u32 v2, v9, 16, 2
	s_delay_alu instid0(VALU_DEP_2) | instskip(SKIP_1) | instid1(SALU_CYCLE_1)
	v_cmp_ne_u32_e32 vcc_lo, 0x7c0000, v1
                                        ; implicit-def: $vgpr1
	s_and_saveexec_b32 s76, vcc_lo
	s_xor_b32 s76, exec_lo, s76
	s_cbranch_execz .LBB6_6024
; %bb.6021:                             ;   in Loop: Header=BB6_5830 Depth=4
	v_bfe_u32 v1, v9, 18, 5
	s_mov_b32 s77, exec_lo
	s_delay_alu instid0(VALU_DEP_1)
	v_cmpx_eq_u32_e32 0, v1
; %bb.6022:                             ;   in Loop: Header=BB6_5830 Depth=4
	v_clz_i32_u32_e32 v1, v2
	s_delay_alu instid0(VALU_DEP_1) | instskip(NEXT) | instid1(VALU_DEP_1)
	v_min_u32_e32 v1, 32, v1
	v_subrev_nc_u32_e32 v2, 29, v1
	s_delay_alu instid0(VALU_DEP_1) | instskip(NEXT) | instid1(VALU_DEP_1)
	v_lshlrev_b64_e32 v[2:3], v2, v[0:1]
	v_dual_sub_nc_u32 v1, 30, v1 :: v_dual_bitop2_b32 v2, 3, v2 bitop3:0x40
; %bb.6023:                             ;   in Loop: Header=BB6_5830 Depth=4
	s_or_b32 exec_lo, exec_lo, s77
	v_lshlrev_b32_e32 v0, 24, v0
	s_delay_alu instid0(VALU_DEP_1) | instskip(NEXT) | instid1(VALU_DEP_1)
	v_and_b32_e32 v0, 0x80000000, v0
	v_lshl_add_u32 v0, v1, 23, v0
	s_delay_alu instid0(VALU_DEP_1) | instskip(NEXT) | instid1(VALU_DEP_1)
	v_lshl_or_b32 v0, v2, 21, v0
                                        ; implicit-def: $vgpr2
	v_add_nc_u32_e32 v1, 0x38000000, v0
                                        ; implicit-def: $vgpr0
.LBB6_6024:                             ;   in Loop: Header=BB6_5830 Depth=4
	s_and_not1_saveexec_b32 s76, s76
; %bb.6025:                             ;   in Loop: Header=BB6_5830 Depth=4
	v_bfe_i32 v0, v0, 0, 8
	s_delay_alu instid0(VALU_DEP_1) | instskip(SKIP_1) | instid1(VALU_DEP_1)
	v_cmp_lt_i16_e32 vcc_lo, -1, v0
	v_mov_b32_e32 v0, 0x7f800000
	v_cndmask_b32_e32 v0, 0xff800000, v0, vcc_lo
	v_cmp_eq_u32_e32 vcc_lo, 0, v2
	s_delay_alu instid0(VALU_DEP_2)
	v_cndmask_b32_e32 v1, 0x7f800001, v0, vcc_lo
; %bb.6026:                             ;   in Loop: Header=BB6_5830 Depth=4
	s_or_b32 exec_lo, exec_lo, s76
.LBB6_6027:                             ;   in Loop: Header=BB6_5830 Depth=4
	s_delay_alu instid0(SALU_CYCLE_1)
	s_or_b32 exec_lo, exec_lo, s75
.LBB6_6028:                             ;   in Loop: Header=BB6_5830 Depth=4
	s_delay_alu instid0(SALU_CYCLE_1) | instskip(NEXT) | instid1(VALU_DEP_1)
	s_or_b32 exec_lo, exec_lo, s13
	v_dual_mul_f32 v0, s74, v1 :: v_dual_mov_b32 v3, v113
                                        ; implicit-def: $vgpr66
	s_mov_b32 s13, exec_lo
	s_delay_alu instid0(VALU_DEP_1) | instskip(SKIP_2) | instid1(VALU_DEP_3)
	v_and_b32_e32 v2, 0x7f800000, v0
	v_and_b32_e32 v112, 0x7fffff, v0
	v_lshrrev_b32_e32 v1, 24, v0
	v_cmpx_ne_u64_e32 0x7f800000, v[2:3]
	s_xor_b32 s75, exec_lo, s13
	s_cbranch_execz .LBB6_6042
; %bb.6029:                             ;   in Loop: Header=BB6_5830 Depth=4
	v_and_b32_e32 v2, 0x7fffffff, v0
	v_mov_b32_e32 v3, v113
	v_and_b32_e32 v7, 0x80, v1
                                        ; implicit-def: $vgpr66
	s_mov_b32 s13, exec_lo
	s_delay_alu instid0(VALU_DEP_2)
	v_cmpx_gt_u64_e32 0x47600001, v[2:3]
	s_xor_b32 s76, exec_lo, s13
	s_cbranch_execz .LBB6_6039
; %bb.6030:                             ;   in Loop: Header=BB6_5830 Depth=4
	v_mov_b32_e32 v66, 0
	s_mov_b32 s77, exec_lo
	v_cmpx_ne_u32_e32 0, v0
	s_cbranch_execz .LBB6_6038
; %bb.6031:                             ;   in Loop: Header=BB6_5830 Depth=4
	v_bfe_u32 v12, v0, 23, 8
	v_or_b32_e32 v2, 0x800000, v112
	s_mov_b32 s78, exec_lo
	s_delay_alu instid0(VALU_DEP_2) | instskip(SKIP_1) | instid1(VALU_DEP_2)
	v_dual_mov_b32 v3, v113 :: v_dual_sub_nc_u32 v0, 0x71, v12
	v_cmp_gt_u32_e32 vcc_lo, 0x72, v12
	v_cndmask_b32_e32 v0, 0, v0, vcc_lo
	v_cmp_eq_u32_e32 vcc_lo, 0, v12
	s_delay_alu instid0(VALU_DEP_2) | instskip(NEXT) | instid1(VALU_DEP_1)
	v_cndmask_b32_e64 v13, v0, 0x70, vcc_lo
	v_dual_cndmask_b32 v2, v2, v112, vcc_lo :: v_dual_add_nc_u32 v0, 21, v13
	v_add_nc_u32_e32 v14, 20, v13
	s_delay_alu instid0(VALU_DEP_2) | instskip(NEXT) | instid1(VALU_DEP_2)
	v_lshlrev_b64_e64 v[0:1], v0, -1
	v_lshlrev_b64_e64 v[14:15], v14, 1
	s_delay_alu instid0(VALU_DEP_2) | instskip(NEXT) | instid1(VALU_DEP_3)
	v_bfi_b32 v17, v1, 0, 0
	v_bfi_b32 v16, v0, 0, v2
	v_lshrrev_b64 v[0:1], v13, v[2:3]
	s_delay_alu instid0(VALU_DEP_1) | instskip(NEXT) | instid1(VALU_DEP_3)
	v_mov_b64_e32 v[2:3], v[0:1]
	v_cmpx_eq_u64_e64 v[16:17], v[14:15]
; %bb.6032:                             ;   in Loop: Header=BB6_5830 Depth=4
	v_bfe_u32 v2, v0, 21, 1
	v_mov_b32_e32 v3, v113
	s_delay_alu instid0(VALU_DEP_1) | instskip(NEXT) | instid1(VALU_DEP_1)
	v_add_nc_u64_e32 v[2:3], v[0:1], v[2:3]
	v_add_nc_u64_e32 v[2:3], -1, v[2:3]
; %bb.6033:                             ;   in Loop: Header=BB6_5830 Depth=4
	s_or_b32 exec_lo, exec_lo, s78
	v_add_nc_u32_e32 v1, 0xffffff81, v12
	v_lshrrev_b32_e32 v3, 23, v0
	s_mov_b32 s13, exec_lo
	s_delay_alu instid0(VALU_DEP_2) | instskip(NEXT) | instid1(VALU_DEP_1)
	v_cndmask_b32_e64 v1, v1, 0xffffff82, vcc_lo
	v_add3_u32 v3, v13, v1, v3
	v_and_b32_e32 v1, 0x1fffff, v2
                                        ; implicit-def: $vgpr2
	s_delay_alu instid0(VALU_DEP_1) | instskip(NEXT) | instid1(VALU_DEP_1)
	v_dual_add_nc_u32 v12, 14, v3 :: v_dual_add_nc_u32 v112, v1, v0
                                        ; implicit-def: $vgpr0_vgpr1
	v_cmpx_ne_u32_e32 0, v12
	s_xor_b32 s13, exec_lo, s13
; %bb.6034:                             ;   in Loop: Header=BB6_5830 Depth=4
	s_delay_alu instid0(VALU_DEP_2) | instskip(SKIP_1) | instid1(VALU_DEP_1)
	v_cmp_lt_u64_e32 vcc_lo, 0xffffff, v[112:113]
	v_add_nc_u32_e32 v0, 15, v3
	v_cndmask_b32_e32 v2, v12, v0, vcc_lo
	v_cndmask_b32_e64 v0, 0, 1, vcc_lo
	s_delay_alu instid0(VALU_DEP_1)
	v_lshrrev_b64 v[0:1], v0, v[112:113]
; %bb.6035:                             ;   in Loop: Header=BB6_5830 Depth=4
	s_and_not1_saveexec_b32 s13, s13
; %bb.6036:                             ;   in Loop: Header=BB6_5830 Depth=4
	v_mov_b64_e32 v[0:1], v[112:113]
	v_bfe_u32 v2, v112, 23, 1
; %bb.6037:                             ;   in Loop: Header=BB6_5830 Depth=4
	s_or_b32 exec_lo, exec_lo, s13
	s_delay_alu instid0(VALU_DEP_2) | instskip(NEXT) | instid1(VALU_DEP_2)
	v_lshrrev_b64 v[0:1], 21, v[0:1]
	v_cmp_gt_i32_e32 vcc_lo, 32, v2
	v_min_i32_e32 v3, 31, v2
	v_cmp_eq_u32_e64 s13, 0, v2
	s_delay_alu instid0(VALU_DEP_2) | instskip(SKIP_1) | instid1(VALU_DEP_2)
	v_dual_cndmask_b32 v1, 0, v1, vcc_lo :: v_dual_lshlrev_b32 v3, 2, v3
	v_cndmask_b32_e32 v0, 3, v0, vcc_lo
	v_and_b32_e32 v3, 0xfc, v3
	s_delay_alu instid0(VALU_DEP_2) | instskip(NEXT) | instid1(VALU_DEP_2)
	v_cmp_eq_u64_e32 vcc_lo, 0, v[0:1]
	v_and_or_b32 v0, v0, 3, v3
	s_and_b32 s13, s13, vcc_lo
	s_delay_alu instid0(VALU_DEP_1) | instid1(SALU_CYCLE_1)
	v_cndmask_b32_e64 v0, v0, 0, s13
	s_delay_alu instid0(VALU_DEP_1)
	v_or_b32_e32 v66, v0, v7
.LBB6_6038:                             ;   in Loop: Header=BB6_5830 Depth=4
	s_or_b32 exec_lo, exec_lo, s77
                                        ; implicit-def: $vgpr7
.LBB6_6039:                             ;   in Loop: Header=BB6_5830 Depth=4
	s_and_not1_saveexec_b32 s13, s76
; %bb.6040:                             ;   in Loop: Header=BB6_5830 Depth=4
	v_or_b32_e32 v66, 0x7b, v7
; %bb.6041:                             ;   in Loop: Header=BB6_5830 Depth=4
	s_or_b32 exec_lo, exec_lo, s13
                                        ; implicit-def: $vgpr0
                                        ; implicit-def: $vgpr1
.LBB6_6042:                             ;   in Loop: Header=BB6_5830 Depth=4
	s_and_not1_saveexec_b32 s13, s75
	s_cbranch_execz .LBB6_6048
; %bb.6043:                             ;   in Loop: Header=BB6_5830 Depth=4
	s_mov_b32 s75, exec_lo
                                        ; implicit-def: $vgpr66
	v_cmpx_ne_u64_e32 0, v[112:113]
	s_xor_b32 s75, exec_lo, s75
; %bb.6044:                             ;   in Loop: Header=BB6_5830 Depth=4
	v_or_b32_e32 v66, 0x7f, v1
                                        ; implicit-def: $vgpr0
; %bb.6045:                             ;   in Loop: Header=BB6_5830 Depth=4
	s_and_not1_saveexec_b32 s75, s75
; %bb.6046:                             ;   in Loop: Header=BB6_5830 Depth=4
	v_cmp_lt_i32_e32 vcc_lo, -1, v0
	v_mov_b32_e32 v0, 0x7c
	s_delay_alu instid0(VALU_DEP_1)
	v_cndmask_b32_e32 v66, 0xfc, v0, vcc_lo
; %bb.6047:                             ;   in Loop: Header=BB6_5830 Depth=4
	s_or_b32 exec_lo, exec_lo, s75
.LBB6_6048:                             ;   in Loop: Header=BB6_5830 Depth=4
	s_delay_alu instid0(SALU_CYCLE_1)
	s_or_b32 exec_lo, exec_lo, s13
	v_mov_b32_e32 v1, 0
	s_mov_b32 s13, exec_lo
	v_cmpx_lt_u64_e64 s[22:23], v[8:9]
	s_cbranch_execz .LBB6_6058
; %bb.6049:                             ;   in Loop: Header=BB6_5830 Depth=4
	v_lshrrev_b32_e32 v0, 24, v9
	v_bfrev_b32_e32 v1, 1
	s_mov_b32 s75, exec_lo
	s_delay_alu instid0(VALU_DEP_2)
	v_cmpx_ne_u32_e32 0x80, v0
	s_cbranch_execz .LBB6_6057
; %bb.6050:                             ;   in Loop: Header=BB6_5830 Depth=4
	v_and_b32_e32 v1, 0x7c000000, v9
	v_bfe_u32 v2, v9, 24, 2
	s_delay_alu instid0(VALU_DEP_2) | instskip(SKIP_1) | instid1(SALU_CYCLE_1)
	v_cmp_ne_u32_e32 vcc_lo, 0x7c000000, v1
                                        ; implicit-def: $vgpr1
	s_and_saveexec_b32 s76, vcc_lo
	s_xor_b32 s76, exec_lo, s76
	s_cbranch_execz .LBB6_6054
; %bb.6051:                             ;   in Loop: Header=BB6_5830 Depth=4
	v_bfe_u32 v1, v9, 26, 5
	s_mov_b32 s77, exec_lo
	s_delay_alu instid0(VALU_DEP_1)
	v_cmpx_eq_u32_e32 0, v1
; %bb.6052:                             ;   in Loop: Header=BB6_5830 Depth=4
	v_clz_i32_u32_e32 v1, v2
	s_delay_alu instid0(VALU_DEP_1) | instskip(NEXT) | instid1(VALU_DEP_1)
	v_min_u32_e32 v2, 32, v1
	v_subrev_nc_u32_e32 v1, 29, v2
	s_delay_alu instid0(VALU_DEP_1) | instskip(NEXT) | instid1(VALU_DEP_1)
	v_lshlrev_b64_e32 v[0:1], v1, v[0:1]
	v_dual_sub_nc_u32 v1, 30, v2 :: v_dual_bitop2_b32 v2, 3, v0 bitop3:0x40
; %bb.6053:                             ;   in Loop: Header=BB6_5830 Depth=4
	s_or_b32 exec_lo, exec_lo, s77
	v_and_b32_e32 v0, 0x80000000, v9
	s_delay_alu instid0(VALU_DEP_1) | instskip(NEXT) | instid1(VALU_DEP_1)
	v_lshl_add_u32 v0, v1, 23, v0
	v_lshl_or_b32 v0, v2, 21, v0
                                        ; implicit-def: $vgpr2
	s_delay_alu instid0(VALU_DEP_1)
	v_add_nc_u32_e32 v1, 0x38000000, v0
.LBB6_6054:                             ;   in Loop: Header=BB6_5830 Depth=4
	s_and_not1_saveexec_b32 s76, s76
; %bb.6055:                             ;   in Loop: Header=BB6_5830 Depth=4
	v_cmp_lt_i64_e32 vcc_lo, -1, v[8:9]
	v_mov_b32_e32 v0, 0x7f800000
	s_delay_alu instid0(VALU_DEP_1) | instskip(SKIP_1) | instid1(VALU_DEP_2)
	v_cndmask_b32_e32 v0, 0xff800000, v0, vcc_lo
	v_cmp_eq_u32_e32 vcc_lo, 0, v2
	v_cndmask_b32_e32 v1, 0x7f800001, v0, vcc_lo
; %bb.6056:                             ;   in Loop: Header=BB6_5830 Depth=4
	s_or_b32 exec_lo, exec_lo, s76
.LBB6_6057:                             ;   in Loop: Header=BB6_5830 Depth=4
	s_delay_alu instid0(SALU_CYCLE_1)
	s_or_b32 exec_lo, exec_lo, s75
.LBB6_6058:                             ;   in Loop: Header=BB6_5830 Depth=4
	s_delay_alu instid0(SALU_CYCLE_1) | instskip(NEXT) | instid1(VALU_DEP_1)
	s_or_b32 exec_lo, exec_lo, s13
	v_dual_mul_f32 v0, s74, v1 :: v_dual_mov_b32 v3, v113
                                        ; implicit-def: $vgpr47
	s_mov_b32 s13, exec_lo
	s_delay_alu instid0(VALU_DEP_1) | instskip(SKIP_2) | instid1(VALU_DEP_3)
	v_and_b32_e32 v2, 0x7f800000, v0
	v_and_b32_e32 v112, 0x7fffff, v0
	v_lshrrev_b32_e32 v1, 24, v0
	v_cmpx_ne_u64_e32 0x7f800000, v[2:3]
	s_xor_b32 s75, exec_lo, s13
	s_cbranch_execz .LBB6_6072
; %bb.6059:                             ;   in Loop: Header=BB6_5830 Depth=4
	v_and_b32_e32 v2, 0x7fffffff, v0
	v_mov_b32_e32 v3, v113
	v_and_b32_e32 v7, 0x80, v1
                                        ; implicit-def: $vgpr47
	s_mov_b32 s13, exec_lo
	s_delay_alu instid0(VALU_DEP_2)
	v_cmpx_gt_u64_e32 0x47600001, v[2:3]
	s_xor_b32 s76, exec_lo, s13
	s_cbranch_execz .LBB6_6069
; %bb.6060:                             ;   in Loop: Header=BB6_5830 Depth=4
	v_mov_b32_e32 v47, 0
	s_mov_b32 s77, exec_lo
	v_cmpx_ne_u32_e32 0, v0
	s_cbranch_execz .LBB6_6068
; %bb.6061:                             ;   in Loop: Header=BB6_5830 Depth=4
	v_bfe_u32 v8, v0, 23, 8
	v_or_b32_e32 v2, 0x800000, v112
	s_mov_b32 s78, exec_lo
	s_delay_alu instid0(VALU_DEP_2) | instskip(SKIP_1) | instid1(VALU_DEP_2)
	v_dual_mov_b32 v3, v113 :: v_dual_sub_nc_u32 v0, 0x71, v8
	v_cmp_gt_u32_e32 vcc_lo, 0x72, v8
	v_cndmask_b32_e32 v0, 0, v0, vcc_lo
	v_cmp_eq_u32_e32 vcc_lo, 0, v8
	s_delay_alu instid0(VALU_DEP_2) | instskip(NEXT) | instid1(VALU_DEP_1)
	v_cndmask_b32_e64 v9, v0, 0x70, vcc_lo
	v_dual_cndmask_b32 v2, v2, v112, vcc_lo :: v_dual_add_nc_u32 v0, 21, v9
	v_add_nc_u32_e32 v12, 20, v9
	s_delay_alu instid0(VALU_DEP_2) | instskip(NEXT) | instid1(VALU_DEP_2)
	v_lshlrev_b64_e64 v[0:1], v0, -1
	v_lshlrev_b64_e64 v[12:13], v12, 1
	s_delay_alu instid0(VALU_DEP_2) | instskip(NEXT) | instid1(VALU_DEP_3)
	v_bfi_b32 v15, v1, 0, 0
	v_bfi_b32 v14, v0, 0, v2
	v_lshrrev_b64 v[0:1], v9, v[2:3]
	s_delay_alu instid0(VALU_DEP_1) | instskip(NEXT) | instid1(VALU_DEP_3)
	v_mov_b64_e32 v[2:3], v[0:1]
	v_cmpx_eq_u64_e64 v[14:15], v[12:13]
; %bb.6062:                             ;   in Loop: Header=BB6_5830 Depth=4
	v_bfe_u32 v2, v0, 21, 1
	v_mov_b32_e32 v3, v113
	s_delay_alu instid0(VALU_DEP_1) | instskip(NEXT) | instid1(VALU_DEP_1)
	v_add_nc_u64_e32 v[2:3], v[0:1], v[2:3]
	v_add_nc_u64_e32 v[2:3], -1, v[2:3]
; %bb.6063:                             ;   in Loop: Header=BB6_5830 Depth=4
	s_or_b32 exec_lo, exec_lo, s78
	v_add_nc_u32_e32 v1, 0xffffff81, v8
	v_lshrrev_b32_e32 v3, 23, v0
	s_mov_b32 s13, exec_lo
	s_delay_alu instid0(VALU_DEP_2) | instskip(NEXT) | instid1(VALU_DEP_1)
	v_cndmask_b32_e64 v1, v1, 0xffffff82, vcc_lo
	v_add3_u32 v3, v9, v1, v3
	v_and_b32_e32 v1, 0x1fffff, v2
                                        ; implicit-def: $vgpr2
	s_delay_alu instid0(VALU_DEP_1) | instskip(NEXT) | instid1(VALU_DEP_1)
	v_dual_add_nc_u32 v8, 14, v3 :: v_dual_add_nc_u32 v112, v1, v0
                                        ; implicit-def: $vgpr0_vgpr1
	v_cmpx_ne_u32_e32 0, v8
	s_xor_b32 s13, exec_lo, s13
; %bb.6064:                             ;   in Loop: Header=BB6_5830 Depth=4
	s_delay_alu instid0(VALU_DEP_2) | instskip(SKIP_1) | instid1(VALU_DEP_1)
	v_cmp_lt_u64_e32 vcc_lo, 0xffffff, v[112:113]
	v_add_nc_u32_e32 v0, 15, v3
	v_cndmask_b32_e32 v2, v8, v0, vcc_lo
	v_cndmask_b32_e64 v0, 0, 1, vcc_lo
	s_delay_alu instid0(VALU_DEP_1)
	v_lshrrev_b64 v[0:1], v0, v[112:113]
; %bb.6065:                             ;   in Loop: Header=BB6_5830 Depth=4
	s_and_not1_saveexec_b32 s13, s13
; %bb.6066:                             ;   in Loop: Header=BB6_5830 Depth=4
	v_mov_b64_e32 v[0:1], v[112:113]
	v_bfe_u32 v2, v112, 23, 1
; %bb.6067:                             ;   in Loop: Header=BB6_5830 Depth=4
	s_or_b32 exec_lo, exec_lo, s13
	s_delay_alu instid0(VALU_DEP_2) | instskip(NEXT) | instid1(VALU_DEP_2)
	v_lshrrev_b64 v[0:1], 21, v[0:1]
	v_cmp_gt_i32_e32 vcc_lo, 32, v2
	v_min_i32_e32 v3, 31, v2
	v_cmp_eq_u32_e64 s13, 0, v2
	s_delay_alu instid0(VALU_DEP_2) | instskip(SKIP_1) | instid1(VALU_DEP_2)
	v_dual_cndmask_b32 v1, 0, v1, vcc_lo :: v_dual_lshlrev_b32 v3, 2, v3
	v_cndmask_b32_e32 v0, 3, v0, vcc_lo
	v_and_b32_e32 v3, 0xfc, v3
	s_delay_alu instid0(VALU_DEP_2) | instskip(NEXT) | instid1(VALU_DEP_2)
	v_cmp_eq_u64_e32 vcc_lo, 0, v[0:1]
	v_and_or_b32 v0, v0, 3, v3
	s_and_b32 s13, s13, vcc_lo
	s_delay_alu instid0(VALU_DEP_1) | instid1(SALU_CYCLE_1)
	v_cndmask_b32_e64 v0, v0, 0, s13
	s_delay_alu instid0(VALU_DEP_1)
	v_or_b32_e32 v47, v0, v7
.LBB6_6068:                             ;   in Loop: Header=BB6_5830 Depth=4
	s_or_b32 exec_lo, exec_lo, s77
                                        ; implicit-def: $vgpr7
.LBB6_6069:                             ;   in Loop: Header=BB6_5830 Depth=4
	s_and_not1_saveexec_b32 s13, s76
; %bb.6070:                             ;   in Loop: Header=BB6_5830 Depth=4
	v_or_b32_e32 v47, 0x7b, v7
; %bb.6071:                             ;   in Loop: Header=BB6_5830 Depth=4
	s_or_b32 exec_lo, exec_lo, s13
                                        ; implicit-def: $vgpr0
                                        ; implicit-def: $vgpr1
.LBB6_6072:                             ;   in Loop: Header=BB6_5830 Depth=4
	s_and_not1_saveexec_b32 s13, s75
	s_cbranch_execz .LBB6_6078
; %bb.6073:                             ;   in Loop: Header=BB6_5830 Depth=4
	s_mov_b32 s75, exec_lo
                                        ; implicit-def: $vgpr47
	v_cmpx_ne_u64_e32 0, v[112:113]
	s_xor_b32 s75, exec_lo, s75
; %bb.6074:                             ;   in Loop: Header=BB6_5830 Depth=4
	v_or_b32_e32 v47, 0x7f, v1
                                        ; implicit-def: $vgpr0
; %bb.6075:                             ;   in Loop: Header=BB6_5830 Depth=4
	s_and_not1_saveexec_b32 s75, s75
; %bb.6076:                             ;   in Loop: Header=BB6_5830 Depth=4
	v_cmp_lt_i32_e32 vcc_lo, -1, v0
	v_mov_b32_e32 v0, 0x7c
	s_delay_alu instid0(VALU_DEP_1)
	v_cndmask_b32_e32 v47, 0xfc, v0, vcc_lo
; %bb.6077:                             ;   in Loop: Header=BB6_5830 Depth=4
	s_or_b32 exec_lo, exec_lo, s75
.LBB6_6078:                             ;   in Loop: Header=BB6_5830 Depth=4
	s_delay_alu instid0(SALU_CYCLE_1) | instskip(SKIP_1) | instid1(VALU_DEP_1)
	s_or_b32 exec_lo, exec_lo, s13
	v_and_b32_e32 v0, 0xff, v10
	v_cmp_ne_u16_e32 vcc_lo, 0, v0
	v_mov_b32_e32 v0, 0
	s_and_saveexec_b32 s13, vcc_lo
	s_cbranch_execz .LBB6_6088
; %bb.6079:                             ;   in Loop: Header=BB6_5830 Depth=4
	v_bfe_i32 v2, v10, 0, 8
	v_bfrev_b32_e32 v0, 1
	s_mov_b32 s75, exec_lo
	s_delay_alu instid0(VALU_DEP_2)
	v_cmpx_ne_u16_e32 0xff80, v2
	s_cbranch_execz .LBB6_6087
; %bb.6080:                             ;   in Loop: Header=BB6_5830 Depth=4
	v_and_b32_e32 v0, 0x7c, v10
	v_and_b32_e32 v1, 3, v10
	s_delay_alu instid0(VALU_DEP_2) | instskip(SKIP_1) | instid1(SALU_CYCLE_1)
	v_cmp_ne_u32_e32 vcc_lo, 0x7c, v0
                                        ; implicit-def: $vgpr0
	s_and_saveexec_b32 s76, vcc_lo
	s_xor_b32 s76, exec_lo, s76
	s_cbranch_execz .LBB6_6084
; %bb.6081:                             ;   in Loop: Header=BB6_5830 Depth=4
	v_bfe_u32 v0, v10, 2, 5
	s_mov_b32 s77, exec_lo
	s_delay_alu instid0(VALU_DEP_1)
	v_cmpx_eq_u32_e32 0, v0
; %bb.6082:                             ;   in Loop: Header=BB6_5830 Depth=4
	v_clz_i32_u32_e32 v0, v1
	s_delay_alu instid0(VALU_DEP_1) | instskip(NEXT) | instid1(VALU_DEP_1)
	v_min_u32_e32 v0, 32, v0
	v_subrev_nc_u32_e32 v1, 29, v0
	s_delay_alu instid0(VALU_DEP_1) | instskip(NEXT) | instid1(VALU_DEP_1)
	v_lshlrev_b64_e32 v[2:3], v1, v[10:11]
	v_dual_sub_nc_u32 v0, 30, v0 :: v_dual_bitop2_b32 v1, 3, v2 bitop3:0x40
; %bb.6083:                             ;   in Loop: Header=BB6_5830 Depth=4
	s_or_b32 exec_lo, exec_lo, s77
	v_lshlrev_b32_e32 v2, 24, v10
	s_delay_alu instid0(VALU_DEP_1) | instskip(NEXT) | instid1(VALU_DEP_1)
	v_and_b32_e32 v2, 0x80000000, v2
	v_lshl_add_u32 v0, v0, 23, v2
                                        ; implicit-def: $vgpr2
	s_delay_alu instid0(VALU_DEP_1) | instskip(NEXT) | instid1(VALU_DEP_1)
	v_lshl_or_b32 v0, v1, 21, v0
                                        ; implicit-def: $vgpr1
	v_add_nc_u32_e32 v0, 0x38000000, v0
.LBB6_6084:                             ;   in Loop: Header=BB6_5830 Depth=4
	s_and_not1_saveexec_b32 s76, s76
; %bb.6085:                             ;   in Loop: Header=BB6_5830 Depth=4
	v_cmp_lt_i16_e32 vcc_lo, -1, v2
	v_mov_b32_e32 v0, 0x7f800000
	s_delay_alu instid0(VALU_DEP_1) | instskip(SKIP_1) | instid1(VALU_DEP_2)
	v_cndmask_b32_e32 v0, 0xff800000, v0, vcc_lo
	v_cmp_eq_u32_e32 vcc_lo, 0, v1
	v_cndmask_b32_e32 v0, 0x7f800001, v0, vcc_lo
; %bb.6086:                             ;   in Loop: Header=BB6_5830 Depth=4
	s_or_b32 exec_lo, exec_lo, s76
.LBB6_6087:                             ;   in Loop: Header=BB6_5830 Depth=4
	s_delay_alu instid0(SALU_CYCLE_1)
	s_or_b32 exec_lo, exec_lo, s75
.LBB6_6088:                             ;   in Loop: Header=BB6_5830 Depth=4
	s_delay_alu instid0(SALU_CYCLE_1) | instskip(NEXT) | instid1(VALU_DEP_1)
	s_or_b32 exec_lo, exec_lo, s13
	v_dual_mul_f32 v0, s74, v0 :: v_dual_mov_b32 v3, v113
                                        ; implicit-def: $vgpr98
	s_mov_b32 s13, exec_lo
	s_delay_alu instid0(VALU_DEP_1) | instskip(SKIP_2) | instid1(VALU_DEP_3)
	v_and_b32_e32 v2, 0x7f800000, v0
	v_and_b32_e32 v112, 0x7fffff, v0
	v_lshrrev_b32_e32 v1, 24, v0
	v_cmpx_ne_u64_e32 0x7f800000, v[2:3]
	s_xor_b32 s75, exec_lo, s13
	s_cbranch_execz .LBB6_6102
; %bb.6089:                             ;   in Loop: Header=BB6_5830 Depth=4
	v_and_b32_e32 v2, 0x7fffffff, v0
	v_mov_b32_e32 v3, v113
	v_and_b32_e32 v7, 0x80, v1
                                        ; implicit-def: $vgpr98
	s_mov_b32 s13, exec_lo
	s_delay_alu instid0(VALU_DEP_2)
	v_cmpx_gt_u64_e32 0x47600001, v[2:3]
	s_xor_b32 s76, exec_lo, s13
	s_cbranch_execz .LBB6_6099
; %bb.6090:                             ;   in Loop: Header=BB6_5830 Depth=4
	v_mov_b32_e32 v98, 0
	s_mov_b32 s77, exec_lo
	v_cmpx_ne_u32_e32 0, v0
	s_cbranch_execz .LBB6_6098
; %bb.6091:                             ;   in Loop: Header=BB6_5830 Depth=4
	v_bfe_u32 v8, v0, 23, 8
	v_or_b32_e32 v2, 0x800000, v112
	s_mov_b32 s78, exec_lo
	s_delay_alu instid0(VALU_DEP_2) | instskip(SKIP_1) | instid1(VALU_DEP_2)
	v_dual_mov_b32 v3, v113 :: v_dual_sub_nc_u32 v0, 0x71, v8
	v_cmp_gt_u32_e32 vcc_lo, 0x72, v8
	v_cndmask_b32_e32 v0, 0, v0, vcc_lo
	v_cmp_eq_u32_e32 vcc_lo, 0, v8
	s_delay_alu instid0(VALU_DEP_2) | instskip(NEXT) | instid1(VALU_DEP_1)
	v_cndmask_b32_e64 v9, v0, 0x70, vcc_lo
	v_dual_cndmask_b32 v2, v2, v112, vcc_lo :: v_dual_add_nc_u32 v0, 21, v9
	v_add_nc_u32_e32 v12, 20, v9
	s_delay_alu instid0(VALU_DEP_2) | instskip(NEXT) | instid1(VALU_DEP_2)
	v_lshlrev_b64_e64 v[0:1], v0, -1
	v_lshlrev_b64_e64 v[12:13], v12, 1
	s_delay_alu instid0(VALU_DEP_2) | instskip(NEXT) | instid1(VALU_DEP_3)
	v_bfi_b32 v15, v1, 0, 0
	v_bfi_b32 v14, v0, 0, v2
	v_lshrrev_b64 v[0:1], v9, v[2:3]
	s_delay_alu instid0(VALU_DEP_1) | instskip(NEXT) | instid1(VALU_DEP_3)
	v_mov_b64_e32 v[2:3], v[0:1]
	v_cmpx_eq_u64_e64 v[14:15], v[12:13]
; %bb.6092:                             ;   in Loop: Header=BB6_5830 Depth=4
	v_bfe_u32 v2, v0, 21, 1
	v_mov_b32_e32 v3, v113
	s_delay_alu instid0(VALU_DEP_1) | instskip(NEXT) | instid1(VALU_DEP_1)
	v_add_nc_u64_e32 v[2:3], v[0:1], v[2:3]
	v_add_nc_u64_e32 v[2:3], -1, v[2:3]
; %bb.6093:                             ;   in Loop: Header=BB6_5830 Depth=4
	s_or_b32 exec_lo, exec_lo, s78
	v_add_nc_u32_e32 v1, 0xffffff81, v8
	v_lshrrev_b32_e32 v3, 23, v0
	s_mov_b32 s13, exec_lo
	s_delay_alu instid0(VALU_DEP_2) | instskip(NEXT) | instid1(VALU_DEP_1)
	v_cndmask_b32_e64 v1, v1, 0xffffff82, vcc_lo
	v_add3_u32 v3, v9, v1, v3
	v_and_b32_e32 v1, 0x1fffff, v2
                                        ; implicit-def: $vgpr2
	s_delay_alu instid0(VALU_DEP_1) | instskip(NEXT) | instid1(VALU_DEP_1)
	v_dual_add_nc_u32 v8, 14, v3 :: v_dual_add_nc_u32 v112, v1, v0
                                        ; implicit-def: $vgpr0_vgpr1
	v_cmpx_ne_u32_e32 0, v8
	s_xor_b32 s13, exec_lo, s13
; %bb.6094:                             ;   in Loop: Header=BB6_5830 Depth=4
	s_delay_alu instid0(VALU_DEP_2) | instskip(SKIP_1) | instid1(VALU_DEP_1)
	v_cmp_lt_u64_e32 vcc_lo, 0xffffff, v[112:113]
	v_add_nc_u32_e32 v0, 15, v3
	v_cndmask_b32_e32 v2, v8, v0, vcc_lo
	v_cndmask_b32_e64 v0, 0, 1, vcc_lo
	s_delay_alu instid0(VALU_DEP_1)
	v_lshrrev_b64 v[0:1], v0, v[112:113]
; %bb.6095:                             ;   in Loop: Header=BB6_5830 Depth=4
	s_and_not1_saveexec_b32 s13, s13
; %bb.6096:                             ;   in Loop: Header=BB6_5830 Depth=4
	v_mov_b64_e32 v[0:1], v[112:113]
	v_bfe_u32 v2, v112, 23, 1
; %bb.6097:                             ;   in Loop: Header=BB6_5830 Depth=4
	s_or_b32 exec_lo, exec_lo, s13
	s_delay_alu instid0(VALU_DEP_2) | instskip(NEXT) | instid1(VALU_DEP_2)
	v_lshrrev_b64 v[0:1], 21, v[0:1]
	v_cmp_gt_i32_e32 vcc_lo, 32, v2
	v_min_i32_e32 v3, 31, v2
	v_cmp_eq_u32_e64 s13, 0, v2
	s_delay_alu instid0(VALU_DEP_2) | instskip(SKIP_1) | instid1(VALU_DEP_2)
	v_dual_cndmask_b32 v1, 0, v1, vcc_lo :: v_dual_lshlrev_b32 v3, 2, v3
	v_cndmask_b32_e32 v0, 3, v0, vcc_lo
	v_and_b32_e32 v3, 0xfc, v3
	s_delay_alu instid0(VALU_DEP_2) | instskip(NEXT) | instid1(VALU_DEP_2)
	v_cmp_eq_u64_e32 vcc_lo, 0, v[0:1]
	v_and_or_b32 v0, v0, 3, v3
	s_and_b32 s13, s13, vcc_lo
	s_delay_alu instid0(VALU_DEP_1) | instid1(SALU_CYCLE_1)
	v_cndmask_b32_e64 v0, v0, 0, s13
	s_delay_alu instid0(VALU_DEP_1)
	v_or_b32_e32 v98, v0, v7
.LBB6_6098:                             ;   in Loop: Header=BB6_5830 Depth=4
	s_or_b32 exec_lo, exec_lo, s77
                                        ; implicit-def: $vgpr7
.LBB6_6099:                             ;   in Loop: Header=BB6_5830 Depth=4
	s_and_not1_saveexec_b32 s13, s76
; %bb.6100:                             ;   in Loop: Header=BB6_5830 Depth=4
	v_or_b32_e32 v98, 0x7b, v7
; %bb.6101:                             ;   in Loop: Header=BB6_5830 Depth=4
	s_or_b32 exec_lo, exec_lo, s13
                                        ; implicit-def: $vgpr0
                                        ; implicit-def: $vgpr1
.LBB6_6102:                             ;   in Loop: Header=BB6_5830 Depth=4
	s_and_not1_saveexec_b32 s13, s75
	s_cbranch_execz .LBB6_6108
; %bb.6103:                             ;   in Loop: Header=BB6_5830 Depth=4
	s_mov_b32 s75, exec_lo
                                        ; implicit-def: $vgpr98
	v_cmpx_ne_u64_e32 0, v[112:113]
	s_xor_b32 s75, exec_lo, s75
; %bb.6104:                             ;   in Loop: Header=BB6_5830 Depth=4
	v_or_b32_e32 v98, 0x7f, v1
                                        ; implicit-def: $vgpr0
; %bb.6105:                             ;   in Loop: Header=BB6_5830 Depth=4
	s_and_not1_saveexec_b32 s75, s75
; %bb.6106:                             ;   in Loop: Header=BB6_5830 Depth=4
	v_cmp_lt_i32_e32 vcc_lo, -1, v0
	v_mov_b32_e32 v0, 0x7c
	s_delay_alu instid0(VALU_DEP_1)
	v_cndmask_b32_e32 v98, 0xfc, v0, vcc_lo
; %bb.6107:                             ;   in Loop: Header=BB6_5830 Depth=4
	s_or_b32 exec_lo, exec_lo, s75
.LBB6_6108:                             ;   in Loop: Header=BB6_5830 Depth=4
	s_delay_alu instid0(SALU_CYCLE_1) | instskip(SKIP_3) | instid1(VALU_DEP_2)
	s_or_b32 exec_lo, exec_lo, s13
	v_lshrrev_b16 v0, 8, v10
	v_mov_b32_e32 v2, 0
	s_mov_b32 s13, exec_lo
	v_cmpx_ne_u16_e32 0, v0
	s_cbranch_execz .LBB6_6118
; %bb.6109:                             ;   in Loop: Header=BB6_5830 Depth=4
	v_bfrev_b32_e32 v2, 1
	s_mov_b32 s75, exec_lo
	v_cmpx_ne_u16_e32 0x80, v0
	s_cbranch_execz .LBB6_6117
; %bb.6110:                             ;   in Loop: Header=BB6_5830 Depth=4
	v_and_b32_e32 v3, 0xffff, v0
	s_delay_alu instid0(VALU_DEP_1) | instskip(SKIP_1) | instid1(VALU_DEP_2)
	v_and_b32_e32 v2, 0x7c, v3
	v_and_b32_e32 v1, 3, v3
	v_cmp_ne_u32_e32 vcc_lo, 0x7c, v2
                                        ; implicit-def: $vgpr2
	s_and_saveexec_b32 s76, vcc_lo
	s_delay_alu instid0(SALU_CYCLE_1)
	s_xor_b32 s76, exec_lo, s76
	s_cbranch_execz .LBB6_6114
; %bb.6111:                             ;   in Loop: Header=BB6_5830 Depth=4
	v_bfe_u32 v2, v3, 2, 5
	s_mov_b32 s77, exec_lo
	s_delay_alu instid0(VALU_DEP_1)
	v_cmpx_eq_u32_e32 0, v2
	s_cbranch_execz .LBB6_6113
; %bb.6112:                             ;   in Loop: Header=BB6_5830 Depth=4
	v_clz_i32_u32_e32 v1, v1
	s_delay_alu instid0(VALU_DEP_1) | instskip(SKIP_1) | instid1(VALU_DEP_2)
	v_min_u32_e32 v2, 32, v1
	v_mov_b32_e32 v1, v113
	v_subrev_nc_u32_e32 v3, 29, v2
	v_sub_nc_u32_e32 v2, 30, v2
	s_delay_alu instid0(VALU_DEP_2) | instskip(NEXT) | instid1(VALU_DEP_1)
	v_lshlrev_b64_e32 v[0:1], v3, v[0:1]
	v_and_b32_e32 v1, 3, v0
.LBB6_6113:                             ;   in Loop: Header=BB6_5830 Depth=4
	s_or_b32 exec_lo, exec_lo, s77
	v_lshlrev_b32_e32 v0, 16, v10
	s_delay_alu instid0(VALU_DEP_1) | instskip(NEXT) | instid1(VALU_DEP_1)
	v_and_b32_e32 v0, 0x80000000, v0
	v_lshl_add_u32 v0, v2, 23, v0
	s_delay_alu instid0(VALU_DEP_1) | instskip(NEXT) | instid1(VALU_DEP_1)
	v_lshl_or_b32 v0, v1, 21, v0
                                        ; implicit-def: $vgpr1
	v_add_nc_u32_e32 v2, 0x38000000, v0
.LBB6_6114:                             ;   in Loop: Header=BB6_5830 Depth=4
	s_and_not1_saveexec_b32 s76, s76
; %bb.6115:                             ;   in Loop: Header=BB6_5830 Depth=4
	v_cmp_lt_i16_e32 vcc_lo, -1, v10
	v_mov_b32_e32 v0, 0x7f800000
	s_delay_alu instid0(VALU_DEP_1) | instskip(SKIP_1) | instid1(VALU_DEP_2)
	v_cndmask_b32_e32 v0, 0xff800000, v0, vcc_lo
	v_cmp_eq_u32_e32 vcc_lo, 0, v1
	v_cndmask_b32_e32 v2, 0x7f800001, v0, vcc_lo
; %bb.6116:                             ;   in Loop: Header=BB6_5830 Depth=4
	s_or_b32 exec_lo, exec_lo, s76
.LBB6_6117:                             ;   in Loop: Header=BB6_5830 Depth=4
	s_delay_alu instid0(SALU_CYCLE_1)
	s_or_b32 exec_lo, exec_lo, s75
.LBB6_6118:                             ;   in Loop: Header=BB6_5830 Depth=4
	s_delay_alu instid0(SALU_CYCLE_1) | instskip(NEXT) | instid1(VALU_DEP_1)
	s_or_b32 exec_lo, exec_lo, s13
	v_dual_mul_f32 v0, s74, v2 :: v_dual_mov_b32 v3, v113
                                        ; implicit-def: $vgpr103
	s_mov_b32 s13, exec_lo
	s_delay_alu instid0(VALU_DEP_1) | instskip(SKIP_2) | instid1(VALU_DEP_3)
	v_and_b32_e32 v2, 0x7f800000, v0
	v_and_b32_e32 v112, 0x7fffff, v0
	v_lshrrev_b32_e32 v1, 24, v0
	v_cmpx_ne_u64_e32 0x7f800000, v[2:3]
	s_xor_b32 s75, exec_lo, s13
	s_cbranch_execz .LBB6_6132
; %bb.6119:                             ;   in Loop: Header=BB6_5830 Depth=4
	v_and_b32_e32 v2, 0x7fffffff, v0
	v_mov_b32_e32 v3, v113
	v_and_b32_e32 v7, 0x80, v1
                                        ; implicit-def: $vgpr103
	s_mov_b32 s13, exec_lo
	s_delay_alu instid0(VALU_DEP_2)
	v_cmpx_gt_u64_e32 0x47600001, v[2:3]
	s_xor_b32 s76, exec_lo, s13
	s_cbranch_execz .LBB6_6129
; %bb.6120:                             ;   in Loop: Header=BB6_5830 Depth=4
	v_mov_b32_e32 v103, 0
	s_mov_b32 s77, exec_lo
	v_cmpx_ne_u32_e32 0, v0
	s_cbranch_execz .LBB6_6128
; %bb.6121:                             ;   in Loop: Header=BB6_5830 Depth=4
	v_bfe_u32 v8, v0, 23, 8
	v_or_b32_e32 v2, 0x800000, v112
	s_mov_b32 s78, exec_lo
	s_delay_alu instid0(VALU_DEP_2) | instskip(SKIP_1) | instid1(VALU_DEP_2)
	v_dual_mov_b32 v3, v113 :: v_dual_sub_nc_u32 v0, 0x71, v8
	v_cmp_gt_u32_e32 vcc_lo, 0x72, v8
	v_cndmask_b32_e32 v0, 0, v0, vcc_lo
	v_cmp_eq_u32_e32 vcc_lo, 0, v8
	s_delay_alu instid0(VALU_DEP_2) | instskip(NEXT) | instid1(VALU_DEP_1)
	v_cndmask_b32_e64 v9, v0, 0x70, vcc_lo
	v_dual_cndmask_b32 v2, v2, v112, vcc_lo :: v_dual_add_nc_u32 v0, 21, v9
	v_add_nc_u32_e32 v12, 20, v9
	s_delay_alu instid0(VALU_DEP_2) | instskip(NEXT) | instid1(VALU_DEP_2)
	v_lshlrev_b64_e64 v[0:1], v0, -1
	v_lshlrev_b64_e64 v[12:13], v12, 1
	s_delay_alu instid0(VALU_DEP_2) | instskip(NEXT) | instid1(VALU_DEP_3)
	v_bfi_b32 v15, v1, 0, 0
	v_bfi_b32 v14, v0, 0, v2
	v_lshrrev_b64 v[0:1], v9, v[2:3]
	s_delay_alu instid0(VALU_DEP_1) | instskip(NEXT) | instid1(VALU_DEP_3)
	v_mov_b64_e32 v[2:3], v[0:1]
	v_cmpx_eq_u64_e64 v[14:15], v[12:13]
; %bb.6122:                             ;   in Loop: Header=BB6_5830 Depth=4
	v_bfe_u32 v2, v0, 21, 1
	v_mov_b32_e32 v3, v113
	s_delay_alu instid0(VALU_DEP_1) | instskip(NEXT) | instid1(VALU_DEP_1)
	v_add_nc_u64_e32 v[2:3], v[0:1], v[2:3]
	v_add_nc_u64_e32 v[2:3], -1, v[2:3]
; %bb.6123:                             ;   in Loop: Header=BB6_5830 Depth=4
	s_or_b32 exec_lo, exec_lo, s78
	v_add_nc_u32_e32 v1, 0xffffff81, v8
	v_lshrrev_b32_e32 v3, 23, v0
	s_mov_b32 s13, exec_lo
	s_delay_alu instid0(VALU_DEP_2) | instskip(NEXT) | instid1(VALU_DEP_1)
	v_cndmask_b32_e64 v1, v1, 0xffffff82, vcc_lo
	v_add3_u32 v3, v9, v1, v3
	v_and_b32_e32 v1, 0x1fffff, v2
                                        ; implicit-def: $vgpr2
	s_delay_alu instid0(VALU_DEP_1) | instskip(NEXT) | instid1(VALU_DEP_1)
	v_dual_add_nc_u32 v8, 14, v3 :: v_dual_add_nc_u32 v112, v1, v0
                                        ; implicit-def: $vgpr0_vgpr1
	v_cmpx_ne_u32_e32 0, v8
	s_xor_b32 s13, exec_lo, s13
; %bb.6124:                             ;   in Loop: Header=BB6_5830 Depth=4
	s_delay_alu instid0(VALU_DEP_2) | instskip(SKIP_1) | instid1(VALU_DEP_1)
	v_cmp_lt_u64_e32 vcc_lo, 0xffffff, v[112:113]
	v_add_nc_u32_e32 v0, 15, v3
	v_cndmask_b32_e32 v2, v8, v0, vcc_lo
	v_cndmask_b32_e64 v0, 0, 1, vcc_lo
	s_delay_alu instid0(VALU_DEP_1)
	v_lshrrev_b64 v[0:1], v0, v[112:113]
; %bb.6125:                             ;   in Loop: Header=BB6_5830 Depth=4
	s_and_not1_saveexec_b32 s13, s13
; %bb.6126:                             ;   in Loop: Header=BB6_5830 Depth=4
	v_mov_b64_e32 v[0:1], v[112:113]
	v_bfe_u32 v2, v112, 23, 1
; %bb.6127:                             ;   in Loop: Header=BB6_5830 Depth=4
	s_or_b32 exec_lo, exec_lo, s13
	s_delay_alu instid0(VALU_DEP_2) | instskip(NEXT) | instid1(VALU_DEP_2)
	v_lshrrev_b64 v[0:1], 21, v[0:1]
	v_cmp_gt_i32_e32 vcc_lo, 32, v2
	v_min_i32_e32 v3, 31, v2
	v_cmp_eq_u32_e64 s13, 0, v2
	s_delay_alu instid0(VALU_DEP_2) | instskip(SKIP_1) | instid1(VALU_DEP_2)
	v_dual_cndmask_b32 v1, 0, v1, vcc_lo :: v_dual_lshlrev_b32 v3, 2, v3
	v_cndmask_b32_e32 v0, 3, v0, vcc_lo
	v_and_b32_e32 v3, 0xfc, v3
	s_delay_alu instid0(VALU_DEP_2) | instskip(NEXT) | instid1(VALU_DEP_2)
	v_cmp_eq_u64_e32 vcc_lo, 0, v[0:1]
	v_and_or_b32 v0, v0, 3, v3
	s_and_b32 s13, s13, vcc_lo
	s_delay_alu instid0(VALU_DEP_1) | instid1(SALU_CYCLE_1)
	v_cndmask_b32_e64 v0, v0, 0, s13
	s_delay_alu instid0(VALU_DEP_1)
	v_or_b32_e32 v103, v0, v7
.LBB6_6128:                             ;   in Loop: Header=BB6_5830 Depth=4
	s_or_b32 exec_lo, exec_lo, s77
                                        ; implicit-def: $vgpr7
.LBB6_6129:                             ;   in Loop: Header=BB6_5830 Depth=4
	s_and_not1_saveexec_b32 s13, s76
; %bb.6130:                             ;   in Loop: Header=BB6_5830 Depth=4
	v_or_b32_e32 v103, 0x7b, v7
; %bb.6131:                             ;   in Loop: Header=BB6_5830 Depth=4
	s_or_b32 exec_lo, exec_lo, s13
                                        ; implicit-def: $vgpr0
                                        ; implicit-def: $vgpr1
.LBB6_6132:                             ;   in Loop: Header=BB6_5830 Depth=4
	s_and_not1_saveexec_b32 s13, s75
	s_cbranch_execz .LBB6_6138
; %bb.6133:                             ;   in Loop: Header=BB6_5830 Depth=4
	s_mov_b32 s75, exec_lo
                                        ; implicit-def: $vgpr103
	v_cmpx_ne_u64_e32 0, v[112:113]
	s_xor_b32 s75, exec_lo, s75
; %bb.6134:                             ;   in Loop: Header=BB6_5830 Depth=4
	v_or_b32_e32 v103, 0x7f, v1
                                        ; implicit-def: $vgpr0
; %bb.6135:                             ;   in Loop: Header=BB6_5830 Depth=4
	s_and_not1_saveexec_b32 s75, s75
; %bb.6136:                             ;   in Loop: Header=BB6_5830 Depth=4
	v_cmp_lt_i32_e32 vcc_lo, -1, v0
	v_mov_b32_e32 v0, 0x7c
	s_delay_alu instid0(VALU_DEP_1)
	v_cndmask_b32_e32 v103, 0xfc, v0, vcc_lo
; %bb.6137:                             ;   in Loop: Header=BB6_5830 Depth=4
	s_or_b32 exec_lo, exec_lo, s75
.LBB6_6138:                             ;   in Loop: Header=BB6_5830 Depth=4
	s_delay_alu instid0(SALU_CYCLE_1) | instskip(SKIP_2) | instid1(VALU_DEP_1)
	s_or_b32 exec_lo, exec_lo, s13
	v_dual_mov_b32 v1, 0 :: v_dual_lshrrev_b32 v0, 16, v10
	s_mov_b32 s13, exec_lo
	v_and_b32_e32 v2, 0xff, v0
	s_delay_alu instid0(VALU_DEP_1)
	v_cmpx_ne_u16_e32 0, v2
	s_cbranch_execz .LBB6_6148
; %bb.6139:                             ;   in Loop: Header=BB6_5830 Depth=4
	v_bfrev_b32_e32 v1, 1
	s_mov_b32 s75, exec_lo
	v_cmpx_ne_u16_e32 0x80, v2
	s_cbranch_execz .LBB6_6147
; %bb.6140:                             ;   in Loop: Header=BB6_5830 Depth=4
	v_and_b32_e32 v1, 0x7c0000, v10
	v_bfe_u32 v2, v10, 16, 2
	s_delay_alu instid0(VALU_DEP_2) | instskip(SKIP_1) | instid1(SALU_CYCLE_1)
	v_cmp_ne_u32_e32 vcc_lo, 0x7c0000, v1
                                        ; implicit-def: $vgpr1
	s_and_saveexec_b32 s76, vcc_lo
	s_xor_b32 s76, exec_lo, s76
	s_cbranch_execz .LBB6_6144
; %bb.6141:                             ;   in Loop: Header=BB6_5830 Depth=4
	v_bfe_u32 v1, v10, 18, 5
	s_mov_b32 s77, exec_lo
	s_delay_alu instid0(VALU_DEP_1)
	v_cmpx_eq_u32_e32 0, v1
; %bb.6142:                             ;   in Loop: Header=BB6_5830 Depth=4
	v_clz_i32_u32_e32 v1, v2
	s_delay_alu instid0(VALU_DEP_1) | instskip(NEXT) | instid1(VALU_DEP_1)
	v_min_u32_e32 v1, 32, v1
	v_subrev_nc_u32_e32 v2, 29, v1
	s_delay_alu instid0(VALU_DEP_1) | instskip(NEXT) | instid1(VALU_DEP_1)
	v_lshlrev_b64_e32 v[2:3], v2, v[0:1]
	v_dual_sub_nc_u32 v1, 30, v1 :: v_dual_bitop2_b32 v2, 3, v2 bitop3:0x40
; %bb.6143:                             ;   in Loop: Header=BB6_5830 Depth=4
	s_or_b32 exec_lo, exec_lo, s77
	v_lshlrev_b32_e32 v0, 24, v0
	s_delay_alu instid0(VALU_DEP_1) | instskip(NEXT) | instid1(VALU_DEP_1)
	v_and_b32_e32 v0, 0x80000000, v0
	v_lshl_add_u32 v0, v1, 23, v0
	s_delay_alu instid0(VALU_DEP_1) | instskip(NEXT) | instid1(VALU_DEP_1)
	v_lshl_or_b32 v0, v2, 21, v0
                                        ; implicit-def: $vgpr2
	v_add_nc_u32_e32 v1, 0x38000000, v0
                                        ; implicit-def: $vgpr0
.LBB6_6144:                             ;   in Loop: Header=BB6_5830 Depth=4
	s_and_not1_saveexec_b32 s76, s76
; %bb.6145:                             ;   in Loop: Header=BB6_5830 Depth=4
	v_bfe_i32 v0, v0, 0, 8
	s_delay_alu instid0(VALU_DEP_1) | instskip(SKIP_1) | instid1(VALU_DEP_1)
	v_cmp_lt_i16_e32 vcc_lo, -1, v0
	v_mov_b32_e32 v0, 0x7f800000
	v_cndmask_b32_e32 v0, 0xff800000, v0, vcc_lo
	v_cmp_eq_u32_e32 vcc_lo, 0, v2
	s_delay_alu instid0(VALU_DEP_2)
	v_cndmask_b32_e32 v1, 0x7f800001, v0, vcc_lo
; %bb.6146:                             ;   in Loop: Header=BB6_5830 Depth=4
	s_or_b32 exec_lo, exec_lo, s76
.LBB6_6147:                             ;   in Loop: Header=BB6_5830 Depth=4
	s_delay_alu instid0(SALU_CYCLE_1)
	s_or_b32 exec_lo, exec_lo, s75
.LBB6_6148:                             ;   in Loop: Header=BB6_5830 Depth=4
	s_delay_alu instid0(SALU_CYCLE_1) | instskip(NEXT) | instid1(VALU_DEP_1)
	s_or_b32 exec_lo, exec_lo, s13
	v_dual_mul_f32 v0, s74, v1 :: v_dual_mov_b32 v3, v113
                                        ; implicit-def: $vgpr117
	s_mov_b32 s13, exec_lo
	s_delay_alu instid0(VALU_DEP_1) | instskip(SKIP_2) | instid1(VALU_DEP_3)
	v_and_b32_e32 v2, 0x7f800000, v0
	v_and_b32_e32 v112, 0x7fffff, v0
	v_lshrrev_b32_e32 v1, 24, v0
	v_cmpx_ne_u64_e32 0x7f800000, v[2:3]
	s_xor_b32 s75, exec_lo, s13
	s_cbranch_execz .LBB6_6162
; %bb.6149:                             ;   in Loop: Header=BB6_5830 Depth=4
	v_and_b32_e32 v2, 0x7fffffff, v0
	v_mov_b32_e32 v3, v113
	v_and_b32_e32 v7, 0x80, v1
                                        ; implicit-def: $vgpr117
	s_mov_b32 s13, exec_lo
	s_delay_alu instid0(VALU_DEP_2)
	v_cmpx_gt_u64_e32 0x47600001, v[2:3]
	s_xor_b32 s76, exec_lo, s13
	s_cbranch_execz .LBB6_6159
; %bb.6150:                             ;   in Loop: Header=BB6_5830 Depth=4
	v_mov_b32_e32 v117, 0
	s_mov_b32 s77, exec_lo
	v_cmpx_ne_u32_e32 0, v0
	s_cbranch_execz .LBB6_6158
; %bb.6151:                             ;   in Loop: Header=BB6_5830 Depth=4
	v_bfe_u32 v8, v0, 23, 8
	v_or_b32_e32 v2, 0x800000, v112
	s_mov_b32 s78, exec_lo
	s_delay_alu instid0(VALU_DEP_2) | instskip(SKIP_1) | instid1(VALU_DEP_2)
	v_dual_mov_b32 v3, v113 :: v_dual_sub_nc_u32 v0, 0x71, v8
	v_cmp_gt_u32_e32 vcc_lo, 0x72, v8
	v_cndmask_b32_e32 v0, 0, v0, vcc_lo
	v_cmp_eq_u32_e32 vcc_lo, 0, v8
	s_delay_alu instid0(VALU_DEP_2) | instskip(NEXT) | instid1(VALU_DEP_1)
	v_cndmask_b32_e64 v9, v0, 0x70, vcc_lo
	v_dual_cndmask_b32 v2, v2, v112, vcc_lo :: v_dual_add_nc_u32 v0, 21, v9
	v_add_nc_u32_e32 v12, 20, v9
	s_delay_alu instid0(VALU_DEP_2) | instskip(NEXT) | instid1(VALU_DEP_2)
	v_lshlrev_b64_e64 v[0:1], v0, -1
	v_lshlrev_b64_e64 v[12:13], v12, 1
	s_delay_alu instid0(VALU_DEP_2) | instskip(NEXT) | instid1(VALU_DEP_3)
	v_bfi_b32 v15, v1, 0, 0
	v_bfi_b32 v14, v0, 0, v2
	v_lshrrev_b64 v[0:1], v9, v[2:3]
	s_delay_alu instid0(VALU_DEP_1) | instskip(NEXT) | instid1(VALU_DEP_3)
	v_mov_b64_e32 v[2:3], v[0:1]
	v_cmpx_eq_u64_e64 v[14:15], v[12:13]
; %bb.6152:                             ;   in Loop: Header=BB6_5830 Depth=4
	v_bfe_u32 v2, v0, 21, 1
	v_mov_b32_e32 v3, v113
	s_delay_alu instid0(VALU_DEP_1) | instskip(NEXT) | instid1(VALU_DEP_1)
	v_add_nc_u64_e32 v[2:3], v[0:1], v[2:3]
	v_add_nc_u64_e32 v[2:3], -1, v[2:3]
; %bb.6153:                             ;   in Loop: Header=BB6_5830 Depth=4
	s_or_b32 exec_lo, exec_lo, s78
	v_add_nc_u32_e32 v1, 0xffffff81, v8
	v_lshrrev_b32_e32 v3, 23, v0
	s_mov_b32 s13, exec_lo
	s_delay_alu instid0(VALU_DEP_2) | instskip(NEXT) | instid1(VALU_DEP_1)
	v_cndmask_b32_e64 v1, v1, 0xffffff82, vcc_lo
	v_add3_u32 v3, v9, v1, v3
	v_and_b32_e32 v1, 0x1fffff, v2
                                        ; implicit-def: $vgpr2
	s_delay_alu instid0(VALU_DEP_1) | instskip(NEXT) | instid1(VALU_DEP_1)
	v_dual_add_nc_u32 v8, 14, v3 :: v_dual_add_nc_u32 v112, v1, v0
                                        ; implicit-def: $vgpr0_vgpr1
	v_cmpx_ne_u32_e32 0, v8
	s_xor_b32 s13, exec_lo, s13
; %bb.6154:                             ;   in Loop: Header=BB6_5830 Depth=4
	s_delay_alu instid0(VALU_DEP_2) | instskip(SKIP_1) | instid1(VALU_DEP_1)
	v_cmp_lt_u64_e32 vcc_lo, 0xffffff, v[112:113]
	v_add_nc_u32_e32 v0, 15, v3
	v_cndmask_b32_e32 v2, v8, v0, vcc_lo
	v_cndmask_b32_e64 v0, 0, 1, vcc_lo
	s_delay_alu instid0(VALU_DEP_1)
	v_lshrrev_b64 v[0:1], v0, v[112:113]
; %bb.6155:                             ;   in Loop: Header=BB6_5830 Depth=4
	s_and_not1_saveexec_b32 s13, s13
; %bb.6156:                             ;   in Loop: Header=BB6_5830 Depth=4
	v_mov_b64_e32 v[0:1], v[112:113]
	v_bfe_u32 v2, v112, 23, 1
; %bb.6157:                             ;   in Loop: Header=BB6_5830 Depth=4
	s_or_b32 exec_lo, exec_lo, s13
	s_delay_alu instid0(VALU_DEP_2) | instskip(NEXT) | instid1(VALU_DEP_2)
	v_lshrrev_b64 v[0:1], 21, v[0:1]
	v_cmp_gt_i32_e32 vcc_lo, 32, v2
	v_min_i32_e32 v3, 31, v2
	v_cmp_eq_u32_e64 s13, 0, v2
	s_delay_alu instid0(VALU_DEP_2) | instskip(SKIP_1) | instid1(VALU_DEP_2)
	v_dual_cndmask_b32 v1, 0, v1, vcc_lo :: v_dual_lshlrev_b32 v3, 2, v3
	v_cndmask_b32_e32 v0, 3, v0, vcc_lo
	v_and_b32_e32 v3, 0xfc, v3
	s_delay_alu instid0(VALU_DEP_2) | instskip(NEXT) | instid1(VALU_DEP_2)
	v_cmp_eq_u64_e32 vcc_lo, 0, v[0:1]
	v_and_or_b32 v0, v0, 3, v3
	s_and_b32 s13, s13, vcc_lo
	s_delay_alu instid0(VALU_DEP_1) | instid1(SALU_CYCLE_1)
	v_cndmask_b32_e64 v0, v0, 0, s13
	s_delay_alu instid0(VALU_DEP_1)
	v_or_b32_e32 v117, v0, v7
.LBB6_6158:                             ;   in Loop: Header=BB6_5830 Depth=4
	s_or_b32 exec_lo, exec_lo, s77
                                        ; implicit-def: $vgpr7
.LBB6_6159:                             ;   in Loop: Header=BB6_5830 Depth=4
	s_and_not1_saveexec_b32 s13, s76
; %bb.6160:                             ;   in Loop: Header=BB6_5830 Depth=4
	v_or_b32_e32 v117, 0x7b, v7
; %bb.6161:                             ;   in Loop: Header=BB6_5830 Depth=4
	s_or_b32 exec_lo, exec_lo, s13
                                        ; implicit-def: $vgpr0
                                        ; implicit-def: $vgpr1
.LBB6_6162:                             ;   in Loop: Header=BB6_5830 Depth=4
	s_and_not1_saveexec_b32 s13, s75
	s_cbranch_execz .LBB6_6168
; %bb.6163:                             ;   in Loop: Header=BB6_5830 Depth=4
	s_mov_b32 s75, exec_lo
                                        ; implicit-def: $vgpr117
	v_cmpx_ne_u64_e32 0, v[112:113]
	s_xor_b32 s75, exec_lo, s75
; %bb.6164:                             ;   in Loop: Header=BB6_5830 Depth=4
	v_or_b32_e32 v117, 0x7f, v1
                                        ; implicit-def: $vgpr0
; %bb.6165:                             ;   in Loop: Header=BB6_5830 Depth=4
	s_and_not1_saveexec_b32 s75, s75
; %bb.6166:                             ;   in Loop: Header=BB6_5830 Depth=4
	v_cmp_lt_i32_e32 vcc_lo, -1, v0
	v_mov_b32_e32 v0, 0x7c
	s_delay_alu instid0(VALU_DEP_1)
	v_cndmask_b32_e32 v117, 0xfc, v0, vcc_lo
; %bb.6167:                             ;   in Loop: Header=BB6_5830 Depth=4
	s_or_b32 exec_lo, exec_lo, s75
.LBB6_6168:                             ;   in Loop: Header=BB6_5830 Depth=4
	s_delay_alu instid0(SALU_CYCLE_1)
	s_or_b32 exec_lo, exec_lo, s13
	v_mov_b32_e32 v1, 0
	s_mov_b32 s13, exec_lo
	v_cmpx_lt_u32_e32 0xffffff, v10
	s_cbranch_execz .LBB6_6178
; %bb.6169:                             ;   in Loop: Header=BB6_5830 Depth=4
	v_lshrrev_b32_e32 v0, 24, v10
	v_bfrev_b32_e32 v1, 1
	s_mov_b32 s75, exec_lo
	s_delay_alu instid0(VALU_DEP_2)
	v_cmpx_ne_u32_e32 0x80, v0
	s_cbranch_execz .LBB6_6177
; %bb.6170:                             ;   in Loop: Header=BB6_5830 Depth=4
	v_and_b32_e32 v1, 0x7c000000, v10
	v_bfe_u32 v2, v10, 24, 2
	s_delay_alu instid0(VALU_DEP_2) | instskip(SKIP_1) | instid1(SALU_CYCLE_1)
	v_cmp_ne_u32_e32 vcc_lo, 0x7c000000, v1
                                        ; implicit-def: $vgpr1
	s_and_saveexec_b32 s76, vcc_lo
	s_xor_b32 s76, exec_lo, s76
	s_cbranch_execz .LBB6_6174
; %bb.6171:                             ;   in Loop: Header=BB6_5830 Depth=4
	v_bfe_u32 v1, v10, 26, 5
	s_mov_b32 s77, exec_lo
	s_delay_alu instid0(VALU_DEP_1)
	v_cmpx_eq_u32_e32 0, v1
; %bb.6172:                             ;   in Loop: Header=BB6_5830 Depth=4
	v_clz_i32_u32_e32 v1, v2
	s_delay_alu instid0(VALU_DEP_1) | instskip(NEXT) | instid1(VALU_DEP_1)
	v_min_u32_e32 v2, 32, v1
	v_subrev_nc_u32_e32 v1, 29, v2
	s_delay_alu instid0(VALU_DEP_1) | instskip(NEXT) | instid1(VALU_DEP_1)
	v_lshlrev_b64_e32 v[0:1], v1, v[0:1]
	v_dual_sub_nc_u32 v1, 30, v2 :: v_dual_bitop2_b32 v2, 3, v0 bitop3:0x40
; %bb.6173:                             ;   in Loop: Header=BB6_5830 Depth=4
	s_or_b32 exec_lo, exec_lo, s77
	v_and_b32_e32 v0, 0x80000000, v10
	s_delay_alu instid0(VALU_DEP_1) | instskip(NEXT) | instid1(VALU_DEP_1)
	v_lshl_add_u32 v0, v1, 23, v0
	v_lshl_or_b32 v0, v2, 21, v0
                                        ; implicit-def: $vgpr2
	s_delay_alu instid0(VALU_DEP_1)
	v_add_nc_u32_e32 v1, 0x38000000, v0
.LBB6_6174:                             ;   in Loop: Header=BB6_5830 Depth=4
	s_and_not1_saveexec_b32 s76, s76
; %bb.6175:                             ;   in Loop: Header=BB6_5830 Depth=4
	v_cmp_lt_i32_e32 vcc_lo, -1, v10
	v_mov_b32_e32 v0, 0x7f800000
	s_delay_alu instid0(VALU_DEP_1) | instskip(SKIP_1) | instid1(VALU_DEP_2)
	v_cndmask_b32_e32 v0, 0xff800000, v0, vcc_lo
	v_cmp_eq_u32_e32 vcc_lo, 0, v2
	v_cndmask_b32_e32 v1, 0x7f800001, v0, vcc_lo
; %bb.6176:                             ;   in Loop: Header=BB6_5830 Depth=4
	s_or_b32 exec_lo, exec_lo, s76
.LBB6_6177:                             ;   in Loop: Header=BB6_5830 Depth=4
	s_delay_alu instid0(SALU_CYCLE_1)
	s_or_b32 exec_lo, exec_lo, s75
.LBB6_6178:                             ;   in Loop: Header=BB6_5830 Depth=4
	s_delay_alu instid0(SALU_CYCLE_1) | instskip(NEXT) | instid1(VALU_DEP_1)
	s_or_b32 exec_lo, exec_lo, s13
	v_dual_mul_f32 v0, s74, v1 :: v_dual_mov_b32 v3, v113
                                        ; implicit-def: $vgpr46
	s_mov_b32 s13, exec_lo
	s_delay_alu instid0(VALU_DEP_1) | instskip(SKIP_2) | instid1(VALU_DEP_3)
	v_and_b32_e32 v2, 0x7f800000, v0
	v_and_b32_e32 v112, 0x7fffff, v0
	v_lshrrev_b32_e32 v1, 24, v0
	v_cmpx_ne_u64_e32 0x7f800000, v[2:3]
	s_xor_b32 s75, exec_lo, s13
	s_cbranch_execz .LBB6_6192
; %bb.6179:                             ;   in Loop: Header=BB6_5830 Depth=4
	v_and_b32_e32 v2, 0x7fffffff, v0
	v_mov_b32_e32 v3, v113
	v_and_b32_e32 v7, 0x80, v1
                                        ; implicit-def: $vgpr46
	s_mov_b32 s13, exec_lo
	s_delay_alu instid0(VALU_DEP_2)
	v_cmpx_gt_u64_e32 0x47600001, v[2:3]
	s_xor_b32 s76, exec_lo, s13
	s_cbranch_execz .LBB6_6189
; %bb.6180:                             ;   in Loop: Header=BB6_5830 Depth=4
	v_mov_b32_e32 v46, 0
	s_mov_b32 s77, exec_lo
	v_cmpx_ne_u32_e32 0, v0
	s_cbranch_execz .LBB6_6188
; %bb.6181:                             ;   in Loop: Header=BB6_5830 Depth=4
	v_bfe_u32 v8, v0, 23, 8
	v_or_b32_e32 v2, 0x800000, v112
	s_mov_b32 s78, exec_lo
	s_delay_alu instid0(VALU_DEP_2) | instskip(SKIP_1) | instid1(VALU_DEP_2)
	v_dual_mov_b32 v3, v113 :: v_dual_sub_nc_u32 v0, 0x71, v8
	v_cmp_gt_u32_e32 vcc_lo, 0x72, v8
	v_cndmask_b32_e32 v0, 0, v0, vcc_lo
	v_cmp_eq_u32_e32 vcc_lo, 0, v8
	s_delay_alu instid0(VALU_DEP_2) | instskip(NEXT) | instid1(VALU_DEP_1)
	v_cndmask_b32_e64 v9, v0, 0x70, vcc_lo
	v_dual_cndmask_b32 v2, v2, v112, vcc_lo :: v_dual_add_nc_u32 v0, 21, v9
	v_add_nc_u32_e32 v12, 20, v9
	s_delay_alu instid0(VALU_DEP_2) | instskip(NEXT) | instid1(VALU_DEP_2)
	v_lshlrev_b64_e64 v[0:1], v0, -1
	v_lshlrev_b64_e64 v[12:13], v12, 1
	s_delay_alu instid0(VALU_DEP_2) | instskip(NEXT) | instid1(VALU_DEP_3)
	v_bfi_b32 v15, v1, 0, 0
	v_bfi_b32 v14, v0, 0, v2
	v_lshrrev_b64 v[0:1], v9, v[2:3]
	s_delay_alu instid0(VALU_DEP_1) | instskip(NEXT) | instid1(VALU_DEP_3)
	v_mov_b64_e32 v[2:3], v[0:1]
	v_cmpx_eq_u64_e64 v[14:15], v[12:13]
; %bb.6182:                             ;   in Loop: Header=BB6_5830 Depth=4
	v_bfe_u32 v2, v0, 21, 1
	v_mov_b32_e32 v3, v113
	s_delay_alu instid0(VALU_DEP_1) | instskip(NEXT) | instid1(VALU_DEP_1)
	v_add_nc_u64_e32 v[2:3], v[0:1], v[2:3]
	v_add_nc_u64_e32 v[2:3], -1, v[2:3]
; %bb.6183:                             ;   in Loop: Header=BB6_5830 Depth=4
	s_or_b32 exec_lo, exec_lo, s78
	v_add_nc_u32_e32 v1, 0xffffff81, v8
	v_lshrrev_b32_e32 v3, 23, v0
	s_mov_b32 s13, exec_lo
	s_delay_alu instid0(VALU_DEP_2) | instskip(NEXT) | instid1(VALU_DEP_1)
	v_cndmask_b32_e64 v1, v1, 0xffffff82, vcc_lo
	v_add3_u32 v3, v9, v1, v3
	v_and_b32_e32 v1, 0x1fffff, v2
                                        ; implicit-def: $vgpr2
	s_delay_alu instid0(VALU_DEP_1) | instskip(NEXT) | instid1(VALU_DEP_1)
	v_dual_add_nc_u32 v8, 14, v3 :: v_dual_add_nc_u32 v112, v1, v0
                                        ; implicit-def: $vgpr0_vgpr1
	v_cmpx_ne_u32_e32 0, v8
	s_xor_b32 s13, exec_lo, s13
; %bb.6184:                             ;   in Loop: Header=BB6_5830 Depth=4
	s_delay_alu instid0(VALU_DEP_2) | instskip(SKIP_1) | instid1(VALU_DEP_1)
	v_cmp_lt_u64_e32 vcc_lo, 0xffffff, v[112:113]
	v_add_nc_u32_e32 v0, 15, v3
	v_cndmask_b32_e32 v2, v8, v0, vcc_lo
	v_cndmask_b32_e64 v0, 0, 1, vcc_lo
	s_delay_alu instid0(VALU_DEP_1)
	v_lshrrev_b64 v[0:1], v0, v[112:113]
; %bb.6185:                             ;   in Loop: Header=BB6_5830 Depth=4
	s_and_not1_saveexec_b32 s13, s13
; %bb.6186:                             ;   in Loop: Header=BB6_5830 Depth=4
	v_mov_b64_e32 v[0:1], v[112:113]
	v_bfe_u32 v2, v112, 23, 1
; %bb.6187:                             ;   in Loop: Header=BB6_5830 Depth=4
	s_or_b32 exec_lo, exec_lo, s13
	s_delay_alu instid0(VALU_DEP_2) | instskip(NEXT) | instid1(VALU_DEP_2)
	v_lshrrev_b64 v[0:1], 21, v[0:1]
	v_cmp_gt_i32_e32 vcc_lo, 32, v2
	v_min_i32_e32 v3, 31, v2
	v_cmp_eq_u32_e64 s13, 0, v2
	s_delay_alu instid0(VALU_DEP_2) | instskip(SKIP_1) | instid1(VALU_DEP_2)
	v_dual_cndmask_b32 v1, 0, v1, vcc_lo :: v_dual_lshlrev_b32 v3, 2, v3
	v_cndmask_b32_e32 v0, 3, v0, vcc_lo
	v_and_b32_e32 v3, 0xfc, v3
	s_delay_alu instid0(VALU_DEP_2) | instskip(NEXT) | instid1(VALU_DEP_2)
	v_cmp_eq_u64_e32 vcc_lo, 0, v[0:1]
	v_and_or_b32 v0, v0, 3, v3
	s_and_b32 s13, s13, vcc_lo
	s_delay_alu instid0(VALU_DEP_1) | instid1(SALU_CYCLE_1)
	v_cndmask_b32_e64 v0, v0, 0, s13
	s_delay_alu instid0(VALU_DEP_1)
	v_or_b32_e32 v46, v0, v7
.LBB6_6188:                             ;   in Loop: Header=BB6_5830 Depth=4
	s_or_b32 exec_lo, exec_lo, s77
                                        ; implicit-def: $vgpr7
.LBB6_6189:                             ;   in Loop: Header=BB6_5830 Depth=4
	s_and_not1_saveexec_b32 s13, s76
; %bb.6190:                             ;   in Loop: Header=BB6_5830 Depth=4
	v_or_b32_e32 v46, 0x7b, v7
; %bb.6191:                             ;   in Loop: Header=BB6_5830 Depth=4
	s_or_b32 exec_lo, exec_lo, s13
                                        ; implicit-def: $vgpr0
                                        ; implicit-def: $vgpr1
.LBB6_6192:                             ;   in Loop: Header=BB6_5830 Depth=4
	s_and_not1_saveexec_b32 s13, s75
	s_cbranch_execz .LBB6_6198
; %bb.6193:                             ;   in Loop: Header=BB6_5830 Depth=4
	s_mov_b32 s75, exec_lo
                                        ; implicit-def: $vgpr46
	v_cmpx_ne_u64_e32 0, v[112:113]
	s_xor_b32 s75, exec_lo, s75
; %bb.6194:                             ;   in Loop: Header=BB6_5830 Depth=4
	v_or_b32_e32 v46, 0x7f, v1
                                        ; implicit-def: $vgpr0
; %bb.6195:                             ;   in Loop: Header=BB6_5830 Depth=4
	s_and_not1_saveexec_b32 s75, s75
; %bb.6196:                             ;   in Loop: Header=BB6_5830 Depth=4
	v_cmp_lt_i32_e32 vcc_lo, -1, v0
	v_mov_b32_e32 v0, 0x7c
	s_delay_alu instid0(VALU_DEP_1)
	v_cndmask_b32_e32 v46, 0xfc, v0, vcc_lo
; %bb.6197:                             ;   in Loop: Header=BB6_5830 Depth=4
	s_or_b32 exec_lo, exec_lo, s75
.LBB6_6198:                             ;   in Loop: Header=BB6_5830 Depth=4
	s_delay_alu instid0(SALU_CYCLE_1) | instskip(SKIP_3) | instid1(VALU_DEP_2)
	s_or_b32 exec_lo, exec_lo, s13
	v_and_b32_e32 v1, 0xff, v11
	v_dual_mov_b32 v112, v11 :: v_dual_mov_b32 v0, 0
	s_mov_b32 s13, exec_lo
	v_cmpx_ne_u16_e32 0, v1
	s_cbranch_execz .LBB6_6208
; %bb.6199:                             ;   in Loop: Header=BB6_5830 Depth=4
	v_bfrev_b32_e32 v0, 1
	s_mov_b32 s75, exec_lo
	v_cmpx_ne_u16_e32 0x80, v1
	s_cbranch_execz .LBB6_6207
; %bb.6200:                             ;   in Loop: Header=BB6_5830 Depth=4
	v_and_b32_e32 v0, 0x7c, v11
	v_and_b32_e32 v1, 3, v11
	s_delay_alu instid0(VALU_DEP_2) | instskip(SKIP_1) | instid1(SALU_CYCLE_1)
	v_cmp_ne_u32_e32 vcc_lo, 0x7c, v0
                                        ; implicit-def: $vgpr0
	s_and_saveexec_b32 s76, vcc_lo
	s_xor_b32 s76, exec_lo, s76
	s_cbranch_execz .LBB6_6204
; %bb.6201:                             ;   in Loop: Header=BB6_5830 Depth=4
	v_bfe_u32 v0, v11, 2, 5
	s_mov_b32 s77, exec_lo
	s_delay_alu instid0(VALU_DEP_1)
	v_cmpx_eq_u32_e32 0, v0
; %bb.6202:                             ;   in Loop: Header=BB6_5830 Depth=4
	v_clz_i32_u32_e32 v0, v1
	s_delay_alu instid0(VALU_DEP_1) | instskip(NEXT) | instid1(VALU_DEP_1)
	v_min_u32_e32 v0, 32, v0
	v_subrev_nc_u32_e32 v1, 29, v0
	s_delay_alu instid0(VALU_DEP_1) | instskip(NEXT) | instid1(VALU_DEP_1)
	v_lshlrev_b64_e32 v[2:3], v1, v[112:113]
	v_dual_sub_nc_u32 v0, 30, v0 :: v_dual_bitop2_b32 v1, 3, v2 bitop3:0x40
; %bb.6203:                             ;   in Loop: Header=BB6_5830 Depth=4
	s_or_b32 exec_lo, exec_lo, s77
	v_lshlrev_b32_e32 v2, 24, v11
	s_delay_alu instid0(VALU_DEP_1) | instskip(NEXT) | instid1(VALU_DEP_1)
	v_and_b32_e32 v2, 0x80000000, v2
	v_lshl_add_u32 v0, v0, 23, v2
	s_delay_alu instid0(VALU_DEP_1) | instskip(NEXT) | instid1(VALU_DEP_1)
	v_lshl_or_b32 v0, v1, 21, v0
                                        ; implicit-def: $vgpr1
	v_add_nc_u32_e32 v0, 0x38000000, v0
.LBB6_6204:                             ;   in Loop: Header=BB6_5830 Depth=4
	s_and_not1_saveexec_b32 s76, s76
; %bb.6205:                             ;   in Loop: Header=BB6_5830 Depth=4
	v_bfe_i32 v0, v11, 0, 8
	s_delay_alu instid0(VALU_DEP_1) | instskip(SKIP_1) | instid1(VALU_DEP_1)
	v_cmp_lt_i16_e32 vcc_lo, -1, v0
	v_mov_b32_e32 v0, 0x7f800000
	v_cndmask_b32_e32 v0, 0xff800000, v0, vcc_lo
	v_cmp_eq_u32_e32 vcc_lo, 0, v1
	s_delay_alu instid0(VALU_DEP_2)
	v_cndmask_b32_e32 v0, 0x7f800001, v0, vcc_lo
; %bb.6206:                             ;   in Loop: Header=BB6_5830 Depth=4
	s_or_b32 exec_lo, exec_lo, s76
.LBB6_6207:                             ;   in Loop: Header=BB6_5830 Depth=4
	s_delay_alu instid0(SALU_CYCLE_1)
	s_or_b32 exec_lo, exec_lo, s75
.LBB6_6208:                             ;   in Loop: Header=BB6_5830 Depth=4
	s_delay_alu instid0(SALU_CYCLE_1) | instskip(NEXT) | instid1(VALU_DEP_1)
	s_or_b32 exec_lo, exec_lo, s13
	v_dual_mul_f32 v2, s74, v0 :: v_dual_mov_b32 v9, v113
	v_mov_b32_e32 v1, v113
                                        ; implicit-def: $vgpr40
	s_mov_b32 s13, exec_lo
	s_delay_alu instid0(VALU_DEP_2) | instskip(SKIP_2) | instid1(VALU_DEP_3)
	v_and_b32_e32 v8, 0x7f800000, v2
	v_and_b32_e32 v0, 0x7fffff, v2
	v_lshrrev_b32_e32 v3, 24, v2
	v_cmpx_ne_u64_e32 0x7f800000, v[8:9]
	s_xor_b32 s75, exec_lo, s13
	s_cbranch_execz .LBB6_6222
; %bb.6209:                             ;   in Loop: Header=BB6_5830 Depth=4
	v_and_b32_e32 v8, 0x7fffffff, v2
	v_mov_b32_e32 v9, v113
	v_and_b32_e32 v7, 0x80, v3
                                        ; implicit-def: $vgpr40
	s_mov_b32 s13, exec_lo
	s_delay_alu instid0(VALU_DEP_2)
	v_cmpx_gt_u64_e32 0x47600001, v[8:9]
	s_xor_b32 s76, exec_lo, s13
	s_cbranch_execz .LBB6_6219
; %bb.6210:                             ;   in Loop: Header=BB6_5830 Depth=4
	v_mov_b32_e32 v40, 0
	s_mov_b32 s77, exec_lo
	v_cmpx_ne_u32_e32 0, v2
	s_cbranch_execz .LBB6_6218
; %bb.6211:                             ;   in Loop: Header=BB6_5830 Depth=4
	v_bfe_u32 v8, v2, 23, 8
	v_or_b32_e32 v12, 0x800000, v0
	s_delay_alu instid0(VALU_DEP_2) | instskip(SKIP_1) | instid1(VALU_DEP_2)
	v_sub_nc_u32_e32 v2, 0x71, v8
	v_cmp_gt_u32_e32 vcc_lo, 0x72, v8
	v_cndmask_b32_e32 v2, 0, v2, vcc_lo
	v_cmp_eq_u32_e32 vcc_lo, 0, v8
	s_delay_alu instid0(VALU_DEP_2) | instskip(NEXT) | instid1(VALU_DEP_1)
	v_cndmask_b32_e64 v9, v2, 0x70, vcc_lo
	v_dual_cndmask_b32 v0, v12, v0, vcc_lo :: v_dual_add_nc_u32 v2, 21, v9
	v_add_nc_u32_e32 v13, 20, v9
	s_delay_alu instid0(VALU_DEP_2) | instskip(NEXT) | instid1(VALU_DEP_2)
	v_lshlrev_b64_e64 v[2:3], v2, -1
	v_lshlrev_b64_e64 v[12:13], v13, 1
	s_delay_alu instid0(VALU_DEP_2) | instskip(SKIP_1) | instid1(VALU_DEP_4)
	v_bfi_b32 v2, v2, 0, v0
	v_lshrrev_b64 v[0:1], v9, v[0:1]
	v_bfi_b32 v3, v3, 0, 0
	s_delay_alu instid0(VALU_DEP_1) | instskip(NEXT) | instid1(VALU_DEP_3)
	v_cmp_eq_u64_e64 s13, v[2:3], v[12:13]
	v_mov_b64_e32 v[2:3], v[0:1]
	s_and_saveexec_b32 s78, s13
; %bb.6212:                             ;   in Loop: Header=BB6_5830 Depth=4
	v_bfe_u32 v2, v0, 21, 1
	v_mov_b32_e32 v3, v113
	s_delay_alu instid0(VALU_DEP_1) | instskip(NEXT) | instid1(VALU_DEP_1)
	v_add_nc_u64_e32 v[2:3], v[0:1], v[2:3]
	v_add_nc_u64_e32 v[2:3], -1, v[2:3]
; %bb.6213:                             ;   in Loop: Header=BB6_5830 Depth=4
	s_or_b32 exec_lo, exec_lo, s78
	v_add_nc_u32_e32 v1, 0xffffff81, v8
	v_lshrrev_b32_e32 v3, 23, v0
	s_mov_b32 s13, exec_lo
	s_delay_alu instid0(VALU_DEP_2) | instskip(NEXT) | instid1(VALU_DEP_1)
	v_cndmask_b32_e64 v1, v1, 0xffffff82, vcc_lo
	v_add3_u32 v3, v9, v1, v3
	v_and_b32_e32 v1, 0x1fffff, v2
                                        ; implicit-def: $vgpr2
	s_delay_alu instid0(VALU_DEP_1) | instskip(SKIP_1) | instid1(VALU_DEP_2)
	v_dual_add_nc_u32 v8, 14, v3 :: v_dual_add_nc_u32 v0, v1, v0
	v_mov_b32_e32 v1, v113
	v_cmpx_ne_u32_e32 0, v8
	s_xor_b32 s13, exec_lo, s13
; %bb.6214:                             ;   in Loop: Header=BB6_5830 Depth=4
	s_delay_alu instid0(VALU_DEP_2) | instskip(SKIP_2) | instid1(VALU_DEP_2)
	v_cmp_lt_u64_e32 vcc_lo, 0xffffff, v[0:1]
	v_add_nc_u32_e32 v2, 15, v3
	v_cndmask_b32_e64 v3, 0, 1, vcc_lo
	v_cndmask_b32_e32 v2, v8, v2, vcc_lo
	s_delay_alu instid0(VALU_DEP_2)
	v_lshrrev_b64 v[0:1], v3, v[0:1]
; %bb.6215:                             ;   in Loop: Header=BB6_5830 Depth=4
	s_and_not1_saveexec_b32 s13, s13
; %bb.6216:                             ;   in Loop: Header=BB6_5830 Depth=4
	s_delay_alu instid0(VALU_DEP_1)
	v_bfe_u32 v2, v0, 23, 1
; %bb.6217:                             ;   in Loop: Header=BB6_5830 Depth=4
	s_or_b32 exec_lo, exec_lo, s13
	s_delay_alu instid0(VALU_DEP_2) | instskip(NEXT) | instid1(VALU_DEP_2)
	v_lshrrev_b64 v[0:1], 21, v[0:1]
	v_cmp_gt_i32_e32 vcc_lo, 32, v2
	v_min_i32_e32 v3, 31, v2
	v_cmp_eq_u32_e64 s13, 0, v2
	s_delay_alu instid0(VALU_DEP_2) | instskip(SKIP_1) | instid1(VALU_DEP_2)
	v_dual_cndmask_b32 v1, 0, v1, vcc_lo :: v_dual_lshlrev_b32 v3, 2, v3
	v_cndmask_b32_e32 v0, 3, v0, vcc_lo
	v_and_b32_e32 v3, 0xfc, v3
	s_delay_alu instid0(VALU_DEP_2) | instskip(NEXT) | instid1(VALU_DEP_2)
	v_cmp_eq_u64_e32 vcc_lo, 0, v[0:1]
	v_and_or_b32 v0, v0, 3, v3
	s_and_b32 s13, s13, vcc_lo
	s_delay_alu instid0(VALU_DEP_1) | instid1(SALU_CYCLE_1)
	v_cndmask_b32_e64 v0, v0, 0, s13
	s_delay_alu instid0(VALU_DEP_1)
	v_or_b32_e32 v40, v0, v7
.LBB6_6218:                             ;   in Loop: Header=BB6_5830 Depth=4
	s_or_b32 exec_lo, exec_lo, s77
                                        ; implicit-def: $vgpr7
.LBB6_6219:                             ;   in Loop: Header=BB6_5830 Depth=4
	s_and_not1_saveexec_b32 s13, s76
; %bb.6220:                             ;   in Loop: Header=BB6_5830 Depth=4
	v_or_b32_e32 v40, 0x7b, v7
; %bb.6221:                             ;   in Loop: Header=BB6_5830 Depth=4
	s_or_b32 exec_lo, exec_lo, s13
                                        ; implicit-def: $vgpr2
                                        ; implicit-def: $vgpr0_vgpr1
                                        ; implicit-def: $vgpr3
.LBB6_6222:                             ;   in Loop: Header=BB6_5830 Depth=4
	s_and_not1_saveexec_b32 s13, s75
	s_cbranch_execz .LBB6_6228
; %bb.6223:                             ;   in Loop: Header=BB6_5830 Depth=4
	s_mov_b32 s75, exec_lo
                                        ; implicit-def: $vgpr40
	v_cmpx_ne_u64_e32 0, v[0:1]
	s_xor_b32 s75, exec_lo, s75
; %bb.6224:                             ;   in Loop: Header=BB6_5830 Depth=4
	v_or_b32_e32 v40, 0x7f, v3
                                        ; implicit-def: $vgpr2
; %bb.6225:                             ;   in Loop: Header=BB6_5830 Depth=4
	s_and_not1_saveexec_b32 s75, s75
; %bb.6226:                             ;   in Loop: Header=BB6_5830 Depth=4
	v_cmp_lt_i32_e32 vcc_lo, -1, v2
	v_mov_b32_e32 v0, 0x7c
	s_delay_alu instid0(VALU_DEP_1)
	v_cndmask_b32_e32 v40, 0xfc, v0, vcc_lo
; %bb.6227:                             ;   in Loop: Header=BB6_5830 Depth=4
	s_or_b32 exec_lo, exec_lo, s75
.LBB6_6228:                             ;   in Loop: Header=BB6_5830 Depth=4
	s_delay_alu instid0(SALU_CYCLE_1) | instskip(SKIP_3) | instid1(VALU_DEP_2)
	s_or_b32 exec_lo, exec_lo, s13
	v_lshrrev_b16 v0, 8, v112
	v_mov_b32_e32 v2, 0
	s_mov_b32 s13, exec_lo
	v_cmpx_ne_u16_e32 0, v0
	s_cbranch_execz .LBB6_6238
; %bb.6229:                             ;   in Loop: Header=BB6_5830 Depth=4
	v_bfrev_b32_e32 v2, 1
	s_mov_b32 s75, exec_lo
	v_cmpx_ne_u16_e32 0x80, v0
	s_cbranch_execz .LBB6_6237
; %bb.6230:                             ;   in Loop: Header=BB6_5830 Depth=4
	v_and_b32_e32 v3, 0xffff, v0
	s_delay_alu instid0(VALU_DEP_1) | instskip(SKIP_1) | instid1(VALU_DEP_2)
	v_and_b32_e32 v2, 0x7c, v3
	v_and_b32_e32 v1, 3, v3
	v_cmp_ne_u32_e32 vcc_lo, 0x7c, v2
                                        ; implicit-def: $vgpr2
	s_and_saveexec_b32 s76, vcc_lo
	s_delay_alu instid0(SALU_CYCLE_1)
	s_xor_b32 s76, exec_lo, s76
	s_cbranch_execz .LBB6_6234
; %bb.6231:                             ;   in Loop: Header=BB6_5830 Depth=4
	v_bfe_u32 v2, v3, 2, 5
	s_mov_b32 s77, exec_lo
	s_delay_alu instid0(VALU_DEP_1)
	v_cmpx_eq_u32_e32 0, v2
	s_cbranch_execz .LBB6_6233
; %bb.6232:                             ;   in Loop: Header=BB6_5830 Depth=4
	v_clz_i32_u32_e32 v1, v1
	s_delay_alu instid0(VALU_DEP_1) | instskip(SKIP_1) | instid1(VALU_DEP_2)
	v_min_u32_e32 v2, 32, v1
	v_mov_b32_e32 v1, v113
	v_subrev_nc_u32_e32 v3, 29, v2
	v_sub_nc_u32_e32 v2, 30, v2
	s_delay_alu instid0(VALU_DEP_2) | instskip(NEXT) | instid1(VALU_DEP_1)
	v_lshlrev_b64_e32 v[0:1], v3, v[0:1]
	v_and_b32_e32 v1, 3, v0
.LBB6_6233:                             ;   in Loop: Header=BB6_5830 Depth=4
	s_or_b32 exec_lo, exec_lo, s77
	v_lshlrev_b32_e32 v0, 16, v112
	s_delay_alu instid0(VALU_DEP_1) | instskip(NEXT) | instid1(VALU_DEP_1)
	v_and_b32_e32 v0, 0x80000000, v0
	v_lshl_add_u32 v0, v2, 23, v0
	s_delay_alu instid0(VALU_DEP_1) | instskip(NEXT) | instid1(VALU_DEP_1)
	v_lshl_or_b32 v0, v1, 21, v0
                                        ; implicit-def: $vgpr1
	v_add_nc_u32_e32 v2, 0x38000000, v0
.LBB6_6234:                             ;   in Loop: Header=BB6_5830 Depth=4
	s_and_not1_saveexec_b32 s76, s76
; %bb.6235:                             ;   in Loop: Header=BB6_5830 Depth=4
	v_cmp_lt_i16_e32 vcc_lo, -1, v112
	v_mov_b32_e32 v0, 0x7f800000
	s_delay_alu instid0(VALU_DEP_1) | instskip(SKIP_1) | instid1(VALU_DEP_2)
	v_cndmask_b32_e32 v0, 0xff800000, v0, vcc_lo
	v_cmp_eq_u32_e32 vcc_lo, 0, v1
	v_cndmask_b32_e32 v2, 0x7f800001, v0, vcc_lo
; %bb.6236:                             ;   in Loop: Header=BB6_5830 Depth=4
	s_or_b32 exec_lo, exec_lo, s76
.LBB6_6237:                             ;   in Loop: Header=BB6_5830 Depth=4
	s_delay_alu instid0(SALU_CYCLE_1)
	s_or_b32 exec_lo, exec_lo, s75
.LBB6_6238:                             ;   in Loop: Header=BB6_5830 Depth=4
	s_delay_alu instid0(SALU_CYCLE_1) | instskip(NEXT) | instid1(VALU_DEP_1)
	s_or_b32 exec_lo, exec_lo, s13
	v_dual_mul_f32 v0, s74, v2 :: v_dual_mov_b32 v3, v113
                                        ; implicit-def: $vgpr42
	s_mov_b32 s13, exec_lo
	s_delay_alu instid0(VALU_DEP_1) | instskip(SKIP_2) | instid1(VALU_DEP_3)
	v_and_b32_e32 v2, 0x7f800000, v0
	v_and_b32_e32 v112, 0x7fffff, v0
	v_lshrrev_b32_e32 v1, 24, v0
	v_cmpx_ne_u64_e32 0x7f800000, v[2:3]
	s_xor_b32 s75, exec_lo, s13
	s_cbranch_execz .LBB6_6252
; %bb.6239:                             ;   in Loop: Header=BB6_5830 Depth=4
	v_and_b32_e32 v2, 0x7fffffff, v0
	v_mov_b32_e32 v3, v113
	v_and_b32_e32 v7, 0x80, v1
                                        ; implicit-def: $vgpr42
	s_mov_b32 s13, exec_lo
	s_delay_alu instid0(VALU_DEP_2)
	v_cmpx_gt_u64_e32 0x47600001, v[2:3]
	s_xor_b32 s76, exec_lo, s13
	s_cbranch_execz .LBB6_6249
; %bb.6240:                             ;   in Loop: Header=BB6_5830 Depth=4
	v_mov_b32_e32 v42, 0
	s_mov_b32 s77, exec_lo
	v_cmpx_ne_u32_e32 0, v0
	s_cbranch_execz .LBB6_6248
; %bb.6241:                             ;   in Loop: Header=BB6_5830 Depth=4
	v_bfe_u32 v8, v0, 23, 8
	v_or_b32_e32 v2, 0x800000, v112
	s_mov_b32 s78, exec_lo
	s_delay_alu instid0(VALU_DEP_2) | instskip(SKIP_1) | instid1(VALU_DEP_2)
	v_dual_mov_b32 v3, v113 :: v_dual_sub_nc_u32 v0, 0x71, v8
	v_cmp_gt_u32_e32 vcc_lo, 0x72, v8
	v_cndmask_b32_e32 v0, 0, v0, vcc_lo
	v_cmp_eq_u32_e32 vcc_lo, 0, v8
	s_delay_alu instid0(VALU_DEP_2) | instskip(NEXT) | instid1(VALU_DEP_1)
	v_cndmask_b32_e64 v9, v0, 0x70, vcc_lo
	v_dual_cndmask_b32 v2, v2, v112, vcc_lo :: v_dual_add_nc_u32 v0, 21, v9
	v_add_nc_u32_e32 v12, 20, v9
	s_delay_alu instid0(VALU_DEP_2) | instskip(NEXT) | instid1(VALU_DEP_2)
	v_lshlrev_b64_e64 v[0:1], v0, -1
	v_lshlrev_b64_e64 v[12:13], v12, 1
	s_delay_alu instid0(VALU_DEP_2) | instskip(NEXT) | instid1(VALU_DEP_3)
	v_bfi_b32 v15, v1, 0, 0
	v_bfi_b32 v14, v0, 0, v2
	v_lshrrev_b64 v[0:1], v9, v[2:3]
	s_delay_alu instid0(VALU_DEP_1) | instskip(NEXT) | instid1(VALU_DEP_3)
	v_mov_b64_e32 v[2:3], v[0:1]
	v_cmpx_eq_u64_e64 v[14:15], v[12:13]
; %bb.6242:                             ;   in Loop: Header=BB6_5830 Depth=4
	v_bfe_u32 v2, v0, 21, 1
	v_mov_b32_e32 v3, v113
	s_delay_alu instid0(VALU_DEP_1) | instskip(NEXT) | instid1(VALU_DEP_1)
	v_add_nc_u64_e32 v[2:3], v[0:1], v[2:3]
	v_add_nc_u64_e32 v[2:3], -1, v[2:3]
; %bb.6243:                             ;   in Loop: Header=BB6_5830 Depth=4
	s_or_b32 exec_lo, exec_lo, s78
	v_add_nc_u32_e32 v1, 0xffffff81, v8
	v_lshrrev_b32_e32 v3, 23, v0
	s_mov_b32 s13, exec_lo
	s_delay_alu instid0(VALU_DEP_2) | instskip(NEXT) | instid1(VALU_DEP_1)
	v_cndmask_b32_e64 v1, v1, 0xffffff82, vcc_lo
	v_add3_u32 v3, v9, v1, v3
	v_and_b32_e32 v1, 0x1fffff, v2
                                        ; implicit-def: $vgpr2
	s_delay_alu instid0(VALU_DEP_1) | instskip(NEXT) | instid1(VALU_DEP_1)
	v_dual_add_nc_u32 v8, 14, v3 :: v_dual_add_nc_u32 v112, v1, v0
                                        ; implicit-def: $vgpr0_vgpr1
	v_cmpx_ne_u32_e32 0, v8
	s_xor_b32 s13, exec_lo, s13
; %bb.6244:                             ;   in Loop: Header=BB6_5830 Depth=4
	s_delay_alu instid0(VALU_DEP_2) | instskip(SKIP_1) | instid1(VALU_DEP_1)
	v_cmp_lt_u64_e32 vcc_lo, 0xffffff, v[112:113]
	v_add_nc_u32_e32 v0, 15, v3
	v_cndmask_b32_e32 v2, v8, v0, vcc_lo
	v_cndmask_b32_e64 v0, 0, 1, vcc_lo
	s_delay_alu instid0(VALU_DEP_1)
	v_lshrrev_b64 v[0:1], v0, v[112:113]
; %bb.6245:                             ;   in Loop: Header=BB6_5830 Depth=4
	s_and_not1_saveexec_b32 s13, s13
; %bb.6246:                             ;   in Loop: Header=BB6_5830 Depth=4
	v_mov_b64_e32 v[0:1], v[112:113]
	v_bfe_u32 v2, v112, 23, 1
; %bb.6247:                             ;   in Loop: Header=BB6_5830 Depth=4
	s_or_b32 exec_lo, exec_lo, s13
	s_delay_alu instid0(VALU_DEP_2) | instskip(NEXT) | instid1(VALU_DEP_2)
	v_lshrrev_b64 v[0:1], 21, v[0:1]
	v_cmp_gt_i32_e32 vcc_lo, 32, v2
	v_min_i32_e32 v3, 31, v2
	v_cmp_eq_u32_e64 s13, 0, v2
	s_delay_alu instid0(VALU_DEP_2) | instskip(SKIP_1) | instid1(VALU_DEP_2)
	v_dual_cndmask_b32 v1, 0, v1, vcc_lo :: v_dual_lshlrev_b32 v3, 2, v3
	v_cndmask_b32_e32 v0, 3, v0, vcc_lo
	v_and_b32_e32 v3, 0xfc, v3
	s_delay_alu instid0(VALU_DEP_2) | instskip(NEXT) | instid1(VALU_DEP_2)
	v_cmp_eq_u64_e32 vcc_lo, 0, v[0:1]
	v_and_or_b32 v0, v0, 3, v3
	s_and_b32 s13, s13, vcc_lo
	s_delay_alu instid0(VALU_DEP_1) | instid1(SALU_CYCLE_1)
	v_cndmask_b32_e64 v0, v0, 0, s13
	s_delay_alu instid0(VALU_DEP_1)
	v_or_b32_e32 v42, v0, v7
.LBB6_6248:                             ;   in Loop: Header=BB6_5830 Depth=4
	s_or_b32 exec_lo, exec_lo, s77
                                        ; implicit-def: $vgpr7
.LBB6_6249:                             ;   in Loop: Header=BB6_5830 Depth=4
	s_and_not1_saveexec_b32 s13, s76
; %bb.6250:                             ;   in Loop: Header=BB6_5830 Depth=4
	v_or_b32_e32 v42, 0x7b, v7
; %bb.6251:                             ;   in Loop: Header=BB6_5830 Depth=4
	s_or_b32 exec_lo, exec_lo, s13
                                        ; implicit-def: $vgpr0
                                        ; implicit-def: $vgpr1
.LBB6_6252:                             ;   in Loop: Header=BB6_5830 Depth=4
	s_and_not1_saveexec_b32 s13, s75
	s_cbranch_execz .LBB6_6258
; %bb.6253:                             ;   in Loop: Header=BB6_5830 Depth=4
	s_mov_b32 s75, exec_lo
                                        ; implicit-def: $vgpr42
	v_cmpx_ne_u64_e32 0, v[112:113]
	s_xor_b32 s75, exec_lo, s75
; %bb.6254:                             ;   in Loop: Header=BB6_5830 Depth=4
	v_or_b32_e32 v42, 0x7f, v1
                                        ; implicit-def: $vgpr0
; %bb.6255:                             ;   in Loop: Header=BB6_5830 Depth=4
	s_and_not1_saveexec_b32 s75, s75
; %bb.6256:                             ;   in Loop: Header=BB6_5830 Depth=4
	v_cmp_lt_i32_e32 vcc_lo, -1, v0
	v_mov_b32_e32 v0, 0x7c
	s_delay_alu instid0(VALU_DEP_1)
	v_cndmask_b32_e32 v42, 0xfc, v0, vcc_lo
; %bb.6257:                             ;   in Loop: Header=BB6_5830 Depth=4
	s_or_b32 exec_lo, exec_lo, s75
.LBB6_6258:                             ;   in Loop: Header=BB6_5830 Depth=4
	s_delay_alu instid0(SALU_CYCLE_1) | instskip(SKIP_2) | instid1(VALU_DEP_1)
	s_or_b32 exec_lo, exec_lo, s13
	v_dual_mov_b32 v1, 0 :: v_dual_lshrrev_b32 v0, 16, v11
	s_mov_b32 s13, exec_lo
	v_and_b32_e32 v2, 0xff, v0
	s_delay_alu instid0(VALU_DEP_1)
	v_cmpx_ne_u16_e32 0, v2
	s_cbranch_execz .LBB6_6268
; %bb.6259:                             ;   in Loop: Header=BB6_5830 Depth=4
	v_bfrev_b32_e32 v1, 1
	s_mov_b32 s75, exec_lo
	v_cmpx_ne_u16_e32 0x80, v2
	s_cbranch_execz .LBB6_6267
; %bb.6260:                             ;   in Loop: Header=BB6_5830 Depth=4
	v_and_b32_e32 v1, 0x7c0000, v11
	v_bfe_u32 v2, v11, 16, 2
	s_delay_alu instid0(VALU_DEP_2) | instskip(SKIP_1) | instid1(SALU_CYCLE_1)
	v_cmp_ne_u32_e32 vcc_lo, 0x7c0000, v1
                                        ; implicit-def: $vgpr1
	s_and_saveexec_b32 s76, vcc_lo
	s_xor_b32 s76, exec_lo, s76
	s_cbranch_execz .LBB6_6264
; %bb.6261:                             ;   in Loop: Header=BB6_5830 Depth=4
	v_bfe_u32 v1, v11, 18, 5
	s_mov_b32 s77, exec_lo
	s_delay_alu instid0(VALU_DEP_1)
	v_cmpx_eq_u32_e32 0, v1
; %bb.6262:                             ;   in Loop: Header=BB6_5830 Depth=4
	v_clz_i32_u32_e32 v1, v2
	s_delay_alu instid0(VALU_DEP_1) | instskip(NEXT) | instid1(VALU_DEP_1)
	v_min_u32_e32 v1, 32, v1
	v_subrev_nc_u32_e32 v2, 29, v1
	s_delay_alu instid0(VALU_DEP_1) | instskip(NEXT) | instid1(VALU_DEP_1)
	v_lshlrev_b64_e32 v[2:3], v2, v[0:1]
	v_dual_sub_nc_u32 v1, 30, v1 :: v_dual_bitop2_b32 v2, 3, v2 bitop3:0x40
; %bb.6263:                             ;   in Loop: Header=BB6_5830 Depth=4
	s_or_b32 exec_lo, exec_lo, s77
	v_lshlrev_b32_e32 v0, 24, v0
	s_delay_alu instid0(VALU_DEP_1) | instskip(NEXT) | instid1(VALU_DEP_1)
	v_and_b32_e32 v0, 0x80000000, v0
	v_lshl_add_u32 v0, v1, 23, v0
	s_delay_alu instid0(VALU_DEP_1) | instskip(NEXT) | instid1(VALU_DEP_1)
	v_lshl_or_b32 v0, v2, 21, v0
                                        ; implicit-def: $vgpr2
	v_add_nc_u32_e32 v1, 0x38000000, v0
                                        ; implicit-def: $vgpr0
.LBB6_6264:                             ;   in Loop: Header=BB6_5830 Depth=4
	s_and_not1_saveexec_b32 s76, s76
; %bb.6265:                             ;   in Loop: Header=BB6_5830 Depth=4
	v_bfe_i32 v0, v0, 0, 8
	s_delay_alu instid0(VALU_DEP_1) | instskip(SKIP_1) | instid1(VALU_DEP_1)
	v_cmp_lt_i16_e32 vcc_lo, -1, v0
	v_mov_b32_e32 v0, 0x7f800000
	v_cndmask_b32_e32 v0, 0xff800000, v0, vcc_lo
	v_cmp_eq_u32_e32 vcc_lo, 0, v2
	s_delay_alu instid0(VALU_DEP_2)
	v_cndmask_b32_e32 v1, 0x7f800001, v0, vcc_lo
; %bb.6266:                             ;   in Loop: Header=BB6_5830 Depth=4
	s_or_b32 exec_lo, exec_lo, s76
.LBB6_6267:                             ;   in Loop: Header=BB6_5830 Depth=4
	s_delay_alu instid0(SALU_CYCLE_1)
	s_or_b32 exec_lo, exec_lo, s75
.LBB6_6268:                             ;   in Loop: Header=BB6_5830 Depth=4
	s_delay_alu instid0(SALU_CYCLE_1) | instskip(NEXT) | instid1(VALU_DEP_1)
	s_or_b32 exec_lo, exec_lo, s13
	v_dual_mul_f32 v0, s74, v1 :: v_dual_mov_b32 v3, v113
                                        ; implicit-def: $vgpr44
	s_mov_b32 s13, exec_lo
	s_delay_alu instid0(VALU_DEP_1) | instskip(SKIP_2) | instid1(VALU_DEP_3)
	v_and_b32_e32 v2, 0x7f800000, v0
	v_and_b32_e32 v112, 0x7fffff, v0
	v_lshrrev_b32_e32 v1, 24, v0
	v_cmpx_ne_u64_e32 0x7f800000, v[2:3]
	s_xor_b32 s75, exec_lo, s13
	s_cbranch_execz .LBB6_6282
; %bb.6269:                             ;   in Loop: Header=BB6_5830 Depth=4
	v_and_b32_e32 v2, 0x7fffffff, v0
	v_mov_b32_e32 v3, v113
	v_and_b32_e32 v7, 0x80, v1
                                        ; implicit-def: $vgpr44
	s_mov_b32 s13, exec_lo
	s_delay_alu instid0(VALU_DEP_2)
	v_cmpx_gt_u64_e32 0x47600001, v[2:3]
	s_xor_b32 s76, exec_lo, s13
	s_cbranch_execz .LBB6_6279
; %bb.6270:                             ;   in Loop: Header=BB6_5830 Depth=4
	v_mov_b32_e32 v44, 0
	s_mov_b32 s77, exec_lo
	v_cmpx_ne_u32_e32 0, v0
	s_cbranch_execz .LBB6_6278
; %bb.6271:                             ;   in Loop: Header=BB6_5830 Depth=4
	v_bfe_u32 v8, v0, 23, 8
	v_or_b32_e32 v2, 0x800000, v112
	s_mov_b32 s78, exec_lo
	s_delay_alu instid0(VALU_DEP_2) | instskip(SKIP_1) | instid1(VALU_DEP_2)
	v_dual_mov_b32 v3, v113 :: v_dual_sub_nc_u32 v0, 0x71, v8
	v_cmp_gt_u32_e32 vcc_lo, 0x72, v8
	v_cndmask_b32_e32 v0, 0, v0, vcc_lo
	v_cmp_eq_u32_e32 vcc_lo, 0, v8
	s_delay_alu instid0(VALU_DEP_2) | instskip(NEXT) | instid1(VALU_DEP_1)
	v_cndmask_b32_e64 v9, v0, 0x70, vcc_lo
	v_dual_cndmask_b32 v2, v2, v112, vcc_lo :: v_dual_add_nc_u32 v0, 21, v9
	v_add_nc_u32_e32 v12, 20, v9
	s_delay_alu instid0(VALU_DEP_2) | instskip(NEXT) | instid1(VALU_DEP_2)
	v_lshlrev_b64_e64 v[0:1], v0, -1
	v_lshlrev_b64_e64 v[12:13], v12, 1
	s_delay_alu instid0(VALU_DEP_2) | instskip(NEXT) | instid1(VALU_DEP_3)
	v_bfi_b32 v15, v1, 0, 0
	v_bfi_b32 v14, v0, 0, v2
	v_lshrrev_b64 v[0:1], v9, v[2:3]
	s_delay_alu instid0(VALU_DEP_1) | instskip(NEXT) | instid1(VALU_DEP_3)
	v_mov_b64_e32 v[2:3], v[0:1]
	v_cmpx_eq_u64_e64 v[14:15], v[12:13]
; %bb.6272:                             ;   in Loop: Header=BB6_5830 Depth=4
	v_bfe_u32 v2, v0, 21, 1
	v_mov_b32_e32 v3, v113
	s_delay_alu instid0(VALU_DEP_1) | instskip(NEXT) | instid1(VALU_DEP_1)
	v_add_nc_u64_e32 v[2:3], v[0:1], v[2:3]
	v_add_nc_u64_e32 v[2:3], -1, v[2:3]
; %bb.6273:                             ;   in Loop: Header=BB6_5830 Depth=4
	s_or_b32 exec_lo, exec_lo, s78
	v_add_nc_u32_e32 v1, 0xffffff81, v8
	v_lshrrev_b32_e32 v3, 23, v0
	s_mov_b32 s13, exec_lo
	s_delay_alu instid0(VALU_DEP_2) | instskip(NEXT) | instid1(VALU_DEP_1)
	v_cndmask_b32_e64 v1, v1, 0xffffff82, vcc_lo
	v_add3_u32 v3, v9, v1, v3
	v_and_b32_e32 v1, 0x1fffff, v2
                                        ; implicit-def: $vgpr2
	s_delay_alu instid0(VALU_DEP_1) | instskip(NEXT) | instid1(VALU_DEP_1)
	v_dual_add_nc_u32 v8, 14, v3 :: v_dual_add_nc_u32 v112, v1, v0
                                        ; implicit-def: $vgpr0_vgpr1
	v_cmpx_ne_u32_e32 0, v8
	s_xor_b32 s13, exec_lo, s13
; %bb.6274:                             ;   in Loop: Header=BB6_5830 Depth=4
	s_delay_alu instid0(VALU_DEP_2) | instskip(SKIP_1) | instid1(VALU_DEP_1)
	v_cmp_lt_u64_e32 vcc_lo, 0xffffff, v[112:113]
	v_add_nc_u32_e32 v0, 15, v3
	v_cndmask_b32_e32 v2, v8, v0, vcc_lo
	v_cndmask_b32_e64 v0, 0, 1, vcc_lo
	s_delay_alu instid0(VALU_DEP_1)
	v_lshrrev_b64 v[0:1], v0, v[112:113]
; %bb.6275:                             ;   in Loop: Header=BB6_5830 Depth=4
	s_and_not1_saveexec_b32 s13, s13
; %bb.6276:                             ;   in Loop: Header=BB6_5830 Depth=4
	v_mov_b64_e32 v[0:1], v[112:113]
	v_bfe_u32 v2, v112, 23, 1
; %bb.6277:                             ;   in Loop: Header=BB6_5830 Depth=4
	s_or_b32 exec_lo, exec_lo, s13
	s_delay_alu instid0(VALU_DEP_2) | instskip(NEXT) | instid1(VALU_DEP_2)
	v_lshrrev_b64 v[0:1], 21, v[0:1]
	v_cmp_gt_i32_e32 vcc_lo, 32, v2
	v_min_i32_e32 v3, 31, v2
	v_cmp_eq_u32_e64 s13, 0, v2
	s_delay_alu instid0(VALU_DEP_2) | instskip(SKIP_1) | instid1(VALU_DEP_2)
	v_dual_cndmask_b32 v1, 0, v1, vcc_lo :: v_dual_lshlrev_b32 v3, 2, v3
	v_cndmask_b32_e32 v0, 3, v0, vcc_lo
	v_and_b32_e32 v3, 0xfc, v3
	s_delay_alu instid0(VALU_DEP_2) | instskip(NEXT) | instid1(VALU_DEP_2)
	v_cmp_eq_u64_e32 vcc_lo, 0, v[0:1]
	v_and_or_b32 v0, v0, 3, v3
	s_and_b32 s13, s13, vcc_lo
	s_delay_alu instid0(VALU_DEP_1) | instid1(SALU_CYCLE_1)
	v_cndmask_b32_e64 v0, v0, 0, s13
	s_delay_alu instid0(VALU_DEP_1)
	v_or_b32_e32 v44, v0, v7
.LBB6_6278:                             ;   in Loop: Header=BB6_5830 Depth=4
	s_or_b32 exec_lo, exec_lo, s77
                                        ; implicit-def: $vgpr7
.LBB6_6279:                             ;   in Loop: Header=BB6_5830 Depth=4
	s_and_not1_saveexec_b32 s13, s76
; %bb.6280:                             ;   in Loop: Header=BB6_5830 Depth=4
	v_or_b32_e32 v44, 0x7b, v7
; %bb.6281:                             ;   in Loop: Header=BB6_5830 Depth=4
	s_or_b32 exec_lo, exec_lo, s13
                                        ; implicit-def: $vgpr0
                                        ; implicit-def: $vgpr1
.LBB6_6282:                             ;   in Loop: Header=BB6_5830 Depth=4
	s_and_not1_saveexec_b32 s13, s75
	s_cbranch_execz .LBB6_6288
; %bb.6283:                             ;   in Loop: Header=BB6_5830 Depth=4
	s_mov_b32 s75, exec_lo
                                        ; implicit-def: $vgpr44
	v_cmpx_ne_u64_e32 0, v[112:113]
	s_xor_b32 s75, exec_lo, s75
; %bb.6284:                             ;   in Loop: Header=BB6_5830 Depth=4
	v_or_b32_e32 v44, 0x7f, v1
                                        ; implicit-def: $vgpr0
; %bb.6285:                             ;   in Loop: Header=BB6_5830 Depth=4
	s_and_not1_saveexec_b32 s75, s75
; %bb.6286:                             ;   in Loop: Header=BB6_5830 Depth=4
	v_cmp_lt_i32_e32 vcc_lo, -1, v0
	v_mov_b32_e32 v0, 0x7c
	s_delay_alu instid0(VALU_DEP_1)
	v_cndmask_b32_e32 v44, 0xfc, v0, vcc_lo
; %bb.6287:                             ;   in Loop: Header=BB6_5830 Depth=4
	s_or_b32 exec_lo, exec_lo, s75
.LBB6_6288:                             ;   in Loop: Header=BB6_5830 Depth=4
	s_delay_alu instid0(SALU_CYCLE_1)
	s_or_b32 exec_lo, exec_lo, s13
	v_mov_b32_e32 v1, 0
	s_mov_b32 s13, exec_lo
	v_cmpx_lt_u64_e64 s[22:23], v[10:11]
	s_cbranch_execz .LBB6_6298
; %bb.6289:                             ;   in Loop: Header=BB6_5830 Depth=4
	v_lshrrev_b32_e32 v0, 24, v11
	v_bfrev_b32_e32 v1, 1
	s_mov_b32 s75, exec_lo
	s_delay_alu instid0(VALU_DEP_2)
	v_cmpx_ne_u32_e32 0x80, v0
	s_cbranch_execz .LBB6_6297
; %bb.6290:                             ;   in Loop: Header=BB6_5830 Depth=4
	v_and_b32_e32 v1, 0x7c000000, v11
	v_bfe_u32 v2, v11, 24, 2
	s_delay_alu instid0(VALU_DEP_2) | instskip(SKIP_1) | instid1(SALU_CYCLE_1)
	v_cmp_ne_u32_e32 vcc_lo, 0x7c000000, v1
                                        ; implicit-def: $vgpr1
	s_and_saveexec_b32 s76, vcc_lo
	s_xor_b32 s76, exec_lo, s76
	s_cbranch_execz .LBB6_6294
; %bb.6291:                             ;   in Loop: Header=BB6_5830 Depth=4
	v_bfe_u32 v1, v11, 26, 5
	s_mov_b32 s77, exec_lo
	s_delay_alu instid0(VALU_DEP_1)
	v_cmpx_eq_u32_e32 0, v1
; %bb.6292:                             ;   in Loop: Header=BB6_5830 Depth=4
	v_clz_i32_u32_e32 v1, v2
	s_delay_alu instid0(VALU_DEP_1) | instskip(NEXT) | instid1(VALU_DEP_1)
	v_min_u32_e32 v2, 32, v1
	v_subrev_nc_u32_e32 v1, 29, v2
	s_delay_alu instid0(VALU_DEP_1) | instskip(NEXT) | instid1(VALU_DEP_1)
	v_lshlrev_b64_e32 v[0:1], v1, v[0:1]
	v_dual_sub_nc_u32 v1, 30, v2 :: v_dual_bitop2_b32 v2, 3, v0 bitop3:0x40
; %bb.6293:                             ;   in Loop: Header=BB6_5830 Depth=4
	s_or_b32 exec_lo, exec_lo, s77
	v_and_b32_e32 v0, 0x80000000, v11
                                        ; implicit-def: $vgpr10_vgpr11
	s_delay_alu instid0(VALU_DEP_1) | instskip(NEXT) | instid1(VALU_DEP_1)
	v_lshl_add_u32 v0, v1, 23, v0
	v_lshl_or_b32 v0, v2, 21, v0
                                        ; implicit-def: $vgpr2
	s_delay_alu instid0(VALU_DEP_1)
	v_add_nc_u32_e32 v1, 0x38000000, v0
.LBB6_6294:                             ;   in Loop: Header=BB6_5830 Depth=4
	s_and_not1_saveexec_b32 s76, s76
; %bb.6295:                             ;   in Loop: Header=BB6_5830 Depth=4
	v_cmp_lt_i64_e32 vcc_lo, -1, v[10:11]
	v_mov_b32_e32 v0, 0x7f800000
	s_delay_alu instid0(VALU_DEP_1) | instskip(SKIP_1) | instid1(VALU_DEP_2)
	v_cndmask_b32_e32 v0, 0xff800000, v0, vcc_lo
	v_cmp_eq_u32_e32 vcc_lo, 0, v2
	v_cndmask_b32_e32 v1, 0x7f800001, v0, vcc_lo
; %bb.6296:                             ;   in Loop: Header=BB6_5830 Depth=4
	s_or_b32 exec_lo, exec_lo, s76
.LBB6_6297:                             ;   in Loop: Header=BB6_5830 Depth=4
	s_delay_alu instid0(SALU_CYCLE_1)
	s_or_b32 exec_lo, exec_lo, s75
.LBB6_6298:                             ;   in Loop: Header=BB6_5830 Depth=4
	s_delay_alu instid0(SALU_CYCLE_1) | instskip(NEXT) | instid1(VALU_DEP_1)
	s_or_b32 exec_lo, exec_lo, s13
	v_dual_mul_f32 v0, s74, v1 :: v_dual_mov_b32 v3, v113
                                        ; implicit-def: $vgpr45
	s_mov_b32 s13, exec_lo
	s_delay_alu instid0(VALU_DEP_1) | instskip(SKIP_2) | instid1(VALU_DEP_3)
	v_and_b32_e32 v2, 0x7f800000, v0
	v_and_b32_e32 v112, 0x7fffff, v0
	v_lshrrev_b32_e32 v1, 24, v0
	v_cmpx_ne_u64_e32 0x7f800000, v[2:3]
	s_xor_b32 s75, exec_lo, s13
	s_cbranch_execz .LBB6_6312
; %bb.6299:                             ;   in Loop: Header=BB6_5830 Depth=4
	v_and_b32_e32 v2, 0x7fffffff, v0
	v_mov_b32_e32 v3, v113
	v_and_b32_e32 v7, 0x80, v1
                                        ; implicit-def: $vgpr45
	s_mov_b32 s13, exec_lo
	s_delay_alu instid0(VALU_DEP_2)
	v_cmpx_gt_u64_e32 0x47600001, v[2:3]
	s_xor_b32 s76, exec_lo, s13
	s_cbranch_execz .LBB6_6309
; %bb.6300:                             ;   in Loop: Header=BB6_5830 Depth=4
	v_mov_b32_e32 v45, 0
	s_mov_b32 s77, exec_lo
	v_cmpx_ne_u32_e32 0, v0
	s_cbranch_execz .LBB6_6308
; %bb.6301:                             ;   in Loop: Header=BB6_5830 Depth=4
	v_bfe_u32 v8, v0, 23, 8
	v_or_b32_e32 v2, 0x800000, v112
	s_mov_b32 s78, exec_lo
	s_delay_alu instid0(VALU_DEP_2) | instskip(SKIP_1) | instid1(VALU_DEP_2)
	v_dual_mov_b32 v3, v113 :: v_dual_sub_nc_u32 v0, 0x71, v8
	v_cmp_gt_u32_e32 vcc_lo, 0x72, v8
	v_cndmask_b32_e32 v0, 0, v0, vcc_lo
	v_cmp_eq_u32_e32 vcc_lo, 0, v8
	s_delay_alu instid0(VALU_DEP_2) | instskip(NEXT) | instid1(VALU_DEP_1)
	v_cndmask_b32_e64 v9, v0, 0x70, vcc_lo
	v_dual_cndmask_b32 v2, v2, v112, vcc_lo :: v_dual_add_nc_u32 v0, 21, v9
	v_add_nc_u32_e32 v10, 20, v9
	s_delay_alu instid0(VALU_DEP_2) | instskip(NEXT) | instid1(VALU_DEP_2)
	v_lshlrev_b64_e64 v[0:1], v0, -1
	v_lshlrev_b64_e64 v[10:11], v10, 1
	s_delay_alu instid0(VALU_DEP_2) | instskip(NEXT) | instid1(VALU_DEP_3)
	v_bfi_b32 v13, v1, 0, 0
	v_bfi_b32 v12, v0, 0, v2
	v_lshrrev_b64 v[0:1], v9, v[2:3]
	s_delay_alu instid0(VALU_DEP_1) | instskip(NEXT) | instid1(VALU_DEP_3)
	v_mov_b64_e32 v[2:3], v[0:1]
	v_cmpx_eq_u64_e64 v[12:13], v[10:11]
; %bb.6302:                             ;   in Loop: Header=BB6_5830 Depth=4
	v_bfe_u32 v2, v0, 21, 1
	v_mov_b32_e32 v3, v113
	s_delay_alu instid0(VALU_DEP_1) | instskip(NEXT) | instid1(VALU_DEP_1)
	v_add_nc_u64_e32 v[2:3], v[0:1], v[2:3]
	v_add_nc_u64_e32 v[2:3], -1, v[2:3]
; %bb.6303:                             ;   in Loop: Header=BB6_5830 Depth=4
	s_or_b32 exec_lo, exec_lo, s78
	v_add_nc_u32_e32 v1, 0xffffff81, v8
	v_lshrrev_b32_e32 v3, 23, v0
	s_mov_b32 s13, exec_lo
	s_delay_alu instid0(VALU_DEP_2) | instskip(NEXT) | instid1(VALU_DEP_1)
	v_cndmask_b32_e64 v1, v1, 0xffffff82, vcc_lo
	v_add3_u32 v3, v9, v1, v3
	v_and_b32_e32 v1, 0x1fffff, v2
                                        ; implicit-def: $vgpr2
	s_delay_alu instid0(VALU_DEP_1) | instskip(NEXT) | instid1(VALU_DEP_1)
	v_dual_add_nc_u32 v8, 14, v3 :: v_dual_add_nc_u32 v112, v1, v0
                                        ; implicit-def: $vgpr0_vgpr1
	v_cmpx_ne_u32_e32 0, v8
	s_xor_b32 s13, exec_lo, s13
; %bb.6304:                             ;   in Loop: Header=BB6_5830 Depth=4
	s_delay_alu instid0(VALU_DEP_2) | instskip(SKIP_1) | instid1(VALU_DEP_1)
	v_cmp_lt_u64_e32 vcc_lo, 0xffffff, v[112:113]
	v_add_nc_u32_e32 v0, 15, v3
	v_cndmask_b32_e32 v2, v8, v0, vcc_lo
	v_cndmask_b32_e64 v0, 0, 1, vcc_lo
	s_delay_alu instid0(VALU_DEP_1)
	v_lshrrev_b64 v[0:1], v0, v[112:113]
; %bb.6305:                             ;   in Loop: Header=BB6_5830 Depth=4
	s_and_not1_saveexec_b32 s13, s13
; %bb.6306:                             ;   in Loop: Header=BB6_5830 Depth=4
	v_mov_b64_e32 v[0:1], v[112:113]
	v_bfe_u32 v2, v112, 23, 1
; %bb.6307:                             ;   in Loop: Header=BB6_5830 Depth=4
	s_or_b32 exec_lo, exec_lo, s13
	s_delay_alu instid0(VALU_DEP_2) | instskip(NEXT) | instid1(VALU_DEP_2)
	v_lshrrev_b64 v[0:1], 21, v[0:1]
	v_cmp_gt_i32_e32 vcc_lo, 32, v2
	v_min_i32_e32 v3, 31, v2
	v_cmp_eq_u32_e64 s13, 0, v2
	s_delay_alu instid0(VALU_DEP_2) | instskip(SKIP_1) | instid1(VALU_DEP_2)
	v_dual_cndmask_b32 v1, 0, v1, vcc_lo :: v_dual_lshlrev_b32 v3, 2, v3
	v_cndmask_b32_e32 v0, 3, v0, vcc_lo
	v_and_b32_e32 v3, 0xfc, v3
	s_delay_alu instid0(VALU_DEP_2) | instskip(NEXT) | instid1(VALU_DEP_2)
	v_cmp_eq_u64_e32 vcc_lo, 0, v[0:1]
	v_and_or_b32 v0, v0, 3, v3
	s_and_b32 s13, s13, vcc_lo
	s_delay_alu instid0(VALU_DEP_1) | instid1(SALU_CYCLE_1)
	v_cndmask_b32_e64 v0, v0, 0, s13
	s_delay_alu instid0(VALU_DEP_1)
	v_or_b32_e32 v45, v0, v7
.LBB6_6308:                             ;   in Loop: Header=BB6_5830 Depth=4
	s_or_b32 exec_lo, exec_lo, s77
                                        ; implicit-def: $vgpr7
.LBB6_6309:                             ;   in Loop: Header=BB6_5830 Depth=4
	s_and_not1_saveexec_b32 s13, s76
; %bb.6310:                             ;   in Loop: Header=BB6_5830 Depth=4
	v_or_b32_e32 v45, 0x7b, v7
; %bb.6311:                             ;   in Loop: Header=BB6_5830 Depth=4
	s_or_b32 exec_lo, exec_lo, s13
                                        ; implicit-def: $vgpr0
                                        ; implicit-def: $vgpr1
.LBB6_6312:                             ;   in Loop: Header=BB6_5830 Depth=4
	s_and_not1_saveexec_b32 s13, s75
	s_cbranch_execz .LBB6_6318
; %bb.6313:                             ;   in Loop: Header=BB6_5830 Depth=4
	s_mov_b32 s75, exec_lo
                                        ; implicit-def: $vgpr45
	v_cmpx_ne_u64_e32 0, v[112:113]
	s_xor_b32 s75, exec_lo, s75
; %bb.6314:                             ;   in Loop: Header=BB6_5830 Depth=4
	v_or_b32_e32 v45, 0x7f, v1
                                        ; implicit-def: $vgpr0
; %bb.6315:                             ;   in Loop: Header=BB6_5830 Depth=4
	s_and_not1_saveexec_b32 s75, s75
; %bb.6316:                             ;   in Loop: Header=BB6_5830 Depth=4
	v_cmp_lt_i32_e32 vcc_lo, -1, v0
	v_mov_b32_e32 v0, 0x7c
	s_delay_alu instid0(VALU_DEP_1)
	v_cndmask_b32_e32 v45, 0xfc, v0, vcc_lo
; %bb.6317:                             ;   in Loop: Header=BB6_5830 Depth=4
	s_or_b32 exec_lo, exec_lo, s75
.LBB6_6318:                             ;   in Loop: Header=BB6_5830 Depth=4
	s_delay_alu instid0(SALU_CYCLE_1) | instskip(SKIP_3) | instid1(VALU_DEP_1)
	s_or_b32 exec_lo, exec_lo, s13
	global_load_b128 v[8:11], v[60:61], off offset:512 th:TH_LOAD_NT
	s_wait_loadcnt 0x0
	v_and_b32_e32 v0, 0xff, v8
	v_cmp_ne_u16_e32 vcc_lo, 0, v0
	v_mov_b32_e32 v0, 0
	s_wait_xcnt 0x0
	s_and_saveexec_b32 s13, vcc_lo
	s_cbranch_execz .LBB6_6328
; %bb.6319:                             ;   in Loop: Header=BB6_5830 Depth=4
	v_bfe_i32 v2, v8, 0, 8
	v_bfrev_b32_e32 v0, 1
	s_mov_b32 s75, exec_lo
	s_delay_alu instid0(VALU_DEP_2)
	v_cmpx_ne_u16_e32 0xff80, v2
	s_cbranch_execz .LBB6_6327
; %bb.6320:                             ;   in Loop: Header=BB6_5830 Depth=4
	v_and_b32_e32 v0, 0x7c, v8
	v_and_b32_e32 v1, 3, v8
	s_delay_alu instid0(VALU_DEP_2) | instskip(SKIP_1) | instid1(SALU_CYCLE_1)
	v_cmp_ne_u32_e32 vcc_lo, 0x7c, v0
                                        ; implicit-def: $vgpr0
	s_and_saveexec_b32 s76, vcc_lo
	s_xor_b32 s76, exec_lo, s76
	s_cbranch_execz .LBB6_6324
; %bb.6321:                             ;   in Loop: Header=BB6_5830 Depth=4
	v_bfe_u32 v0, v8, 2, 5
	s_mov_b32 s77, exec_lo
	s_delay_alu instid0(VALU_DEP_1)
	v_cmpx_eq_u32_e32 0, v0
; %bb.6322:                             ;   in Loop: Header=BB6_5830 Depth=4
	v_clz_i32_u32_e32 v0, v1
	s_delay_alu instid0(VALU_DEP_1) | instskip(NEXT) | instid1(VALU_DEP_1)
	v_min_u32_e32 v0, 32, v0
	v_subrev_nc_u32_e32 v1, 29, v0
	s_delay_alu instid0(VALU_DEP_1) | instskip(NEXT) | instid1(VALU_DEP_1)
	v_lshlrev_b64_e32 v[2:3], v1, v[8:9]
	v_dual_sub_nc_u32 v0, 30, v0 :: v_dual_bitop2_b32 v1, 3, v2 bitop3:0x40
; %bb.6323:                             ;   in Loop: Header=BB6_5830 Depth=4
	s_or_b32 exec_lo, exec_lo, s77
	v_lshlrev_b32_e32 v2, 24, v8
	s_delay_alu instid0(VALU_DEP_1) | instskip(NEXT) | instid1(VALU_DEP_1)
	v_and_b32_e32 v2, 0x80000000, v2
	v_lshl_add_u32 v0, v0, 23, v2
                                        ; implicit-def: $vgpr2
	s_delay_alu instid0(VALU_DEP_1) | instskip(NEXT) | instid1(VALU_DEP_1)
	v_lshl_or_b32 v0, v1, 21, v0
                                        ; implicit-def: $vgpr1
	v_add_nc_u32_e32 v0, 0x38000000, v0
.LBB6_6324:                             ;   in Loop: Header=BB6_5830 Depth=4
	s_and_not1_saveexec_b32 s76, s76
; %bb.6325:                             ;   in Loop: Header=BB6_5830 Depth=4
	v_cmp_lt_i16_e32 vcc_lo, -1, v2
	v_mov_b32_e32 v0, 0x7f800000
	s_delay_alu instid0(VALU_DEP_1) | instskip(SKIP_1) | instid1(VALU_DEP_2)
	v_cndmask_b32_e32 v0, 0xff800000, v0, vcc_lo
	v_cmp_eq_u32_e32 vcc_lo, 0, v1
	v_cndmask_b32_e32 v0, 0x7f800001, v0, vcc_lo
; %bb.6326:                             ;   in Loop: Header=BB6_5830 Depth=4
	s_or_b32 exec_lo, exec_lo, s76
.LBB6_6327:                             ;   in Loop: Header=BB6_5830 Depth=4
	s_delay_alu instid0(SALU_CYCLE_1)
	s_or_b32 exec_lo, exec_lo, s75
.LBB6_6328:                             ;   in Loop: Header=BB6_5830 Depth=4
	s_delay_alu instid0(SALU_CYCLE_1) | instskip(NEXT) | instid1(VALU_DEP_1)
	s_or_b32 exec_lo, exec_lo, s13
	v_dual_mul_f32 v0, s74, v0 :: v_dual_mov_b32 v3, v113
                                        ; implicit-def: $vgpr114
	s_mov_b32 s13, exec_lo
	s_delay_alu instid0(VALU_DEP_1) | instskip(SKIP_2) | instid1(VALU_DEP_3)
	v_and_b32_e32 v2, 0x7f800000, v0
	v_and_b32_e32 v112, 0x7fffff, v0
	v_lshrrev_b32_e32 v1, 24, v0
	v_cmpx_ne_u64_e32 0x7f800000, v[2:3]
	s_xor_b32 s75, exec_lo, s13
	s_cbranch_execz .LBB6_6342
; %bb.6329:                             ;   in Loop: Header=BB6_5830 Depth=4
	v_and_b32_e32 v2, 0x7fffffff, v0
	v_mov_b32_e32 v3, v113
	v_and_b32_e32 v7, 0x80, v1
                                        ; implicit-def: $vgpr114
	s_mov_b32 s13, exec_lo
	s_delay_alu instid0(VALU_DEP_2)
	v_cmpx_gt_u64_e32 0x47600001, v[2:3]
	s_xor_b32 s76, exec_lo, s13
	s_cbranch_execz .LBB6_6339
; %bb.6330:                             ;   in Loop: Header=BB6_5830 Depth=4
	v_mov_b32_e32 v114, 0
	s_mov_b32 s77, exec_lo
	v_cmpx_ne_u32_e32 0, v0
	s_cbranch_execz .LBB6_6338
; %bb.6331:                             ;   in Loop: Header=BB6_5830 Depth=4
	v_bfe_u32 v12, v0, 23, 8
	v_or_b32_e32 v2, 0x800000, v112
	s_mov_b32 s78, exec_lo
	s_delay_alu instid0(VALU_DEP_2) | instskip(SKIP_1) | instid1(VALU_DEP_2)
	v_dual_mov_b32 v3, v113 :: v_dual_sub_nc_u32 v0, 0x71, v12
	v_cmp_gt_u32_e32 vcc_lo, 0x72, v12
	v_cndmask_b32_e32 v0, 0, v0, vcc_lo
	v_cmp_eq_u32_e32 vcc_lo, 0, v12
	s_delay_alu instid0(VALU_DEP_2) | instskip(NEXT) | instid1(VALU_DEP_1)
	v_cndmask_b32_e64 v13, v0, 0x70, vcc_lo
	v_dual_cndmask_b32 v2, v2, v112, vcc_lo :: v_dual_add_nc_u32 v0, 21, v13
	v_add_nc_u32_e32 v14, 20, v13
	s_delay_alu instid0(VALU_DEP_2) | instskip(NEXT) | instid1(VALU_DEP_2)
	v_lshlrev_b64_e64 v[0:1], v0, -1
	v_lshlrev_b64_e64 v[14:15], v14, 1
	s_delay_alu instid0(VALU_DEP_2) | instskip(NEXT) | instid1(VALU_DEP_3)
	v_bfi_b32 v17, v1, 0, 0
	v_bfi_b32 v16, v0, 0, v2
	v_lshrrev_b64 v[0:1], v13, v[2:3]
	s_delay_alu instid0(VALU_DEP_1) | instskip(NEXT) | instid1(VALU_DEP_3)
	v_mov_b64_e32 v[2:3], v[0:1]
	v_cmpx_eq_u64_e64 v[16:17], v[14:15]
; %bb.6332:                             ;   in Loop: Header=BB6_5830 Depth=4
	v_bfe_u32 v2, v0, 21, 1
	v_mov_b32_e32 v3, v113
	s_delay_alu instid0(VALU_DEP_1) | instskip(NEXT) | instid1(VALU_DEP_1)
	v_add_nc_u64_e32 v[2:3], v[0:1], v[2:3]
	v_add_nc_u64_e32 v[2:3], -1, v[2:3]
; %bb.6333:                             ;   in Loop: Header=BB6_5830 Depth=4
	s_or_b32 exec_lo, exec_lo, s78
	v_add_nc_u32_e32 v1, 0xffffff81, v12
	v_lshrrev_b32_e32 v3, 23, v0
	s_mov_b32 s13, exec_lo
	s_delay_alu instid0(VALU_DEP_2) | instskip(NEXT) | instid1(VALU_DEP_1)
	v_cndmask_b32_e64 v1, v1, 0xffffff82, vcc_lo
	v_add3_u32 v3, v13, v1, v3
	v_and_b32_e32 v1, 0x1fffff, v2
                                        ; implicit-def: $vgpr2
	s_delay_alu instid0(VALU_DEP_1) | instskip(NEXT) | instid1(VALU_DEP_1)
	v_dual_add_nc_u32 v12, 14, v3 :: v_dual_add_nc_u32 v112, v1, v0
                                        ; implicit-def: $vgpr0_vgpr1
	v_cmpx_ne_u32_e32 0, v12
	s_xor_b32 s13, exec_lo, s13
; %bb.6334:                             ;   in Loop: Header=BB6_5830 Depth=4
	s_delay_alu instid0(VALU_DEP_2) | instskip(SKIP_1) | instid1(VALU_DEP_1)
	v_cmp_lt_u64_e32 vcc_lo, 0xffffff, v[112:113]
	v_add_nc_u32_e32 v0, 15, v3
	v_cndmask_b32_e32 v2, v12, v0, vcc_lo
	v_cndmask_b32_e64 v0, 0, 1, vcc_lo
	s_delay_alu instid0(VALU_DEP_1)
	v_lshrrev_b64 v[0:1], v0, v[112:113]
; %bb.6335:                             ;   in Loop: Header=BB6_5830 Depth=4
	s_and_not1_saveexec_b32 s13, s13
; %bb.6336:                             ;   in Loop: Header=BB6_5830 Depth=4
	v_mov_b64_e32 v[0:1], v[112:113]
	v_bfe_u32 v2, v112, 23, 1
; %bb.6337:                             ;   in Loop: Header=BB6_5830 Depth=4
	s_or_b32 exec_lo, exec_lo, s13
	s_delay_alu instid0(VALU_DEP_2) | instskip(NEXT) | instid1(VALU_DEP_2)
	v_lshrrev_b64 v[0:1], 21, v[0:1]
	v_cmp_gt_i32_e32 vcc_lo, 32, v2
	v_min_i32_e32 v3, 31, v2
	v_cmp_eq_u32_e64 s13, 0, v2
	s_delay_alu instid0(VALU_DEP_2) | instskip(SKIP_1) | instid1(VALU_DEP_2)
	v_dual_cndmask_b32 v1, 0, v1, vcc_lo :: v_dual_lshlrev_b32 v3, 2, v3
	v_cndmask_b32_e32 v0, 3, v0, vcc_lo
	v_and_b32_e32 v3, 0xfc, v3
	s_delay_alu instid0(VALU_DEP_2) | instskip(NEXT) | instid1(VALU_DEP_2)
	v_cmp_eq_u64_e32 vcc_lo, 0, v[0:1]
	v_and_or_b32 v0, v0, 3, v3
	s_and_b32 s13, s13, vcc_lo
	s_delay_alu instid0(VALU_DEP_1) | instid1(SALU_CYCLE_1)
	v_cndmask_b32_e64 v0, v0, 0, s13
	s_delay_alu instid0(VALU_DEP_1)
	v_or_b32_e32 v114, v0, v7
.LBB6_6338:                             ;   in Loop: Header=BB6_5830 Depth=4
	s_or_b32 exec_lo, exec_lo, s77
                                        ; implicit-def: $vgpr7
.LBB6_6339:                             ;   in Loop: Header=BB6_5830 Depth=4
	s_and_not1_saveexec_b32 s13, s76
; %bb.6340:                             ;   in Loop: Header=BB6_5830 Depth=4
	v_or_b32_e32 v114, 0x7b, v7
; %bb.6341:                             ;   in Loop: Header=BB6_5830 Depth=4
	s_or_b32 exec_lo, exec_lo, s13
                                        ; implicit-def: $vgpr0
                                        ; implicit-def: $vgpr1
.LBB6_6342:                             ;   in Loop: Header=BB6_5830 Depth=4
	s_and_not1_saveexec_b32 s13, s75
	s_cbranch_execz .LBB6_6348
; %bb.6343:                             ;   in Loop: Header=BB6_5830 Depth=4
	s_mov_b32 s75, exec_lo
                                        ; implicit-def: $vgpr114
	v_cmpx_ne_u64_e32 0, v[112:113]
	s_xor_b32 s75, exec_lo, s75
; %bb.6344:                             ;   in Loop: Header=BB6_5830 Depth=4
	v_or_b32_e32 v114, 0x7f, v1
                                        ; implicit-def: $vgpr0
; %bb.6345:                             ;   in Loop: Header=BB6_5830 Depth=4
	s_and_not1_saveexec_b32 s75, s75
; %bb.6346:                             ;   in Loop: Header=BB6_5830 Depth=4
	v_cmp_lt_i32_e32 vcc_lo, -1, v0
	v_mov_b32_e32 v0, 0x7c
	s_delay_alu instid0(VALU_DEP_1)
	v_cndmask_b32_e32 v114, 0xfc, v0, vcc_lo
; %bb.6347:                             ;   in Loop: Header=BB6_5830 Depth=4
	s_or_b32 exec_lo, exec_lo, s75
.LBB6_6348:                             ;   in Loop: Header=BB6_5830 Depth=4
	s_delay_alu instid0(SALU_CYCLE_1) | instskip(SKIP_3) | instid1(VALU_DEP_2)
	s_or_b32 exec_lo, exec_lo, s13
	v_lshrrev_b16 v0, 8, v8
	v_mov_b32_e32 v2, 0
	s_mov_b32 s13, exec_lo
	v_cmpx_ne_u16_e32 0, v0
	s_cbranch_execz .LBB6_6358
; %bb.6349:                             ;   in Loop: Header=BB6_5830 Depth=4
	v_bfrev_b32_e32 v2, 1
	s_mov_b32 s75, exec_lo
	v_cmpx_ne_u16_e32 0x80, v0
	s_cbranch_execz .LBB6_6357
; %bb.6350:                             ;   in Loop: Header=BB6_5830 Depth=4
	v_and_b32_e32 v3, 0xffff, v0
	s_delay_alu instid0(VALU_DEP_1) | instskip(SKIP_1) | instid1(VALU_DEP_2)
	v_and_b32_e32 v2, 0x7c, v3
	v_and_b32_e32 v1, 3, v3
	v_cmp_ne_u32_e32 vcc_lo, 0x7c, v2
                                        ; implicit-def: $vgpr2
	s_and_saveexec_b32 s76, vcc_lo
	s_delay_alu instid0(SALU_CYCLE_1)
	s_xor_b32 s76, exec_lo, s76
	s_cbranch_execz .LBB6_6354
; %bb.6351:                             ;   in Loop: Header=BB6_5830 Depth=4
	v_bfe_u32 v2, v3, 2, 5
	s_mov_b32 s77, exec_lo
	s_delay_alu instid0(VALU_DEP_1)
	v_cmpx_eq_u32_e32 0, v2
	s_cbranch_execz .LBB6_6353
; %bb.6352:                             ;   in Loop: Header=BB6_5830 Depth=4
	v_clz_i32_u32_e32 v1, v1
	s_delay_alu instid0(VALU_DEP_1) | instskip(SKIP_1) | instid1(VALU_DEP_2)
	v_min_u32_e32 v2, 32, v1
	v_mov_b32_e32 v1, v113
	v_subrev_nc_u32_e32 v3, 29, v2
	v_sub_nc_u32_e32 v2, 30, v2
	s_delay_alu instid0(VALU_DEP_2) | instskip(NEXT) | instid1(VALU_DEP_1)
	v_lshlrev_b64_e32 v[0:1], v3, v[0:1]
	v_and_b32_e32 v1, 3, v0
.LBB6_6353:                             ;   in Loop: Header=BB6_5830 Depth=4
	s_or_b32 exec_lo, exec_lo, s77
	v_lshlrev_b32_e32 v0, 16, v8
	s_delay_alu instid0(VALU_DEP_1) | instskip(NEXT) | instid1(VALU_DEP_1)
	v_and_b32_e32 v0, 0x80000000, v0
	v_lshl_add_u32 v0, v2, 23, v0
	s_delay_alu instid0(VALU_DEP_1) | instskip(NEXT) | instid1(VALU_DEP_1)
	v_lshl_or_b32 v0, v1, 21, v0
                                        ; implicit-def: $vgpr1
	v_add_nc_u32_e32 v2, 0x38000000, v0
.LBB6_6354:                             ;   in Loop: Header=BB6_5830 Depth=4
	s_and_not1_saveexec_b32 s76, s76
; %bb.6355:                             ;   in Loop: Header=BB6_5830 Depth=4
	v_cmp_lt_i16_e32 vcc_lo, -1, v8
	v_mov_b32_e32 v0, 0x7f800000
	s_delay_alu instid0(VALU_DEP_1) | instskip(SKIP_1) | instid1(VALU_DEP_2)
	v_cndmask_b32_e32 v0, 0xff800000, v0, vcc_lo
	v_cmp_eq_u32_e32 vcc_lo, 0, v1
	v_cndmask_b32_e32 v2, 0x7f800001, v0, vcc_lo
; %bb.6356:                             ;   in Loop: Header=BB6_5830 Depth=4
	s_or_b32 exec_lo, exec_lo, s76
.LBB6_6357:                             ;   in Loop: Header=BB6_5830 Depth=4
	s_delay_alu instid0(SALU_CYCLE_1)
	s_or_b32 exec_lo, exec_lo, s75
.LBB6_6358:                             ;   in Loop: Header=BB6_5830 Depth=4
	s_delay_alu instid0(SALU_CYCLE_1) | instskip(NEXT) | instid1(VALU_DEP_1)
	s_or_b32 exec_lo, exec_lo, s13
	v_dual_mul_f32 v0, s74, v2 :: v_dual_mov_b32 v3, v113
                                        ; implicit-def: $vgpr118
	s_mov_b32 s13, exec_lo
	s_delay_alu instid0(VALU_DEP_1) | instskip(SKIP_2) | instid1(VALU_DEP_3)
	v_and_b32_e32 v2, 0x7f800000, v0
	v_and_b32_e32 v112, 0x7fffff, v0
	v_lshrrev_b32_e32 v1, 24, v0
	v_cmpx_ne_u64_e32 0x7f800000, v[2:3]
	s_xor_b32 s75, exec_lo, s13
	s_cbranch_execz .LBB6_6372
; %bb.6359:                             ;   in Loop: Header=BB6_5830 Depth=4
	v_and_b32_e32 v2, 0x7fffffff, v0
	v_mov_b32_e32 v3, v113
	v_and_b32_e32 v7, 0x80, v1
                                        ; implicit-def: $vgpr118
	s_mov_b32 s13, exec_lo
	s_delay_alu instid0(VALU_DEP_2)
	v_cmpx_gt_u64_e32 0x47600001, v[2:3]
	s_xor_b32 s76, exec_lo, s13
	s_cbranch_execz .LBB6_6369
; %bb.6360:                             ;   in Loop: Header=BB6_5830 Depth=4
	v_mov_b32_e32 v118, 0
	s_mov_b32 s77, exec_lo
	v_cmpx_ne_u32_e32 0, v0
	s_cbranch_execz .LBB6_6368
; %bb.6361:                             ;   in Loop: Header=BB6_5830 Depth=4
	v_bfe_u32 v12, v0, 23, 8
	v_or_b32_e32 v2, 0x800000, v112
	s_mov_b32 s78, exec_lo
	s_delay_alu instid0(VALU_DEP_2) | instskip(SKIP_1) | instid1(VALU_DEP_2)
	v_dual_mov_b32 v3, v113 :: v_dual_sub_nc_u32 v0, 0x71, v12
	v_cmp_gt_u32_e32 vcc_lo, 0x72, v12
	v_cndmask_b32_e32 v0, 0, v0, vcc_lo
	v_cmp_eq_u32_e32 vcc_lo, 0, v12
	s_delay_alu instid0(VALU_DEP_2) | instskip(NEXT) | instid1(VALU_DEP_1)
	v_cndmask_b32_e64 v13, v0, 0x70, vcc_lo
	v_dual_cndmask_b32 v2, v2, v112, vcc_lo :: v_dual_add_nc_u32 v0, 21, v13
	v_add_nc_u32_e32 v14, 20, v13
	s_delay_alu instid0(VALU_DEP_2) | instskip(NEXT) | instid1(VALU_DEP_2)
	v_lshlrev_b64_e64 v[0:1], v0, -1
	v_lshlrev_b64_e64 v[14:15], v14, 1
	s_delay_alu instid0(VALU_DEP_2) | instskip(NEXT) | instid1(VALU_DEP_3)
	v_bfi_b32 v17, v1, 0, 0
	v_bfi_b32 v16, v0, 0, v2
	v_lshrrev_b64 v[0:1], v13, v[2:3]
	s_delay_alu instid0(VALU_DEP_1) | instskip(NEXT) | instid1(VALU_DEP_3)
	v_mov_b64_e32 v[2:3], v[0:1]
	v_cmpx_eq_u64_e64 v[16:17], v[14:15]
; %bb.6362:                             ;   in Loop: Header=BB6_5830 Depth=4
	v_bfe_u32 v2, v0, 21, 1
	v_mov_b32_e32 v3, v113
	s_delay_alu instid0(VALU_DEP_1) | instskip(NEXT) | instid1(VALU_DEP_1)
	v_add_nc_u64_e32 v[2:3], v[0:1], v[2:3]
	v_add_nc_u64_e32 v[2:3], -1, v[2:3]
; %bb.6363:                             ;   in Loop: Header=BB6_5830 Depth=4
	s_or_b32 exec_lo, exec_lo, s78
	v_add_nc_u32_e32 v1, 0xffffff81, v12
	v_lshrrev_b32_e32 v3, 23, v0
	s_mov_b32 s13, exec_lo
	s_delay_alu instid0(VALU_DEP_2) | instskip(NEXT) | instid1(VALU_DEP_1)
	v_cndmask_b32_e64 v1, v1, 0xffffff82, vcc_lo
	v_add3_u32 v3, v13, v1, v3
	v_and_b32_e32 v1, 0x1fffff, v2
                                        ; implicit-def: $vgpr2
	s_delay_alu instid0(VALU_DEP_1) | instskip(NEXT) | instid1(VALU_DEP_1)
	v_dual_add_nc_u32 v12, 14, v3 :: v_dual_add_nc_u32 v112, v1, v0
                                        ; implicit-def: $vgpr0_vgpr1
	v_cmpx_ne_u32_e32 0, v12
	s_xor_b32 s13, exec_lo, s13
; %bb.6364:                             ;   in Loop: Header=BB6_5830 Depth=4
	s_delay_alu instid0(VALU_DEP_2) | instskip(SKIP_1) | instid1(VALU_DEP_1)
	v_cmp_lt_u64_e32 vcc_lo, 0xffffff, v[112:113]
	v_add_nc_u32_e32 v0, 15, v3
	v_cndmask_b32_e32 v2, v12, v0, vcc_lo
	v_cndmask_b32_e64 v0, 0, 1, vcc_lo
	s_delay_alu instid0(VALU_DEP_1)
	v_lshrrev_b64 v[0:1], v0, v[112:113]
; %bb.6365:                             ;   in Loop: Header=BB6_5830 Depth=4
	s_and_not1_saveexec_b32 s13, s13
; %bb.6366:                             ;   in Loop: Header=BB6_5830 Depth=4
	v_mov_b64_e32 v[0:1], v[112:113]
	v_bfe_u32 v2, v112, 23, 1
; %bb.6367:                             ;   in Loop: Header=BB6_5830 Depth=4
	s_or_b32 exec_lo, exec_lo, s13
	s_delay_alu instid0(VALU_DEP_2) | instskip(NEXT) | instid1(VALU_DEP_2)
	v_lshrrev_b64 v[0:1], 21, v[0:1]
	v_cmp_gt_i32_e32 vcc_lo, 32, v2
	v_min_i32_e32 v3, 31, v2
	v_cmp_eq_u32_e64 s13, 0, v2
	s_delay_alu instid0(VALU_DEP_2) | instskip(SKIP_1) | instid1(VALU_DEP_2)
	v_dual_cndmask_b32 v1, 0, v1, vcc_lo :: v_dual_lshlrev_b32 v3, 2, v3
	v_cndmask_b32_e32 v0, 3, v0, vcc_lo
	v_and_b32_e32 v3, 0xfc, v3
	s_delay_alu instid0(VALU_DEP_2) | instskip(NEXT) | instid1(VALU_DEP_2)
	v_cmp_eq_u64_e32 vcc_lo, 0, v[0:1]
	v_and_or_b32 v0, v0, 3, v3
	s_and_b32 s13, s13, vcc_lo
	s_delay_alu instid0(VALU_DEP_1) | instid1(SALU_CYCLE_1)
	v_cndmask_b32_e64 v0, v0, 0, s13
	s_delay_alu instid0(VALU_DEP_1)
	v_or_b32_e32 v118, v0, v7
.LBB6_6368:                             ;   in Loop: Header=BB6_5830 Depth=4
	s_or_b32 exec_lo, exec_lo, s77
                                        ; implicit-def: $vgpr7
.LBB6_6369:                             ;   in Loop: Header=BB6_5830 Depth=4
	s_and_not1_saveexec_b32 s13, s76
; %bb.6370:                             ;   in Loop: Header=BB6_5830 Depth=4
	v_or_b32_e32 v118, 0x7b, v7
; %bb.6371:                             ;   in Loop: Header=BB6_5830 Depth=4
	s_or_b32 exec_lo, exec_lo, s13
                                        ; implicit-def: $vgpr0
                                        ; implicit-def: $vgpr1
.LBB6_6372:                             ;   in Loop: Header=BB6_5830 Depth=4
	s_and_not1_saveexec_b32 s13, s75
	s_cbranch_execz .LBB6_6378
; %bb.6373:                             ;   in Loop: Header=BB6_5830 Depth=4
	s_mov_b32 s75, exec_lo
                                        ; implicit-def: $vgpr118
	v_cmpx_ne_u64_e32 0, v[112:113]
	s_xor_b32 s75, exec_lo, s75
; %bb.6374:                             ;   in Loop: Header=BB6_5830 Depth=4
	v_or_b32_e32 v118, 0x7f, v1
                                        ; implicit-def: $vgpr0
; %bb.6375:                             ;   in Loop: Header=BB6_5830 Depth=4
	s_and_not1_saveexec_b32 s75, s75
; %bb.6376:                             ;   in Loop: Header=BB6_5830 Depth=4
	v_cmp_lt_i32_e32 vcc_lo, -1, v0
	v_mov_b32_e32 v0, 0x7c
	s_delay_alu instid0(VALU_DEP_1)
	v_cndmask_b32_e32 v118, 0xfc, v0, vcc_lo
; %bb.6377:                             ;   in Loop: Header=BB6_5830 Depth=4
	s_or_b32 exec_lo, exec_lo, s75
.LBB6_6378:                             ;   in Loop: Header=BB6_5830 Depth=4
	s_delay_alu instid0(SALU_CYCLE_1) | instskip(SKIP_2) | instid1(VALU_DEP_1)
	s_or_b32 exec_lo, exec_lo, s13
	v_dual_lshrrev_b32 v0, 16, v8 :: v_dual_mov_b32 v2, 0
	s_mov_b32 s13, exec_lo
	v_and_b32_e32 v1, 0xff, v0
	s_delay_alu instid0(VALU_DEP_1)
	v_cmpx_ne_u16_e32 0, v1
	s_cbranch_execz .LBB6_6388
; %bb.6379:                             ;   in Loop: Header=BB6_5830 Depth=4
	v_bfrev_b32_e32 v2, 1
	s_mov_b32 s75, exec_lo
	v_cmpx_ne_u16_e32 0x80, v1
	s_cbranch_execz .LBB6_6387
; %bb.6380:                             ;   in Loop: Header=BB6_5830 Depth=4
	v_and_b32_e32 v2, 0x7c0000, v8
	v_bfe_u32 v1, v8, 16, 2
	s_delay_alu instid0(VALU_DEP_2) | instskip(SKIP_1) | instid1(SALU_CYCLE_1)
	v_cmp_ne_u32_e32 vcc_lo, 0x7c0000, v2
                                        ; implicit-def: $vgpr2
	s_and_saveexec_b32 s76, vcc_lo
	s_xor_b32 s76, exec_lo, s76
	s_cbranch_execz .LBB6_6384
; %bb.6381:                             ;   in Loop: Header=BB6_5830 Depth=4
	v_bfe_u32 v2, v8, 18, 5
	s_mov_b32 s77, exec_lo
	s_delay_alu instid0(VALU_DEP_1)
	v_cmpx_eq_u32_e32 0, v2
; %bb.6382:                             ;   in Loop: Header=BB6_5830 Depth=4
	v_clz_i32_u32_e32 v1, v1
	s_delay_alu instid0(VALU_DEP_1) | instskip(NEXT) | instid1(VALU_DEP_1)
	v_min_u32_e32 v1, 32, v1
	v_subrev_nc_u32_e32 v2, 29, v1
	s_delay_alu instid0(VALU_DEP_1) | instskip(NEXT) | instid1(VALU_DEP_1)
	v_lshlrev_b64_e32 v[12:13], v2, v[0:1]
	v_dual_sub_nc_u32 v2, 30, v1 :: v_dual_bitop2_b32 v1, 3, v12 bitop3:0x40
; %bb.6383:                             ;   in Loop: Header=BB6_5830 Depth=4
	s_or_b32 exec_lo, exec_lo, s77
	v_lshlrev_b32_e32 v0, 24, v0
	s_delay_alu instid0(VALU_DEP_1) | instskip(NEXT) | instid1(VALU_DEP_1)
	v_and_b32_e32 v0, 0x80000000, v0
	v_lshl_add_u32 v0, v2, 23, v0
	s_delay_alu instid0(VALU_DEP_1) | instskip(NEXT) | instid1(VALU_DEP_1)
	v_lshl_or_b32 v0, v1, 21, v0
                                        ; implicit-def: $vgpr1
	v_add_nc_u32_e32 v2, 0x38000000, v0
                                        ; implicit-def: $vgpr0
.LBB6_6384:                             ;   in Loop: Header=BB6_5830 Depth=4
	s_and_not1_saveexec_b32 s76, s76
; %bb.6385:                             ;   in Loop: Header=BB6_5830 Depth=4
	v_bfe_i32 v0, v0, 0, 8
	s_delay_alu instid0(VALU_DEP_1) | instskip(SKIP_1) | instid1(VALU_DEP_1)
	v_cmp_lt_i16_e32 vcc_lo, -1, v0
	v_mov_b32_e32 v0, 0x7f800000
	v_cndmask_b32_e32 v0, 0xff800000, v0, vcc_lo
	v_cmp_eq_u32_e32 vcc_lo, 0, v1
	s_delay_alu instid0(VALU_DEP_2)
	v_cndmask_b32_e32 v2, 0x7f800001, v0, vcc_lo
; %bb.6386:                             ;   in Loop: Header=BB6_5830 Depth=4
	s_or_b32 exec_lo, exec_lo, s76
.LBB6_6387:                             ;   in Loop: Header=BB6_5830 Depth=4
	s_delay_alu instid0(SALU_CYCLE_1)
	s_or_b32 exec_lo, exec_lo, s75
.LBB6_6388:                             ;   in Loop: Header=BB6_5830 Depth=4
	s_delay_alu instid0(SALU_CYCLE_1) | instskip(NEXT) | instid1(VALU_DEP_1)
	s_or_b32 exec_lo, exec_lo, s13
	v_dual_mul_f32 v0, s74, v2 :: v_dual_mov_b32 v3, v113
                                        ; implicit-def: $vgpr41
	s_mov_b32 s13, exec_lo
	s_delay_alu instid0(VALU_DEP_1) | instskip(SKIP_2) | instid1(VALU_DEP_3)
	v_and_b32_e32 v2, 0x7f800000, v0
	v_and_b32_e32 v112, 0x7fffff, v0
	v_lshrrev_b32_e32 v1, 24, v0
	v_cmpx_ne_u64_e32 0x7f800000, v[2:3]
	s_xor_b32 s75, exec_lo, s13
	s_cbranch_execz .LBB6_6402
; %bb.6389:                             ;   in Loop: Header=BB6_5830 Depth=4
	v_and_b32_e32 v2, 0x7fffffff, v0
	v_mov_b32_e32 v3, v113
	v_and_b32_e32 v7, 0x80, v1
                                        ; implicit-def: $vgpr41
	s_mov_b32 s13, exec_lo
	s_delay_alu instid0(VALU_DEP_2)
	v_cmpx_gt_u64_e32 0x47600001, v[2:3]
	s_xor_b32 s76, exec_lo, s13
	s_cbranch_execz .LBB6_6399
; %bb.6390:                             ;   in Loop: Header=BB6_5830 Depth=4
	v_mov_b32_e32 v41, 0
	s_mov_b32 s77, exec_lo
	v_cmpx_ne_u32_e32 0, v0
	s_cbranch_execz .LBB6_6398
; %bb.6391:                             ;   in Loop: Header=BB6_5830 Depth=4
	v_bfe_u32 v12, v0, 23, 8
	v_or_b32_e32 v2, 0x800000, v112
	s_mov_b32 s78, exec_lo
	s_delay_alu instid0(VALU_DEP_2) | instskip(SKIP_1) | instid1(VALU_DEP_2)
	v_dual_mov_b32 v3, v113 :: v_dual_sub_nc_u32 v0, 0x71, v12
	v_cmp_gt_u32_e32 vcc_lo, 0x72, v12
	v_cndmask_b32_e32 v0, 0, v0, vcc_lo
	v_cmp_eq_u32_e32 vcc_lo, 0, v12
	s_delay_alu instid0(VALU_DEP_2) | instskip(NEXT) | instid1(VALU_DEP_1)
	v_cndmask_b32_e64 v13, v0, 0x70, vcc_lo
	v_dual_cndmask_b32 v2, v2, v112, vcc_lo :: v_dual_add_nc_u32 v0, 21, v13
	v_add_nc_u32_e32 v14, 20, v13
	s_delay_alu instid0(VALU_DEP_2) | instskip(NEXT) | instid1(VALU_DEP_2)
	v_lshlrev_b64_e64 v[0:1], v0, -1
	v_lshlrev_b64_e64 v[14:15], v14, 1
	s_delay_alu instid0(VALU_DEP_2) | instskip(NEXT) | instid1(VALU_DEP_3)
	v_bfi_b32 v17, v1, 0, 0
	v_bfi_b32 v16, v0, 0, v2
	v_lshrrev_b64 v[0:1], v13, v[2:3]
	s_delay_alu instid0(VALU_DEP_1) | instskip(NEXT) | instid1(VALU_DEP_3)
	v_mov_b64_e32 v[2:3], v[0:1]
	v_cmpx_eq_u64_e64 v[16:17], v[14:15]
; %bb.6392:                             ;   in Loop: Header=BB6_5830 Depth=4
	v_bfe_u32 v2, v0, 21, 1
	v_mov_b32_e32 v3, v113
	s_delay_alu instid0(VALU_DEP_1) | instskip(NEXT) | instid1(VALU_DEP_1)
	v_add_nc_u64_e32 v[2:3], v[0:1], v[2:3]
	v_add_nc_u64_e32 v[2:3], -1, v[2:3]
; %bb.6393:                             ;   in Loop: Header=BB6_5830 Depth=4
	s_or_b32 exec_lo, exec_lo, s78
	v_add_nc_u32_e32 v1, 0xffffff81, v12
	v_lshrrev_b32_e32 v3, 23, v0
	s_mov_b32 s13, exec_lo
	s_delay_alu instid0(VALU_DEP_2) | instskip(NEXT) | instid1(VALU_DEP_1)
	v_cndmask_b32_e64 v1, v1, 0xffffff82, vcc_lo
	v_add3_u32 v3, v13, v1, v3
	v_and_b32_e32 v1, 0x1fffff, v2
                                        ; implicit-def: $vgpr2
	s_delay_alu instid0(VALU_DEP_1) | instskip(NEXT) | instid1(VALU_DEP_1)
	v_dual_add_nc_u32 v12, 14, v3 :: v_dual_add_nc_u32 v112, v1, v0
                                        ; implicit-def: $vgpr0_vgpr1
	v_cmpx_ne_u32_e32 0, v12
	s_xor_b32 s13, exec_lo, s13
; %bb.6394:                             ;   in Loop: Header=BB6_5830 Depth=4
	s_delay_alu instid0(VALU_DEP_2) | instskip(SKIP_1) | instid1(VALU_DEP_1)
	v_cmp_lt_u64_e32 vcc_lo, 0xffffff, v[112:113]
	v_add_nc_u32_e32 v0, 15, v3
	v_cndmask_b32_e32 v2, v12, v0, vcc_lo
	v_cndmask_b32_e64 v0, 0, 1, vcc_lo
	s_delay_alu instid0(VALU_DEP_1)
	v_lshrrev_b64 v[0:1], v0, v[112:113]
; %bb.6395:                             ;   in Loop: Header=BB6_5830 Depth=4
	s_and_not1_saveexec_b32 s13, s13
; %bb.6396:                             ;   in Loop: Header=BB6_5830 Depth=4
	v_mov_b64_e32 v[0:1], v[112:113]
	v_bfe_u32 v2, v112, 23, 1
; %bb.6397:                             ;   in Loop: Header=BB6_5830 Depth=4
	s_or_b32 exec_lo, exec_lo, s13
	s_delay_alu instid0(VALU_DEP_2) | instskip(NEXT) | instid1(VALU_DEP_2)
	v_lshrrev_b64 v[0:1], 21, v[0:1]
	v_cmp_gt_i32_e32 vcc_lo, 32, v2
	v_min_i32_e32 v3, 31, v2
	v_cmp_eq_u32_e64 s13, 0, v2
	s_delay_alu instid0(VALU_DEP_2) | instskip(SKIP_1) | instid1(VALU_DEP_2)
	v_dual_cndmask_b32 v1, 0, v1, vcc_lo :: v_dual_lshlrev_b32 v3, 2, v3
	v_cndmask_b32_e32 v0, 3, v0, vcc_lo
	v_and_b32_e32 v3, 0xfc, v3
	s_delay_alu instid0(VALU_DEP_2) | instskip(NEXT) | instid1(VALU_DEP_2)
	v_cmp_eq_u64_e32 vcc_lo, 0, v[0:1]
	v_and_or_b32 v0, v0, 3, v3
	s_and_b32 s13, s13, vcc_lo
	s_delay_alu instid0(VALU_DEP_1) | instid1(SALU_CYCLE_1)
	v_cndmask_b32_e64 v0, v0, 0, s13
	s_delay_alu instid0(VALU_DEP_1)
	v_or_b32_e32 v41, v0, v7
.LBB6_6398:                             ;   in Loop: Header=BB6_5830 Depth=4
	s_or_b32 exec_lo, exec_lo, s77
                                        ; implicit-def: $vgpr7
.LBB6_6399:                             ;   in Loop: Header=BB6_5830 Depth=4
	s_and_not1_saveexec_b32 s13, s76
; %bb.6400:                             ;   in Loop: Header=BB6_5830 Depth=4
	v_or_b32_e32 v41, 0x7b, v7
; %bb.6401:                             ;   in Loop: Header=BB6_5830 Depth=4
	s_or_b32 exec_lo, exec_lo, s13
                                        ; implicit-def: $vgpr0
                                        ; implicit-def: $vgpr1
.LBB6_6402:                             ;   in Loop: Header=BB6_5830 Depth=4
	s_and_not1_saveexec_b32 s13, s75
	s_cbranch_execz .LBB6_6408
; %bb.6403:                             ;   in Loop: Header=BB6_5830 Depth=4
	s_mov_b32 s75, exec_lo
                                        ; implicit-def: $vgpr41
	v_cmpx_ne_u64_e32 0, v[112:113]
	s_xor_b32 s75, exec_lo, s75
; %bb.6404:                             ;   in Loop: Header=BB6_5830 Depth=4
	v_or_b32_e32 v41, 0x7f, v1
                                        ; implicit-def: $vgpr0
; %bb.6405:                             ;   in Loop: Header=BB6_5830 Depth=4
	s_and_not1_saveexec_b32 s75, s75
; %bb.6406:                             ;   in Loop: Header=BB6_5830 Depth=4
	v_cmp_lt_i32_e32 vcc_lo, -1, v0
	v_mov_b32_e32 v0, 0x7c
	s_delay_alu instid0(VALU_DEP_1)
	v_cndmask_b32_e32 v41, 0xfc, v0, vcc_lo
; %bb.6407:                             ;   in Loop: Header=BB6_5830 Depth=4
	s_or_b32 exec_lo, exec_lo, s75
.LBB6_6408:                             ;   in Loop: Header=BB6_5830 Depth=4
	s_delay_alu instid0(SALU_CYCLE_1)
	s_or_b32 exec_lo, exec_lo, s13
	v_mov_b32_e32 v1, 0
	s_mov_b32 s13, exec_lo
	v_cmpx_lt_u32_e32 0xffffff, v8
	s_cbranch_execz .LBB6_6418
; %bb.6409:                             ;   in Loop: Header=BB6_5830 Depth=4
	v_lshrrev_b32_e32 v0, 24, v8
	v_bfrev_b32_e32 v1, 1
	s_mov_b32 s75, exec_lo
	s_delay_alu instid0(VALU_DEP_2)
	v_cmpx_ne_u32_e32 0x80, v0
	s_cbranch_execz .LBB6_6417
; %bb.6410:                             ;   in Loop: Header=BB6_5830 Depth=4
	v_and_b32_e32 v1, 0x7c000000, v8
	v_bfe_u32 v2, v8, 24, 2
	s_delay_alu instid0(VALU_DEP_2) | instskip(SKIP_1) | instid1(SALU_CYCLE_1)
	v_cmp_ne_u32_e32 vcc_lo, 0x7c000000, v1
                                        ; implicit-def: $vgpr1
	s_and_saveexec_b32 s76, vcc_lo
	s_xor_b32 s76, exec_lo, s76
	s_cbranch_execz .LBB6_6414
; %bb.6411:                             ;   in Loop: Header=BB6_5830 Depth=4
	v_bfe_u32 v1, v8, 26, 5
	s_mov_b32 s77, exec_lo
	s_delay_alu instid0(VALU_DEP_1)
	v_cmpx_eq_u32_e32 0, v1
; %bb.6412:                             ;   in Loop: Header=BB6_5830 Depth=4
	v_clz_i32_u32_e32 v1, v2
	s_delay_alu instid0(VALU_DEP_1) | instskip(NEXT) | instid1(VALU_DEP_1)
	v_min_u32_e32 v2, 32, v1
	v_subrev_nc_u32_e32 v1, 29, v2
	s_delay_alu instid0(VALU_DEP_1) | instskip(NEXT) | instid1(VALU_DEP_1)
	v_lshlrev_b64_e32 v[0:1], v1, v[0:1]
	v_dual_sub_nc_u32 v1, 30, v2 :: v_dual_bitop2_b32 v2, 3, v0 bitop3:0x40
; %bb.6413:                             ;   in Loop: Header=BB6_5830 Depth=4
	s_or_b32 exec_lo, exec_lo, s77
	v_and_b32_e32 v0, 0x80000000, v8
	s_delay_alu instid0(VALU_DEP_1) | instskip(NEXT) | instid1(VALU_DEP_1)
	v_lshl_add_u32 v0, v1, 23, v0
	v_lshl_or_b32 v0, v2, 21, v0
                                        ; implicit-def: $vgpr2
	s_delay_alu instid0(VALU_DEP_1)
	v_add_nc_u32_e32 v1, 0x38000000, v0
.LBB6_6414:                             ;   in Loop: Header=BB6_5830 Depth=4
	s_and_not1_saveexec_b32 s76, s76
; %bb.6415:                             ;   in Loop: Header=BB6_5830 Depth=4
	v_cmp_lt_i32_e32 vcc_lo, -1, v8
	v_mov_b32_e32 v0, 0x7f800000
	s_delay_alu instid0(VALU_DEP_1) | instskip(SKIP_1) | instid1(VALU_DEP_2)
	v_cndmask_b32_e32 v0, 0xff800000, v0, vcc_lo
	v_cmp_eq_u32_e32 vcc_lo, 0, v2
	v_cndmask_b32_e32 v1, 0x7f800001, v0, vcc_lo
; %bb.6416:                             ;   in Loop: Header=BB6_5830 Depth=4
	s_or_b32 exec_lo, exec_lo, s76
.LBB6_6417:                             ;   in Loop: Header=BB6_5830 Depth=4
	s_delay_alu instid0(SALU_CYCLE_1)
	s_or_b32 exec_lo, exec_lo, s75
.LBB6_6418:                             ;   in Loop: Header=BB6_5830 Depth=4
	s_delay_alu instid0(SALU_CYCLE_1) | instskip(NEXT) | instid1(VALU_DEP_1)
	s_or_b32 exec_lo, exec_lo, s13
	v_dual_mul_f32 v0, s74, v1 :: v_dual_mov_b32 v3, v113
                                        ; implicit-def: $vgpr43
	s_mov_b32 s13, exec_lo
	s_delay_alu instid0(VALU_DEP_1) | instskip(SKIP_2) | instid1(VALU_DEP_3)
	v_and_b32_e32 v2, 0x7f800000, v0
	v_and_b32_e32 v112, 0x7fffff, v0
	v_lshrrev_b32_e32 v1, 24, v0
	v_cmpx_ne_u64_e32 0x7f800000, v[2:3]
	s_xor_b32 s75, exec_lo, s13
	s_cbranch_execz .LBB6_6432
; %bb.6419:                             ;   in Loop: Header=BB6_5830 Depth=4
	v_and_b32_e32 v2, 0x7fffffff, v0
	v_mov_b32_e32 v3, v113
	v_and_b32_e32 v7, 0x80, v1
                                        ; implicit-def: $vgpr43
	s_mov_b32 s13, exec_lo
	s_delay_alu instid0(VALU_DEP_2)
	v_cmpx_gt_u64_e32 0x47600001, v[2:3]
	s_xor_b32 s76, exec_lo, s13
	s_cbranch_execz .LBB6_6429
; %bb.6420:                             ;   in Loop: Header=BB6_5830 Depth=4
	v_mov_b32_e32 v43, 0
	s_mov_b32 s77, exec_lo
	v_cmpx_ne_u32_e32 0, v0
	s_cbranch_execz .LBB6_6428
; %bb.6421:                             ;   in Loop: Header=BB6_5830 Depth=4
	v_bfe_u32 v12, v0, 23, 8
	v_or_b32_e32 v2, 0x800000, v112
	s_mov_b32 s78, exec_lo
	s_delay_alu instid0(VALU_DEP_2) | instskip(SKIP_1) | instid1(VALU_DEP_2)
	v_dual_mov_b32 v3, v113 :: v_dual_sub_nc_u32 v0, 0x71, v12
	v_cmp_gt_u32_e32 vcc_lo, 0x72, v12
	v_cndmask_b32_e32 v0, 0, v0, vcc_lo
	v_cmp_eq_u32_e32 vcc_lo, 0, v12
	s_delay_alu instid0(VALU_DEP_2) | instskip(NEXT) | instid1(VALU_DEP_1)
	v_cndmask_b32_e64 v13, v0, 0x70, vcc_lo
	v_dual_cndmask_b32 v2, v2, v112, vcc_lo :: v_dual_add_nc_u32 v0, 21, v13
	v_add_nc_u32_e32 v14, 20, v13
	s_delay_alu instid0(VALU_DEP_2) | instskip(NEXT) | instid1(VALU_DEP_2)
	v_lshlrev_b64_e64 v[0:1], v0, -1
	v_lshlrev_b64_e64 v[14:15], v14, 1
	s_delay_alu instid0(VALU_DEP_2) | instskip(NEXT) | instid1(VALU_DEP_3)
	v_bfi_b32 v17, v1, 0, 0
	v_bfi_b32 v16, v0, 0, v2
	v_lshrrev_b64 v[0:1], v13, v[2:3]
	s_delay_alu instid0(VALU_DEP_1) | instskip(NEXT) | instid1(VALU_DEP_3)
	v_mov_b64_e32 v[2:3], v[0:1]
	v_cmpx_eq_u64_e64 v[16:17], v[14:15]
; %bb.6422:                             ;   in Loop: Header=BB6_5830 Depth=4
	v_bfe_u32 v2, v0, 21, 1
	v_mov_b32_e32 v3, v113
	s_delay_alu instid0(VALU_DEP_1) | instskip(NEXT) | instid1(VALU_DEP_1)
	v_add_nc_u64_e32 v[2:3], v[0:1], v[2:3]
	v_add_nc_u64_e32 v[2:3], -1, v[2:3]
; %bb.6423:                             ;   in Loop: Header=BB6_5830 Depth=4
	s_or_b32 exec_lo, exec_lo, s78
	v_add_nc_u32_e32 v1, 0xffffff81, v12
	v_lshrrev_b32_e32 v3, 23, v0
	s_mov_b32 s13, exec_lo
	s_delay_alu instid0(VALU_DEP_2) | instskip(NEXT) | instid1(VALU_DEP_1)
	v_cndmask_b32_e64 v1, v1, 0xffffff82, vcc_lo
	v_add3_u32 v3, v13, v1, v3
	v_and_b32_e32 v1, 0x1fffff, v2
                                        ; implicit-def: $vgpr2
	s_delay_alu instid0(VALU_DEP_1) | instskip(NEXT) | instid1(VALU_DEP_1)
	v_dual_add_nc_u32 v12, 14, v3 :: v_dual_add_nc_u32 v112, v1, v0
                                        ; implicit-def: $vgpr0_vgpr1
	v_cmpx_ne_u32_e32 0, v12
	s_xor_b32 s13, exec_lo, s13
; %bb.6424:                             ;   in Loop: Header=BB6_5830 Depth=4
	s_delay_alu instid0(VALU_DEP_2) | instskip(SKIP_1) | instid1(VALU_DEP_1)
	v_cmp_lt_u64_e32 vcc_lo, 0xffffff, v[112:113]
	v_add_nc_u32_e32 v0, 15, v3
	v_cndmask_b32_e32 v2, v12, v0, vcc_lo
	v_cndmask_b32_e64 v0, 0, 1, vcc_lo
	s_delay_alu instid0(VALU_DEP_1)
	v_lshrrev_b64 v[0:1], v0, v[112:113]
; %bb.6425:                             ;   in Loop: Header=BB6_5830 Depth=4
	s_and_not1_saveexec_b32 s13, s13
; %bb.6426:                             ;   in Loop: Header=BB6_5830 Depth=4
	v_mov_b64_e32 v[0:1], v[112:113]
	v_bfe_u32 v2, v112, 23, 1
; %bb.6427:                             ;   in Loop: Header=BB6_5830 Depth=4
	s_or_b32 exec_lo, exec_lo, s13
	s_delay_alu instid0(VALU_DEP_2) | instskip(NEXT) | instid1(VALU_DEP_2)
	v_lshrrev_b64 v[0:1], 21, v[0:1]
	v_cmp_gt_i32_e32 vcc_lo, 32, v2
	v_min_i32_e32 v3, 31, v2
	v_cmp_eq_u32_e64 s13, 0, v2
	s_delay_alu instid0(VALU_DEP_2) | instskip(SKIP_1) | instid1(VALU_DEP_2)
	v_dual_cndmask_b32 v1, 0, v1, vcc_lo :: v_dual_lshlrev_b32 v3, 2, v3
	v_cndmask_b32_e32 v0, 3, v0, vcc_lo
	v_and_b32_e32 v3, 0xfc, v3
	s_delay_alu instid0(VALU_DEP_2) | instskip(NEXT) | instid1(VALU_DEP_2)
	v_cmp_eq_u64_e32 vcc_lo, 0, v[0:1]
	v_and_or_b32 v0, v0, 3, v3
	s_and_b32 s13, s13, vcc_lo
	s_delay_alu instid0(VALU_DEP_1) | instid1(SALU_CYCLE_1)
	v_cndmask_b32_e64 v0, v0, 0, s13
	s_delay_alu instid0(VALU_DEP_1)
	v_or_b32_e32 v43, v0, v7
.LBB6_6428:                             ;   in Loop: Header=BB6_5830 Depth=4
	s_or_b32 exec_lo, exec_lo, s77
                                        ; implicit-def: $vgpr7
.LBB6_6429:                             ;   in Loop: Header=BB6_5830 Depth=4
	s_and_not1_saveexec_b32 s13, s76
; %bb.6430:                             ;   in Loop: Header=BB6_5830 Depth=4
	v_or_b32_e32 v43, 0x7b, v7
; %bb.6431:                             ;   in Loop: Header=BB6_5830 Depth=4
	s_or_b32 exec_lo, exec_lo, s13
                                        ; implicit-def: $vgpr0
                                        ; implicit-def: $vgpr1
.LBB6_6432:                             ;   in Loop: Header=BB6_5830 Depth=4
	s_and_not1_saveexec_b32 s13, s75
	s_cbranch_execz .LBB6_6438
; %bb.6433:                             ;   in Loop: Header=BB6_5830 Depth=4
	s_mov_b32 s75, exec_lo
                                        ; implicit-def: $vgpr43
	v_cmpx_ne_u64_e32 0, v[112:113]
	s_xor_b32 s75, exec_lo, s75
; %bb.6434:                             ;   in Loop: Header=BB6_5830 Depth=4
	v_or_b32_e32 v43, 0x7f, v1
                                        ; implicit-def: $vgpr0
; %bb.6435:                             ;   in Loop: Header=BB6_5830 Depth=4
	s_and_not1_saveexec_b32 s75, s75
; %bb.6436:                             ;   in Loop: Header=BB6_5830 Depth=4
	v_cmp_lt_i32_e32 vcc_lo, -1, v0
	v_mov_b32_e32 v0, 0x7c
	s_delay_alu instid0(VALU_DEP_1)
	v_cndmask_b32_e32 v43, 0xfc, v0, vcc_lo
; %bb.6437:                             ;   in Loop: Header=BB6_5830 Depth=4
	s_or_b32 exec_lo, exec_lo, s75
.LBB6_6438:                             ;   in Loop: Header=BB6_5830 Depth=4
	s_delay_alu instid0(SALU_CYCLE_1) | instskip(SKIP_3) | instid1(VALU_DEP_2)
	s_or_b32 exec_lo, exec_lo, s13
	v_and_b32_e32 v0, 0xff, v9
	v_dual_mov_b32 v112, v9 :: v_dual_mov_b32 v1, 0
	s_mov_b32 s13, exec_lo
	v_cmpx_ne_u16_e32 0, v0
	s_cbranch_execz .LBB6_6448
; %bb.6439:                             ;   in Loop: Header=BB6_5830 Depth=4
	v_bfrev_b32_e32 v1, 1
	s_mov_b32 s75, exec_lo
	v_cmpx_ne_u16_e32 0x80, v0
	s_cbranch_execz .LBB6_6447
; %bb.6440:                             ;   in Loop: Header=BB6_5830 Depth=4
	v_and_b32_e32 v1, 0x7c, v9
	v_and_b32_e32 v0, 3, v9
	s_delay_alu instid0(VALU_DEP_2) | instskip(SKIP_1) | instid1(SALU_CYCLE_1)
	v_cmp_ne_u32_e32 vcc_lo, 0x7c, v1
                                        ; implicit-def: $vgpr1
	s_and_saveexec_b32 s76, vcc_lo
	s_xor_b32 s76, exec_lo, s76
	s_cbranch_execz .LBB6_6444
; %bb.6441:                             ;   in Loop: Header=BB6_5830 Depth=4
	v_bfe_u32 v1, v9, 2, 5
	s_mov_b32 s77, exec_lo
	s_delay_alu instid0(VALU_DEP_1)
	v_cmpx_eq_u32_e32 0, v1
; %bb.6442:                             ;   in Loop: Header=BB6_5830 Depth=4
	v_clz_i32_u32_e32 v0, v0
	s_delay_alu instid0(VALU_DEP_1) | instskip(NEXT) | instid1(VALU_DEP_1)
	v_min_u32_e32 v2, 32, v0
	v_subrev_nc_u32_e32 v0, 29, v2
	s_delay_alu instid0(VALU_DEP_1) | instskip(NEXT) | instid1(VALU_DEP_1)
	v_lshlrev_b64_e32 v[0:1], v0, v[112:113]
	v_dual_sub_nc_u32 v1, 30, v2 :: v_dual_bitop2_b32 v0, 3, v0 bitop3:0x40
; %bb.6443:                             ;   in Loop: Header=BB6_5830 Depth=4
	s_or_b32 exec_lo, exec_lo, s77
	v_lshlrev_b32_e32 v2, 24, v9
	s_delay_alu instid0(VALU_DEP_1) | instskip(NEXT) | instid1(VALU_DEP_1)
	v_and_b32_e32 v2, 0x80000000, v2
	v_lshl_add_u32 v1, v1, 23, v2
	s_delay_alu instid0(VALU_DEP_1) | instskip(NEXT) | instid1(VALU_DEP_1)
	v_lshl_or_b32 v0, v0, 21, v1
	v_add_nc_u32_e32 v1, 0x38000000, v0
                                        ; implicit-def: $vgpr0
.LBB6_6444:                             ;   in Loop: Header=BB6_5830 Depth=4
	s_and_not1_saveexec_b32 s76, s76
; %bb.6445:                             ;   in Loop: Header=BB6_5830 Depth=4
	v_bfe_i32 v1, v9, 0, 8
	s_delay_alu instid0(VALU_DEP_1) | instskip(SKIP_1) | instid1(VALU_DEP_1)
	v_cmp_lt_i16_e32 vcc_lo, -1, v1
	v_mov_b32_e32 v1, 0x7f800000
	v_cndmask_b32_e32 v1, 0xff800000, v1, vcc_lo
	v_cmp_eq_u32_e32 vcc_lo, 0, v0
	s_delay_alu instid0(VALU_DEP_2)
	v_cndmask_b32_e32 v1, 0x7f800001, v1, vcc_lo
; %bb.6446:                             ;   in Loop: Header=BB6_5830 Depth=4
	s_or_b32 exec_lo, exec_lo, s76
.LBB6_6447:                             ;   in Loop: Header=BB6_5830 Depth=4
	s_delay_alu instid0(SALU_CYCLE_1)
	s_or_b32 exec_lo, exec_lo, s75
.LBB6_6448:                             ;   in Loop: Header=BB6_5830 Depth=4
	s_delay_alu instid0(SALU_CYCLE_1) | instskip(NEXT) | instid1(VALU_DEP_1)
	s_or_b32 exec_lo, exec_lo, s13
	v_dual_mul_f32 v2, s74, v1 :: v_dual_mov_b32 v13, v113
	v_mov_b32_e32 v1, v113
                                        ; implicit-def: $vgpr99
	s_mov_b32 s13, exec_lo
	s_delay_alu instid0(VALU_DEP_2) | instskip(SKIP_2) | instid1(VALU_DEP_3)
	v_and_b32_e32 v12, 0x7f800000, v2
	v_and_b32_e32 v0, 0x7fffff, v2
	v_lshrrev_b32_e32 v3, 24, v2
	v_cmpx_ne_u64_e32 0x7f800000, v[12:13]
	s_xor_b32 s75, exec_lo, s13
	s_cbranch_execz .LBB6_6462
; %bb.6449:                             ;   in Loop: Header=BB6_5830 Depth=4
	v_and_b32_e32 v12, 0x7fffffff, v2
	v_mov_b32_e32 v13, v113
	v_and_b32_e32 v7, 0x80, v3
                                        ; implicit-def: $vgpr99
	s_mov_b32 s13, exec_lo
	s_delay_alu instid0(VALU_DEP_2)
	v_cmpx_gt_u64_e32 0x47600001, v[12:13]
	s_xor_b32 s76, exec_lo, s13
	s_cbranch_execz .LBB6_6459
; %bb.6450:                             ;   in Loop: Header=BB6_5830 Depth=4
	v_mov_b32_e32 v99, 0
	s_mov_b32 s77, exec_lo
	v_cmpx_ne_u32_e32 0, v2
	s_cbranch_execz .LBB6_6458
; %bb.6451:                             ;   in Loop: Header=BB6_5830 Depth=4
	v_bfe_u32 v12, v2, 23, 8
	v_or_b32_e32 v14, 0x800000, v0
	s_delay_alu instid0(VALU_DEP_2) | instskip(SKIP_1) | instid1(VALU_DEP_2)
	v_sub_nc_u32_e32 v2, 0x71, v12
	v_cmp_gt_u32_e32 vcc_lo, 0x72, v12
	v_cndmask_b32_e32 v2, 0, v2, vcc_lo
	v_cmp_eq_u32_e32 vcc_lo, 0, v12
	s_delay_alu instid0(VALU_DEP_2) | instskip(NEXT) | instid1(VALU_DEP_1)
	v_cndmask_b32_e64 v13, v2, 0x70, vcc_lo
	v_dual_cndmask_b32 v0, v14, v0, vcc_lo :: v_dual_add_nc_u32 v2, 21, v13
	v_add_nc_u32_e32 v15, 20, v13
	s_delay_alu instid0(VALU_DEP_2) | instskip(NEXT) | instid1(VALU_DEP_2)
	v_lshlrev_b64_e64 v[2:3], v2, -1
	v_lshlrev_b64_e64 v[14:15], v15, 1
	s_delay_alu instid0(VALU_DEP_2) | instskip(SKIP_1) | instid1(VALU_DEP_4)
	v_bfi_b32 v2, v2, 0, v0
	v_lshrrev_b64 v[0:1], v13, v[0:1]
	v_bfi_b32 v3, v3, 0, 0
	s_delay_alu instid0(VALU_DEP_1) | instskip(NEXT) | instid1(VALU_DEP_3)
	v_cmp_eq_u64_e64 s13, v[2:3], v[14:15]
	v_mov_b64_e32 v[2:3], v[0:1]
	s_and_saveexec_b32 s78, s13
; %bb.6452:                             ;   in Loop: Header=BB6_5830 Depth=4
	v_bfe_u32 v2, v0, 21, 1
	v_mov_b32_e32 v3, v113
	s_delay_alu instid0(VALU_DEP_1) | instskip(NEXT) | instid1(VALU_DEP_1)
	v_add_nc_u64_e32 v[2:3], v[0:1], v[2:3]
	v_add_nc_u64_e32 v[2:3], -1, v[2:3]
; %bb.6453:                             ;   in Loop: Header=BB6_5830 Depth=4
	s_or_b32 exec_lo, exec_lo, s78
	v_add_nc_u32_e32 v1, 0xffffff81, v12
	v_lshrrev_b32_e32 v3, 23, v0
	s_mov_b32 s13, exec_lo
	s_delay_alu instid0(VALU_DEP_2) | instskip(NEXT) | instid1(VALU_DEP_1)
	v_cndmask_b32_e64 v1, v1, 0xffffff82, vcc_lo
	v_add3_u32 v3, v13, v1, v3
	v_and_b32_e32 v1, 0x1fffff, v2
                                        ; implicit-def: $vgpr2
	s_delay_alu instid0(VALU_DEP_1) | instskip(SKIP_1) | instid1(VALU_DEP_2)
	v_dual_add_nc_u32 v12, 14, v3 :: v_dual_add_nc_u32 v0, v1, v0
	v_mov_b32_e32 v1, v113
	v_cmpx_ne_u32_e32 0, v12
	s_xor_b32 s13, exec_lo, s13
; %bb.6454:                             ;   in Loop: Header=BB6_5830 Depth=4
	s_delay_alu instid0(VALU_DEP_2) | instskip(SKIP_2) | instid1(VALU_DEP_2)
	v_cmp_lt_u64_e32 vcc_lo, 0xffffff, v[0:1]
	v_add_nc_u32_e32 v2, 15, v3
	v_cndmask_b32_e64 v3, 0, 1, vcc_lo
	v_cndmask_b32_e32 v2, v12, v2, vcc_lo
	s_delay_alu instid0(VALU_DEP_2)
	v_lshrrev_b64 v[0:1], v3, v[0:1]
; %bb.6455:                             ;   in Loop: Header=BB6_5830 Depth=4
	s_and_not1_saveexec_b32 s13, s13
; %bb.6456:                             ;   in Loop: Header=BB6_5830 Depth=4
	s_delay_alu instid0(VALU_DEP_1)
	v_bfe_u32 v2, v0, 23, 1
; %bb.6457:                             ;   in Loop: Header=BB6_5830 Depth=4
	s_or_b32 exec_lo, exec_lo, s13
	s_delay_alu instid0(VALU_DEP_2) | instskip(NEXT) | instid1(VALU_DEP_2)
	v_lshrrev_b64 v[0:1], 21, v[0:1]
	v_cmp_gt_i32_e32 vcc_lo, 32, v2
	v_min_i32_e32 v3, 31, v2
	v_cmp_eq_u32_e64 s13, 0, v2
	s_delay_alu instid0(VALU_DEP_2) | instskip(SKIP_1) | instid1(VALU_DEP_2)
	v_dual_cndmask_b32 v1, 0, v1, vcc_lo :: v_dual_lshlrev_b32 v3, 2, v3
	v_cndmask_b32_e32 v0, 3, v0, vcc_lo
	v_and_b32_e32 v3, 0xfc, v3
	s_delay_alu instid0(VALU_DEP_2) | instskip(NEXT) | instid1(VALU_DEP_2)
	v_cmp_eq_u64_e32 vcc_lo, 0, v[0:1]
	v_and_or_b32 v0, v0, 3, v3
	s_and_b32 s13, s13, vcc_lo
	s_delay_alu instid0(VALU_DEP_1) | instid1(SALU_CYCLE_1)
	v_cndmask_b32_e64 v0, v0, 0, s13
	s_delay_alu instid0(VALU_DEP_1)
	v_or_b32_e32 v99, v0, v7
.LBB6_6458:                             ;   in Loop: Header=BB6_5830 Depth=4
	s_or_b32 exec_lo, exec_lo, s77
                                        ; implicit-def: $vgpr7
.LBB6_6459:                             ;   in Loop: Header=BB6_5830 Depth=4
	s_and_not1_saveexec_b32 s13, s76
; %bb.6460:                             ;   in Loop: Header=BB6_5830 Depth=4
	v_or_b32_e32 v99, 0x7b, v7
; %bb.6461:                             ;   in Loop: Header=BB6_5830 Depth=4
	s_or_b32 exec_lo, exec_lo, s13
                                        ; implicit-def: $vgpr2
                                        ; implicit-def: $vgpr0_vgpr1
                                        ; implicit-def: $vgpr3
.LBB6_6462:                             ;   in Loop: Header=BB6_5830 Depth=4
	s_and_not1_saveexec_b32 s13, s75
	s_cbranch_execz .LBB6_6468
; %bb.6463:                             ;   in Loop: Header=BB6_5830 Depth=4
	s_mov_b32 s75, exec_lo
                                        ; implicit-def: $vgpr99
	v_cmpx_ne_u64_e32 0, v[0:1]
	s_xor_b32 s75, exec_lo, s75
; %bb.6464:                             ;   in Loop: Header=BB6_5830 Depth=4
	v_or_b32_e32 v99, 0x7f, v3
                                        ; implicit-def: $vgpr2
; %bb.6465:                             ;   in Loop: Header=BB6_5830 Depth=4
	s_and_not1_saveexec_b32 s75, s75
; %bb.6466:                             ;   in Loop: Header=BB6_5830 Depth=4
	v_cmp_lt_i32_e32 vcc_lo, -1, v2
	v_mov_b32_e32 v0, 0x7c
	s_delay_alu instid0(VALU_DEP_1)
	v_cndmask_b32_e32 v99, 0xfc, v0, vcc_lo
; %bb.6467:                             ;   in Loop: Header=BB6_5830 Depth=4
	s_or_b32 exec_lo, exec_lo, s75
.LBB6_6468:                             ;   in Loop: Header=BB6_5830 Depth=4
	s_delay_alu instid0(SALU_CYCLE_1) | instskip(SKIP_3) | instid1(VALU_DEP_2)
	s_or_b32 exec_lo, exec_lo, s13
	v_lshrrev_b16 v0, 8, v112
	v_mov_b32_e32 v2, 0
	s_mov_b32 s13, exec_lo
	v_cmpx_ne_u16_e32 0, v0
	s_cbranch_execz .LBB6_6478
; %bb.6469:                             ;   in Loop: Header=BB6_5830 Depth=4
	v_bfrev_b32_e32 v2, 1
	s_mov_b32 s75, exec_lo
	v_cmpx_ne_u16_e32 0x80, v0
	s_cbranch_execz .LBB6_6477
; %bb.6470:                             ;   in Loop: Header=BB6_5830 Depth=4
	v_and_b32_e32 v3, 0xffff, v0
	s_delay_alu instid0(VALU_DEP_1) | instskip(SKIP_1) | instid1(VALU_DEP_2)
	v_and_b32_e32 v2, 0x7c, v3
	v_and_b32_e32 v1, 3, v3
	v_cmp_ne_u32_e32 vcc_lo, 0x7c, v2
                                        ; implicit-def: $vgpr2
	s_and_saveexec_b32 s76, vcc_lo
	s_delay_alu instid0(SALU_CYCLE_1)
	s_xor_b32 s76, exec_lo, s76
	s_cbranch_execz .LBB6_6474
; %bb.6471:                             ;   in Loop: Header=BB6_5830 Depth=4
	v_bfe_u32 v2, v3, 2, 5
	s_mov_b32 s77, exec_lo
	s_delay_alu instid0(VALU_DEP_1)
	v_cmpx_eq_u32_e32 0, v2
	s_cbranch_execz .LBB6_6473
; %bb.6472:                             ;   in Loop: Header=BB6_5830 Depth=4
	v_clz_i32_u32_e32 v1, v1
	s_delay_alu instid0(VALU_DEP_1) | instskip(SKIP_1) | instid1(VALU_DEP_2)
	v_min_u32_e32 v2, 32, v1
	v_mov_b32_e32 v1, v113
	v_subrev_nc_u32_e32 v3, 29, v2
	v_sub_nc_u32_e32 v2, 30, v2
	s_delay_alu instid0(VALU_DEP_2) | instskip(NEXT) | instid1(VALU_DEP_1)
	v_lshlrev_b64_e32 v[0:1], v3, v[0:1]
	v_and_b32_e32 v1, 3, v0
.LBB6_6473:                             ;   in Loop: Header=BB6_5830 Depth=4
	s_or_b32 exec_lo, exec_lo, s77
	v_lshlrev_b32_e32 v0, 16, v112
	s_delay_alu instid0(VALU_DEP_1) | instskip(NEXT) | instid1(VALU_DEP_1)
	v_and_b32_e32 v0, 0x80000000, v0
	v_lshl_add_u32 v0, v2, 23, v0
	s_delay_alu instid0(VALU_DEP_1) | instskip(NEXT) | instid1(VALU_DEP_1)
	v_lshl_or_b32 v0, v1, 21, v0
                                        ; implicit-def: $vgpr1
	v_add_nc_u32_e32 v2, 0x38000000, v0
.LBB6_6474:                             ;   in Loop: Header=BB6_5830 Depth=4
	s_and_not1_saveexec_b32 s76, s76
; %bb.6475:                             ;   in Loop: Header=BB6_5830 Depth=4
	v_cmp_lt_i16_e32 vcc_lo, -1, v112
	v_mov_b32_e32 v0, 0x7f800000
	s_delay_alu instid0(VALU_DEP_1) | instskip(SKIP_1) | instid1(VALU_DEP_2)
	v_cndmask_b32_e32 v0, 0xff800000, v0, vcc_lo
	v_cmp_eq_u32_e32 vcc_lo, 0, v1
	v_cndmask_b32_e32 v2, 0x7f800001, v0, vcc_lo
; %bb.6476:                             ;   in Loop: Header=BB6_5830 Depth=4
	s_or_b32 exec_lo, exec_lo, s76
.LBB6_6477:                             ;   in Loop: Header=BB6_5830 Depth=4
	s_delay_alu instid0(SALU_CYCLE_1)
	s_or_b32 exec_lo, exec_lo, s75
.LBB6_6478:                             ;   in Loop: Header=BB6_5830 Depth=4
	s_delay_alu instid0(SALU_CYCLE_1) | instskip(NEXT) | instid1(VALU_DEP_1)
	s_or_b32 exec_lo, exec_lo, s13
	v_dual_mul_f32 v0, s74, v2 :: v_dual_mov_b32 v3, v113
                                        ; implicit-def: $vgpr102
	s_mov_b32 s13, exec_lo
	s_delay_alu instid0(VALU_DEP_1) | instskip(SKIP_2) | instid1(VALU_DEP_3)
	v_and_b32_e32 v2, 0x7f800000, v0
	v_and_b32_e32 v112, 0x7fffff, v0
	v_lshrrev_b32_e32 v1, 24, v0
	v_cmpx_ne_u64_e32 0x7f800000, v[2:3]
	s_xor_b32 s75, exec_lo, s13
	s_cbranch_execz .LBB6_6492
; %bb.6479:                             ;   in Loop: Header=BB6_5830 Depth=4
	v_and_b32_e32 v2, 0x7fffffff, v0
	v_mov_b32_e32 v3, v113
	v_and_b32_e32 v7, 0x80, v1
                                        ; implicit-def: $vgpr102
	s_mov_b32 s13, exec_lo
	s_delay_alu instid0(VALU_DEP_2)
	v_cmpx_gt_u64_e32 0x47600001, v[2:3]
	s_xor_b32 s76, exec_lo, s13
	s_cbranch_execz .LBB6_6489
; %bb.6480:                             ;   in Loop: Header=BB6_5830 Depth=4
	v_mov_b32_e32 v102, 0
	s_mov_b32 s77, exec_lo
	v_cmpx_ne_u32_e32 0, v0
	s_cbranch_execz .LBB6_6488
; %bb.6481:                             ;   in Loop: Header=BB6_5830 Depth=4
	v_bfe_u32 v12, v0, 23, 8
	v_or_b32_e32 v2, 0x800000, v112
	s_mov_b32 s78, exec_lo
	s_delay_alu instid0(VALU_DEP_2) | instskip(SKIP_1) | instid1(VALU_DEP_2)
	v_dual_mov_b32 v3, v113 :: v_dual_sub_nc_u32 v0, 0x71, v12
	v_cmp_gt_u32_e32 vcc_lo, 0x72, v12
	v_cndmask_b32_e32 v0, 0, v0, vcc_lo
	v_cmp_eq_u32_e32 vcc_lo, 0, v12
	s_delay_alu instid0(VALU_DEP_2) | instskip(NEXT) | instid1(VALU_DEP_1)
	v_cndmask_b32_e64 v13, v0, 0x70, vcc_lo
	v_dual_cndmask_b32 v2, v2, v112, vcc_lo :: v_dual_add_nc_u32 v0, 21, v13
	v_add_nc_u32_e32 v14, 20, v13
	s_delay_alu instid0(VALU_DEP_2) | instskip(NEXT) | instid1(VALU_DEP_2)
	v_lshlrev_b64_e64 v[0:1], v0, -1
	v_lshlrev_b64_e64 v[14:15], v14, 1
	s_delay_alu instid0(VALU_DEP_2) | instskip(NEXT) | instid1(VALU_DEP_3)
	v_bfi_b32 v17, v1, 0, 0
	v_bfi_b32 v16, v0, 0, v2
	v_lshrrev_b64 v[0:1], v13, v[2:3]
	s_delay_alu instid0(VALU_DEP_1) | instskip(NEXT) | instid1(VALU_DEP_3)
	v_mov_b64_e32 v[2:3], v[0:1]
	v_cmpx_eq_u64_e64 v[16:17], v[14:15]
; %bb.6482:                             ;   in Loop: Header=BB6_5830 Depth=4
	v_bfe_u32 v2, v0, 21, 1
	v_mov_b32_e32 v3, v113
	s_delay_alu instid0(VALU_DEP_1) | instskip(NEXT) | instid1(VALU_DEP_1)
	v_add_nc_u64_e32 v[2:3], v[0:1], v[2:3]
	v_add_nc_u64_e32 v[2:3], -1, v[2:3]
; %bb.6483:                             ;   in Loop: Header=BB6_5830 Depth=4
	s_or_b32 exec_lo, exec_lo, s78
	v_add_nc_u32_e32 v1, 0xffffff81, v12
	v_lshrrev_b32_e32 v3, 23, v0
	s_mov_b32 s13, exec_lo
	s_delay_alu instid0(VALU_DEP_2) | instskip(NEXT) | instid1(VALU_DEP_1)
	v_cndmask_b32_e64 v1, v1, 0xffffff82, vcc_lo
	v_add3_u32 v3, v13, v1, v3
	v_and_b32_e32 v1, 0x1fffff, v2
                                        ; implicit-def: $vgpr2
	s_delay_alu instid0(VALU_DEP_1) | instskip(NEXT) | instid1(VALU_DEP_1)
	v_dual_add_nc_u32 v12, 14, v3 :: v_dual_add_nc_u32 v112, v1, v0
                                        ; implicit-def: $vgpr0_vgpr1
	v_cmpx_ne_u32_e32 0, v12
	s_xor_b32 s13, exec_lo, s13
; %bb.6484:                             ;   in Loop: Header=BB6_5830 Depth=4
	s_delay_alu instid0(VALU_DEP_2) | instskip(SKIP_1) | instid1(VALU_DEP_1)
	v_cmp_lt_u64_e32 vcc_lo, 0xffffff, v[112:113]
	v_add_nc_u32_e32 v0, 15, v3
	v_cndmask_b32_e32 v2, v12, v0, vcc_lo
	v_cndmask_b32_e64 v0, 0, 1, vcc_lo
	s_delay_alu instid0(VALU_DEP_1)
	v_lshrrev_b64 v[0:1], v0, v[112:113]
; %bb.6485:                             ;   in Loop: Header=BB6_5830 Depth=4
	s_and_not1_saveexec_b32 s13, s13
; %bb.6486:                             ;   in Loop: Header=BB6_5830 Depth=4
	v_mov_b64_e32 v[0:1], v[112:113]
	v_bfe_u32 v2, v112, 23, 1
; %bb.6487:                             ;   in Loop: Header=BB6_5830 Depth=4
	s_or_b32 exec_lo, exec_lo, s13
	s_delay_alu instid0(VALU_DEP_2) | instskip(NEXT) | instid1(VALU_DEP_2)
	v_lshrrev_b64 v[0:1], 21, v[0:1]
	v_cmp_gt_i32_e32 vcc_lo, 32, v2
	v_min_i32_e32 v3, 31, v2
	v_cmp_eq_u32_e64 s13, 0, v2
	s_delay_alu instid0(VALU_DEP_2) | instskip(SKIP_1) | instid1(VALU_DEP_2)
	v_dual_cndmask_b32 v1, 0, v1, vcc_lo :: v_dual_lshlrev_b32 v3, 2, v3
	v_cndmask_b32_e32 v0, 3, v0, vcc_lo
	v_and_b32_e32 v3, 0xfc, v3
	s_delay_alu instid0(VALU_DEP_2) | instskip(NEXT) | instid1(VALU_DEP_2)
	v_cmp_eq_u64_e32 vcc_lo, 0, v[0:1]
	v_and_or_b32 v0, v0, 3, v3
	s_and_b32 s13, s13, vcc_lo
	s_delay_alu instid0(VALU_DEP_1) | instid1(SALU_CYCLE_1)
	v_cndmask_b32_e64 v0, v0, 0, s13
	s_delay_alu instid0(VALU_DEP_1)
	v_or_b32_e32 v102, v0, v7
.LBB6_6488:                             ;   in Loop: Header=BB6_5830 Depth=4
	s_or_b32 exec_lo, exec_lo, s77
                                        ; implicit-def: $vgpr7
.LBB6_6489:                             ;   in Loop: Header=BB6_5830 Depth=4
	s_and_not1_saveexec_b32 s13, s76
; %bb.6490:                             ;   in Loop: Header=BB6_5830 Depth=4
	v_or_b32_e32 v102, 0x7b, v7
; %bb.6491:                             ;   in Loop: Header=BB6_5830 Depth=4
	s_or_b32 exec_lo, exec_lo, s13
                                        ; implicit-def: $vgpr0
                                        ; implicit-def: $vgpr1
.LBB6_6492:                             ;   in Loop: Header=BB6_5830 Depth=4
	s_and_not1_saveexec_b32 s13, s75
	s_cbranch_execz .LBB6_6498
; %bb.6493:                             ;   in Loop: Header=BB6_5830 Depth=4
	s_mov_b32 s75, exec_lo
                                        ; implicit-def: $vgpr102
	v_cmpx_ne_u64_e32 0, v[112:113]
	s_xor_b32 s75, exec_lo, s75
; %bb.6494:                             ;   in Loop: Header=BB6_5830 Depth=4
	v_or_b32_e32 v102, 0x7f, v1
                                        ; implicit-def: $vgpr0
; %bb.6495:                             ;   in Loop: Header=BB6_5830 Depth=4
	s_and_not1_saveexec_b32 s75, s75
; %bb.6496:                             ;   in Loop: Header=BB6_5830 Depth=4
	v_cmp_lt_i32_e32 vcc_lo, -1, v0
	v_mov_b32_e32 v0, 0x7c
	s_delay_alu instid0(VALU_DEP_1)
	v_cndmask_b32_e32 v102, 0xfc, v0, vcc_lo
; %bb.6497:                             ;   in Loop: Header=BB6_5830 Depth=4
	s_or_b32 exec_lo, exec_lo, s75
.LBB6_6498:                             ;   in Loop: Header=BB6_5830 Depth=4
	s_delay_alu instid0(SALU_CYCLE_1) | instskip(SKIP_2) | instid1(VALU_DEP_1)
	s_or_b32 exec_lo, exec_lo, s13
	v_dual_lshrrev_b32 v0, 16, v9 :: v_dual_mov_b32 v2, 0
	s_mov_b32 s13, exec_lo
	v_and_b32_e32 v1, 0xff, v0
	s_delay_alu instid0(VALU_DEP_1)
	v_cmpx_ne_u16_e32 0, v1
	s_cbranch_execz .LBB6_6508
; %bb.6499:                             ;   in Loop: Header=BB6_5830 Depth=4
	v_bfrev_b32_e32 v2, 1
	s_mov_b32 s75, exec_lo
	v_cmpx_ne_u16_e32 0x80, v1
	s_cbranch_execz .LBB6_6507
; %bb.6500:                             ;   in Loop: Header=BB6_5830 Depth=4
	v_and_b32_e32 v2, 0x7c0000, v9
	v_bfe_u32 v1, v9, 16, 2
	s_delay_alu instid0(VALU_DEP_2) | instskip(SKIP_1) | instid1(SALU_CYCLE_1)
	v_cmp_ne_u32_e32 vcc_lo, 0x7c0000, v2
                                        ; implicit-def: $vgpr2
	s_and_saveexec_b32 s76, vcc_lo
	s_xor_b32 s76, exec_lo, s76
	s_cbranch_execz .LBB6_6504
; %bb.6501:                             ;   in Loop: Header=BB6_5830 Depth=4
	v_bfe_u32 v2, v9, 18, 5
	s_mov_b32 s77, exec_lo
	s_delay_alu instid0(VALU_DEP_1)
	v_cmpx_eq_u32_e32 0, v2
; %bb.6502:                             ;   in Loop: Header=BB6_5830 Depth=4
	v_clz_i32_u32_e32 v1, v1
	s_delay_alu instid0(VALU_DEP_1) | instskip(NEXT) | instid1(VALU_DEP_1)
	v_min_u32_e32 v1, 32, v1
	v_subrev_nc_u32_e32 v2, 29, v1
	s_delay_alu instid0(VALU_DEP_1) | instskip(NEXT) | instid1(VALU_DEP_1)
	v_lshlrev_b64_e32 v[12:13], v2, v[0:1]
	v_dual_sub_nc_u32 v2, 30, v1 :: v_dual_bitop2_b32 v1, 3, v12 bitop3:0x40
; %bb.6503:                             ;   in Loop: Header=BB6_5830 Depth=4
	s_or_b32 exec_lo, exec_lo, s77
	v_lshlrev_b32_e32 v0, 24, v0
	s_delay_alu instid0(VALU_DEP_1) | instskip(NEXT) | instid1(VALU_DEP_1)
	v_and_b32_e32 v0, 0x80000000, v0
	v_lshl_add_u32 v0, v2, 23, v0
	s_delay_alu instid0(VALU_DEP_1) | instskip(NEXT) | instid1(VALU_DEP_1)
	v_lshl_or_b32 v0, v1, 21, v0
                                        ; implicit-def: $vgpr1
	v_add_nc_u32_e32 v2, 0x38000000, v0
                                        ; implicit-def: $vgpr0
.LBB6_6504:                             ;   in Loop: Header=BB6_5830 Depth=4
	s_and_not1_saveexec_b32 s76, s76
; %bb.6505:                             ;   in Loop: Header=BB6_5830 Depth=4
	v_bfe_i32 v0, v0, 0, 8
	s_delay_alu instid0(VALU_DEP_1) | instskip(SKIP_1) | instid1(VALU_DEP_1)
	v_cmp_lt_i16_e32 vcc_lo, -1, v0
	v_mov_b32_e32 v0, 0x7f800000
	v_cndmask_b32_e32 v0, 0xff800000, v0, vcc_lo
	v_cmp_eq_u32_e32 vcc_lo, 0, v1
	s_delay_alu instid0(VALU_DEP_2)
	v_cndmask_b32_e32 v2, 0x7f800001, v0, vcc_lo
; %bb.6506:                             ;   in Loop: Header=BB6_5830 Depth=4
	s_or_b32 exec_lo, exec_lo, s76
.LBB6_6507:                             ;   in Loop: Header=BB6_5830 Depth=4
	s_delay_alu instid0(SALU_CYCLE_1)
	s_or_b32 exec_lo, exec_lo, s75
.LBB6_6508:                             ;   in Loop: Header=BB6_5830 Depth=4
	s_delay_alu instid0(SALU_CYCLE_1) | instskip(NEXT) | instid1(VALU_DEP_1)
	s_or_b32 exec_lo, exec_lo, s13
	v_dual_mul_f32 v0, s74, v2 :: v_dual_mov_b32 v3, v113
                                        ; implicit-def: $vgpr116
	s_mov_b32 s13, exec_lo
	s_delay_alu instid0(VALU_DEP_1) | instskip(SKIP_2) | instid1(VALU_DEP_3)
	v_and_b32_e32 v2, 0x7f800000, v0
	v_and_b32_e32 v112, 0x7fffff, v0
	v_lshrrev_b32_e32 v1, 24, v0
	v_cmpx_ne_u64_e32 0x7f800000, v[2:3]
	s_xor_b32 s75, exec_lo, s13
	s_cbranch_execz .LBB6_6522
; %bb.6509:                             ;   in Loop: Header=BB6_5830 Depth=4
	v_and_b32_e32 v2, 0x7fffffff, v0
	v_mov_b32_e32 v3, v113
	v_and_b32_e32 v7, 0x80, v1
                                        ; implicit-def: $vgpr116
	s_mov_b32 s13, exec_lo
	s_delay_alu instid0(VALU_DEP_2)
	v_cmpx_gt_u64_e32 0x47600001, v[2:3]
	s_xor_b32 s76, exec_lo, s13
	s_cbranch_execz .LBB6_6519
; %bb.6510:                             ;   in Loop: Header=BB6_5830 Depth=4
	v_mov_b32_e32 v116, 0
	s_mov_b32 s77, exec_lo
	v_cmpx_ne_u32_e32 0, v0
	s_cbranch_execz .LBB6_6518
; %bb.6511:                             ;   in Loop: Header=BB6_5830 Depth=4
	v_bfe_u32 v12, v0, 23, 8
	v_or_b32_e32 v1, 0x800000, v112
	s_delay_alu instid0(VALU_DEP_2) | instskip(SKIP_2) | instid1(VALU_DEP_2)
	v_cmp_gt_u32_e64 s13, 0x72, v12
	v_sub_nc_u32_e32 v0, 0x71, v12
	v_cmp_eq_u32_e32 vcc_lo, 0, v12
	v_cndmask_b32_e64 v0, 0, v0, s13
	s_delay_alu instid0(VALU_DEP_1) | instskip(SKIP_1) | instid1(VALU_DEP_2)
	v_cndmask_b32_e64 v13, v0, 0x70, vcc_lo
	v_cndmask_b32_e32 v0, v1, v112, vcc_lo
	v_dual_mov_b32 v1, v113 :: v_dual_add_nc_u32 v2, 21, v13
	v_add_nc_u32_e32 v14, 20, v13
	s_delay_alu instid0(VALU_DEP_2) | instskip(NEXT) | instid1(VALU_DEP_2)
	v_lshlrev_b64_e64 v[2:3], v2, -1
	v_lshlrev_b64_e64 v[14:15], v14, 1
	s_delay_alu instid0(VALU_DEP_2) | instskip(SKIP_1) | instid1(VALU_DEP_4)
	v_bfi_b32 v2, v2, 0, v0
	v_lshrrev_b64 v[0:1], v13, v[0:1]
	v_bfi_b32 v3, v3, 0, 0
	s_delay_alu instid0(VALU_DEP_1) | instskip(NEXT) | instid1(VALU_DEP_3)
	v_cmp_eq_u64_e64 s13, v[2:3], v[14:15]
	v_mov_b64_e32 v[2:3], v[0:1]
	s_and_saveexec_b32 s78, s13
; %bb.6512:                             ;   in Loop: Header=BB6_5830 Depth=4
	v_bfe_u32 v2, v0, 21, 1
	v_mov_b32_e32 v3, v113
	s_delay_alu instid0(VALU_DEP_1) | instskip(NEXT) | instid1(VALU_DEP_1)
	v_add_nc_u64_e32 v[2:3], v[0:1], v[2:3]
	v_add_nc_u64_e32 v[2:3], -1, v[2:3]
; %bb.6513:                             ;   in Loop: Header=BB6_5830 Depth=4
	s_or_b32 exec_lo, exec_lo, s78
	v_add_nc_u32_e32 v1, 0xffffff81, v12
	v_lshrrev_b32_e32 v3, 23, v0
	s_mov_b32 s13, exec_lo
	s_delay_alu instid0(VALU_DEP_2) | instskip(NEXT) | instid1(VALU_DEP_1)
	v_cndmask_b32_e64 v1, v1, 0xffffff82, vcc_lo
	v_add3_u32 v3, v13, v1, v3
	v_and_b32_e32 v1, 0x1fffff, v2
                                        ; implicit-def: $vgpr2
	s_delay_alu instid0(VALU_DEP_1) | instskip(NEXT) | instid1(VALU_DEP_1)
	v_dual_add_nc_u32 v12, 14, v3 :: v_dual_add_nc_u32 v112, v1, v0
                                        ; implicit-def: $vgpr0_vgpr1
	v_cmpx_ne_u32_e32 0, v12
	s_xor_b32 s13, exec_lo, s13
; %bb.6514:                             ;   in Loop: Header=BB6_5830 Depth=4
	s_delay_alu instid0(VALU_DEP_2) | instskip(SKIP_1) | instid1(VALU_DEP_1)
	v_cmp_lt_u64_e32 vcc_lo, 0xffffff, v[112:113]
	v_add_nc_u32_e32 v0, 15, v3
	v_cndmask_b32_e32 v2, v12, v0, vcc_lo
	v_cndmask_b32_e64 v0, 0, 1, vcc_lo
	s_delay_alu instid0(VALU_DEP_1)
	v_lshrrev_b64 v[0:1], v0, v[112:113]
; %bb.6515:                             ;   in Loop: Header=BB6_5830 Depth=4
	s_and_not1_saveexec_b32 s13, s13
; %bb.6516:                             ;   in Loop: Header=BB6_5830 Depth=4
	v_mov_b64_e32 v[0:1], v[112:113]
	v_bfe_u32 v2, v112, 23, 1
; %bb.6517:                             ;   in Loop: Header=BB6_5830 Depth=4
	s_or_b32 exec_lo, exec_lo, s13
	s_delay_alu instid0(VALU_DEP_2) | instskip(NEXT) | instid1(VALU_DEP_2)
	v_lshrrev_b64 v[0:1], 21, v[0:1]
	v_cmp_gt_i32_e32 vcc_lo, 32, v2
	v_min_i32_e32 v3, 31, v2
	v_cmp_eq_u32_e64 s13, 0, v2
	s_delay_alu instid0(VALU_DEP_2) | instskip(SKIP_1) | instid1(VALU_DEP_2)
	v_dual_cndmask_b32 v1, 0, v1, vcc_lo :: v_dual_lshlrev_b32 v3, 2, v3
	v_cndmask_b32_e32 v0, 3, v0, vcc_lo
	v_and_b32_e32 v3, 0xfc, v3
	s_delay_alu instid0(VALU_DEP_2) | instskip(NEXT) | instid1(VALU_DEP_2)
	v_cmp_eq_u64_e32 vcc_lo, 0, v[0:1]
	v_and_or_b32 v0, v0, 3, v3
	s_and_b32 s13, s13, vcc_lo
	s_delay_alu instid0(VALU_DEP_1) | instid1(SALU_CYCLE_1)
	v_cndmask_b32_e64 v0, v0, 0, s13
	s_delay_alu instid0(VALU_DEP_1)
	v_or_b32_e32 v116, v0, v7
.LBB6_6518:                             ;   in Loop: Header=BB6_5830 Depth=4
	s_or_b32 exec_lo, exec_lo, s77
                                        ; implicit-def: $vgpr7
.LBB6_6519:                             ;   in Loop: Header=BB6_5830 Depth=4
	s_and_not1_saveexec_b32 s13, s76
; %bb.6520:                             ;   in Loop: Header=BB6_5830 Depth=4
	v_or_b32_e32 v116, 0x7b, v7
; %bb.6521:                             ;   in Loop: Header=BB6_5830 Depth=4
	s_or_b32 exec_lo, exec_lo, s13
                                        ; implicit-def: $vgpr0
                                        ; implicit-def: $vgpr1
.LBB6_6522:                             ;   in Loop: Header=BB6_5830 Depth=4
	s_and_not1_saveexec_b32 s13, s75
	s_cbranch_execz .LBB6_6528
; %bb.6523:                             ;   in Loop: Header=BB6_5830 Depth=4
	s_mov_b32 s75, exec_lo
                                        ; implicit-def: $vgpr116
	v_cmpx_ne_u64_e32 0, v[112:113]
	s_xor_b32 s75, exec_lo, s75
; %bb.6524:                             ;   in Loop: Header=BB6_5830 Depth=4
	v_or_b32_e32 v116, 0x7f, v1
                                        ; implicit-def: $vgpr0
; %bb.6525:                             ;   in Loop: Header=BB6_5830 Depth=4
	s_and_not1_saveexec_b32 s75, s75
; %bb.6526:                             ;   in Loop: Header=BB6_5830 Depth=4
	v_cmp_lt_i32_e32 vcc_lo, -1, v0
	v_mov_b32_e32 v0, 0x7c
	s_delay_alu instid0(VALU_DEP_1)
	v_cndmask_b32_e32 v116, 0xfc, v0, vcc_lo
; %bb.6527:                             ;   in Loop: Header=BB6_5830 Depth=4
	s_or_b32 exec_lo, exec_lo, s75
.LBB6_6528:                             ;   in Loop: Header=BB6_5830 Depth=4
	s_delay_alu instid0(SALU_CYCLE_1)
	s_or_b32 exec_lo, exec_lo, s13
	v_mov_b32_e32 v1, 0
	s_mov_b32 s13, exec_lo
	v_cmpx_lt_u64_e64 s[22:23], v[8:9]
	s_cbranch_execz .LBB6_6538
; %bb.6529:                             ;   in Loop: Header=BB6_5830 Depth=4
	v_lshrrev_b32_e32 v0, 24, v9
	v_bfrev_b32_e32 v1, 1
	s_mov_b32 s75, exec_lo
	s_delay_alu instid0(VALU_DEP_2)
	v_cmpx_ne_u32_e32 0x80, v0
	s_cbranch_execz .LBB6_6537
; %bb.6530:                             ;   in Loop: Header=BB6_5830 Depth=4
	v_and_b32_e32 v1, 0x7c000000, v9
	v_bfe_u32 v2, v9, 24, 2
	s_delay_alu instid0(VALU_DEP_2) | instskip(SKIP_1) | instid1(SALU_CYCLE_1)
	v_cmp_ne_u32_e32 vcc_lo, 0x7c000000, v1
                                        ; implicit-def: $vgpr1
	s_and_saveexec_b32 s76, vcc_lo
	s_xor_b32 s76, exec_lo, s76
	s_cbranch_execz .LBB6_6534
; %bb.6531:                             ;   in Loop: Header=BB6_5830 Depth=4
	v_bfe_u32 v1, v9, 26, 5
	s_mov_b32 s77, exec_lo
	s_delay_alu instid0(VALU_DEP_1)
	v_cmpx_eq_u32_e32 0, v1
; %bb.6532:                             ;   in Loop: Header=BB6_5830 Depth=4
	v_clz_i32_u32_e32 v1, v2
	s_delay_alu instid0(VALU_DEP_1) | instskip(NEXT) | instid1(VALU_DEP_1)
	v_min_u32_e32 v2, 32, v1
	v_subrev_nc_u32_e32 v1, 29, v2
	s_delay_alu instid0(VALU_DEP_1) | instskip(NEXT) | instid1(VALU_DEP_1)
	v_lshlrev_b64_e32 v[0:1], v1, v[0:1]
	v_dual_sub_nc_u32 v1, 30, v2 :: v_dual_bitop2_b32 v2, 3, v0 bitop3:0x40
; %bb.6533:                             ;   in Loop: Header=BB6_5830 Depth=4
	s_or_b32 exec_lo, exec_lo, s77
	v_and_b32_e32 v0, 0x80000000, v9
	s_delay_alu instid0(VALU_DEP_1) | instskip(NEXT) | instid1(VALU_DEP_1)
	v_lshl_add_u32 v0, v1, 23, v0
	v_lshl_or_b32 v0, v2, 21, v0
                                        ; implicit-def: $vgpr2
	s_delay_alu instid0(VALU_DEP_1)
	v_add_nc_u32_e32 v1, 0x38000000, v0
.LBB6_6534:                             ;   in Loop: Header=BB6_5830 Depth=4
	s_and_not1_saveexec_b32 s76, s76
; %bb.6535:                             ;   in Loop: Header=BB6_5830 Depth=4
	v_cmp_lt_i64_e32 vcc_lo, -1, v[8:9]
	v_mov_b32_e32 v0, 0x7f800000
	s_delay_alu instid0(VALU_DEP_1) | instskip(SKIP_1) | instid1(VALU_DEP_2)
	v_cndmask_b32_e32 v0, 0xff800000, v0, vcc_lo
	v_cmp_eq_u32_e32 vcc_lo, 0, v2
	v_cndmask_b32_e32 v1, 0x7f800001, v0, vcc_lo
; %bb.6536:                             ;   in Loop: Header=BB6_5830 Depth=4
	s_or_b32 exec_lo, exec_lo, s76
.LBB6_6537:                             ;   in Loop: Header=BB6_5830 Depth=4
	s_delay_alu instid0(SALU_CYCLE_1)
	s_or_b32 exec_lo, exec_lo, s75
.LBB6_6538:                             ;   in Loop: Header=BB6_5830 Depth=4
	s_delay_alu instid0(SALU_CYCLE_1) | instskip(NEXT) | instid1(VALU_DEP_1)
	s_or_b32 exec_lo, exec_lo, s13
	v_dual_mul_f32 v0, s74, v1 :: v_dual_mov_b32 v3, v113
                                        ; implicit-def: $vgpr119
	s_mov_b32 s13, exec_lo
	s_delay_alu instid0(VALU_DEP_1) | instskip(SKIP_2) | instid1(VALU_DEP_3)
	v_and_b32_e32 v2, 0x7f800000, v0
	v_and_b32_e32 v112, 0x7fffff, v0
	v_lshrrev_b32_e32 v1, 24, v0
	v_cmpx_ne_u64_e32 0x7f800000, v[2:3]
	s_xor_b32 s75, exec_lo, s13
	s_cbranch_execz .LBB6_6552
; %bb.6539:                             ;   in Loop: Header=BB6_5830 Depth=4
	v_and_b32_e32 v2, 0x7fffffff, v0
	v_mov_b32_e32 v3, v113
	v_and_b32_e32 v7, 0x80, v1
                                        ; implicit-def: $vgpr119
	s_mov_b32 s13, exec_lo
	s_delay_alu instid0(VALU_DEP_2)
	v_cmpx_gt_u64_e32 0x47600001, v[2:3]
	s_xor_b32 s76, exec_lo, s13
	s_cbranch_execz .LBB6_6549
; %bb.6540:                             ;   in Loop: Header=BB6_5830 Depth=4
	v_mov_b32_e32 v119, 0
	s_mov_b32 s77, exec_lo
	v_cmpx_ne_u32_e32 0, v0
	s_cbranch_execz .LBB6_6548
; %bb.6541:                             ;   in Loop: Header=BB6_5830 Depth=4
	v_bfe_u32 v8, v0, 23, 8
	v_or_b32_e32 v2, 0x800000, v112
	s_mov_b32 s78, exec_lo
	s_delay_alu instid0(VALU_DEP_2) | instskip(SKIP_1) | instid1(VALU_DEP_2)
	v_dual_mov_b32 v3, v113 :: v_dual_sub_nc_u32 v0, 0x71, v8
	v_cmp_gt_u32_e32 vcc_lo, 0x72, v8
	v_cndmask_b32_e32 v0, 0, v0, vcc_lo
	v_cmp_eq_u32_e32 vcc_lo, 0, v8
	s_delay_alu instid0(VALU_DEP_2) | instskip(NEXT) | instid1(VALU_DEP_1)
	v_cndmask_b32_e64 v9, v0, 0x70, vcc_lo
	v_dual_cndmask_b32 v2, v2, v112, vcc_lo :: v_dual_add_nc_u32 v0, 21, v9
	v_add_nc_u32_e32 v12, 20, v9
	s_delay_alu instid0(VALU_DEP_2) | instskip(NEXT) | instid1(VALU_DEP_2)
	v_lshlrev_b64_e64 v[0:1], v0, -1
	v_lshlrev_b64_e64 v[12:13], v12, 1
	s_delay_alu instid0(VALU_DEP_2) | instskip(NEXT) | instid1(VALU_DEP_3)
	v_bfi_b32 v15, v1, 0, 0
	v_bfi_b32 v14, v0, 0, v2
	v_lshrrev_b64 v[0:1], v9, v[2:3]
	s_delay_alu instid0(VALU_DEP_1) | instskip(NEXT) | instid1(VALU_DEP_3)
	v_mov_b64_e32 v[2:3], v[0:1]
	v_cmpx_eq_u64_e64 v[14:15], v[12:13]
; %bb.6542:                             ;   in Loop: Header=BB6_5830 Depth=4
	v_bfe_u32 v2, v0, 21, 1
	v_mov_b32_e32 v3, v113
	s_delay_alu instid0(VALU_DEP_1) | instskip(NEXT) | instid1(VALU_DEP_1)
	v_add_nc_u64_e32 v[2:3], v[0:1], v[2:3]
	v_add_nc_u64_e32 v[2:3], -1, v[2:3]
; %bb.6543:                             ;   in Loop: Header=BB6_5830 Depth=4
	s_or_b32 exec_lo, exec_lo, s78
	v_add_nc_u32_e32 v1, 0xffffff81, v8
	v_lshrrev_b32_e32 v3, 23, v0
	s_mov_b32 s13, exec_lo
	s_delay_alu instid0(VALU_DEP_2) | instskip(NEXT) | instid1(VALU_DEP_1)
	v_cndmask_b32_e64 v1, v1, 0xffffff82, vcc_lo
	v_add3_u32 v3, v9, v1, v3
	v_and_b32_e32 v1, 0x1fffff, v2
                                        ; implicit-def: $vgpr2
	s_delay_alu instid0(VALU_DEP_1) | instskip(NEXT) | instid1(VALU_DEP_1)
	v_dual_add_nc_u32 v8, 14, v3 :: v_dual_add_nc_u32 v112, v1, v0
                                        ; implicit-def: $vgpr0_vgpr1
	v_cmpx_ne_u32_e32 0, v8
	s_xor_b32 s13, exec_lo, s13
; %bb.6544:                             ;   in Loop: Header=BB6_5830 Depth=4
	s_delay_alu instid0(VALU_DEP_2) | instskip(SKIP_1) | instid1(VALU_DEP_1)
	v_cmp_lt_u64_e32 vcc_lo, 0xffffff, v[112:113]
	v_add_nc_u32_e32 v0, 15, v3
	v_cndmask_b32_e32 v2, v8, v0, vcc_lo
	v_cndmask_b32_e64 v0, 0, 1, vcc_lo
	s_delay_alu instid0(VALU_DEP_1)
	v_lshrrev_b64 v[0:1], v0, v[112:113]
; %bb.6545:                             ;   in Loop: Header=BB6_5830 Depth=4
	s_and_not1_saveexec_b32 s13, s13
; %bb.6546:                             ;   in Loop: Header=BB6_5830 Depth=4
	v_mov_b64_e32 v[0:1], v[112:113]
	v_bfe_u32 v2, v112, 23, 1
; %bb.6547:                             ;   in Loop: Header=BB6_5830 Depth=4
	s_or_b32 exec_lo, exec_lo, s13
	s_delay_alu instid0(VALU_DEP_2) | instskip(NEXT) | instid1(VALU_DEP_2)
	v_lshrrev_b64 v[0:1], 21, v[0:1]
	v_cmp_gt_i32_e32 vcc_lo, 32, v2
	v_min_i32_e32 v3, 31, v2
	v_cmp_eq_u32_e64 s13, 0, v2
	s_delay_alu instid0(VALU_DEP_2) | instskip(SKIP_1) | instid1(VALU_DEP_2)
	v_dual_cndmask_b32 v1, 0, v1, vcc_lo :: v_dual_lshlrev_b32 v3, 2, v3
	v_cndmask_b32_e32 v0, 3, v0, vcc_lo
	v_and_b32_e32 v3, 0xfc, v3
	s_delay_alu instid0(VALU_DEP_2) | instskip(NEXT) | instid1(VALU_DEP_2)
	v_cmp_eq_u64_e32 vcc_lo, 0, v[0:1]
	v_and_or_b32 v0, v0, 3, v3
	s_and_b32 s13, s13, vcc_lo
	s_delay_alu instid0(VALU_DEP_1) | instid1(SALU_CYCLE_1)
	v_cndmask_b32_e64 v0, v0, 0, s13
	s_delay_alu instid0(VALU_DEP_1)
	v_or_b32_e32 v119, v0, v7
.LBB6_6548:                             ;   in Loop: Header=BB6_5830 Depth=4
	s_or_b32 exec_lo, exec_lo, s77
                                        ; implicit-def: $vgpr7
.LBB6_6549:                             ;   in Loop: Header=BB6_5830 Depth=4
	s_and_not1_saveexec_b32 s13, s76
; %bb.6550:                             ;   in Loop: Header=BB6_5830 Depth=4
	v_or_b32_e32 v119, 0x7b, v7
; %bb.6551:                             ;   in Loop: Header=BB6_5830 Depth=4
	s_or_b32 exec_lo, exec_lo, s13
                                        ; implicit-def: $vgpr0
                                        ; implicit-def: $vgpr1
.LBB6_6552:                             ;   in Loop: Header=BB6_5830 Depth=4
	s_and_not1_saveexec_b32 s13, s75
	s_cbranch_execz .LBB6_6558
; %bb.6553:                             ;   in Loop: Header=BB6_5830 Depth=4
	s_mov_b32 s75, exec_lo
                                        ; implicit-def: $vgpr119
	v_cmpx_ne_u64_e32 0, v[112:113]
	s_xor_b32 s75, exec_lo, s75
; %bb.6554:                             ;   in Loop: Header=BB6_5830 Depth=4
	v_or_b32_e32 v119, 0x7f, v1
                                        ; implicit-def: $vgpr0
; %bb.6555:                             ;   in Loop: Header=BB6_5830 Depth=4
	s_and_not1_saveexec_b32 s75, s75
; %bb.6556:                             ;   in Loop: Header=BB6_5830 Depth=4
	v_cmp_lt_i32_e32 vcc_lo, -1, v0
	v_mov_b32_e32 v0, 0x7c
	s_delay_alu instid0(VALU_DEP_1)
	v_cndmask_b32_e32 v119, 0xfc, v0, vcc_lo
; %bb.6557:                             ;   in Loop: Header=BB6_5830 Depth=4
	s_or_b32 exec_lo, exec_lo, s75
.LBB6_6558:                             ;   in Loop: Header=BB6_5830 Depth=4
	s_delay_alu instid0(SALU_CYCLE_1) | instskip(SKIP_1) | instid1(VALU_DEP_1)
	s_or_b32 exec_lo, exec_lo, s13
	v_and_b32_e32 v0, 0xff, v10
	v_cmp_ne_u16_e32 vcc_lo, 0, v0
	v_mov_b32_e32 v0, 0
	s_and_saveexec_b32 s13, vcc_lo
	s_cbranch_execz .LBB6_6568
; %bb.6559:                             ;   in Loop: Header=BB6_5830 Depth=4
	v_bfe_i32 v2, v10, 0, 8
	v_bfrev_b32_e32 v0, 1
	s_mov_b32 s75, exec_lo
	s_delay_alu instid0(VALU_DEP_2)
	v_cmpx_ne_u16_e32 0xff80, v2
	s_cbranch_execz .LBB6_6567
; %bb.6560:                             ;   in Loop: Header=BB6_5830 Depth=4
	v_and_b32_e32 v0, 0x7c, v10
	v_and_b32_e32 v1, 3, v10
	s_delay_alu instid0(VALU_DEP_2) | instskip(SKIP_1) | instid1(SALU_CYCLE_1)
	v_cmp_ne_u32_e32 vcc_lo, 0x7c, v0
                                        ; implicit-def: $vgpr0
	s_and_saveexec_b32 s76, vcc_lo
	s_xor_b32 s76, exec_lo, s76
	s_cbranch_execz .LBB6_6564
; %bb.6561:                             ;   in Loop: Header=BB6_5830 Depth=4
	v_bfe_u32 v0, v10, 2, 5
	s_mov_b32 s77, exec_lo
	s_delay_alu instid0(VALU_DEP_1)
	v_cmpx_eq_u32_e32 0, v0
; %bb.6562:                             ;   in Loop: Header=BB6_5830 Depth=4
	v_clz_i32_u32_e32 v0, v1
	s_delay_alu instid0(VALU_DEP_1) | instskip(NEXT) | instid1(VALU_DEP_1)
	v_min_u32_e32 v0, 32, v0
	v_subrev_nc_u32_e32 v1, 29, v0
	s_delay_alu instid0(VALU_DEP_1) | instskip(NEXT) | instid1(VALU_DEP_1)
	v_lshlrev_b64_e32 v[2:3], v1, v[10:11]
	v_dual_sub_nc_u32 v0, 30, v0 :: v_dual_bitop2_b32 v1, 3, v2 bitop3:0x40
; %bb.6563:                             ;   in Loop: Header=BB6_5830 Depth=4
	s_or_b32 exec_lo, exec_lo, s77
	v_lshlrev_b32_e32 v2, 24, v10
	s_delay_alu instid0(VALU_DEP_1) | instskip(NEXT) | instid1(VALU_DEP_1)
	v_and_b32_e32 v2, 0x80000000, v2
	v_lshl_add_u32 v0, v0, 23, v2
                                        ; implicit-def: $vgpr2
	s_delay_alu instid0(VALU_DEP_1) | instskip(NEXT) | instid1(VALU_DEP_1)
	v_lshl_or_b32 v0, v1, 21, v0
                                        ; implicit-def: $vgpr1
	v_add_nc_u32_e32 v0, 0x38000000, v0
.LBB6_6564:                             ;   in Loop: Header=BB6_5830 Depth=4
	s_and_not1_saveexec_b32 s76, s76
; %bb.6565:                             ;   in Loop: Header=BB6_5830 Depth=4
	v_cmp_lt_i16_e32 vcc_lo, -1, v2
	v_mov_b32_e32 v0, 0x7f800000
	s_delay_alu instid0(VALU_DEP_1) | instskip(SKIP_1) | instid1(VALU_DEP_2)
	v_cndmask_b32_e32 v0, 0xff800000, v0, vcc_lo
	v_cmp_eq_u32_e32 vcc_lo, 0, v1
	v_cndmask_b32_e32 v0, 0x7f800001, v0, vcc_lo
; %bb.6566:                             ;   in Loop: Header=BB6_5830 Depth=4
	s_or_b32 exec_lo, exec_lo, s76
.LBB6_6567:                             ;   in Loop: Header=BB6_5830 Depth=4
	s_delay_alu instid0(SALU_CYCLE_1)
	s_or_b32 exec_lo, exec_lo, s75
.LBB6_6568:                             ;   in Loop: Header=BB6_5830 Depth=4
	s_delay_alu instid0(SALU_CYCLE_1) | instskip(NEXT) | instid1(VALU_DEP_1)
	s_or_b32 exec_lo, exec_lo, s13
	v_dual_mul_f32 v0, s74, v0 :: v_dual_mov_b32 v3, v113
                                        ; implicit-def: $vgpr84
	s_mov_b32 s13, exec_lo
	s_delay_alu instid0(VALU_DEP_1) | instskip(SKIP_2) | instid1(VALU_DEP_3)
	v_and_b32_e32 v2, 0x7f800000, v0
	v_and_b32_e32 v112, 0x7fffff, v0
	v_lshrrev_b32_e32 v1, 24, v0
	v_cmpx_ne_u64_e32 0x7f800000, v[2:3]
	s_xor_b32 s75, exec_lo, s13
	s_cbranch_execz .LBB6_6582
; %bb.6569:                             ;   in Loop: Header=BB6_5830 Depth=4
	v_and_b32_e32 v2, 0x7fffffff, v0
	v_mov_b32_e32 v3, v113
	v_and_b32_e32 v7, 0x80, v1
                                        ; implicit-def: $vgpr84
	s_mov_b32 s13, exec_lo
	s_delay_alu instid0(VALU_DEP_2)
	v_cmpx_gt_u64_e32 0x47600001, v[2:3]
	s_xor_b32 s76, exec_lo, s13
	s_cbranch_execz .LBB6_6579
; %bb.6570:                             ;   in Loop: Header=BB6_5830 Depth=4
	v_mov_b32_e32 v84, 0
	s_mov_b32 s77, exec_lo
	v_cmpx_ne_u32_e32 0, v0
	s_cbranch_execz .LBB6_6578
; %bb.6571:                             ;   in Loop: Header=BB6_5830 Depth=4
	v_bfe_u32 v8, v0, 23, 8
	v_or_b32_e32 v1, 0x800000, v112
	s_delay_alu instid0(VALU_DEP_2) | instskip(SKIP_2) | instid1(VALU_DEP_2)
	v_cmp_gt_u32_e64 s13, 0x72, v8
	v_sub_nc_u32_e32 v0, 0x71, v8
	v_cmp_eq_u32_e32 vcc_lo, 0, v8
	v_cndmask_b32_e64 v0, 0, v0, s13
	s_delay_alu instid0(VALU_DEP_1) | instskip(SKIP_1) | instid1(VALU_DEP_2)
	v_cndmask_b32_e64 v9, v0, 0x70, vcc_lo
	v_cndmask_b32_e32 v0, v1, v112, vcc_lo
	v_dual_mov_b32 v1, v113 :: v_dual_add_nc_u32 v2, 21, v9
	v_add_nc_u32_e32 v12, 20, v9
	s_delay_alu instid0(VALU_DEP_2) | instskip(NEXT) | instid1(VALU_DEP_2)
	v_lshlrev_b64_e64 v[2:3], v2, -1
	v_lshlrev_b64_e64 v[12:13], v12, 1
	s_delay_alu instid0(VALU_DEP_2) | instskip(SKIP_1) | instid1(VALU_DEP_4)
	v_bfi_b32 v2, v2, 0, v0
	v_lshrrev_b64 v[0:1], v9, v[0:1]
	v_bfi_b32 v3, v3, 0, 0
	s_delay_alu instid0(VALU_DEP_1) | instskip(NEXT) | instid1(VALU_DEP_3)
	v_cmp_eq_u64_e64 s13, v[2:3], v[12:13]
	v_mov_b64_e32 v[2:3], v[0:1]
	s_and_saveexec_b32 s78, s13
; %bb.6572:                             ;   in Loop: Header=BB6_5830 Depth=4
	v_bfe_u32 v2, v0, 21, 1
	v_mov_b32_e32 v3, v113
	s_delay_alu instid0(VALU_DEP_1) | instskip(NEXT) | instid1(VALU_DEP_1)
	v_add_nc_u64_e32 v[2:3], v[0:1], v[2:3]
	v_add_nc_u64_e32 v[2:3], -1, v[2:3]
; %bb.6573:                             ;   in Loop: Header=BB6_5830 Depth=4
	s_or_b32 exec_lo, exec_lo, s78
	v_add_nc_u32_e32 v1, 0xffffff81, v8
	v_lshrrev_b32_e32 v3, 23, v0
	s_mov_b32 s13, exec_lo
	s_delay_alu instid0(VALU_DEP_2) | instskip(NEXT) | instid1(VALU_DEP_1)
	v_cndmask_b32_e64 v1, v1, 0xffffff82, vcc_lo
	v_add3_u32 v3, v9, v1, v3
	v_and_b32_e32 v1, 0x1fffff, v2
                                        ; implicit-def: $vgpr2
	s_delay_alu instid0(VALU_DEP_1) | instskip(NEXT) | instid1(VALU_DEP_1)
	v_dual_add_nc_u32 v8, 14, v3 :: v_dual_add_nc_u32 v112, v1, v0
                                        ; implicit-def: $vgpr0_vgpr1
	v_cmpx_ne_u32_e32 0, v8
	s_xor_b32 s13, exec_lo, s13
; %bb.6574:                             ;   in Loop: Header=BB6_5830 Depth=4
	s_delay_alu instid0(VALU_DEP_2) | instskip(SKIP_1) | instid1(VALU_DEP_1)
	v_cmp_lt_u64_e32 vcc_lo, 0xffffff, v[112:113]
	v_add_nc_u32_e32 v0, 15, v3
	v_cndmask_b32_e32 v2, v8, v0, vcc_lo
	v_cndmask_b32_e64 v0, 0, 1, vcc_lo
	s_delay_alu instid0(VALU_DEP_1)
	v_lshrrev_b64 v[0:1], v0, v[112:113]
; %bb.6575:                             ;   in Loop: Header=BB6_5830 Depth=4
	s_and_not1_saveexec_b32 s13, s13
; %bb.6576:                             ;   in Loop: Header=BB6_5830 Depth=4
	v_mov_b64_e32 v[0:1], v[112:113]
	v_bfe_u32 v2, v112, 23, 1
; %bb.6577:                             ;   in Loop: Header=BB6_5830 Depth=4
	s_or_b32 exec_lo, exec_lo, s13
	s_delay_alu instid0(VALU_DEP_2) | instskip(NEXT) | instid1(VALU_DEP_2)
	v_lshrrev_b64 v[0:1], 21, v[0:1]
	v_cmp_gt_i32_e32 vcc_lo, 32, v2
	v_min_i32_e32 v3, 31, v2
	v_cmp_eq_u32_e64 s13, 0, v2
	s_delay_alu instid0(VALU_DEP_2) | instskip(SKIP_1) | instid1(VALU_DEP_2)
	v_dual_cndmask_b32 v1, 0, v1, vcc_lo :: v_dual_lshlrev_b32 v3, 2, v3
	v_cndmask_b32_e32 v0, 3, v0, vcc_lo
	v_and_b32_e32 v3, 0xfc, v3
	s_delay_alu instid0(VALU_DEP_2) | instskip(NEXT) | instid1(VALU_DEP_2)
	v_cmp_eq_u64_e32 vcc_lo, 0, v[0:1]
	v_and_or_b32 v0, v0, 3, v3
	s_and_b32 s13, s13, vcc_lo
	s_delay_alu instid0(VALU_DEP_1) | instid1(SALU_CYCLE_1)
	v_cndmask_b32_e64 v0, v0, 0, s13
	s_delay_alu instid0(VALU_DEP_1)
	v_or_b32_e32 v84, v0, v7
.LBB6_6578:                             ;   in Loop: Header=BB6_5830 Depth=4
	s_or_b32 exec_lo, exec_lo, s77
                                        ; implicit-def: $vgpr7
.LBB6_6579:                             ;   in Loop: Header=BB6_5830 Depth=4
	s_and_not1_saveexec_b32 s13, s76
; %bb.6580:                             ;   in Loop: Header=BB6_5830 Depth=4
	v_or_b32_e32 v84, 0x7b, v7
; %bb.6581:                             ;   in Loop: Header=BB6_5830 Depth=4
	s_or_b32 exec_lo, exec_lo, s13
                                        ; implicit-def: $vgpr0
                                        ; implicit-def: $vgpr1
.LBB6_6582:                             ;   in Loop: Header=BB6_5830 Depth=4
	s_and_not1_saveexec_b32 s13, s75
	s_cbranch_execz .LBB6_6588
; %bb.6583:                             ;   in Loop: Header=BB6_5830 Depth=4
	s_mov_b32 s75, exec_lo
                                        ; implicit-def: $vgpr84
	v_cmpx_ne_u64_e32 0, v[112:113]
	s_xor_b32 s75, exec_lo, s75
; %bb.6584:                             ;   in Loop: Header=BB6_5830 Depth=4
	v_or_b32_e32 v84, 0x7f, v1
                                        ; implicit-def: $vgpr0
; %bb.6585:                             ;   in Loop: Header=BB6_5830 Depth=4
	s_and_not1_saveexec_b32 s75, s75
; %bb.6586:                             ;   in Loop: Header=BB6_5830 Depth=4
	v_cmp_lt_i32_e32 vcc_lo, -1, v0
	v_mov_b32_e32 v0, 0x7c
	s_delay_alu instid0(VALU_DEP_1)
	v_cndmask_b32_e32 v84, 0xfc, v0, vcc_lo
; %bb.6587:                             ;   in Loop: Header=BB6_5830 Depth=4
	s_or_b32 exec_lo, exec_lo, s75
.LBB6_6588:                             ;   in Loop: Header=BB6_5830 Depth=4
	s_delay_alu instid0(SALU_CYCLE_1) | instskip(SKIP_3) | instid1(VALU_DEP_2)
	s_or_b32 exec_lo, exec_lo, s13
	v_lshrrev_b16 v0, 8, v10
	v_mov_b32_e32 v2, 0
	s_mov_b32 s13, exec_lo
	v_cmpx_ne_u16_e32 0, v0
	s_cbranch_execz .LBB6_6598
; %bb.6589:                             ;   in Loop: Header=BB6_5830 Depth=4
	v_bfrev_b32_e32 v2, 1
	s_mov_b32 s75, exec_lo
	v_cmpx_ne_u16_e32 0x80, v0
	s_cbranch_execz .LBB6_6597
; %bb.6590:                             ;   in Loop: Header=BB6_5830 Depth=4
	v_and_b32_e32 v3, 0xffff, v0
	s_delay_alu instid0(VALU_DEP_1) | instskip(SKIP_1) | instid1(VALU_DEP_2)
	v_and_b32_e32 v2, 0x7c, v3
	v_and_b32_e32 v1, 3, v3
	v_cmp_ne_u32_e32 vcc_lo, 0x7c, v2
                                        ; implicit-def: $vgpr2
	s_and_saveexec_b32 s76, vcc_lo
	s_delay_alu instid0(SALU_CYCLE_1)
	s_xor_b32 s76, exec_lo, s76
	s_cbranch_execz .LBB6_6594
; %bb.6591:                             ;   in Loop: Header=BB6_5830 Depth=4
	v_bfe_u32 v2, v3, 2, 5
	s_mov_b32 s77, exec_lo
	s_delay_alu instid0(VALU_DEP_1)
	v_cmpx_eq_u32_e32 0, v2
	s_cbranch_execz .LBB6_6593
; %bb.6592:                             ;   in Loop: Header=BB6_5830 Depth=4
	v_clz_i32_u32_e32 v1, v1
	s_delay_alu instid0(VALU_DEP_1) | instskip(SKIP_1) | instid1(VALU_DEP_2)
	v_min_u32_e32 v2, 32, v1
	v_mov_b32_e32 v1, v113
	v_subrev_nc_u32_e32 v3, 29, v2
	v_sub_nc_u32_e32 v2, 30, v2
	s_delay_alu instid0(VALU_DEP_2) | instskip(NEXT) | instid1(VALU_DEP_1)
	v_lshlrev_b64_e32 v[0:1], v3, v[0:1]
	v_and_b32_e32 v1, 3, v0
.LBB6_6593:                             ;   in Loop: Header=BB6_5830 Depth=4
	s_or_b32 exec_lo, exec_lo, s77
	v_lshlrev_b32_e32 v0, 16, v10
	s_delay_alu instid0(VALU_DEP_1) | instskip(NEXT) | instid1(VALU_DEP_1)
	v_and_b32_e32 v0, 0x80000000, v0
	v_lshl_add_u32 v0, v2, 23, v0
	s_delay_alu instid0(VALU_DEP_1) | instskip(NEXT) | instid1(VALU_DEP_1)
	v_lshl_or_b32 v0, v1, 21, v0
                                        ; implicit-def: $vgpr1
	v_add_nc_u32_e32 v2, 0x38000000, v0
.LBB6_6594:                             ;   in Loop: Header=BB6_5830 Depth=4
	s_and_not1_saveexec_b32 s76, s76
; %bb.6595:                             ;   in Loop: Header=BB6_5830 Depth=4
	v_cmp_lt_i16_e32 vcc_lo, -1, v10
	v_mov_b32_e32 v0, 0x7f800000
	s_delay_alu instid0(VALU_DEP_1) | instskip(SKIP_1) | instid1(VALU_DEP_2)
	v_cndmask_b32_e32 v0, 0xff800000, v0, vcc_lo
	v_cmp_eq_u32_e32 vcc_lo, 0, v1
	v_cndmask_b32_e32 v2, 0x7f800001, v0, vcc_lo
; %bb.6596:                             ;   in Loop: Header=BB6_5830 Depth=4
	s_or_b32 exec_lo, exec_lo, s76
.LBB6_6597:                             ;   in Loop: Header=BB6_5830 Depth=4
	s_delay_alu instid0(SALU_CYCLE_1)
	s_or_b32 exec_lo, exec_lo, s75
.LBB6_6598:                             ;   in Loop: Header=BB6_5830 Depth=4
	s_delay_alu instid0(SALU_CYCLE_1) | instskip(NEXT) | instid1(VALU_DEP_1)
	s_or_b32 exec_lo, exec_lo, s13
	v_dual_mul_f32 v0, s74, v2 :: v_dual_mov_b32 v3, v113
                                        ; implicit-def: $vgpr97
	s_mov_b32 s13, exec_lo
	s_delay_alu instid0(VALU_DEP_1) | instskip(SKIP_2) | instid1(VALU_DEP_3)
	v_and_b32_e32 v2, 0x7f800000, v0
	v_and_b32_e32 v112, 0x7fffff, v0
	v_lshrrev_b32_e32 v1, 24, v0
	v_cmpx_ne_u64_e32 0x7f800000, v[2:3]
	s_xor_b32 s75, exec_lo, s13
	s_cbranch_execz .LBB6_6612
; %bb.6599:                             ;   in Loop: Header=BB6_5830 Depth=4
	v_and_b32_e32 v2, 0x7fffffff, v0
	v_mov_b32_e32 v3, v113
	v_and_b32_e32 v7, 0x80, v1
                                        ; implicit-def: $vgpr97
	s_mov_b32 s13, exec_lo
	s_delay_alu instid0(VALU_DEP_2)
	v_cmpx_gt_u64_e32 0x47600001, v[2:3]
	s_xor_b32 s76, exec_lo, s13
	s_cbranch_execz .LBB6_6609
; %bb.6600:                             ;   in Loop: Header=BB6_5830 Depth=4
	v_mov_b32_e32 v97, 0
	s_mov_b32 s77, exec_lo
	v_cmpx_ne_u32_e32 0, v0
	s_cbranch_execz .LBB6_6608
; %bb.6601:                             ;   in Loop: Header=BB6_5830 Depth=4
	v_bfe_u32 v8, v0, 23, 8
	v_or_b32_e32 v1, 0x800000, v112
	s_delay_alu instid0(VALU_DEP_2) | instskip(SKIP_2) | instid1(VALU_DEP_2)
	v_cmp_gt_u32_e64 s13, 0x72, v8
	v_sub_nc_u32_e32 v0, 0x71, v8
	v_cmp_eq_u32_e32 vcc_lo, 0, v8
	v_cndmask_b32_e64 v0, 0, v0, s13
	s_delay_alu instid0(VALU_DEP_1) | instskip(SKIP_1) | instid1(VALU_DEP_2)
	v_cndmask_b32_e64 v9, v0, 0x70, vcc_lo
	v_cndmask_b32_e32 v0, v1, v112, vcc_lo
	v_dual_mov_b32 v1, v113 :: v_dual_add_nc_u32 v2, 21, v9
	v_add_nc_u32_e32 v12, 20, v9
	s_delay_alu instid0(VALU_DEP_2) | instskip(NEXT) | instid1(VALU_DEP_2)
	v_lshlrev_b64_e64 v[2:3], v2, -1
	v_lshlrev_b64_e64 v[12:13], v12, 1
	s_delay_alu instid0(VALU_DEP_2) | instskip(SKIP_1) | instid1(VALU_DEP_4)
	v_bfi_b32 v2, v2, 0, v0
	v_lshrrev_b64 v[0:1], v9, v[0:1]
	v_bfi_b32 v3, v3, 0, 0
	s_delay_alu instid0(VALU_DEP_1) | instskip(NEXT) | instid1(VALU_DEP_3)
	v_cmp_eq_u64_e64 s13, v[2:3], v[12:13]
	v_mov_b64_e32 v[2:3], v[0:1]
	s_and_saveexec_b32 s78, s13
; %bb.6602:                             ;   in Loop: Header=BB6_5830 Depth=4
	v_bfe_u32 v2, v0, 21, 1
	v_mov_b32_e32 v3, v113
	s_delay_alu instid0(VALU_DEP_1) | instskip(NEXT) | instid1(VALU_DEP_1)
	v_add_nc_u64_e32 v[2:3], v[0:1], v[2:3]
	v_add_nc_u64_e32 v[2:3], -1, v[2:3]
; %bb.6603:                             ;   in Loop: Header=BB6_5830 Depth=4
	s_or_b32 exec_lo, exec_lo, s78
	v_add_nc_u32_e32 v1, 0xffffff81, v8
	v_lshrrev_b32_e32 v3, 23, v0
	s_mov_b32 s13, exec_lo
	s_delay_alu instid0(VALU_DEP_2) | instskip(NEXT) | instid1(VALU_DEP_1)
	v_cndmask_b32_e64 v1, v1, 0xffffff82, vcc_lo
	v_add3_u32 v3, v9, v1, v3
	v_and_b32_e32 v1, 0x1fffff, v2
                                        ; implicit-def: $vgpr2
	s_delay_alu instid0(VALU_DEP_1) | instskip(NEXT) | instid1(VALU_DEP_1)
	v_dual_add_nc_u32 v8, 14, v3 :: v_dual_add_nc_u32 v112, v1, v0
                                        ; implicit-def: $vgpr0_vgpr1
	v_cmpx_ne_u32_e32 0, v8
	s_xor_b32 s13, exec_lo, s13
; %bb.6604:                             ;   in Loop: Header=BB6_5830 Depth=4
	s_delay_alu instid0(VALU_DEP_2) | instskip(SKIP_1) | instid1(VALU_DEP_1)
	v_cmp_lt_u64_e32 vcc_lo, 0xffffff, v[112:113]
	v_add_nc_u32_e32 v0, 15, v3
	v_cndmask_b32_e32 v2, v8, v0, vcc_lo
	v_cndmask_b32_e64 v0, 0, 1, vcc_lo
	s_delay_alu instid0(VALU_DEP_1)
	v_lshrrev_b64 v[0:1], v0, v[112:113]
; %bb.6605:                             ;   in Loop: Header=BB6_5830 Depth=4
	s_and_not1_saveexec_b32 s13, s13
; %bb.6606:                             ;   in Loop: Header=BB6_5830 Depth=4
	v_mov_b64_e32 v[0:1], v[112:113]
	v_bfe_u32 v2, v112, 23, 1
; %bb.6607:                             ;   in Loop: Header=BB6_5830 Depth=4
	s_or_b32 exec_lo, exec_lo, s13
	s_delay_alu instid0(VALU_DEP_2) | instskip(NEXT) | instid1(VALU_DEP_2)
	v_lshrrev_b64 v[0:1], 21, v[0:1]
	v_cmp_gt_i32_e32 vcc_lo, 32, v2
	v_min_i32_e32 v3, 31, v2
	v_cmp_eq_u32_e64 s13, 0, v2
	s_delay_alu instid0(VALU_DEP_2) | instskip(SKIP_1) | instid1(VALU_DEP_2)
	v_dual_cndmask_b32 v1, 0, v1, vcc_lo :: v_dual_lshlrev_b32 v3, 2, v3
	v_cndmask_b32_e32 v0, 3, v0, vcc_lo
	v_and_b32_e32 v3, 0xfc, v3
	s_delay_alu instid0(VALU_DEP_2) | instskip(NEXT) | instid1(VALU_DEP_2)
	v_cmp_eq_u64_e32 vcc_lo, 0, v[0:1]
	v_and_or_b32 v0, v0, 3, v3
	s_and_b32 s13, s13, vcc_lo
	s_delay_alu instid0(VALU_DEP_1) | instid1(SALU_CYCLE_1)
	v_cndmask_b32_e64 v0, v0, 0, s13
	s_delay_alu instid0(VALU_DEP_1)
	v_or_b32_e32 v97, v0, v7
.LBB6_6608:                             ;   in Loop: Header=BB6_5830 Depth=4
	s_or_b32 exec_lo, exec_lo, s77
                                        ; implicit-def: $vgpr7
.LBB6_6609:                             ;   in Loop: Header=BB6_5830 Depth=4
	s_and_not1_saveexec_b32 s13, s76
; %bb.6610:                             ;   in Loop: Header=BB6_5830 Depth=4
	v_or_b32_e32 v97, 0x7b, v7
; %bb.6611:                             ;   in Loop: Header=BB6_5830 Depth=4
	s_or_b32 exec_lo, exec_lo, s13
                                        ; implicit-def: $vgpr0
                                        ; implicit-def: $vgpr1
.LBB6_6612:                             ;   in Loop: Header=BB6_5830 Depth=4
	s_and_not1_saveexec_b32 s13, s75
	s_cbranch_execz .LBB6_6618
; %bb.6613:                             ;   in Loop: Header=BB6_5830 Depth=4
	s_mov_b32 s75, exec_lo
                                        ; implicit-def: $vgpr97
	v_cmpx_ne_u64_e32 0, v[112:113]
	s_xor_b32 s75, exec_lo, s75
; %bb.6614:                             ;   in Loop: Header=BB6_5830 Depth=4
	v_or_b32_e32 v97, 0x7f, v1
                                        ; implicit-def: $vgpr0
; %bb.6615:                             ;   in Loop: Header=BB6_5830 Depth=4
	s_and_not1_saveexec_b32 s75, s75
; %bb.6616:                             ;   in Loop: Header=BB6_5830 Depth=4
	v_cmp_lt_i32_e32 vcc_lo, -1, v0
	v_mov_b32_e32 v0, 0x7c
	s_delay_alu instid0(VALU_DEP_1)
	v_cndmask_b32_e32 v97, 0xfc, v0, vcc_lo
; %bb.6617:                             ;   in Loop: Header=BB6_5830 Depth=4
	s_or_b32 exec_lo, exec_lo, s75
.LBB6_6618:                             ;   in Loop: Header=BB6_5830 Depth=4
	s_delay_alu instid0(SALU_CYCLE_1) | instskip(SKIP_2) | instid1(VALU_DEP_1)
	s_or_b32 exec_lo, exec_lo, s13
	v_dual_lshrrev_b32 v0, 16, v10 :: v_dual_mov_b32 v2, 0
	s_mov_b32 s13, exec_lo
	v_and_b32_e32 v1, 0xff, v0
	s_delay_alu instid0(VALU_DEP_1)
	v_cmpx_ne_u16_e32 0, v1
	s_cbranch_execz .LBB6_6628
; %bb.6619:                             ;   in Loop: Header=BB6_5830 Depth=4
	v_bfrev_b32_e32 v2, 1
	s_mov_b32 s75, exec_lo
	v_cmpx_ne_u16_e32 0x80, v1
	s_cbranch_execz .LBB6_6627
; %bb.6620:                             ;   in Loop: Header=BB6_5830 Depth=4
	v_and_b32_e32 v2, 0x7c0000, v10
	v_bfe_u32 v1, v10, 16, 2
	s_delay_alu instid0(VALU_DEP_2) | instskip(SKIP_1) | instid1(SALU_CYCLE_1)
	v_cmp_ne_u32_e32 vcc_lo, 0x7c0000, v2
                                        ; implicit-def: $vgpr2
	s_and_saveexec_b32 s76, vcc_lo
	s_xor_b32 s76, exec_lo, s76
	s_cbranch_execz .LBB6_6624
; %bb.6621:                             ;   in Loop: Header=BB6_5830 Depth=4
	v_bfe_u32 v2, v10, 18, 5
	s_mov_b32 s77, exec_lo
	s_delay_alu instid0(VALU_DEP_1)
	v_cmpx_eq_u32_e32 0, v2
; %bb.6622:                             ;   in Loop: Header=BB6_5830 Depth=4
	v_clz_i32_u32_e32 v1, v1
	s_delay_alu instid0(VALU_DEP_1) | instskip(NEXT) | instid1(VALU_DEP_1)
	v_min_u32_e32 v1, 32, v1
	v_subrev_nc_u32_e32 v2, 29, v1
	s_delay_alu instid0(VALU_DEP_1) | instskip(NEXT) | instid1(VALU_DEP_1)
	v_lshlrev_b64_e32 v[8:9], v2, v[0:1]
	v_dual_sub_nc_u32 v2, 30, v1 :: v_dual_bitop2_b32 v1, 3, v8 bitop3:0x40
; %bb.6623:                             ;   in Loop: Header=BB6_5830 Depth=4
	s_or_b32 exec_lo, exec_lo, s77
	v_lshlrev_b32_e32 v0, 24, v0
	s_delay_alu instid0(VALU_DEP_1) | instskip(NEXT) | instid1(VALU_DEP_1)
	v_and_b32_e32 v0, 0x80000000, v0
	v_lshl_add_u32 v0, v2, 23, v0
	s_delay_alu instid0(VALU_DEP_1) | instskip(NEXT) | instid1(VALU_DEP_1)
	v_lshl_or_b32 v0, v1, 21, v0
                                        ; implicit-def: $vgpr1
	v_add_nc_u32_e32 v2, 0x38000000, v0
                                        ; implicit-def: $vgpr0
.LBB6_6624:                             ;   in Loop: Header=BB6_5830 Depth=4
	s_and_not1_saveexec_b32 s76, s76
; %bb.6625:                             ;   in Loop: Header=BB6_5830 Depth=4
	v_bfe_i32 v0, v0, 0, 8
	s_delay_alu instid0(VALU_DEP_1) | instskip(SKIP_1) | instid1(VALU_DEP_1)
	v_cmp_lt_i16_e32 vcc_lo, -1, v0
	v_mov_b32_e32 v0, 0x7f800000
	v_cndmask_b32_e32 v0, 0xff800000, v0, vcc_lo
	v_cmp_eq_u32_e32 vcc_lo, 0, v1
	s_delay_alu instid0(VALU_DEP_2)
	v_cndmask_b32_e32 v2, 0x7f800001, v0, vcc_lo
; %bb.6626:                             ;   in Loop: Header=BB6_5830 Depth=4
	s_or_b32 exec_lo, exec_lo, s76
.LBB6_6627:                             ;   in Loop: Header=BB6_5830 Depth=4
	s_delay_alu instid0(SALU_CYCLE_1)
	s_or_b32 exec_lo, exec_lo, s75
.LBB6_6628:                             ;   in Loop: Header=BB6_5830 Depth=4
	s_delay_alu instid0(SALU_CYCLE_1) | instskip(NEXT) | instid1(VALU_DEP_1)
	s_or_b32 exec_lo, exec_lo, s13
	v_dual_mul_f32 v0, s74, v2 :: v_dual_mov_b32 v3, v113
                                        ; implicit-def: $vgpr101
	s_mov_b32 s13, exec_lo
	s_delay_alu instid0(VALU_DEP_1) | instskip(SKIP_2) | instid1(VALU_DEP_3)
	v_and_b32_e32 v2, 0x7f800000, v0
	v_and_b32_e32 v112, 0x7fffff, v0
	v_lshrrev_b32_e32 v1, 24, v0
	v_cmpx_ne_u64_e32 0x7f800000, v[2:3]
	s_xor_b32 s75, exec_lo, s13
	s_cbranch_execz .LBB6_6642
; %bb.6629:                             ;   in Loop: Header=BB6_5830 Depth=4
	v_and_b32_e32 v2, 0x7fffffff, v0
	v_mov_b32_e32 v3, v113
	v_and_b32_e32 v7, 0x80, v1
                                        ; implicit-def: $vgpr101
	s_mov_b32 s13, exec_lo
	s_delay_alu instid0(VALU_DEP_2)
	v_cmpx_gt_u64_e32 0x47600001, v[2:3]
	s_xor_b32 s76, exec_lo, s13
	s_cbranch_execz .LBB6_6639
; %bb.6630:                             ;   in Loop: Header=BB6_5830 Depth=4
	v_mov_b32_e32 v101, 0
	s_mov_b32 s77, exec_lo
	v_cmpx_ne_u32_e32 0, v0
	s_cbranch_execz .LBB6_6638
; %bb.6631:                             ;   in Loop: Header=BB6_5830 Depth=4
	v_bfe_u32 v8, v0, 23, 8
	v_or_b32_e32 v1, 0x800000, v112
	s_delay_alu instid0(VALU_DEP_2) | instskip(SKIP_2) | instid1(VALU_DEP_2)
	v_cmp_gt_u32_e64 s13, 0x72, v8
	v_sub_nc_u32_e32 v0, 0x71, v8
	v_cmp_eq_u32_e32 vcc_lo, 0, v8
	v_cndmask_b32_e64 v0, 0, v0, s13
	s_delay_alu instid0(VALU_DEP_1) | instskip(SKIP_1) | instid1(VALU_DEP_2)
	v_cndmask_b32_e64 v9, v0, 0x70, vcc_lo
	v_cndmask_b32_e32 v0, v1, v112, vcc_lo
	v_dual_mov_b32 v1, v113 :: v_dual_add_nc_u32 v2, 21, v9
	v_add_nc_u32_e32 v12, 20, v9
	s_delay_alu instid0(VALU_DEP_2) | instskip(NEXT) | instid1(VALU_DEP_2)
	v_lshlrev_b64_e64 v[2:3], v2, -1
	v_lshlrev_b64_e64 v[12:13], v12, 1
	s_delay_alu instid0(VALU_DEP_2) | instskip(SKIP_1) | instid1(VALU_DEP_4)
	v_bfi_b32 v2, v2, 0, v0
	v_lshrrev_b64 v[0:1], v9, v[0:1]
	v_bfi_b32 v3, v3, 0, 0
	s_delay_alu instid0(VALU_DEP_1) | instskip(NEXT) | instid1(VALU_DEP_3)
	v_cmp_eq_u64_e64 s13, v[2:3], v[12:13]
	v_mov_b64_e32 v[2:3], v[0:1]
	s_and_saveexec_b32 s78, s13
; %bb.6632:                             ;   in Loop: Header=BB6_5830 Depth=4
	v_bfe_u32 v2, v0, 21, 1
	v_mov_b32_e32 v3, v113
	s_delay_alu instid0(VALU_DEP_1) | instskip(NEXT) | instid1(VALU_DEP_1)
	v_add_nc_u64_e32 v[2:3], v[0:1], v[2:3]
	v_add_nc_u64_e32 v[2:3], -1, v[2:3]
; %bb.6633:                             ;   in Loop: Header=BB6_5830 Depth=4
	s_or_b32 exec_lo, exec_lo, s78
	v_add_nc_u32_e32 v1, 0xffffff81, v8
	v_lshrrev_b32_e32 v3, 23, v0
	s_mov_b32 s13, exec_lo
	s_delay_alu instid0(VALU_DEP_2) | instskip(NEXT) | instid1(VALU_DEP_1)
	v_cndmask_b32_e64 v1, v1, 0xffffff82, vcc_lo
	v_add3_u32 v3, v9, v1, v3
	v_and_b32_e32 v1, 0x1fffff, v2
                                        ; implicit-def: $vgpr2
	s_delay_alu instid0(VALU_DEP_1) | instskip(NEXT) | instid1(VALU_DEP_1)
	v_dual_add_nc_u32 v8, 14, v3 :: v_dual_add_nc_u32 v112, v1, v0
                                        ; implicit-def: $vgpr0_vgpr1
	v_cmpx_ne_u32_e32 0, v8
	s_xor_b32 s13, exec_lo, s13
; %bb.6634:                             ;   in Loop: Header=BB6_5830 Depth=4
	s_delay_alu instid0(VALU_DEP_2) | instskip(SKIP_1) | instid1(VALU_DEP_1)
	v_cmp_lt_u64_e32 vcc_lo, 0xffffff, v[112:113]
	v_add_nc_u32_e32 v0, 15, v3
	v_cndmask_b32_e32 v2, v8, v0, vcc_lo
	v_cndmask_b32_e64 v0, 0, 1, vcc_lo
	s_delay_alu instid0(VALU_DEP_1)
	v_lshrrev_b64 v[0:1], v0, v[112:113]
; %bb.6635:                             ;   in Loop: Header=BB6_5830 Depth=4
	s_and_not1_saveexec_b32 s13, s13
; %bb.6636:                             ;   in Loop: Header=BB6_5830 Depth=4
	v_mov_b64_e32 v[0:1], v[112:113]
	v_bfe_u32 v2, v112, 23, 1
; %bb.6637:                             ;   in Loop: Header=BB6_5830 Depth=4
	s_or_b32 exec_lo, exec_lo, s13
	s_delay_alu instid0(VALU_DEP_2) | instskip(NEXT) | instid1(VALU_DEP_2)
	v_lshrrev_b64 v[0:1], 21, v[0:1]
	v_cmp_gt_i32_e32 vcc_lo, 32, v2
	v_min_i32_e32 v3, 31, v2
	v_cmp_eq_u32_e64 s13, 0, v2
	s_delay_alu instid0(VALU_DEP_2) | instskip(SKIP_1) | instid1(VALU_DEP_2)
	v_dual_cndmask_b32 v1, 0, v1, vcc_lo :: v_dual_lshlrev_b32 v3, 2, v3
	v_cndmask_b32_e32 v0, 3, v0, vcc_lo
	v_and_b32_e32 v3, 0xfc, v3
	s_delay_alu instid0(VALU_DEP_2) | instskip(NEXT) | instid1(VALU_DEP_2)
	v_cmp_eq_u64_e32 vcc_lo, 0, v[0:1]
	v_and_or_b32 v0, v0, 3, v3
	s_and_b32 s13, s13, vcc_lo
	s_delay_alu instid0(VALU_DEP_1) | instid1(SALU_CYCLE_1)
	v_cndmask_b32_e64 v0, v0, 0, s13
	s_delay_alu instid0(VALU_DEP_1)
	v_or_b32_e32 v101, v0, v7
.LBB6_6638:                             ;   in Loop: Header=BB6_5830 Depth=4
	s_or_b32 exec_lo, exec_lo, s77
                                        ; implicit-def: $vgpr7
.LBB6_6639:                             ;   in Loop: Header=BB6_5830 Depth=4
	s_and_not1_saveexec_b32 s13, s76
; %bb.6640:                             ;   in Loop: Header=BB6_5830 Depth=4
	v_or_b32_e32 v101, 0x7b, v7
; %bb.6641:                             ;   in Loop: Header=BB6_5830 Depth=4
	s_or_b32 exec_lo, exec_lo, s13
                                        ; implicit-def: $vgpr0
                                        ; implicit-def: $vgpr1
.LBB6_6642:                             ;   in Loop: Header=BB6_5830 Depth=4
	s_and_not1_saveexec_b32 s13, s75
	s_cbranch_execz .LBB6_6648
; %bb.6643:                             ;   in Loop: Header=BB6_5830 Depth=4
	s_mov_b32 s75, exec_lo
                                        ; implicit-def: $vgpr101
	v_cmpx_ne_u64_e32 0, v[112:113]
	s_xor_b32 s75, exec_lo, s75
; %bb.6644:                             ;   in Loop: Header=BB6_5830 Depth=4
	v_or_b32_e32 v101, 0x7f, v1
                                        ; implicit-def: $vgpr0
; %bb.6645:                             ;   in Loop: Header=BB6_5830 Depth=4
	s_and_not1_saveexec_b32 s75, s75
; %bb.6646:                             ;   in Loop: Header=BB6_5830 Depth=4
	v_cmp_lt_i32_e32 vcc_lo, -1, v0
	v_mov_b32_e32 v0, 0x7c
	s_delay_alu instid0(VALU_DEP_1)
	v_cndmask_b32_e32 v101, 0xfc, v0, vcc_lo
; %bb.6647:                             ;   in Loop: Header=BB6_5830 Depth=4
	s_or_b32 exec_lo, exec_lo, s75
.LBB6_6648:                             ;   in Loop: Header=BB6_5830 Depth=4
	s_delay_alu instid0(SALU_CYCLE_1)
	s_or_b32 exec_lo, exec_lo, s13
	v_mov_b32_e32 v1, 0
	s_mov_b32 s13, exec_lo
	v_cmpx_lt_u32_e32 0xffffff, v10
	s_cbranch_execz .LBB6_6658
; %bb.6649:                             ;   in Loop: Header=BB6_5830 Depth=4
	v_lshrrev_b32_e32 v0, 24, v10
	v_bfrev_b32_e32 v1, 1
	s_mov_b32 s75, exec_lo
	s_delay_alu instid0(VALU_DEP_2)
	v_cmpx_ne_u32_e32 0x80, v0
	s_cbranch_execz .LBB6_6657
; %bb.6650:                             ;   in Loop: Header=BB6_5830 Depth=4
	v_and_b32_e32 v1, 0x7c000000, v10
	v_bfe_u32 v2, v10, 24, 2
	s_delay_alu instid0(VALU_DEP_2) | instskip(SKIP_1) | instid1(SALU_CYCLE_1)
	v_cmp_ne_u32_e32 vcc_lo, 0x7c000000, v1
                                        ; implicit-def: $vgpr1
	s_and_saveexec_b32 s76, vcc_lo
	s_xor_b32 s76, exec_lo, s76
	s_cbranch_execz .LBB6_6654
; %bb.6651:                             ;   in Loop: Header=BB6_5830 Depth=4
	v_bfe_u32 v1, v10, 26, 5
	s_mov_b32 s77, exec_lo
	s_delay_alu instid0(VALU_DEP_1)
	v_cmpx_eq_u32_e32 0, v1
; %bb.6652:                             ;   in Loop: Header=BB6_5830 Depth=4
	v_clz_i32_u32_e32 v1, v2
	s_delay_alu instid0(VALU_DEP_1) | instskip(NEXT) | instid1(VALU_DEP_1)
	v_min_u32_e32 v2, 32, v1
	v_subrev_nc_u32_e32 v1, 29, v2
	s_delay_alu instid0(VALU_DEP_1) | instskip(NEXT) | instid1(VALU_DEP_1)
	v_lshlrev_b64_e32 v[0:1], v1, v[0:1]
	v_dual_sub_nc_u32 v1, 30, v2 :: v_dual_bitop2_b32 v2, 3, v0 bitop3:0x40
; %bb.6653:                             ;   in Loop: Header=BB6_5830 Depth=4
	s_or_b32 exec_lo, exec_lo, s77
	v_and_b32_e32 v0, 0x80000000, v10
	s_delay_alu instid0(VALU_DEP_1) | instskip(NEXT) | instid1(VALU_DEP_1)
	v_lshl_add_u32 v0, v1, 23, v0
	v_lshl_or_b32 v0, v2, 21, v0
                                        ; implicit-def: $vgpr2
	s_delay_alu instid0(VALU_DEP_1)
	v_add_nc_u32_e32 v1, 0x38000000, v0
.LBB6_6654:                             ;   in Loop: Header=BB6_5830 Depth=4
	s_and_not1_saveexec_b32 s76, s76
; %bb.6655:                             ;   in Loop: Header=BB6_5830 Depth=4
	v_cmp_lt_i32_e32 vcc_lo, -1, v10
	v_mov_b32_e32 v0, 0x7f800000
	s_delay_alu instid0(VALU_DEP_1) | instskip(SKIP_1) | instid1(VALU_DEP_2)
	v_cndmask_b32_e32 v0, 0xff800000, v0, vcc_lo
	v_cmp_eq_u32_e32 vcc_lo, 0, v2
	v_cndmask_b32_e32 v1, 0x7f800001, v0, vcc_lo
; %bb.6656:                             ;   in Loop: Header=BB6_5830 Depth=4
	s_or_b32 exec_lo, exec_lo, s76
.LBB6_6657:                             ;   in Loop: Header=BB6_5830 Depth=4
	s_delay_alu instid0(SALU_CYCLE_1)
	s_or_b32 exec_lo, exec_lo, s75
.LBB6_6658:                             ;   in Loop: Header=BB6_5830 Depth=4
	s_delay_alu instid0(SALU_CYCLE_1) | instskip(NEXT) | instid1(VALU_DEP_1)
	s_or_b32 exec_lo, exec_lo, s13
	v_dual_mul_f32 v0, s74, v1 :: v_dual_mov_b32 v3, v113
                                        ; implicit-def: $vgpr115
	s_mov_b32 s13, exec_lo
	s_delay_alu instid0(VALU_DEP_1) | instskip(SKIP_2) | instid1(VALU_DEP_3)
	v_and_b32_e32 v2, 0x7f800000, v0
	v_and_b32_e32 v112, 0x7fffff, v0
	v_lshrrev_b32_e32 v1, 24, v0
	v_cmpx_ne_u64_e32 0x7f800000, v[2:3]
	s_xor_b32 s75, exec_lo, s13
	s_cbranch_execz .LBB6_6672
; %bb.6659:                             ;   in Loop: Header=BB6_5830 Depth=4
	v_and_b32_e32 v2, 0x7fffffff, v0
	v_mov_b32_e32 v3, v113
	v_and_b32_e32 v7, 0x80, v1
                                        ; implicit-def: $vgpr115
	s_mov_b32 s13, exec_lo
	s_delay_alu instid0(VALU_DEP_2)
	v_cmpx_gt_u64_e32 0x47600001, v[2:3]
	s_xor_b32 s76, exec_lo, s13
	s_cbranch_execz .LBB6_6669
; %bb.6660:                             ;   in Loop: Header=BB6_5830 Depth=4
	v_mov_b32_e32 v115, 0
	s_mov_b32 s77, exec_lo
	v_cmpx_ne_u32_e32 0, v0
	s_cbranch_execz .LBB6_6668
; %bb.6661:                             ;   in Loop: Header=BB6_5830 Depth=4
	v_bfe_u32 v8, v0, 23, 8
	v_or_b32_e32 v1, 0x800000, v112
	s_delay_alu instid0(VALU_DEP_2) | instskip(SKIP_2) | instid1(VALU_DEP_2)
	v_cmp_gt_u32_e64 s13, 0x72, v8
	v_sub_nc_u32_e32 v0, 0x71, v8
	v_cmp_eq_u32_e32 vcc_lo, 0, v8
	v_cndmask_b32_e64 v0, 0, v0, s13
	s_delay_alu instid0(VALU_DEP_1) | instskip(SKIP_1) | instid1(VALU_DEP_2)
	v_cndmask_b32_e64 v9, v0, 0x70, vcc_lo
	v_cndmask_b32_e32 v0, v1, v112, vcc_lo
	v_dual_mov_b32 v1, v113 :: v_dual_add_nc_u32 v2, 21, v9
	v_add_nc_u32_e32 v12, 20, v9
	s_delay_alu instid0(VALU_DEP_2) | instskip(NEXT) | instid1(VALU_DEP_2)
	v_lshlrev_b64_e64 v[2:3], v2, -1
	v_lshlrev_b64_e64 v[12:13], v12, 1
	s_delay_alu instid0(VALU_DEP_2) | instskip(SKIP_1) | instid1(VALU_DEP_4)
	v_bfi_b32 v2, v2, 0, v0
	v_lshrrev_b64 v[0:1], v9, v[0:1]
	v_bfi_b32 v3, v3, 0, 0
	s_delay_alu instid0(VALU_DEP_1) | instskip(NEXT) | instid1(VALU_DEP_3)
	v_cmp_eq_u64_e64 s13, v[2:3], v[12:13]
	v_mov_b64_e32 v[2:3], v[0:1]
	s_and_saveexec_b32 s78, s13
; %bb.6662:                             ;   in Loop: Header=BB6_5830 Depth=4
	v_bfe_u32 v2, v0, 21, 1
	v_mov_b32_e32 v3, v113
	s_delay_alu instid0(VALU_DEP_1) | instskip(NEXT) | instid1(VALU_DEP_1)
	v_add_nc_u64_e32 v[2:3], v[0:1], v[2:3]
	v_add_nc_u64_e32 v[2:3], -1, v[2:3]
; %bb.6663:                             ;   in Loop: Header=BB6_5830 Depth=4
	s_or_b32 exec_lo, exec_lo, s78
	v_add_nc_u32_e32 v1, 0xffffff81, v8
	v_lshrrev_b32_e32 v3, 23, v0
	s_mov_b32 s13, exec_lo
	s_delay_alu instid0(VALU_DEP_2) | instskip(NEXT) | instid1(VALU_DEP_1)
	v_cndmask_b32_e64 v1, v1, 0xffffff82, vcc_lo
	v_add3_u32 v3, v9, v1, v3
	v_and_b32_e32 v1, 0x1fffff, v2
                                        ; implicit-def: $vgpr2
	s_delay_alu instid0(VALU_DEP_1) | instskip(NEXT) | instid1(VALU_DEP_1)
	v_dual_add_nc_u32 v8, 14, v3 :: v_dual_add_nc_u32 v112, v1, v0
                                        ; implicit-def: $vgpr0_vgpr1
	v_cmpx_ne_u32_e32 0, v8
	s_xor_b32 s13, exec_lo, s13
; %bb.6664:                             ;   in Loop: Header=BB6_5830 Depth=4
	s_delay_alu instid0(VALU_DEP_2) | instskip(SKIP_1) | instid1(VALU_DEP_1)
	v_cmp_lt_u64_e32 vcc_lo, 0xffffff, v[112:113]
	v_add_nc_u32_e32 v0, 15, v3
	v_cndmask_b32_e32 v2, v8, v0, vcc_lo
	v_cndmask_b32_e64 v0, 0, 1, vcc_lo
	s_delay_alu instid0(VALU_DEP_1)
	v_lshrrev_b64 v[0:1], v0, v[112:113]
; %bb.6665:                             ;   in Loop: Header=BB6_5830 Depth=4
	s_and_not1_saveexec_b32 s13, s13
; %bb.6666:                             ;   in Loop: Header=BB6_5830 Depth=4
	v_mov_b64_e32 v[0:1], v[112:113]
	v_bfe_u32 v2, v112, 23, 1
; %bb.6667:                             ;   in Loop: Header=BB6_5830 Depth=4
	s_or_b32 exec_lo, exec_lo, s13
	s_delay_alu instid0(VALU_DEP_2) | instskip(NEXT) | instid1(VALU_DEP_2)
	v_lshrrev_b64 v[0:1], 21, v[0:1]
	v_cmp_gt_i32_e32 vcc_lo, 32, v2
	v_min_i32_e32 v3, 31, v2
	v_cmp_eq_u32_e64 s13, 0, v2
	s_delay_alu instid0(VALU_DEP_2) | instskip(SKIP_1) | instid1(VALU_DEP_2)
	v_dual_cndmask_b32 v1, 0, v1, vcc_lo :: v_dual_lshlrev_b32 v3, 2, v3
	v_cndmask_b32_e32 v0, 3, v0, vcc_lo
	v_and_b32_e32 v3, 0xfc, v3
	s_delay_alu instid0(VALU_DEP_2) | instskip(NEXT) | instid1(VALU_DEP_2)
	v_cmp_eq_u64_e32 vcc_lo, 0, v[0:1]
	v_and_or_b32 v0, v0, 3, v3
	s_and_b32 s13, s13, vcc_lo
	s_delay_alu instid0(VALU_DEP_1) | instid1(SALU_CYCLE_1)
	v_cndmask_b32_e64 v0, v0, 0, s13
	s_delay_alu instid0(VALU_DEP_1)
	v_or_b32_e32 v115, v0, v7
.LBB6_6668:                             ;   in Loop: Header=BB6_5830 Depth=4
	s_or_b32 exec_lo, exec_lo, s77
                                        ; implicit-def: $vgpr7
.LBB6_6669:                             ;   in Loop: Header=BB6_5830 Depth=4
	s_and_not1_saveexec_b32 s13, s76
; %bb.6670:                             ;   in Loop: Header=BB6_5830 Depth=4
	v_or_b32_e32 v115, 0x7b, v7
; %bb.6671:                             ;   in Loop: Header=BB6_5830 Depth=4
	s_or_b32 exec_lo, exec_lo, s13
                                        ; implicit-def: $vgpr0
                                        ; implicit-def: $vgpr1
.LBB6_6672:                             ;   in Loop: Header=BB6_5830 Depth=4
	s_and_not1_saveexec_b32 s13, s75
	s_cbranch_execz .LBB6_6678
; %bb.6673:                             ;   in Loop: Header=BB6_5830 Depth=4
	s_mov_b32 s75, exec_lo
                                        ; implicit-def: $vgpr115
	v_cmpx_ne_u64_e32 0, v[112:113]
	s_xor_b32 s75, exec_lo, s75
; %bb.6674:                             ;   in Loop: Header=BB6_5830 Depth=4
	v_or_b32_e32 v115, 0x7f, v1
                                        ; implicit-def: $vgpr0
; %bb.6675:                             ;   in Loop: Header=BB6_5830 Depth=4
	s_and_not1_saveexec_b32 s75, s75
; %bb.6676:                             ;   in Loop: Header=BB6_5830 Depth=4
	v_cmp_lt_i32_e32 vcc_lo, -1, v0
	v_mov_b32_e32 v0, 0x7c
	s_delay_alu instid0(VALU_DEP_1)
	v_cndmask_b32_e32 v115, 0xfc, v0, vcc_lo
; %bb.6677:                             ;   in Loop: Header=BB6_5830 Depth=4
	s_or_b32 exec_lo, exec_lo, s75
.LBB6_6678:                             ;   in Loop: Header=BB6_5830 Depth=4
	s_delay_alu instid0(SALU_CYCLE_1) | instskip(SKIP_3) | instid1(VALU_DEP_2)
	s_or_b32 exec_lo, exec_lo, s13
	v_and_b32_e32 v0, 0xff, v11
	v_dual_mov_b32 v112, v11 :: v_dual_mov_b32 v1, 0
	s_mov_b32 s13, exec_lo
	v_cmpx_ne_u16_e32 0, v0
	s_cbranch_execz .LBB6_6688
; %bb.6679:                             ;   in Loop: Header=BB6_5830 Depth=4
	v_bfrev_b32_e32 v1, 1
	s_mov_b32 s75, exec_lo
	v_cmpx_ne_u16_e32 0x80, v0
	s_cbranch_execz .LBB6_6687
; %bb.6680:                             ;   in Loop: Header=BB6_5830 Depth=4
	v_and_b32_e32 v1, 0x7c, v11
	v_and_b32_e32 v0, 3, v11
	s_delay_alu instid0(VALU_DEP_2) | instskip(SKIP_1) | instid1(SALU_CYCLE_1)
	v_cmp_ne_u32_e32 vcc_lo, 0x7c, v1
                                        ; implicit-def: $vgpr1
	s_and_saveexec_b32 s76, vcc_lo
	s_xor_b32 s76, exec_lo, s76
	s_cbranch_execz .LBB6_6684
; %bb.6681:                             ;   in Loop: Header=BB6_5830 Depth=4
	v_bfe_u32 v1, v11, 2, 5
	s_mov_b32 s77, exec_lo
	s_delay_alu instid0(VALU_DEP_1)
	v_cmpx_eq_u32_e32 0, v1
; %bb.6682:                             ;   in Loop: Header=BB6_5830 Depth=4
	v_clz_i32_u32_e32 v0, v0
	s_delay_alu instid0(VALU_DEP_1) | instskip(NEXT) | instid1(VALU_DEP_1)
	v_min_u32_e32 v2, 32, v0
	v_subrev_nc_u32_e32 v0, 29, v2
	s_delay_alu instid0(VALU_DEP_1) | instskip(NEXT) | instid1(VALU_DEP_1)
	v_lshlrev_b64_e32 v[0:1], v0, v[112:113]
	v_dual_sub_nc_u32 v1, 30, v2 :: v_dual_bitop2_b32 v0, 3, v0 bitop3:0x40
; %bb.6683:                             ;   in Loop: Header=BB6_5830 Depth=4
	s_or_b32 exec_lo, exec_lo, s77
	v_lshlrev_b32_e32 v2, 24, v11
	s_delay_alu instid0(VALU_DEP_1) | instskip(NEXT) | instid1(VALU_DEP_1)
	v_and_b32_e32 v2, 0x80000000, v2
	v_lshl_add_u32 v1, v1, 23, v2
	s_delay_alu instid0(VALU_DEP_1) | instskip(NEXT) | instid1(VALU_DEP_1)
	v_lshl_or_b32 v0, v0, 21, v1
	v_add_nc_u32_e32 v1, 0x38000000, v0
                                        ; implicit-def: $vgpr0
.LBB6_6684:                             ;   in Loop: Header=BB6_5830 Depth=4
	s_and_not1_saveexec_b32 s76, s76
; %bb.6685:                             ;   in Loop: Header=BB6_5830 Depth=4
	v_bfe_i32 v1, v11, 0, 8
	s_delay_alu instid0(VALU_DEP_1) | instskip(SKIP_1) | instid1(VALU_DEP_1)
	v_cmp_lt_i16_e32 vcc_lo, -1, v1
	v_mov_b32_e32 v1, 0x7f800000
	v_cndmask_b32_e32 v1, 0xff800000, v1, vcc_lo
	v_cmp_eq_u32_e32 vcc_lo, 0, v0
	s_delay_alu instid0(VALU_DEP_2)
	v_cndmask_b32_e32 v1, 0x7f800001, v1, vcc_lo
; %bb.6686:                             ;   in Loop: Header=BB6_5830 Depth=4
	s_or_b32 exec_lo, exec_lo, s76
.LBB6_6687:                             ;   in Loop: Header=BB6_5830 Depth=4
	s_delay_alu instid0(SALU_CYCLE_1)
	s_or_b32 exec_lo, exec_lo, s75
.LBB6_6688:                             ;   in Loop: Header=BB6_5830 Depth=4
	s_delay_alu instid0(SALU_CYCLE_1) | instskip(NEXT) | instid1(VALU_DEP_1)
	s_or_b32 exec_lo, exec_lo, s13
	v_dual_mul_f32 v2, s74, v1 :: v_dual_mov_b32 v9, v113
	v_mov_b32_e32 v1, v113
                                        ; implicit-def: $vgpr71
	s_mov_b32 s13, exec_lo
	s_delay_alu instid0(VALU_DEP_2) | instskip(SKIP_2) | instid1(VALU_DEP_3)
	v_and_b32_e32 v8, 0x7f800000, v2
	v_and_b32_e32 v0, 0x7fffff, v2
	v_lshrrev_b32_e32 v3, 24, v2
	v_cmpx_ne_u64_e32 0x7f800000, v[8:9]
	s_xor_b32 s75, exec_lo, s13
	s_cbranch_execz .LBB6_6702
; %bb.6689:                             ;   in Loop: Header=BB6_5830 Depth=4
	v_and_b32_e32 v8, 0x7fffffff, v2
	v_mov_b32_e32 v9, v113
	v_and_b32_e32 v7, 0x80, v3
                                        ; implicit-def: $vgpr71
	s_mov_b32 s13, exec_lo
	s_delay_alu instid0(VALU_DEP_2)
	v_cmpx_gt_u64_e32 0x47600001, v[8:9]
	s_xor_b32 s76, exec_lo, s13
	s_cbranch_execz .LBB6_6699
; %bb.6690:                             ;   in Loop: Header=BB6_5830 Depth=4
	v_mov_b32_e32 v71, 0
	s_mov_b32 s77, exec_lo
	v_cmpx_ne_u32_e32 0, v2
	s_cbranch_execz .LBB6_6698
; %bb.6691:                             ;   in Loop: Header=BB6_5830 Depth=4
	v_bfe_u32 v8, v2, 23, 8
	v_or_b32_e32 v3, 0x800000, v0
	s_delay_alu instid0(VALU_DEP_2) | instskip(SKIP_2) | instid1(VALU_DEP_2)
	v_cmp_gt_u32_e64 s13, 0x72, v8
	v_sub_nc_u32_e32 v2, 0x71, v8
	v_cmp_eq_u32_e32 vcc_lo, 0, v8
	v_dual_cndmask_b32 v2, 0, v2, s13 :: v_dual_cndmask_b32 v0, v3, v0, vcc_lo
	s_delay_alu instid0(VALU_DEP_1) | instskip(NEXT) | instid1(VALU_DEP_1)
	v_cndmask_b32_e64 v9, v2, 0x70, vcc_lo
	v_dual_add_nc_u32 v2, 21, v9 :: v_dual_add_nc_u32 v12, 20, v9
	s_delay_alu instid0(VALU_DEP_1) | instskip(NEXT) | instid1(VALU_DEP_2)
	v_lshlrev_b64_e64 v[2:3], v2, -1
	v_lshlrev_b64_e64 v[12:13], v12, 1
	s_delay_alu instid0(VALU_DEP_2) | instskip(SKIP_1) | instid1(VALU_DEP_4)
	v_bfi_b32 v2, v2, 0, v0
	v_lshrrev_b64 v[0:1], v9, v[0:1]
	v_bfi_b32 v3, v3, 0, 0
	s_delay_alu instid0(VALU_DEP_1) | instskip(NEXT) | instid1(VALU_DEP_3)
	v_cmp_eq_u64_e64 s13, v[2:3], v[12:13]
	v_mov_b64_e32 v[2:3], v[0:1]
	s_and_saveexec_b32 s78, s13
; %bb.6692:                             ;   in Loop: Header=BB6_5830 Depth=4
	v_bfe_u32 v2, v0, 21, 1
	v_mov_b32_e32 v3, v113
	s_delay_alu instid0(VALU_DEP_1) | instskip(NEXT) | instid1(VALU_DEP_1)
	v_add_nc_u64_e32 v[2:3], v[0:1], v[2:3]
	v_add_nc_u64_e32 v[2:3], -1, v[2:3]
; %bb.6693:                             ;   in Loop: Header=BB6_5830 Depth=4
	s_or_b32 exec_lo, exec_lo, s78
	v_add_nc_u32_e32 v1, 0xffffff81, v8
	v_lshrrev_b32_e32 v3, 23, v0
	s_mov_b32 s13, exec_lo
	s_delay_alu instid0(VALU_DEP_2) | instskip(NEXT) | instid1(VALU_DEP_1)
	v_cndmask_b32_e64 v1, v1, 0xffffff82, vcc_lo
	v_add3_u32 v8, v9, v1, v3
	v_and_b32_e32 v1, 0x1fffff, v2
                                        ; implicit-def: $vgpr2
	s_delay_alu instid0(VALU_DEP_2) | instskip(NEXT) | instid1(VALU_DEP_2)
	v_add_nc_u32_e32 v3, 14, v8
	v_add_nc_u32_e32 v0, v1, v0
	v_mov_b32_e32 v1, v113
	s_delay_alu instid0(VALU_DEP_3)
	v_cmpx_ne_u32_e32 0, v3
	s_xor_b32 s13, exec_lo, s13
; %bb.6694:                             ;   in Loop: Header=BB6_5830 Depth=4
	s_delay_alu instid0(VALU_DEP_2) | instskip(SKIP_1) | instid1(VALU_DEP_1)
	v_cmp_lt_u64_e32 vcc_lo, 0xffffff, v[0:1]
	v_add_nc_u32_e32 v2, 15, v8
	v_cndmask_b32_e32 v2, v3, v2, vcc_lo
	v_cndmask_b32_e64 v3, 0, 1, vcc_lo
	s_delay_alu instid0(VALU_DEP_1)
	v_lshrrev_b64 v[0:1], v3, v[0:1]
; %bb.6695:                             ;   in Loop: Header=BB6_5830 Depth=4
	s_and_not1_saveexec_b32 s13, s13
; %bb.6696:                             ;   in Loop: Header=BB6_5830 Depth=4
	s_delay_alu instid0(VALU_DEP_1)
	v_bfe_u32 v2, v0, 23, 1
; %bb.6697:                             ;   in Loop: Header=BB6_5830 Depth=4
	s_or_b32 exec_lo, exec_lo, s13
	s_delay_alu instid0(VALU_DEP_2) | instskip(NEXT) | instid1(VALU_DEP_2)
	v_lshrrev_b64 v[0:1], 21, v[0:1]
	v_cmp_gt_i32_e32 vcc_lo, 32, v2
	v_min_i32_e32 v3, 31, v2
	v_cmp_eq_u32_e64 s13, 0, v2
	s_delay_alu instid0(VALU_DEP_2) | instskip(SKIP_1) | instid1(VALU_DEP_2)
	v_dual_cndmask_b32 v1, 0, v1, vcc_lo :: v_dual_lshlrev_b32 v3, 2, v3
	v_cndmask_b32_e32 v0, 3, v0, vcc_lo
	v_and_b32_e32 v3, 0xfc, v3
	s_delay_alu instid0(VALU_DEP_2) | instskip(NEXT) | instid1(VALU_DEP_2)
	v_cmp_eq_u64_e32 vcc_lo, 0, v[0:1]
	v_and_or_b32 v0, v0, 3, v3
	s_and_b32 s13, s13, vcc_lo
	s_delay_alu instid0(VALU_DEP_1) | instid1(SALU_CYCLE_1)
	v_cndmask_b32_e64 v0, v0, 0, s13
	s_delay_alu instid0(VALU_DEP_1)
	v_or_b32_e32 v71, v0, v7
.LBB6_6698:                             ;   in Loop: Header=BB6_5830 Depth=4
	s_or_b32 exec_lo, exec_lo, s77
                                        ; implicit-def: $vgpr7
.LBB6_6699:                             ;   in Loop: Header=BB6_5830 Depth=4
	s_and_not1_saveexec_b32 s13, s76
; %bb.6700:                             ;   in Loop: Header=BB6_5830 Depth=4
	v_or_b32_e32 v71, 0x7b, v7
; %bb.6701:                             ;   in Loop: Header=BB6_5830 Depth=4
	s_or_b32 exec_lo, exec_lo, s13
                                        ; implicit-def: $vgpr2
                                        ; implicit-def: $vgpr0_vgpr1
                                        ; implicit-def: $vgpr3
.LBB6_6702:                             ;   in Loop: Header=BB6_5830 Depth=4
	s_and_not1_saveexec_b32 s13, s75
	s_cbranch_execz .LBB6_6708
; %bb.6703:                             ;   in Loop: Header=BB6_5830 Depth=4
	s_mov_b32 s75, exec_lo
                                        ; implicit-def: $vgpr71
	v_cmpx_ne_u64_e32 0, v[0:1]
	s_xor_b32 s75, exec_lo, s75
; %bb.6704:                             ;   in Loop: Header=BB6_5830 Depth=4
	v_or_b32_e32 v71, 0x7f, v3
                                        ; implicit-def: $vgpr2
; %bb.6705:                             ;   in Loop: Header=BB6_5830 Depth=4
	s_and_not1_saveexec_b32 s75, s75
; %bb.6706:                             ;   in Loop: Header=BB6_5830 Depth=4
	v_cmp_lt_i32_e32 vcc_lo, -1, v2
	v_mov_b32_e32 v0, 0x7c
	s_delay_alu instid0(VALU_DEP_1)
	v_cndmask_b32_e32 v71, 0xfc, v0, vcc_lo
; %bb.6707:                             ;   in Loop: Header=BB6_5830 Depth=4
	s_or_b32 exec_lo, exec_lo, s75
.LBB6_6708:                             ;   in Loop: Header=BB6_5830 Depth=4
	s_delay_alu instid0(SALU_CYCLE_1) | instskip(SKIP_3) | instid1(VALU_DEP_2)
	s_or_b32 exec_lo, exec_lo, s13
	v_lshrrev_b16 v0, 8, v112
	v_mov_b32_e32 v2, 0
	s_mov_b32 s13, exec_lo
	v_cmpx_ne_u16_e32 0, v0
	s_cbranch_execz .LBB6_6718
; %bb.6709:                             ;   in Loop: Header=BB6_5830 Depth=4
	v_bfrev_b32_e32 v2, 1
	s_mov_b32 s75, exec_lo
	v_cmpx_ne_u16_e32 0x80, v0
	s_cbranch_execz .LBB6_6717
; %bb.6710:                             ;   in Loop: Header=BB6_5830 Depth=4
	v_and_b32_e32 v3, 0xffff, v0
	s_delay_alu instid0(VALU_DEP_1) | instskip(SKIP_1) | instid1(VALU_DEP_2)
	v_and_b32_e32 v2, 0x7c, v3
	v_and_b32_e32 v1, 3, v3
	v_cmp_ne_u32_e32 vcc_lo, 0x7c, v2
                                        ; implicit-def: $vgpr2
	s_and_saveexec_b32 s76, vcc_lo
	s_delay_alu instid0(SALU_CYCLE_1)
	s_xor_b32 s76, exec_lo, s76
	s_cbranch_execz .LBB6_6714
; %bb.6711:                             ;   in Loop: Header=BB6_5830 Depth=4
	v_bfe_u32 v2, v3, 2, 5
	s_mov_b32 s77, exec_lo
	s_delay_alu instid0(VALU_DEP_1)
	v_cmpx_eq_u32_e32 0, v2
	s_cbranch_execz .LBB6_6713
; %bb.6712:                             ;   in Loop: Header=BB6_5830 Depth=4
	v_clz_i32_u32_e32 v1, v1
	s_delay_alu instid0(VALU_DEP_1) | instskip(SKIP_1) | instid1(VALU_DEP_2)
	v_min_u32_e32 v2, 32, v1
	v_mov_b32_e32 v1, v113
	v_subrev_nc_u32_e32 v3, 29, v2
	v_sub_nc_u32_e32 v2, 30, v2
	s_delay_alu instid0(VALU_DEP_2) | instskip(NEXT) | instid1(VALU_DEP_1)
	v_lshlrev_b64_e32 v[0:1], v3, v[0:1]
	v_and_b32_e32 v1, 3, v0
.LBB6_6713:                             ;   in Loop: Header=BB6_5830 Depth=4
	s_or_b32 exec_lo, exec_lo, s77
	v_lshlrev_b32_e32 v0, 16, v112
	s_delay_alu instid0(VALU_DEP_1) | instskip(NEXT) | instid1(VALU_DEP_1)
	v_and_b32_e32 v0, 0x80000000, v0
	v_lshl_add_u32 v0, v2, 23, v0
	s_delay_alu instid0(VALU_DEP_1) | instskip(NEXT) | instid1(VALU_DEP_1)
	v_lshl_or_b32 v0, v1, 21, v0
                                        ; implicit-def: $vgpr1
	v_add_nc_u32_e32 v2, 0x38000000, v0
.LBB6_6714:                             ;   in Loop: Header=BB6_5830 Depth=4
	s_and_not1_saveexec_b32 s76, s76
; %bb.6715:                             ;   in Loop: Header=BB6_5830 Depth=4
	v_cmp_lt_i16_e32 vcc_lo, -1, v112
	v_mov_b32_e32 v0, 0x7f800000
	s_delay_alu instid0(VALU_DEP_1) | instskip(SKIP_1) | instid1(VALU_DEP_2)
	v_cndmask_b32_e32 v0, 0xff800000, v0, vcc_lo
	v_cmp_eq_u32_e32 vcc_lo, 0, v1
	v_cndmask_b32_e32 v2, 0x7f800001, v0, vcc_lo
; %bb.6716:                             ;   in Loop: Header=BB6_5830 Depth=4
	s_or_b32 exec_lo, exec_lo, s76
.LBB6_6717:                             ;   in Loop: Header=BB6_5830 Depth=4
	s_delay_alu instid0(SALU_CYCLE_1)
	s_or_b32 exec_lo, exec_lo, s75
.LBB6_6718:                             ;   in Loop: Header=BB6_5830 Depth=4
	s_delay_alu instid0(SALU_CYCLE_1) | instskip(NEXT) | instid1(VALU_DEP_1)
	s_or_b32 exec_lo, exec_lo, s13
	v_dual_mul_f32 v0, s74, v2 :: v_dual_mov_b32 v3, v113
                                        ; implicit-def: $vgpr86
	s_mov_b32 s13, exec_lo
	s_delay_alu instid0(VALU_DEP_1) | instskip(SKIP_2) | instid1(VALU_DEP_3)
	v_and_b32_e32 v2, 0x7f800000, v0
	v_and_b32_e32 v112, 0x7fffff, v0
	v_lshrrev_b32_e32 v1, 24, v0
	v_cmpx_ne_u64_e32 0x7f800000, v[2:3]
	s_xor_b32 s75, exec_lo, s13
	s_cbranch_execz .LBB6_6732
; %bb.6719:                             ;   in Loop: Header=BB6_5830 Depth=4
	v_and_b32_e32 v2, 0x7fffffff, v0
	v_mov_b32_e32 v3, v113
	v_and_b32_e32 v7, 0x80, v1
                                        ; implicit-def: $vgpr86
	s_mov_b32 s13, exec_lo
	s_delay_alu instid0(VALU_DEP_2)
	v_cmpx_gt_u64_e32 0x47600001, v[2:3]
	s_xor_b32 s76, exec_lo, s13
	s_cbranch_execz .LBB6_6729
; %bb.6720:                             ;   in Loop: Header=BB6_5830 Depth=4
	v_mov_b32_e32 v86, 0
	s_mov_b32 s77, exec_lo
	v_cmpx_ne_u32_e32 0, v0
	s_cbranch_execz .LBB6_6728
; %bb.6721:                             ;   in Loop: Header=BB6_5830 Depth=4
	v_bfe_u32 v8, v0, 23, 8
	v_or_b32_e32 v1, 0x800000, v112
	s_delay_alu instid0(VALU_DEP_2) | instskip(SKIP_2) | instid1(VALU_DEP_2)
	v_cmp_gt_u32_e64 s13, 0x72, v8
	v_sub_nc_u32_e32 v0, 0x71, v8
	v_cmp_eq_u32_e32 vcc_lo, 0, v8
	v_cndmask_b32_e64 v0, 0, v0, s13
	s_delay_alu instid0(VALU_DEP_1) | instskip(SKIP_1) | instid1(VALU_DEP_2)
	v_cndmask_b32_e64 v9, v0, 0x70, vcc_lo
	v_cndmask_b32_e32 v0, v1, v112, vcc_lo
	v_dual_mov_b32 v1, v113 :: v_dual_add_nc_u32 v2, 21, v9
	v_add_nc_u32_e32 v12, 20, v9
	s_delay_alu instid0(VALU_DEP_2) | instskip(NEXT) | instid1(VALU_DEP_2)
	v_lshlrev_b64_e64 v[2:3], v2, -1
	v_lshlrev_b64_e64 v[12:13], v12, 1
	s_delay_alu instid0(VALU_DEP_2) | instskip(SKIP_1) | instid1(VALU_DEP_4)
	v_bfi_b32 v2, v2, 0, v0
	v_lshrrev_b64 v[0:1], v9, v[0:1]
	v_bfi_b32 v3, v3, 0, 0
	s_delay_alu instid0(VALU_DEP_1) | instskip(NEXT) | instid1(VALU_DEP_3)
	v_cmp_eq_u64_e64 s13, v[2:3], v[12:13]
	v_mov_b64_e32 v[2:3], v[0:1]
	s_and_saveexec_b32 s78, s13
; %bb.6722:                             ;   in Loop: Header=BB6_5830 Depth=4
	v_bfe_u32 v2, v0, 21, 1
	v_mov_b32_e32 v3, v113
	s_delay_alu instid0(VALU_DEP_1) | instskip(NEXT) | instid1(VALU_DEP_1)
	v_add_nc_u64_e32 v[2:3], v[0:1], v[2:3]
	v_add_nc_u64_e32 v[2:3], -1, v[2:3]
; %bb.6723:                             ;   in Loop: Header=BB6_5830 Depth=4
	s_or_b32 exec_lo, exec_lo, s78
	v_add_nc_u32_e32 v1, 0xffffff81, v8
	v_lshrrev_b32_e32 v3, 23, v0
	s_mov_b32 s13, exec_lo
	s_delay_alu instid0(VALU_DEP_2) | instskip(NEXT) | instid1(VALU_DEP_1)
	v_cndmask_b32_e64 v1, v1, 0xffffff82, vcc_lo
	v_add3_u32 v8, v9, v1, v3
	v_and_b32_e32 v1, 0x1fffff, v2
                                        ; implicit-def: $vgpr2
	s_delay_alu instid0(VALU_DEP_2) | instskip(NEXT) | instid1(VALU_DEP_2)
	v_add_nc_u32_e32 v3, 14, v8
	v_add_nc_u32_e32 v112, v1, v0
                                        ; implicit-def: $vgpr0_vgpr1
	s_delay_alu instid0(VALU_DEP_2)
	v_cmpx_ne_u32_e32 0, v3
	s_xor_b32 s13, exec_lo, s13
; %bb.6724:                             ;   in Loop: Header=BB6_5830 Depth=4
	s_delay_alu instid0(VALU_DEP_2) | instskip(SKIP_1) | instid1(VALU_DEP_1)
	v_cmp_lt_u64_e32 vcc_lo, 0xffffff, v[112:113]
	v_add_nc_u32_e32 v0, 15, v8
	v_cndmask_b32_e32 v2, v3, v0, vcc_lo
	v_cndmask_b32_e64 v0, 0, 1, vcc_lo
	s_delay_alu instid0(VALU_DEP_1)
	v_lshrrev_b64 v[0:1], v0, v[112:113]
; %bb.6725:                             ;   in Loop: Header=BB6_5830 Depth=4
	s_and_not1_saveexec_b32 s13, s13
; %bb.6726:                             ;   in Loop: Header=BB6_5830 Depth=4
	v_mov_b64_e32 v[0:1], v[112:113]
	v_bfe_u32 v2, v112, 23, 1
; %bb.6727:                             ;   in Loop: Header=BB6_5830 Depth=4
	s_or_b32 exec_lo, exec_lo, s13
	s_delay_alu instid0(VALU_DEP_2) | instskip(NEXT) | instid1(VALU_DEP_2)
	v_lshrrev_b64 v[0:1], 21, v[0:1]
	v_cmp_gt_i32_e32 vcc_lo, 32, v2
	v_min_i32_e32 v3, 31, v2
	v_cmp_eq_u32_e64 s13, 0, v2
	s_delay_alu instid0(VALU_DEP_2) | instskip(SKIP_1) | instid1(VALU_DEP_2)
	v_dual_cndmask_b32 v1, 0, v1, vcc_lo :: v_dual_lshlrev_b32 v3, 2, v3
	v_cndmask_b32_e32 v0, 3, v0, vcc_lo
	v_and_b32_e32 v3, 0xfc, v3
	s_delay_alu instid0(VALU_DEP_2) | instskip(NEXT) | instid1(VALU_DEP_2)
	v_cmp_eq_u64_e32 vcc_lo, 0, v[0:1]
	v_and_or_b32 v0, v0, 3, v3
	s_and_b32 s13, s13, vcc_lo
	s_delay_alu instid0(VALU_DEP_1) | instid1(SALU_CYCLE_1)
	v_cndmask_b32_e64 v0, v0, 0, s13
	s_delay_alu instid0(VALU_DEP_1)
	v_or_b32_e32 v86, v0, v7
.LBB6_6728:                             ;   in Loop: Header=BB6_5830 Depth=4
	s_or_b32 exec_lo, exec_lo, s77
                                        ; implicit-def: $vgpr7
.LBB6_6729:                             ;   in Loop: Header=BB6_5830 Depth=4
	s_and_not1_saveexec_b32 s13, s76
; %bb.6730:                             ;   in Loop: Header=BB6_5830 Depth=4
	v_or_b32_e32 v86, 0x7b, v7
; %bb.6731:                             ;   in Loop: Header=BB6_5830 Depth=4
	s_or_b32 exec_lo, exec_lo, s13
                                        ; implicit-def: $vgpr0
                                        ; implicit-def: $vgpr1
.LBB6_6732:                             ;   in Loop: Header=BB6_5830 Depth=4
	s_and_not1_saveexec_b32 s13, s75
	s_cbranch_execz .LBB6_6738
; %bb.6733:                             ;   in Loop: Header=BB6_5830 Depth=4
	s_mov_b32 s75, exec_lo
                                        ; implicit-def: $vgpr86
	v_cmpx_ne_u64_e32 0, v[112:113]
	s_xor_b32 s75, exec_lo, s75
; %bb.6734:                             ;   in Loop: Header=BB6_5830 Depth=4
	v_or_b32_e32 v86, 0x7f, v1
                                        ; implicit-def: $vgpr0
; %bb.6735:                             ;   in Loop: Header=BB6_5830 Depth=4
	s_and_not1_saveexec_b32 s75, s75
; %bb.6736:                             ;   in Loop: Header=BB6_5830 Depth=4
	v_cmp_lt_i32_e32 vcc_lo, -1, v0
	v_mov_b32_e32 v0, 0x7c
	s_delay_alu instid0(VALU_DEP_1)
	v_cndmask_b32_e32 v86, 0xfc, v0, vcc_lo
; %bb.6737:                             ;   in Loop: Header=BB6_5830 Depth=4
	s_or_b32 exec_lo, exec_lo, s75
.LBB6_6738:                             ;   in Loop: Header=BB6_5830 Depth=4
	s_delay_alu instid0(SALU_CYCLE_1) | instskip(SKIP_2) | instid1(VALU_DEP_1)
	s_or_b32 exec_lo, exec_lo, s13
	v_dual_lshrrev_b32 v0, 16, v11 :: v_dual_mov_b32 v2, 0
	s_mov_b32 s13, exec_lo
	v_and_b32_e32 v1, 0xff, v0
	s_delay_alu instid0(VALU_DEP_1)
	v_cmpx_ne_u16_e32 0, v1
	s_cbranch_execz .LBB6_6748
; %bb.6739:                             ;   in Loop: Header=BB6_5830 Depth=4
	v_bfrev_b32_e32 v2, 1
	s_mov_b32 s75, exec_lo
	v_cmpx_ne_u16_e32 0x80, v1
	s_cbranch_execz .LBB6_6747
; %bb.6740:                             ;   in Loop: Header=BB6_5830 Depth=4
	v_and_b32_e32 v2, 0x7c0000, v11
	v_bfe_u32 v1, v11, 16, 2
	s_delay_alu instid0(VALU_DEP_2) | instskip(SKIP_1) | instid1(SALU_CYCLE_1)
	v_cmp_ne_u32_e32 vcc_lo, 0x7c0000, v2
                                        ; implicit-def: $vgpr2
	s_and_saveexec_b32 s76, vcc_lo
	s_xor_b32 s76, exec_lo, s76
	s_cbranch_execz .LBB6_6744
; %bb.6741:                             ;   in Loop: Header=BB6_5830 Depth=4
	v_bfe_u32 v2, v11, 18, 5
	s_mov_b32 s77, exec_lo
	s_delay_alu instid0(VALU_DEP_1)
	v_cmpx_eq_u32_e32 0, v2
; %bb.6742:                             ;   in Loop: Header=BB6_5830 Depth=4
	v_clz_i32_u32_e32 v1, v1
	s_delay_alu instid0(VALU_DEP_1) | instskip(NEXT) | instid1(VALU_DEP_1)
	v_min_u32_e32 v1, 32, v1
	v_subrev_nc_u32_e32 v2, 29, v1
	s_delay_alu instid0(VALU_DEP_1) | instskip(NEXT) | instid1(VALU_DEP_1)
	v_lshlrev_b64_e32 v[8:9], v2, v[0:1]
	v_dual_sub_nc_u32 v2, 30, v1 :: v_dual_bitop2_b32 v1, 3, v8 bitop3:0x40
; %bb.6743:                             ;   in Loop: Header=BB6_5830 Depth=4
	s_or_b32 exec_lo, exec_lo, s77
	v_lshlrev_b32_e32 v0, 24, v0
	s_delay_alu instid0(VALU_DEP_1) | instskip(NEXT) | instid1(VALU_DEP_1)
	v_and_b32_e32 v0, 0x80000000, v0
	v_lshl_add_u32 v0, v2, 23, v0
	s_delay_alu instid0(VALU_DEP_1) | instskip(NEXT) | instid1(VALU_DEP_1)
	v_lshl_or_b32 v0, v1, 21, v0
                                        ; implicit-def: $vgpr1
	v_add_nc_u32_e32 v2, 0x38000000, v0
                                        ; implicit-def: $vgpr0
.LBB6_6744:                             ;   in Loop: Header=BB6_5830 Depth=4
	s_and_not1_saveexec_b32 s76, s76
; %bb.6745:                             ;   in Loop: Header=BB6_5830 Depth=4
	v_bfe_i32 v0, v0, 0, 8
	s_delay_alu instid0(VALU_DEP_1) | instskip(SKIP_1) | instid1(VALU_DEP_1)
	v_cmp_lt_i16_e32 vcc_lo, -1, v0
	v_mov_b32_e32 v0, 0x7f800000
	v_cndmask_b32_e32 v0, 0xff800000, v0, vcc_lo
	v_cmp_eq_u32_e32 vcc_lo, 0, v1
	s_delay_alu instid0(VALU_DEP_2)
	v_cndmask_b32_e32 v2, 0x7f800001, v0, vcc_lo
; %bb.6746:                             ;   in Loop: Header=BB6_5830 Depth=4
	s_or_b32 exec_lo, exec_lo, s76
.LBB6_6747:                             ;   in Loop: Header=BB6_5830 Depth=4
	s_delay_alu instid0(SALU_CYCLE_1)
	s_or_b32 exec_lo, exec_lo, s75
.LBB6_6748:                             ;   in Loop: Header=BB6_5830 Depth=4
	s_delay_alu instid0(SALU_CYCLE_1) | instskip(NEXT) | instid1(VALU_DEP_1)
	s_or_b32 exec_lo, exec_lo, s13
	v_dual_mul_f32 v0, s74, v2 :: v_dual_mov_b32 v3, v113
                                        ; implicit-def: $vgpr96
	s_mov_b32 s13, exec_lo
	s_delay_alu instid0(VALU_DEP_1) | instskip(SKIP_2) | instid1(VALU_DEP_3)
	v_and_b32_e32 v2, 0x7f800000, v0
	v_and_b32_e32 v112, 0x7fffff, v0
	v_lshrrev_b32_e32 v1, 24, v0
	v_cmpx_ne_u64_e32 0x7f800000, v[2:3]
	s_xor_b32 s75, exec_lo, s13
	s_cbranch_execz .LBB6_6762
; %bb.6749:                             ;   in Loop: Header=BB6_5830 Depth=4
	v_and_b32_e32 v2, 0x7fffffff, v0
	v_mov_b32_e32 v3, v113
	v_and_b32_e32 v7, 0x80, v1
                                        ; implicit-def: $vgpr96
	s_mov_b32 s13, exec_lo
	s_delay_alu instid0(VALU_DEP_2)
	v_cmpx_gt_u64_e32 0x47600001, v[2:3]
	s_xor_b32 s76, exec_lo, s13
	s_cbranch_execz .LBB6_6759
; %bb.6750:                             ;   in Loop: Header=BB6_5830 Depth=4
	v_mov_b32_e32 v96, 0
	s_mov_b32 s77, exec_lo
	v_cmpx_ne_u32_e32 0, v0
	s_cbranch_execz .LBB6_6758
; %bb.6751:                             ;   in Loop: Header=BB6_5830 Depth=4
	v_bfe_u32 v8, v0, 23, 8
	v_or_b32_e32 v1, 0x800000, v112
	s_delay_alu instid0(VALU_DEP_2) | instskip(SKIP_2) | instid1(VALU_DEP_2)
	v_cmp_gt_u32_e64 s13, 0x72, v8
	v_sub_nc_u32_e32 v0, 0x71, v8
	v_cmp_eq_u32_e32 vcc_lo, 0, v8
	v_cndmask_b32_e64 v0, 0, v0, s13
	s_delay_alu instid0(VALU_DEP_1) | instskip(SKIP_1) | instid1(VALU_DEP_2)
	v_cndmask_b32_e64 v9, v0, 0x70, vcc_lo
	v_cndmask_b32_e32 v0, v1, v112, vcc_lo
	v_dual_mov_b32 v1, v113 :: v_dual_add_nc_u32 v2, 21, v9
	v_add_nc_u32_e32 v12, 20, v9
	s_delay_alu instid0(VALU_DEP_2) | instskip(NEXT) | instid1(VALU_DEP_2)
	v_lshlrev_b64_e64 v[2:3], v2, -1
	v_lshlrev_b64_e64 v[12:13], v12, 1
	s_delay_alu instid0(VALU_DEP_2) | instskip(SKIP_1) | instid1(VALU_DEP_4)
	v_bfi_b32 v2, v2, 0, v0
	v_lshrrev_b64 v[0:1], v9, v[0:1]
	v_bfi_b32 v3, v3, 0, 0
	s_delay_alu instid0(VALU_DEP_1) | instskip(NEXT) | instid1(VALU_DEP_3)
	v_cmp_eq_u64_e64 s13, v[2:3], v[12:13]
	v_mov_b64_e32 v[2:3], v[0:1]
	s_and_saveexec_b32 s78, s13
; %bb.6752:                             ;   in Loop: Header=BB6_5830 Depth=4
	v_bfe_u32 v2, v0, 21, 1
	v_mov_b32_e32 v3, v113
	s_delay_alu instid0(VALU_DEP_1) | instskip(NEXT) | instid1(VALU_DEP_1)
	v_add_nc_u64_e32 v[2:3], v[0:1], v[2:3]
	v_add_nc_u64_e32 v[2:3], -1, v[2:3]
; %bb.6753:                             ;   in Loop: Header=BB6_5830 Depth=4
	s_or_b32 exec_lo, exec_lo, s78
	v_add_nc_u32_e32 v1, 0xffffff81, v8
	v_lshrrev_b32_e32 v3, 23, v0
	s_mov_b32 s13, exec_lo
	s_delay_alu instid0(VALU_DEP_2) | instskip(NEXT) | instid1(VALU_DEP_1)
	v_cndmask_b32_e64 v1, v1, 0xffffff82, vcc_lo
	v_add3_u32 v8, v9, v1, v3
	v_and_b32_e32 v1, 0x1fffff, v2
                                        ; implicit-def: $vgpr2
	s_delay_alu instid0(VALU_DEP_2) | instskip(NEXT) | instid1(VALU_DEP_2)
	v_add_nc_u32_e32 v3, 14, v8
	v_add_nc_u32_e32 v112, v1, v0
                                        ; implicit-def: $vgpr0_vgpr1
	s_delay_alu instid0(VALU_DEP_2)
	v_cmpx_ne_u32_e32 0, v3
	s_xor_b32 s13, exec_lo, s13
; %bb.6754:                             ;   in Loop: Header=BB6_5830 Depth=4
	s_delay_alu instid0(VALU_DEP_2) | instskip(SKIP_1) | instid1(VALU_DEP_1)
	v_cmp_lt_u64_e32 vcc_lo, 0xffffff, v[112:113]
	v_add_nc_u32_e32 v0, 15, v8
	v_cndmask_b32_e32 v2, v3, v0, vcc_lo
	v_cndmask_b32_e64 v0, 0, 1, vcc_lo
	s_delay_alu instid0(VALU_DEP_1)
	v_lshrrev_b64 v[0:1], v0, v[112:113]
; %bb.6755:                             ;   in Loop: Header=BB6_5830 Depth=4
	s_and_not1_saveexec_b32 s13, s13
; %bb.6756:                             ;   in Loop: Header=BB6_5830 Depth=4
	v_mov_b64_e32 v[0:1], v[112:113]
	v_bfe_u32 v2, v112, 23, 1
; %bb.6757:                             ;   in Loop: Header=BB6_5830 Depth=4
	s_or_b32 exec_lo, exec_lo, s13
	s_delay_alu instid0(VALU_DEP_2) | instskip(NEXT) | instid1(VALU_DEP_2)
	v_lshrrev_b64 v[0:1], 21, v[0:1]
	v_cmp_gt_i32_e32 vcc_lo, 32, v2
	v_min_i32_e32 v3, 31, v2
	v_cmp_eq_u32_e64 s13, 0, v2
	s_delay_alu instid0(VALU_DEP_2) | instskip(SKIP_1) | instid1(VALU_DEP_2)
	v_dual_cndmask_b32 v1, 0, v1, vcc_lo :: v_dual_lshlrev_b32 v3, 2, v3
	v_cndmask_b32_e32 v0, 3, v0, vcc_lo
	v_and_b32_e32 v3, 0xfc, v3
	s_delay_alu instid0(VALU_DEP_2) | instskip(NEXT) | instid1(VALU_DEP_2)
	v_cmp_eq_u64_e32 vcc_lo, 0, v[0:1]
	v_and_or_b32 v0, v0, 3, v3
	s_and_b32 s13, s13, vcc_lo
	s_delay_alu instid0(VALU_DEP_1) | instid1(SALU_CYCLE_1)
	v_cndmask_b32_e64 v0, v0, 0, s13
	s_delay_alu instid0(VALU_DEP_1)
	v_or_b32_e32 v96, v0, v7
.LBB6_6758:                             ;   in Loop: Header=BB6_5830 Depth=4
	s_or_b32 exec_lo, exec_lo, s77
                                        ; implicit-def: $vgpr7
.LBB6_6759:                             ;   in Loop: Header=BB6_5830 Depth=4
	s_and_not1_saveexec_b32 s13, s76
; %bb.6760:                             ;   in Loop: Header=BB6_5830 Depth=4
	v_or_b32_e32 v96, 0x7b, v7
; %bb.6761:                             ;   in Loop: Header=BB6_5830 Depth=4
	s_or_b32 exec_lo, exec_lo, s13
                                        ; implicit-def: $vgpr0
                                        ; implicit-def: $vgpr1
.LBB6_6762:                             ;   in Loop: Header=BB6_5830 Depth=4
	s_and_not1_saveexec_b32 s13, s75
	s_cbranch_execz .LBB6_6768
; %bb.6763:                             ;   in Loop: Header=BB6_5830 Depth=4
	s_mov_b32 s75, exec_lo
                                        ; implicit-def: $vgpr96
	v_cmpx_ne_u64_e32 0, v[112:113]
	s_xor_b32 s75, exec_lo, s75
; %bb.6764:                             ;   in Loop: Header=BB6_5830 Depth=4
	v_or_b32_e32 v96, 0x7f, v1
                                        ; implicit-def: $vgpr0
; %bb.6765:                             ;   in Loop: Header=BB6_5830 Depth=4
	s_and_not1_saveexec_b32 s75, s75
; %bb.6766:                             ;   in Loop: Header=BB6_5830 Depth=4
	v_cmp_lt_i32_e32 vcc_lo, -1, v0
	v_mov_b32_e32 v0, 0x7c
	s_delay_alu instid0(VALU_DEP_1)
	v_cndmask_b32_e32 v96, 0xfc, v0, vcc_lo
; %bb.6767:                             ;   in Loop: Header=BB6_5830 Depth=4
	s_or_b32 exec_lo, exec_lo, s75
.LBB6_6768:                             ;   in Loop: Header=BB6_5830 Depth=4
	s_delay_alu instid0(SALU_CYCLE_1)
	s_or_b32 exec_lo, exec_lo, s13
	v_mov_b32_e32 v1, 0
	s_mov_b32 s13, exec_lo
	v_cmpx_lt_u64_e64 s[22:23], v[10:11]
	s_cbranch_execz .LBB6_6778
; %bb.6769:                             ;   in Loop: Header=BB6_5830 Depth=4
	v_lshrrev_b32_e32 v0, 24, v11
	v_bfrev_b32_e32 v1, 1
	s_mov_b32 s75, exec_lo
	s_delay_alu instid0(VALU_DEP_2)
	v_cmpx_ne_u32_e32 0x80, v0
	s_cbranch_execz .LBB6_6777
; %bb.6770:                             ;   in Loop: Header=BB6_5830 Depth=4
	v_and_b32_e32 v1, 0x7c000000, v11
	v_bfe_u32 v2, v11, 24, 2
	s_delay_alu instid0(VALU_DEP_2) | instskip(SKIP_1) | instid1(SALU_CYCLE_1)
	v_cmp_ne_u32_e32 vcc_lo, 0x7c000000, v1
                                        ; implicit-def: $vgpr1
	s_and_saveexec_b32 s76, vcc_lo
	s_xor_b32 s76, exec_lo, s76
	s_cbranch_execz .LBB6_6774
; %bb.6771:                             ;   in Loop: Header=BB6_5830 Depth=4
	v_bfe_u32 v1, v11, 26, 5
	s_mov_b32 s77, exec_lo
	s_delay_alu instid0(VALU_DEP_1)
	v_cmpx_eq_u32_e32 0, v1
; %bb.6772:                             ;   in Loop: Header=BB6_5830 Depth=4
	v_clz_i32_u32_e32 v1, v2
	s_delay_alu instid0(VALU_DEP_1) | instskip(NEXT) | instid1(VALU_DEP_1)
	v_min_u32_e32 v2, 32, v1
	v_subrev_nc_u32_e32 v1, 29, v2
	s_delay_alu instid0(VALU_DEP_1) | instskip(NEXT) | instid1(VALU_DEP_1)
	v_lshlrev_b64_e32 v[0:1], v1, v[0:1]
	v_dual_sub_nc_u32 v1, 30, v2 :: v_dual_bitop2_b32 v2, 3, v0 bitop3:0x40
; %bb.6773:                             ;   in Loop: Header=BB6_5830 Depth=4
	s_or_b32 exec_lo, exec_lo, s77
	v_and_b32_e32 v0, 0x80000000, v11
                                        ; implicit-def: $vgpr10_vgpr11
	s_delay_alu instid0(VALU_DEP_1) | instskip(NEXT) | instid1(VALU_DEP_1)
	v_lshl_add_u32 v0, v1, 23, v0
	v_lshl_or_b32 v0, v2, 21, v0
                                        ; implicit-def: $vgpr2
	s_delay_alu instid0(VALU_DEP_1)
	v_add_nc_u32_e32 v1, 0x38000000, v0
.LBB6_6774:                             ;   in Loop: Header=BB6_5830 Depth=4
	s_and_not1_saveexec_b32 s76, s76
; %bb.6775:                             ;   in Loop: Header=BB6_5830 Depth=4
	v_cmp_lt_i64_e32 vcc_lo, -1, v[10:11]
	v_mov_b32_e32 v0, 0x7f800000
	s_delay_alu instid0(VALU_DEP_1) | instskip(SKIP_1) | instid1(VALU_DEP_2)
	v_cndmask_b32_e32 v0, 0xff800000, v0, vcc_lo
	v_cmp_eq_u32_e32 vcc_lo, 0, v2
	v_cndmask_b32_e32 v1, 0x7f800001, v0, vcc_lo
; %bb.6776:                             ;   in Loop: Header=BB6_5830 Depth=4
	s_or_b32 exec_lo, exec_lo, s76
.LBB6_6777:                             ;   in Loop: Header=BB6_5830 Depth=4
	s_delay_alu instid0(SALU_CYCLE_1)
	s_or_b32 exec_lo, exec_lo, s75
.LBB6_6778:                             ;   in Loop: Header=BB6_5830 Depth=4
	s_delay_alu instid0(SALU_CYCLE_1) | instskip(NEXT) | instid1(VALU_DEP_1)
	s_or_b32 exec_lo, exec_lo, s13
	v_dual_mul_f32 v0, s74, v1 :: v_dual_mov_b32 v3, v113
                                        ; implicit-def: $vgpr100
	s_mov_b32 s13, exec_lo
	s_delay_alu instid0(VALU_DEP_1) | instskip(SKIP_2) | instid1(VALU_DEP_3)
	v_and_b32_e32 v2, 0x7f800000, v0
	v_and_b32_e32 v112, 0x7fffff, v0
	v_lshrrev_b32_e32 v1, 24, v0
	v_cmpx_ne_u64_e32 0x7f800000, v[2:3]
	s_xor_b32 s75, exec_lo, s13
	s_cbranch_execz .LBB6_6792
; %bb.6779:                             ;   in Loop: Header=BB6_5830 Depth=4
	v_and_b32_e32 v2, 0x7fffffff, v0
	v_mov_b32_e32 v3, v113
	v_and_b32_e32 v7, 0x80, v1
                                        ; implicit-def: $vgpr100
	s_mov_b32 s13, exec_lo
	s_delay_alu instid0(VALU_DEP_2)
	v_cmpx_gt_u64_e32 0x47600001, v[2:3]
	s_xor_b32 s76, exec_lo, s13
	s_cbranch_execz .LBB6_6789
; %bb.6780:                             ;   in Loop: Header=BB6_5830 Depth=4
	v_mov_b32_e32 v100, 0
	s_mov_b32 s77, exec_lo
	v_cmpx_ne_u32_e32 0, v0
	s_cbranch_execz .LBB6_6788
; %bb.6781:                             ;   in Loop: Header=BB6_5830 Depth=4
	v_bfe_u32 v8, v0, 23, 8
	v_or_b32_e32 v1, 0x800000, v112
	s_delay_alu instid0(VALU_DEP_2) | instskip(SKIP_2) | instid1(VALU_DEP_2)
	v_cmp_gt_u32_e64 s13, 0x72, v8
	v_sub_nc_u32_e32 v0, 0x71, v8
	v_cmp_eq_u32_e32 vcc_lo, 0, v8
	v_cndmask_b32_e64 v0, 0, v0, s13
	s_delay_alu instid0(VALU_DEP_1) | instskip(SKIP_1) | instid1(VALU_DEP_2)
	v_cndmask_b32_e64 v9, v0, 0x70, vcc_lo
	v_cndmask_b32_e32 v0, v1, v112, vcc_lo
	v_dual_mov_b32 v1, v113 :: v_dual_add_nc_u32 v2, 21, v9
	v_add_nc_u32_e32 v10, 20, v9
	s_delay_alu instid0(VALU_DEP_2) | instskip(NEXT) | instid1(VALU_DEP_2)
	v_lshlrev_b64_e64 v[2:3], v2, -1
	v_lshlrev_b64_e64 v[10:11], v10, 1
	s_delay_alu instid0(VALU_DEP_2) | instskip(SKIP_1) | instid1(VALU_DEP_4)
	v_bfi_b32 v2, v2, 0, v0
	v_lshrrev_b64 v[0:1], v9, v[0:1]
	v_bfi_b32 v3, v3, 0, 0
	s_delay_alu instid0(VALU_DEP_1) | instskip(NEXT) | instid1(VALU_DEP_3)
	v_cmp_eq_u64_e64 s13, v[2:3], v[10:11]
	v_mov_b64_e32 v[2:3], v[0:1]
	s_and_saveexec_b32 s78, s13
; %bb.6782:                             ;   in Loop: Header=BB6_5830 Depth=4
	v_bfe_u32 v2, v0, 21, 1
	v_mov_b32_e32 v3, v113
	s_delay_alu instid0(VALU_DEP_1) | instskip(NEXT) | instid1(VALU_DEP_1)
	v_add_nc_u64_e32 v[2:3], v[0:1], v[2:3]
	v_add_nc_u64_e32 v[2:3], -1, v[2:3]
; %bb.6783:                             ;   in Loop: Header=BB6_5830 Depth=4
	s_or_b32 exec_lo, exec_lo, s78
	v_add_nc_u32_e32 v1, 0xffffff81, v8
	v_lshrrev_b32_e32 v3, 23, v0
	s_mov_b32 s13, exec_lo
	s_delay_alu instid0(VALU_DEP_2) | instskip(NEXT) | instid1(VALU_DEP_1)
	v_cndmask_b32_e64 v1, v1, 0xffffff82, vcc_lo
	v_add3_u32 v8, v9, v1, v3
	v_and_b32_e32 v1, 0x1fffff, v2
                                        ; implicit-def: $vgpr2
	s_delay_alu instid0(VALU_DEP_2) | instskip(NEXT) | instid1(VALU_DEP_2)
	v_add_nc_u32_e32 v3, 14, v8
	v_add_nc_u32_e32 v112, v1, v0
                                        ; implicit-def: $vgpr0_vgpr1
	s_delay_alu instid0(VALU_DEP_2)
	v_cmpx_ne_u32_e32 0, v3
	s_xor_b32 s13, exec_lo, s13
; %bb.6784:                             ;   in Loop: Header=BB6_5830 Depth=4
	s_delay_alu instid0(VALU_DEP_2) | instskip(SKIP_1) | instid1(VALU_DEP_1)
	v_cmp_lt_u64_e32 vcc_lo, 0xffffff, v[112:113]
	v_add_nc_u32_e32 v0, 15, v8
	v_cndmask_b32_e32 v2, v3, v0, vcc_lo
	v_cndmask_b32_e64 v0, 0, 1, vcc_lo
	s_delay_alu instid0(VALU_DEP_1)
	v_lshrrev_b64 v[0:1], v0, v[112:113]
; %bb.6785:                             ;   in Loop: Header=BB6_5830 Depth=4
	s_and_not1_saveexec_b32 s13, s13
; %bb.6786:                             ;   in Loop: Header=BB6_5830 Depth=4
	v_mov_b64_e32 v[0:1], v[112:113]
	v_bfe_u32 v2, v112, 23, 1
; %bb.6787:                             ;   in Loop: Header=BB6_5830 Depth=4
	s_or_b32 exec_lo, exec_lo, s13
	s_delay_alu instid0(VALU_DEP_2) | instskip(NEXT) | instid1(VALU_DEP_2)
	v_lshrrev_b64 v[0:1], 21, v[0:1]
	v_cmp_gt_i32_e32 vcc_lo, 32, v2
	v_min_i32_e32 v3, 31, v2
	v_cmp_eq_u32_e64 s13, 0, v2
	s_delay_alu instid0(VALU_DEP_2) | instskip(SKIP_1) | instid1(VALU_DEP_2)
	v_dual_cndmask_b32 v1, 0, v1, vcc_lo :: v_dual_lshlrev_b32 v3, 2, v3
	v_cndmask_b32_e32 v0, 3, v0, vcc_lo
	v_and_b32_e32 v3, 0xfc, v3
	s_delay_alu instid0(VALU_DEP_2) | instskip(NEXT) | instid1(VALU_DEP_2)
	v_cmp_eq_u64_e32 vcc_lo, 0, v[0:1]
	v_and_or_b32 v0, v0, 3, v3
	s_and_b32 s13, s13, vcc_lo
	s_delay_alu instid0(VALU_DEP_1) | instid1(SALU_CYCLE_1)
	v_cndmask_b32_e64 v0, v0, 0, s13
	s_delay_alu instid0(VALU_DEP_1)
	v_or_b32_e32 v100, v0, v7
.LBB6_6788:                             ;   in Loop: Header=BB6_5830 Depth=4
	s_or_b32 exec_lo, exec_lo, s77
                                        ; implicit-def: $vgpr7
.LBB6_6789:                             ;   in Loop: Header=BB6_5830 Depth=4
	s_and_not1_saveexec_b32 s13, s76
; %bb.6790:                             ;   in Loop: Header=BB6_5830 Depth=4
	v_or_b32_e32 v100, 0x7b, v7
; %bb.6791:                             ;   in Loop: Header=BB6_5830 Depth=4
	s_or_b32 exec_lo, exec_lo, s13
                                        ; implicit-def: $vgpr0
                                        ; implicit-def: $vgpr1
.LBB6_6792:                             ;   in Loop: Header=BB6_5830 Depth=4
	s_and_not1_saveexec_b32 s13, s75
	s_cbranch_execz .LBB6_6798
; %bb.6793:                             ;   in Loop: Header=BB6_5830 Depth=4
	s_mov_b32 s75, exec_lo
                                        ; implicit-def: $vgpr100
	v_cmpx_ne_u64_e32 0, v[112:113]
	s_xor_b32 s75, exec_lo, s75
; %bb.6794:                             ;   in Loop: Header=BB6_5830 Depth=4
	v_or_b32_e32 v100, 0x7f, v1
                                        ; implicit-def: $vgpr0
; %bb.6795:                             ;   in Loop: Header=BB6_5830 Depth=4
	s_and_not1_saveexec_b32 s75, s75
; %bb.6796:                             ;   in Loop: Header=BB6_5830 Depth=4
	v_cmp_lt_i32_e32 vcc_lo, -1, v0
	v_mov_b32_e32 v0, 0x7c
	s_delay_alu instid0(VALU_DEP_1)
	v_cndmask_b32_e32 v100, 0xfc, v0, vcc_lo
; %bb.6797:                             ;   in Loop: Header=BB6_5830 Depth=4
	s_or_b32 exec_lo, exec_lo, s75
.LBB6_6798:                             ;   in Loop: Header=BB6_5830 Depth=4
	s_delay_alu instid0(SALU_CYCLE_1) | instskip(SKIP_3) | instid1(VALU_DEP_1)
	s_or_b32 exec_lo, exec_lo, s13
	global_load_b128 v[8:11], v[60:61], off offset:1024 th:TH_LOAD_NT
	s_wait_loadcnt 0x0
	v_and_b32_e32 v0, 0xff, v8
	v_cmp_ne_u16_e32 vcc_lo, 0, v0
	v_mov_b32_e32 v0, 0
	s_wait_xcnt 0x0
	s_and_saveexec_b32 s75, vcc_lo
	s_cbranch_execz .LBB6_6808
; %bb.6799:                             ;   in Loop: Header=BB6_5830 Depth=4
	v_bfe_i32 v2, v8, 0, 8
	v_bfrev_b32_e32 v0, 1
	s_mov_b32 s76, exec_lo
	s_delay_alu instid0(VALU_DEP_2)
	v_cmpx_ne_u16_e32 0xff80, v2
	s_cbranch_execz .LBB6_6807
; %bb.6800:                             ;   in Loop: Header=BB6_5830 Depth=4
	v_and_b32_e32 v0, 0x7c, v8
	v_and_b32_e32 v1, 3, v8
	s_delay_alu instid0(VALU_DEP_2) | instskip(SKIP_1) | instid1(SALU_CYCLE_1)
	v_cmp_ne_u32_e32 vcc_lo, 0x7c, v0
                                        ; implicit-def: $vgpr0
	s_and_saveexec_b32 s13, vcc_lo
	s_xor_b32 s13, exec_lo, s13
	s_cbranch_execz .LBB6_6804
; %bb.6801:                             ;   in Loop: Header=BB6_5830 Depth=4
	v_bfe_u32 v0, v8, 2, 5
	s_mov_b32 s77, exec_lo
	s_delay_alu instid0(VALU_DEP_1)
	v_cmpx_eq_u32_e32 0, v0
; %bb.6802:                             ;   in Loop: Header=BB6_5830 Depth=4
	v_clz_i32_u32_e32 v0, v1
	s_delay_alu instid0(VALU_DEP_1) | instskip(NEXT) | instid1(VALU_DEP_1)
	v_min_u32_e32 v0, 32, v0
	v_subrev_nc_u32_e32 v1, 29, v0
	s_delay_alu instid0(VALU_DEP_1) | instskip(NEXT) | instid1(VALU_DEP_1)
	v_lshlrev_b64_e32 v[2:3], v1, v[8:9]
	v_dual_sub_nc_u32 v0, 30, v0 :: v_dual_bitop2_b32 v1, 3, v2 bitop3:0x40
; %bb.6803:                             ;   in Loop: Header=BB6_5830 Depth=4
	s_or_b32 exec_lo, exec_lo, s77
	v_lshlrev_b32_e32 v2, 24, v8
	s_delay_alu instid0(VALU_DEP_1) | instskip(NEXT) | instid1(VALU_DEP_1)
	v_and_b32_e32 v2, 0x80000000, v2
	v_lshl_add_u32 v0, v0, 23, v2
                                        ; implicit-def: $vgpr2
	s_delay_alu instid0(VALU_DEP_1) | instskip(NEXT) | instid1(VALU_DEP_1)
	v_lshl_or_b32 v0, v1, 21, v0
                                        ; implicit-def: $vgpr1
	v_add_nc_u32_e32 v0, 0x38000000, v0
.LBB6_6804:                             ;   in Loop: Header=BB6_5830 Depth=4
	s_and_not1_saveexec_b32 s77, s13
; %bb.6805:                             ;   in Loop: Header=BB6_5830 Depth=4
	v_cmp_lt_i16_e64 s13, -1, v2
	v_mov_b32_e32 v0, 0x7f800000
	v_cmp_eq_u32_e32 vcc_lo, 0, v1
	s_delay_alu instid0(VALU_DEP_2) | instskip(NEXT) | instid1(VALU_DEP_1)
	v_cndmask_b32_e64 v0, 0xff800000, v0, s13
	v_cndmask_b32_e32 v0, 0x7f800001, v0, vcc_lo
; %bb.6806:                             ;   in Loop: Header=BB6_5830 Depth=4
	s_or_b32 exec_lo, exec_lo, s77
.LBB6_6807:                             ;   in Loop: Header=BB6_5830 Depth=4
	s_delay_alu instid0(SALU_CYCLE_1)
	s_or_b32 exec_lo, exec_lo, s76
.LBB6_6808:                             ;   in Loop: Header=BB6_5830 Depth=4
	s_delay_alu instid0(SALU_CYCLE_1) | instskip(NEXT) | instid1(VALU_DEP_1)
	s_or_b32 exec_lo, exec_lo, s75
	v_dual_mul_f32 v0, s74, v0 :: v_dual_mov_b32 v3, v113
                                        ; implicit-def: $vgpr67
	s_mov_b32 s13, exec_lo
	s_delay_alu instid0(VALU_DEP_1) | instskip(SKIP_2) | instid1(VALU_DEP_3)
	v_and_b32_e32 v2, 0x7f800000, v0
	v_and_b32_e32 v112, 0x7fffff, v0
	v_lshrrev_b32_e32 v1, 24, v0
	v_cmpx_ne_u64_e32 0x7f800000, v[2:3]
	s_xor_b32 s75, exec_lo, s13
	s_cbranch_execz .LBB6_6822
; %bb.6809:                             ;   in Loop: Header=BB6_5830 Depth=4
	v_and_b32_e32 v2, 0x7fffffff, v0
	v_mov_b32_e32 v3, v113
	v_and_b32_e32 v7, 0x80, v1
                                        ; implicit-def: $vgpr67
	s_mov_b32 s13, exec_lo
	s_delay_alu instid0(VALU_DEP_2)
	v_cmpx_gt_u64_e32 0x47600001, v[2:3]
	s_xor_b32 s76, exec_lo, s13
	s_cbranch_execz .LBB6_6819
; %bb.6810:                             ;   in Loop: Header=BB6_5830 Depth=4
	v_mov_b32_e32 v67, 0
	s_mov_b32 s77, exec_lo
	v_cmpx_ne_u32_e32 0, v0
	s_cbranch_execz .LBB6_6818
; %bb.6811:                             ;   in Loop: Header=BB6_5830 Depth=4
	v_bfe_u32 v12, v0, 23, 8
	v_or_b32_e32 v1, 0x800000, v112
	s_delay_alu instid0(VALU_DEP_2) | instskip(SKIP_2) | instid1(VALU_DEP_2)
	v_cmp_gt_u32_e64 s13, 0x72, v12
	v_sub_nc_u32_e32 v0, 0x71, v12
	v_cmp_eq_u32_e32 vcc_lo, 0, v12
	v_cndmask_b32_e64 v0, 0, v0, s13
	s_delay_alu instid0(VALU_DEP_1) | instskip(SKIP_1) | instid1(VALU_DEP_2)
	v_cndmask_b32_e64 v13, v0, 0x70, vcc_lo
	v_cndmask_b32_e32 v0, v1, v112, vcc_lo
	v_dual_mov_b32 v1, v113 :: v_dual_add_nc_u32 v2, 21, v13
	v_add_nc_u32_e32 v14, 20, v13
	s_delay_alu instid0(VALU_DEP_2) | instskip(NEXT) | instid1(VALU_DEP_2)
	v_lshlrev_b64_e64 v[2:3], v2, -1
	v_lshlrev_b64_e64 v[14:15], v14, 1
	s_delay_alu instid0(VALU_DEP_2) | instskip(SKIP_1) | instid1(VALU_DEP_4)
	v_bfi_b32 v2, v2, 0, v0
	v_lshrrev_b64 v[0:1], v13, v[0:1]
	v_bfi_b32 v3, v3, 0, 0
	s_delay_alu instid0(VALU_DEP_1) | instskip(NEXT) | instid1(VALU_DEP_3)
	v_cmp_eq_u64_e64 s13, v[2:3], v[14:15]
	v_mov_b64_e32 v[2:3], v[0:1]
	s_and_saveexec_b32 s78, s13
; %bb.6812:                             ;   in Loop: Header=BB6_5830 Depth=4
	v_bfe_u32 v2, v0, 21, 1
	v_mov_b32_e32 v3, v113
	s_delay_alu instid0(VALU_DEP_1) | instskip(NEXT) | instid1(VALU_DEP_1)
	v_add_nc_u64_e32 v[2:3], v[0:1], v[2:3]
	v_add_nc_u64_e32 v[2:3], -1, v[2:3]
; %bb.6813:                             ;   in Loop: Header=BB6_5830 Depth=4
	s_or_b32 exec_lo, exec_lo, s78
	v_add_nc_u32_e32 v1, 0xffffff81, v12
	v_lshrrev_b32_e32 v3, 23, v0
	s_mov_b32 s13, exec_lo
	s_delay_alu instid0(VALU_DEP_2) | instskip(NEXT) | instid1(VALU_DEP_1)
	v_cndmask_b32_e64 v1, v1, 0xffffff82, vcc_lo
	v_add3_u32 v12, v13, v1, v3
	v_and_b32_e32 v1, 0x1fffff, v2
                                        ; implicit-def: $vgpr2
	s_delay_alu instid0(VALU_DEP_2) | instskip(NEXT) | instid1(VALU_DEP_2)
	v_add_nc_u32_e32 v3, 14, v12
	v_add_nc_u32_e32 v112, v1, v0
                                        ; implicit-def: $vgpr0_vgpr1
	s_delay_alu instid0(VALU_DEP_2)
	v_cmpx_ne_u32_e32 0, v3
	s_xor_b32 s13, exec_lo, s13
; %bb.6814:                             ;   in Loop: Header=BB6_5830 Depth=4
	s_delay_alu instid0(VALU_DEP_2) | instskip(SKIP_1) | instid1(VALU_DEP_1)
	v_cmp_lt_u64_e32 vcc_lo, 0xffffff, v[112:113]
	v_add_nc_u32_e32 v0, 15, v12
	v_cndmask_b32_e32 v2, v3, v0, vcc_lo
	v_cndmask_b32_e64 v0, 0, 1, vcc_lo
	s_delay_alu instid0(VALU_DEP_1)
	v_lshrrev_b64 v[0:1], v0, v[112:113]
; %bb.6815:                             ;   in Loop: Header=BB6_5830 Depth=4
	s_and_not1_saveexec_b32 s13, s13
; %bb.6816:                             ;   in Loop: Header=BB6_5830 Depth=4
	v_mov_b64_e32 v[0:1], v[112:113]
	v_bfe_u32 v2, v112, 23, 1
; %bb.6817:                             ;   in Loop: Header=BB6_5830 Depth=4
	s_or_b32 exec_lo, exec_lo, s13
	s_delay_alu instid0(VALU_DEP_2) | instskip(NEXT) | instid1(VALU_DEP_2)
	v_lshrrev_b64 v[0:1], 21, v[0:1]
	v_cmp_gt_i32_e32 vcc_lo, 32, v2
	v_min_i32_e32 v3, 31, v2
	v_cmp_eq_u32_e64 s13, 0, v2
	s_delay_alu instid0(VALU_DEP_2) | instskip(SKIP_1) | instid1(VALU_DEP_2)
	v_dual_cndmask_b32 v1, 0, v1, vcc_lo :: v_dual_lshlrev_b32 v3, 2, v3
	v_cndmask_b32_e32 v0, 3, v0, vcc_lo
	v_and_b32_e32 v3, 0xfc, v3
	s_delay_alu instid0(VALU_DEP_2) | instskip(NEXT) | instid1(VALU_DEP_2)
	v_cmp_eq_u64_e32 vcc_lo, 0, v[0:1]
	v_and_or_b32 v0, v0, 3, v3
	s_and_b32 s13, s13, vcc_lo
	s_delay_alu instid0(VALU_DEP_1) | instid1(SALU_CYCLE_1)
	v_cndmask_b32_e64 v0, v0, 0, s13
	s_delay_alu instid0(VALU_DEP_1)
	v_or_b32_e32 v67, v0, v7
.LBB6_6818:                             ;   in Loop: Header=BB6_5830 Depth=4
	s_or_b32 exec_lo, exec_lo, s77
                                        ; implicit-def: $vgpr7
.LBB6_6819:                             ;   in Loop: Header=BB6_5830 Depth=4
	s_and_not1_saveexec_b32 s13, s76
; %bb.6820:                             ;   in Loop: Header=BB6_5830 Depth=4
	v_or_b32_e32 v67, 0x7b, v7
; %bb.6821:                             ;   in Loop: Header=BB6_5830 Depth=4
	s_or_b32 exec_lo, exec_lo, s13
                                        ; implicit-def: $vgpr0
                                        ; implicit-def: $vgpr1
.LBB6_6822:                             ;   in Loop: Header=BB6_5830 Depth=4
	s_and_not1_saveexec_b32 s13, s75
	s_cbranch_execz .LBB6_6828
; %bb.6823:                             ;   in Loop: Header=BB6_5830 Depth=4
	s_mov_b32 s75, exec_lo
                                        ; implicit-def: $vgpr67
	v_cmpx_ne_u64_e32 0, v[112:113]
	s_xor_b32 s75, exec_lo, s75
; %bb.6824:                             ;   in Loop: Header=BB6_5830 Depth=4
	v_or_b32_e32 v67, 0x7f, v1
                                        ; implicit-def: $vgpr0
; %bb.6825:                             ;   in Loop: Header=BB6_5830 Depth=4
	s_and_not1_saveexec_b32 s75, s75
; %bb.6826:                             ;   in Loop: Header=BB6_5830 Depth=4
	v_cmp_lt_i32_e32 vcc_lo, -1, v0
	v_mov_b32_e32 v0, 0x7c
	s_delay_alu instid0(VALU_DEP_1)
	v_cndmask_b32_e32 v67, 0xfc, v0, vcc_lo
; %bb.6827:                             ;   in Loop: Header=BB6_5830 Depth=4
	s_or_b32 exec_lo, exec_lo, s75
.LBB6_6828:                             ;   in Loop: Header=BB6_5830 Depth=4
	s_delay_alu instid0(SALU_CYCLE_1) | instskip(SKIP_3) | instid1(VALU_DEP_2)
	s_or_b32 exec_lo, exec_lo, s13
	v_lshrrev_b16 v0, 8, v8
	v_mov_b32_e32 v1, 0
	s_mov_b32 s75, exec_lo
	v_cmpx_ne_u16_e32 0, v0
	s_cbranch_execz .LBB6_6838
; %bb.6829:                             ;   in Loop: Header=BB6_5830 Depth=4
	v_bfrev_b32_e32 v1, 1
	s_mov_b32 s76, exec_lo
	v_cmpx_ne_u16_e32 0x80, v0
	s_cbranch_execz .LBB6_6837
; %bb.6830:                             ;   in Loop: Header=BB6_5830 Depth=4
	v_and_b32_e32 v3, 0xffff, v0
	s_delay_alu instid0(VALU_DEP_1) | instskip(SKIP_1) | instid1(VALU_DEP_2)
	v_and_b32_e32 v1, 0x7c, v3
	v_and_b32_e32 v2, 3, v3
	v_cmp_ne_u32_e32 vcc_lo, 0x7c, v1
                                        ; implicit-def: $vgpr1
	s_and_saveexec_b32 s13, vcc_lo
	s_delay_alu instid0(SALU_CYCLE_1)
	s_xor_b32 s13, exec_lo, s13
	s_cbranch_execz .LBB6_6834
; %bb.6831:                             ;   in Loop: Header=BB6_5830 Depth=4
	v_bfe_u32 v1, v3, 2, 5
	s_mov_b32 s77, exec_lo
	s_delay_alu instid0(VALU_DEP_1)
	v_cmpx_eq_u32_e32 0, v1
; %bb.6832:                             ;   in Loop: Header=BB6_5830 Depth=4
	v_clz_i32_u32_e32 v1, v2
	s_delay_alu instid0(VALU_DEP_1) | instskip(SKIP_1) | instid1(VALU_DEP_2)
	v_min_u32_e32 v2, 32, v1
	v_mov_b32_e32 v1, v113
	v_subrev_nc_u32_e32 v3, 29, v2
	s_delay_alu instid0(VALU_DEP_1) | instskip(NEXT) | instid1(VALU_DEP_1)
	v_lshlrev_b64_e32 v[0:1], v3, v[0:1]
	v_dual_sub_nc_u32 v1, 30, v2 :: v_dual_bitop2_b32 v2, 3, v0 bitop3:0x40
; %bb.6833:                             ;   in Loop: Header=BB6_5830 Depth=4
	s_or_b32 exec_lo, exec_lo, s77
	v_lshlrev_b32_e32 v0, 16, v8
	s_delay_alu instid0(VALU_DEP_1) | instskip(NEXT) | instid1(VALU_DEP_1)
	v_and_b32_e32 v0, 0x80000000, v0
	v_lshl_add_u32 v0, v1, 23, v0
	s_delay_alu instid0(VALU_DEP_1) | instskip(NEXT) | instid1(VALU_DEP_1)
	v_lshl_or_b32 v0, v2, 21, v0
                                        ; implicit-def: $vgpr2
	v_add_nc_u32_e32 v1, 0x38000000, v0
.LBB6_6834:                             ;   in Loop: Header=BB6_5830 Depth=4
	s_and_not1_saveexec_b32 s77, s13
; %bb.6835:                             ;   in Loop: Header=BB6_5830 Depth=4
	v_cmp_lt_i16_e64 s13, -1, v8
	v_mov_b32_e32 v0, 0x7f800000
	v_cmp_eq_u32_e32 vcc_lo, 0, v2
	s_delay_alu instid0(VALU_DEP_2) | instskip(NEXT) | instid1(VALU_DEP_1)
	v_cndmask_b32_e64 v0, 0xff800000, v0, s13
	v_cndmask_b32_e32 v1, 0x7f800001, v0, vcc_lo
; %bb.6836:                             ;   in Loop: Header=BB6_5830 Depth=4
	s_or_b32 exec_lo, exec_lo, s77
.LBB6_6837:                             ;   in Loop: Header=BB6_5830 Depth=4
	s_delay_alu instid0(SALU_CYCLE_1)
	s_or_b32 exec_lo, exec_lo, s76
.LBB6_6838:                             ;   in Loop: Header=BB6_5830 Depth=4
	s_delay_alu instid0(SALU_CYCLE_1) | instskip(NEXT) | instid1(VALU_DEP_1)
	s_or_b32 exec_lo, exec_lo, s75
	v_dual_mul_f32 v0, s74, v1 :: v_dual_mov_b32 v3, v113
                                        ; implicit-def: $vgpr82
	s_mov_b32 s13, exec_lo
	s_delay_alu instid0(VALU_DEP_1) | instskip(SKIP_2) | instid1(VALU_DEP_3)
	v_and_b32_e32 v2, 0x7f800000, v0
	v_and_b32_e32 v112, 0x7fffff, v0
	v_lshrrev_b32_e32 v1, 24, v0
	v_cmpx_ne_u64_e32 0x7f800000, v[2:3]
	s_xor_b32 s75, exec_lo, s13
	s_cbranch_execz .LBB6_6852
; %bb.6839:                             ;   in Loop: Header=BB6_5830 Depth=4
	v_and_b32_e32 v2, 0x7fffffff, v0
	v_mov_b32_e32 v3, v113
	v_and_b32_e32 v7, 0x80, v1
                                        ; implicit-def: $vgpr82
	s_mov_b32 s13, exec_lo
	s_delay_alu instid0(VALU_DEP_2)
	v_cmpx_gt_u64_e32 0x47600001, v[2:3]
	s_xor_b32 s76, exec_lo, s13
	s_cbranch_execz .LBB6_6849
; %bb.6840:                             ;   in Loop: Header=BB6_5830 Depth=4
	v_mov_b32_e32 v82, 0
	s_mov_b32 s77, exec_lo
	v_cmpx_ne_u32_e32 0, v0
	s_cbranch_execz .LBB6_6848
; %bb.6841:                             ;   in Loop: Header=BB6_5830 Depth=4
	v_bfe_u32 v12, v0, 23, 8
	v_or_b32_e32 v1, 0x800000, v112
	s_delay_alu instid0(VALU_DEP_2) | instskip(SKIP_2) | instid1(VALU_DEP_2)
	v_cmp_gt_u32_e64 s13, 0x72, v12
	v_sub_nc_u32_e32 v0, 0x71, v12
	v_cmp_eq_u32_e32 vcc_lo, 0, v12
	v_cndmask_b32_e64 v0, 0, v0, s13
	s_delay_alu instid0(VALU_DEP_1) | instskip(SKIP_1) | instid1(VALU_DEP_2)
	v_cndmask_b32_e64 v13, v0, 0x70, vcc_lo
	v_cndmask_b32_e32 v0, v1, v112, vcc_lo
	v_dual_mov_b32 v1, v113 :: v_dual_add_nc_u32 v2, 21, v13
	v_add_nc_u32_e32 v14, 20, v13
	s_delay_alu instid0(VALU_DEP_2) | instskip(NEXT) | instid1(VALU_DEP_2)
	v_lshlrev_b64_e64 v[2:3], v2, -1
	v_lshlrev_b64_e64 v[14:15], v14, 1
	s_delay_alu instid0(VALU_DEP_2) | instskip(SKIP_1) | instid1(VALU_DEP_4)
	v_bfi_b32 v2, v2, 0, v0
	v_lshrrev_b64 v[0:1], v13, v[0:1]
	v_bfi_b32 v3, v3, 0, 0
	s_delay_alu instid0(VALU_DEP_1) | instskip(NEXT) | instid1(VALU_DEP_3)
	v_cmp_eq_u64_e64 s13, v[2:3], v[14:15]
	v_mov_b64_e32 v[2:3], v[0:1]
	s_and_saveexec_b32 s78, s13
; %bb.6842:                             ;   in Loop: Header=BB6_5830 Depth=4
	v_bfe_u32 v2, v0, 21, 1
	v_mov_b32_e32 v3, v113
	s_delay_alu instid0(VALU_DEP_1) | instskip(NEXT) | instid1(VALU_DEP_1)
	v_add_nc_u64_e32 v[2:3], v[0:1], v[2:3]
	v_add_nc_u64_e32 v[2:3], -1, v[2:3]
; %bb.6843:                             ;   in Loop: Header=BB6_5830 Depth=4
	s_or_b32 exec_lo, exec_lo, s78
	v_add_nc_u32_e32 v1, 0xffffff81, v12
	v_lshrrev_b32_e32 v3, 23, v0
	s_mov_b32 s13, exec_lo
	s_delay_alu instid0(VALU_DEP_2) | instskip(NEXT) | instid1(VALU_DEP_1)
	v_cndmask_b32_e64 v1, v1, 0xffffff82, vcc_lo
	v_add3_u32 v12, v13, v1, v3
	v_and_b32_e32 v1, 0x1fffff, v2
                                        ; implicit-def: $vgpr2
	s_delay_alu instid0(VALU_DEP_2) | instskip(NEXT) | instid1(VALU_DEP_2)
	v_add_nc_u32_e32 v3, 14, v12
	v_add_nc_u32_e32 v112, v1, v0
                                        ; implicit-def: $vgpr0_vgpr1
	s_delay_alu instid0(VALU_DEP_2)
	v_cmpx_ne_u32_e32 0, v3
	s_xor_b32 s13, exec_lo, s13
; %bb.6844:                             ;   in Loop: Header=BB6_5830 Depth=4
	s_delay_alu instid0(VALU_DEP_2) | instskip(SKIP_1) | instid1(VALU_DEP_1)
	v_cmp_lt_u64_e32 vcc_lo, 0xffffff, v[112:113]
	v_add_nc_u32_e32 v0, 15, v12
	v_cndmask_b32_e32 v2, v3, v0, vcc_lo
	v_cndmask_b32_e64 v0, 0, 1, vcc_lo
	s_delay_alu instid0(VALU_DEP_1)
	v_lshrrev_b64 v[0:1], v0, v[112:113]
; %bb.6845:                             ;   in Loop: Header=BB6_5830 Depth=4
	s_and_not1_saveexec_b32 s13, s13
; %bb.6846:                             ;   in Loop: Header=BB6_5830 Depth=4
	v_mov_b64_e32 v[0:1], v[112:113]
	v_bfe_u32 v2, v112, 23, 1
; %bb.6847:                             ;   in Loop: Header=BB6_5830 Depth=4
	s_or_b32 exec_lo, exec_lo, s13
	s_delay_alu instid0(VALU_DEP_2) | instskip(NEXT) | instid1(VALU_DEP_2)
	v_lshrrev_b64 v[0:1], 21, v[0:1]
	v_cmp_gt_i32_e32 vcc_lo, 32, v2
	v_min_i32_e32 v3, 31, v2
	v_cmp_eq_u32_e64 s13, 0, v2
	s_delay_alu instid0(VALU_DEP_2) | instskip(SKIP_1) | instid1(VALU_DEP_2)
	v_dual_cndmask_b32 v1, 0, v1, vcc_lo :: v_dual_lshlrev_b32 v3, 2, v3
	v_cndmask_b32_e32 v0, 3, v0, vcc_lo
	v_and_b32_e32 v3, 0xfc, v3
	s_delay_alu instid0(VALU_DEP_2) | instskip(NEXT) | instid1(VALU_DEP_2)
	v_cmp_eq_u64_e32 vcc_lo, 0, v[0:1]
	v_and_or_b32 v0, v0, 3, v3
	s_and_b32 s13, s13, vcc_lo
	s_delay_alu instid0(VALU_DEP_1) | instid1(SALU_CYCLE_1)
	v_cndmask_b32_e64 v0, v0, 0, s13
	s_delay_alu instid0(VALU_DEP_1)
	v_or_b32_e32 v82, v0, v7
.LBB6_6848:                             ;   in Loop: Header=BB6_5830 Depth=4
	s_or_b32 exec_lo, exec_lo, s77
                                        ; implicit-def: $vgpr7
.LBB6_6849:                             ;   in Loop: Header=BB6_5830 Depth=4
	s_and_not1_saveexec_b32 s13, s76
; %bb.6850:                             ;   in Loop: Header=BB6_5830 Depth=4
	v_or_b32_e32 v82, 0x7b, v7
; %bb.6851:                             ;   in Loop: Header=BB6_5830 Depth=4
	s_or_b32 exec_lo, exec_lo, s13
                                        ; implicit-def: $vgpr0
                                        ; implicit-def: $vgpr1
.LBB6_6852:                             ;   in Loop: Header=BB6_5830 Depth=4
	s_and_not1_saveexec_b32 s13, s75
	s_cbranch_execz .LBB6_6858
; %bb.6853:                             ;   in Loop: Header=BB6_5830 Depth=4
	s_mov_b32 s75, exec_lo
                                        ; implicit-def: $vgpr82
	v_cmpx_ne_u64_e32 0, v[112:113]
	s_xor_b32 s75, exec_lo, s75
; %bb.6854:                             ;   in Loop: Header=BB6_5830 Depth=4
	v_or_b32_e32 v82, 0x7f, v1
                                        ; implicit-def: $vgpr0
; %bb.6855:                             ;   in Loop: Header=BB6_5830 Depth=4
	s_and_not1_saveexec_b32 s75, s75
; %bb.6856:                             ;   in Loop: Header=BB6_5830 Depth=4
	v_cmp_lt_i32_e32 vcc_lo, -1, v0
	v_mov_b32_e32 v0, 0x7c
	s_delay_alu instid0(VALU_DEP_1)
	v_cndmask_b32_e32 v82, 0xfc, v0, vcc_lo
; %bb.6857:                             ;   in Loop: Header=BB6_5830 Depth=4
	s_or_b32 exec_lo, exec_lo, s75
.LBB6_6858:                             ;   in Loop: Header=BB6_5830 Depth=4
	s_delay_alu instid0(SALU_CYCLE_1) | instskip(SKIP_2) | instid1(VALU_DEP_1)
	s_or_b32 exec_lo, exec_lo, s13
	v_dual_mov_b32 v1, 0 :: v_dual_lshrrev_b32 v0, 16, v8
	s_mov_b32 s75, exec_lo
	v_and_b32_e32 v2, 0xff, v0
	s_delay_alu instid0(VALU_DEP_1)
	v_cmpx_ne_u16_e32 0, v2
	s_cbranch_execz .LBB6_6868
; %bb.6859:                             ;   in Loop: Header=BB6_5830 Depth=4
	v_bfrev_b32_e32 v1, 1
	s_mov_b32 s76, exec_lo
	v_cmpx_ne_u16_e32 0x80, v2
	s_cbranch_execz .LBB6_6867
; %bb.6860:                             ;   in Loop: Header=BB6_5830 Depth=4
	v_and_b32_e32 v1, 0x7c0000, v8
	v_bfe_u32 v2, v8, 16, 2
	s_delay_alu instid0(VALU_DEP_2) | instskip(SKIP_1) | instid1(SALU_CYCLE_1)
	v_cmp_ne_u32_e32 vcc_lo, 0x7c0000, v1
                                        ; implicit-def: $vgpr1
	s_and_saveexec_b32 s13, vcc_lo
	s_xor_b32 s13, exec_lo, s13
	s_cbranch_execz .LBB6_6864
; %bb.6861:                             ;   in Loop: Header=BB6_5830 Depth=4
	v_bfe_u32 v1, v8, 18, 5
	s_mov_b32 s77, exec_lo
	s_delay_alu instid0(VALU_DEP_1)
	v_cmpx_eq_u32_e32 0, v1
; %bb.6862:                             ;   in Loop: Header=BB6_5830 Depth=4
	v_clz_i32_u32_e32 v1, v2
	s_delay_alu instid0(VALU_DEP_1) | instskip(NEXT) | instid1(VALU_DEP_1)
	v_min_u32_e32 v1, 32, v1
	v_subrev_nc_u32_e32 v2, 29, v1
	s_delay_alu instid0(VALU_DEP_1) | instskip(NEXT) | instid1(VALU_DEP_1)
	v_lshlrev_b64_e32 v[2:3], v2, v[0:1]
	v_dual_sub_nc_u32 v1, 30, v1 :: v_dual_bitop2_b32 v2, 3, v2 bitop3:0x40
; %bb.6863:                             ;   in Loop: Header=BB6_5830 Depth=4
	s_or_b32 exec_lo, exec_lo, s77
	v_lshlrev_b32_e32 v0, 24, v0
	s_delay_alu instid0(VALU_DEP_1) | instskip(NEXT) | instid1(VALU_DEP_1)
	v_and_b32_e32 v0, 0x80000000, v0
	v_lshl_add_u32 v0, v1, 23, v0
	s_delay_alu instid0(VALU_DEP_1) | instskip(NEXT) | instid1(VALU_DEP_1)
	v_lshl_or_b32 v0, v2, 21, v0
                                        ; implicit-def: $vgpr2
	v_add_nc_u32_e32 v1, 0x38000000, v0
                                        ; implicit-def: $vgpr0
.LBB6_6864:                             ;   in Loop: Header=BB6_5830 Depth=4
	s_and_not1_saveexec_b32 s77, s13
; %bb.6865:                             ;   in Loop: Header=BB6_5830 Depth=4
	v_bfe_i32 v0, v0, 0, 8
	v_cmp_eq_u32_e32 vcc_lo, 0, v2
	s_delay_alu instid0(VALU_DEP_2) | instskip(SKIP_1) | instid1(VALU_DEP_1)
	v_cmp_lt_i16_e64 s13, -1, v0
	v_mov_b32_e32 v0, 0x7f800000
	v_cndmask_b32_e64 v0, 0xff800000, v0, s13
	s_delay_alu instid0(VALU_DEP_1)
	v_cndmask_b32_e32 v1, 0x7f800001, v0, vcc_lo
; %bb.6866:                             ;   in Loop: Header=BB6_5830 Depth=4
	s_or_b32 exec_lo, exec_lo, s77
.LBB6_6867:                             ;   in Loop: Header=BB6_5830 Depth=4
	s_delay_alu instid0(SALU_CYCLE_1)
	s_or_b32 exec_lo, exec_lo, s76
.LBB6_6868:                             ;   in Loop: Header=BB6_5830 Depth=4
	s_delay_alu instid0(SALU_CYCLE_1) | instskip(NEXT) | instid1(VALU_DEP_1)
	s_or_b32 exec_lo, exec_lo, s75
	v_dual_mul_f32 v0, s74, v1 :: v_dual_mov_b32 v3, v113
                                        ; implicit-def: $vgpr85
	s_mov_b32 s13, exec_lo
	s_delay_alu instid0(VALU_DEP_1) | instskip(SKIP_2) | instid1(VALU_DEP_3)
	v_and_b32_e32 v2, 0x7f800000, v0
	v_and_b32_e32 v112, 0x7fffff, v0
	v_lshrrev_b32_e32 v1, 24, v0
	v_cmpx_ne_u64_e32 0x7f800000, v[2:3]
	s_xor_b32 s75, exec_lo, s13
	s_cbranch_execz .LBB6_6882
; %bb.6869:                             ;   in Loop: Header=BB6_5830 Depth=4
	v_and_b32_e32 v2, 0x7fffffff, v0
	v_mov_b32_e32 v3, v113
	v_and_b32_e32 v7, 0x80, v1
                                        ; implicit-def: $vgpr85
	s_mov_b32 s13, exec_lo
	s_delay_alu instid0(VALU_DEP_2)
	v_cmpx_gt_u64_e32 0x47600001, v[2:3]
	s_xor_b32 s76, exec_lo, s13
	s_cbranch_execz .LBB6_6879
; %bb.6870:                             ;   in Loop: Header=BB6_5830 Depth=4
	v_mov_b32_e32 v85, 0
	s_mov_b32 s77, exec_lo
	v_cmpx_ne_u32_e32 0, v0
	s_cbranch_execz .LBB6_6878
; %bb.6871:                             ;   in Loop: Header=BB6_5830 Depth=4
	v_bfe_u32 v12, v0, 23, 8
	v_or_b32_e32 v1, 0x800000, v112
	s_delay_alu instid0(VALU_DEP_2) | instskip(SKIP_2) | instid1(VALU_DEP_2)
	v_cmp_gt_u32_e64 s13, 0x72, v12
	v_sub_nc_u32_e32 v0, 0x71, v12
	v_cmp_eq_u32_e32 vcc_lo, 0, v12
	v_cndmask_b32_e64 v0, 0, v0, s13
	s_delay_alu instid0(VALU_DEP_1) | instskip(SKIP_1) | instid1(VALU_DEP_2)
	v_cndmask_b32_e64 v13, v0, 0x70, vcc_lo
	v_cndmask_b32_e32 v0, v1, v112, vcc_lo
	v_dual_mov_b32 v1, v113 :: v_dual_add_nc_u32 v2, 21, v13
	v_add_nc_u32_e32 v14, 20, v13
	s_delay_alu instid0(VALU_DEP_2) | instskip(NEXT) | instid1(VALU_DEP_2)
	v_lshlrev_b64_e64 v[2:3], v2, -1
	v_lshlrev_b64_e64 v[14:15], v14, 1
	s_delay_alu instid0(VALU_DEP_2) | instskip(SKIP_1) | instid1(VALU_DEP_4)
	v_bfi_b32 v2, v2, 0, v0
	v_lshrrev_b64 v[0:1], v13, v[0:1]
	v_bfi_b32 v3, v3, 0, 0
	s_delay_alu instid0(VALU_DEP_1) | instskip(NEXT) | instid1(VALU_DEP_3)
	v_cmp_eq_u64_e64 s13, v[2:3], v[14:15]
	v_mov_b64_e32 v[2:3], v[0:1]
	s_and_saveexec_b32 s78, s13
; %bb.6872:                             ;   in Loop: Header=BB6_5830 Depth=4
	v_bfe_u32 v2, v0, 21, 1
	v_mov_b32_e32 v3, v113
	s_delay_alu instid0(VALU_DEP_1) | instskip(NEXT) | instid1(VALU_DEP_1)
	v_add_nc_u64_e32 v[2:3], v[0:1], v[2:3]
	v_add_nc_u64_e32 v[2:3], -1, v[2:3]
; %bb.6873:                             ;   in Loop: Header=BB6_5830 Depth=4
	s_or_b32 exec_lo, exec_lo, s78
	v_add_nc_u32_e32 v1, 0xffffff81, v12
	v_lshrrev_b32_e32 v3, 23, v0
	s_mov_b32 s13, exec_lo
	s_delay_alu instid0(VALU_DEP_2) | instskip(NEXT) | instid1(VALU_DEP_1)
	v_cndmask_b32_e64 v1, v1, 0xffffff82, vcc_lo
	v_add3_u32 v12, v13, v1, v3
	v_and_b32_e32 v1, 0x1fffff, v2
                                        ; implicit-def: $vgpr2
	s_delay_alu instid0(VALU_DEP_2) | instskip(NEXT) | instid1(VALU_DEP_2)
	v_add_nc_u32_e32 v3, 14, v12
	v_add_nc_u32_e32 v112, v1, v0
                                        ; implicit-def: $vgpr0_vgpr1
	s_delay_alu instid0(VALU_DEP_2)
	v_cmpx_ne_u32_e32 0, v3
	s_xor_b32 s13, exec_lo, s13
; %bb.6874:                             ;   in Loop: Header=BB6_5830 Depth=4
	s_delay_alu instid0(VALU_DEP_2) | instskip(SKIP_1) | instid1(VALU_DEP_1)
	v_cmp_lt_u64_e32 vcc_lo, 0xffffff, v[112:113]
	v_add_nc_u32_e32 v0, 15, v12
	v_cndmask_b32_e32 v2, v3, v0, vcc_lo
	v_cndmask_b32_e64 v0, 0, 1, vcc_lo
	s_delay_alu instid0(VALU_DEP_1)
	v_lshrrev_b64 v[0:1], v0, v[112:113]
; %bb.6875:                             ;   in Loop: Header=BB6_5830 Depth=4
	s_and_not1_saveexec_b32 s13, s13
; %bb.6876:                             ;   in Loop: Header=BB6_5830 Depth=4
	v_mov_b64_e32 v[0:1], v[112:113]
	v_bfe_u32 v2, v112, 23, 1
; %bb.6877:                             ;   in Loop: Header=BB6_5830 Depth=4
	s_or_b32 exec_lo, exec_lo, s13
	s_delay_alu instid0(VALU_DEP_2) | instskip(NEXT) | instid1(VALU_DEP_2)
	v_lshrrev_b64 v[0:1], 21, v[0:1]
	v_cmp_gt_i32_e32 vcc_lo, 32, v2
	v_min_i32_e32 v3, 31, v2
	v_cmp_eq_u32_e64 s13, 0, v2
	s_delay_alu instid0(VALU_DEP_2) | instskip(SKIP_1) | instid1(VALU_DEP_2)
	v_dual_cndmask_b32 v1, 0, v1, vcc_lo :: v_dual_lshlrev_b32 v3, 2, v3
	v_cndmask_b32_e32 v0, 3, v0, vcc_lo
	v_and_b32_e32 v3, 0xfc, v3
	s_delay_alu instid0(VALU_DEP_2) | instskip(NEXT) | instid1(VALU_DEP_2)
	v_cmp_eq_u64_e32 vcc_lo, 0, v[0:1]
	v_and_or_b32 v0, v0, 3, v3
	s_and_b32 s13, s13, vcc_lo
	s_delay_alu instid0(VALU_DEP_1) | instid1(SALU_CYCLE_1)
	v_cndmask_b32_e64 v0, v0, 0, s13
	s_delay_alu instid0(VALU_DEP_1)
	v_or_b32_e32 v85, v0, v7
.LBB6_6878:                             ;   in Loop: Header=BB6_5830 Depth=4
	s_or_b32 exec_lo, exec_lo, s77
                                        ; implicit-def: $vgpr7
.LBB6_6879:                             ;   in Loop: Header=BB6_5830 Depth=4
	s_and_not1_saveexec_b32 s13, s76
; %bb.6880:                             ;   in Loop: Header=BB6_5830 Depth=4
	v_or_b32_e32 v85, 0x7b, v7
; %bb.6881:                             ;   in Loop: Header=BB6_5830 Depth=4
	s_or_b32 exec_lo, exec_lo, s13
                                        ; implicit-def: $vgpr0
                                        ; implicit-def: $vgpr1
.LBB6_6882:                             ;   in Loop: Header=BB6_5830 Depth=4
	s_and_not1_saveexec_b32 s13, s75
	s_cbranch_execz .LBB6_6888
; %bb.6883:                             ;   in Loop: Header=BB6_5830 Depth=4
	s_mov_b32 s75, exec_lo
                                        ; implicit-def: $vgpr85
	v_cmpx_ne_u64_e32 0, v[112:113]
	s_xor_b32 s75, exec_lo, s75
; %bb.6884:                             ;   in Loop: Header=BB6_5830 Depth=4
	v_or_b32_e32 v85, 0x7f, v1
                                        ; implicit-def: $vgpr0
; %bb.6885:                             ;   in Loop: Header=BB6_5830 Depth=4
	s_and_not1_saveexec_b32 s75, s75
; %bb.6886:                             ;   in Loop: Header=BB6_5830 Depth=4
	v_cmp_lt_i32_e32 vcc_lo, -1, v0
	v_mov_b32_e32 v0, 0x7c
	s_delay_alu instid0(VALU_DEP_1)
	v_cndmask_b32_e32 v85, 0xfc, v0, vcc_lo
; %bb.6887:                             ;   in Loop: Header=BB6_5830 Depth=4
	s_or_b32 exec_lo, exec_lo, s75
.LBB6_6888:                             ;   in Loop: Header=BB6_5830 Depth=4
	s_delay_alu instid0(SALU_CYCLE_1)
	s_or_b32 exec_lo, exec_lo, s13
	v_mov_b32_e32 v1, 0
	s_mov_b32 s75, exec_lo
	v_cmpx_lt_u32_e32 0xffffff, v8
	s_cbranch_execz .LBB6_6898
; %bb.6889:                             ;   in Loop: Header=BB6_5830 Depth=4
	v_lshrrev_b32_e32 v0, 24, v8
	v_bfrev_b32_e32 v1, 1
	s_mov_b32 s76, exec_lo
	s_delay_alu instid0(VALU_DEP_2)
	v_cmpx_ne_u32_e32 0x80, v0
	s_cbranch_execz .LBB6_6897
; %bb.6890:                             ;   in Loop: Header=BB6_5830 Depth=4
	v_and_b32_e32 v1, 0x7c000000, v8
	v_bfe_u32 v2, v8, 24, 2
	s_delay_alu instid0(VALU_DEP_2) | instskip(SKIP_1) | instid1(SALU_CYCLE_1)
	v_cmp_ne_u32_e32 vcc_lo, 0x7c000000, v1
                                        ; implicit-def: $vgpr1
	s_and_saveexec_b32 s13, vcc_lo
	s_xor_b32 s13, exec_lo, s13
	s_cbranch_execz .LBB6_6894
; %bb.6891:                             ;   in Loop: Header=BB6_5830 Depth=4
	v_bfe_u32 v1, v8, 26, 5
	s_mov_b32 s77, exec_lo
	s_delay_alu instid0(VALU_DEP_1)
	v_cmpx_eq_u32_e32 0, v1
; %bb.6892:                             ;   in Loop: Header=BB6_5830 Depth=4
	v_clz_i32_u32_e32 v1, v2
	s_delay_alu instid0(VALU_DEP_1) | instskip(NEXT) | instid1(VALU_DEP_1)
	v_min_u32_e32 v2, 32, v1
	v_subrev_nc_u32_e32 v1, 29, v2
	s_delay_alu instid0(VALU_DEP_1) | instskip(NEXT) | instid1(VALU_DEP_1)
	v_lshlrev_b64_e32 v[0:1], v1, v[0:1]
	v_dual_sub_nc_u32 v1, 30, v2 :: v_dual_bitop2_b32 v2, 3, v0 bitop3:0x40
; %bb.6893:                             ;   in Loop: Header=BB6_5830 Depth=4
	s_or_b32 exec_lo, exec_lo, s77
	v_and_b32_e32 v0, 0x80000000, v8
	s_delay_alu instid0(VALU_DEP_1) | instskip(NEXT) | instid1(VALU_DEP_1)
	v_lshl_add_u32 v0, v1, 23, v0
	v_lshl_or_b32 v0, v2, 21, v0
                                        ; implicit-def: $vgpr2
	s_delay_alu instid0(VALU_DEP_1)
	v_add_nc_u32_e32 v1, 0x38000000, v0
.LBB6_6894:                             ;   in Loop: Header=BB6_5830 Depth=4
	s_and_not1_saveexec_b32 s77, s13
; %bb.6895:                             ;   in Loop: Header=BB6_5830 Depth=4
	v_cmp_lt_i32_e64 s13, -1, v8
	v_mov_b32_e32 v0, 0x7f800000
	v_cmp_eq_u32_e32 vcc_lo, 0, v2
	s_delay_alu instid0(VALU_DEP_2) | instskip(NEXT) | instid1(VALU_DEP_1)
	v_cndmask_b32_e64 v0, 0xff800000, v0, s13
	v_cndmask_b32_e32 v1, 0x7f800001, v0, vcc_lo
; %bb.6896:                             ;   in Loop: Header=BB6_5830 Depth=4
	s_or_b32 exec_lo, exec_lo, s77
.LBB6_6897:                             ;   in Loop: Header=BB6_5830 Depth=4
	s_delay_alu instid0(SALU_CYCLE_1)
	s_or_b32 exec_lo, exec_lo, s76
.LBB6_6898:                             ;   in Loop: Header=BB6_5830 Depth=4
	s_delay_alu instid0(SALU_CYCLE_1) | instskip(NEXT) | instid1(VALU_DEP_1)
	s_or_b32 exec_lo, exec_lo, s75
	v_dual_mul_f32 v0, s74, v1 :: v_dual_mov_b32 v3, v113
                                        ; implicit-def: $vgpr87
	s_mov_b32 s13, exec_lo
	s_delay_alu instid0(VALU_DEP_1) | instskip(SKIP_2) | instid1(VALU_DEP_3)
	v_and_b32_e32 v2, 0x7f800000, v0
	v_and_b32_e32 v112, 0x7fffff, v0
	v_lshrrev_b32_e32 v1, 24, v0
	v_cmpx_ne_u64_e32 0x7f800000, v[2:3]
	s_xor_b32 s75, exec_lo, s13
	s_cbranch_execz .LBB6_6912
; %bb.6899:                             ;   in Loop: Header=BB6_5830 Depth=4
	v_and_b32_e32 v2, 0x7fffffff, v0
	v_mov_b32_e32 v3, v113
	v_and_b32_e32 v7, 0x80, v1
                                        ; implicit-def: $vgpr87
	s_mov_b32 s13, exec_lo
	s_delay_alu instid0(VALU_DEP_2)
	v_cmpx_gt_u64_e32 0x47600001, v[2:3]
	s_xor_b32 s76, exec_lo, s13
	s_cbranch_execz .LBB6_6909
; %bb.6900:                             ;   in Loop: Header=BB6_5830 Depth=4
	v_mov_b32_e32 v87, 0
	s_mov_b32 s77, exec_lo
	v_cmpx_ne_u32_e32 0, v0
	s_cbranch_execz .LBB6_6908
; %bb.6901:                             ;   in Loop: Header=BB6_5830 Depth=4
	v_bfe_u32 v12, v0, 23, 8
	v_or_b32_e32 v1, 0x800000, v112
	s_delay_alu instid0(VALU_DEP_2) | instskip(SKIP_2) | instid1(VALU_DEP_2)
	v_cmp_gt_u32_e64 s13, 0x72, v12
	v_sub_nc_u32_e32 v0, 0x71, v12
	v_cmp_eq_u32_e32 vcc_lo, 0, v12
	v_cndmask_b32_e64 v0, 0, v0, s13
	s_delay_alu instid0(VALU_DEP_1) | instskip(SKIP_1) | instid1(VALU_DEP_2)
	v_cndmask_b32_e64 v13, v0, 0x70, vcc_lo
	v_cndmask_b32_e32 v0, v1, v112, vcc_lo
	v_dual_mov_b32 v1, v113 :: v_dual_add_nc_u32 v2, 21, v13
	v_add_nc_u32_e32 v14, 20, v13
	s_delay_alu instid0(VALU_DEP_2) | instskip(NEXT) | instid1(VALU_DEP_2)
	v_lshlrev_b64_e64 v[2:3], v2, -1
	v_lshlrev_b64_e64 v[14:15], v14, 1
	s_delay_alu instid0(VALU_DEP_2) | instskip(SKIP_1) | instid1(VALU_DEP_4)
	v_bfi_b32 v2, v2, 0, v0
	v_lshrrev_b64 v[0:1], v13, v[0:1]
	v_bfi_b32 v3, v3, 0, 0
	s_delay_alu instid0(VALU_DEP_1) | instskip(NEXT) | instid1(VALU_DEP_3)
	v_cmp_eq_u64_e64 s13, v[2:3], v[14:15]
	v_mov_b64_e32 v[2:3], v[0:1]
	s_and_saveexec_b32 s78, s13
; %bb.6902:                             ;   in Loop: Header=BB6_5830 Depth=4
	v_bfe_u32 v2, v0, 21, 1
	v_mov_b32_e32 v3, v113
	s_delay_alu instid0(VALU_DEP_1) | instskip(NEXT) | instid1(VALU_DEP_1)
	v_add_nc_u64_e32 v[2:3], v[0:1], v[2:3]
	v_add_nc_u64_e32 v[2:3], -1, v[2:3]
; %bb.6903:                             ;   in Loop: Header=BB6_5830 Depth=4
	s_or_b32 exec_lo, exec_lo, s78
	v_add_nc_u32_e32 v1, 0xffffff81, v12
	v_lshrrev_b32_e32 v3, 23, v0
	s_mov_b32 s13, exec_lo
	s_delay_alu instid0(VALU_DEP_2) | instskip(NEXT) | instid1(VALU_DEP_1)
	v_cndmask_b32_e64 v1, v1, 0xffffff82, vcc_lo
	v_add3_u32 v12, v13, v1, v3
	v_and_b32_e32 v1, 0x1fffff, v2
                                        ; implicit-def: $vgpr2
	s_delay_alu instid0(VALU_DEP_2) | instskip(NEXT) | instid1(VALU_DEP_2)
	v_add_nc_u32_e32 v3, 14, v12
	v_add_nc_u32_e32 v112, v1, v0
                                        ; implicit-def: $vgpr0_vgpr1
	s_delay_alu instid0(VALU_DEP_2)
	v_cmpx_ne_u32_e32 0, v3
	s_xor_b32 s13, exec_lo, s13
; %bb.6904:                             ;   in Loop: Header=BB6_5830 Depth=4
	s_delay_alu instid0(VALU_DEP_2) | instskip(SKIP_1) | instid1(VALU_DEP_1)
	v_cmp_lt_u64_e32 vcc_lo, 0xffffff, v[112:113]
	v_add_nc_u32_e32 v0, 15, v12
	v_cndmask_b32_e32 v2, v3, v0, vcc_lo
	v_cndmask_b32_e64 v0, 0, 1, vcc_lo
	s_delay_alu instid0(VALU_DEP_1)
	v_lshrrev_b64 v[0:1], v0, v[112:113]
; %bb.6905:                             ;   in Loop: Header=BB6_5830 Depth=4
	s_and_not1_saveexec_b32 s13, s13
; %bb.6906:                             ;   in Loop: Header=BB6_5830 Depth=4
	v_mov_b64_e32 v[0:1], v[112:113]
	v_bfe_u32 v2, v112, 23, 1
; %bb.6907:                             ;   in Loop: Header=BB6_5830 Depth=4
	s_or_b32 exec_lo, exec_lo, s13
	s_delay_alu instid0(VALU_DEP_2) | instskip(NEXT) | instid1(VALU_DEP_2)
	v_lshrrev_b64 v[0:1], 21, v[0:1]
	v_cmp_gt_i32_e32 vcc_lo, 32, v2
	v_min_i32_e32 v3, 31, v2
	v_cmp_eq_u32_e64 s13, 0, v2
	s_delay_alu instid0(VALU_DEP_2) | instskip(SKIP_1) | instid1(VALU_DEP_2)
	v_dual_cndmask_b32 v1, 0, v1, vcc_lo :: v_dual_lshlrev_b32 v3, 2, v3
	v_cndmask_b32_e32 v0, 3, v0, vcc_lo
	v_and_b32_e32 v3, 0xfc, v3
	s_delay_alu instid0(VALU_DEP_2) | instskip(NEXT) | instid1(VALU_DEP_2)
	v_cmp_eq_u64_e32 vcc_lo, 0, v[0:1]
	v_and_or_b32 v0, v0, 3, v3
	s_and_b32 s13, s13, vcc_lo
	s_delay_alu instid0(VALU_DEP_1) | instid1(SALU_CYCLE_1)
	v_cndmask_b32_e64 v0, v0, 0, s13
	s_delay_alu instid0(VALU_DEP_1)
	v_or_b32_e32 v87, v0, v7
.LBB6_6908:                             ;   in Loop: Header=BB6_5830 Depth=4
	s_or_b32 exec_lo, exec_lo, s77
                                        ; implicit-def: $vgpr7
.LBB6_6909:                             ;   in Loop: Header=BB6_5830 Depth=4
	s_and_not1_saveexec_b32 s13, s76
; %bb.6910:                             ;   in Loop: Header=BB6_5830 Depth=4
	v_or_b32_e32 v87, 0x7b, v7
; %bb.6911:                             ;   in Loop: Header=BB6_5830 Depth=4
	s_or_b32 exec_lo, exec_lo, s13
                                        ; implicit-def: $vgpr0
                                        ; implicit-def: $vgpr1
.LBB6_6912:                             ;   in Loop: Header=BB6_5830 Depth=4
	s_and_not1_saveexec_b32 s13, s75
	s_cbranch_execz .LBB6_6918
; %bb.6913:                             ;   in Loop: Header=BB6_5830 Depth=4
	s_mov_b32 s75, exec_lo
                                        ; implicit-def: $vgpr87
	v_cmpx_ne_u64_e32 0, v[112:113]
	s_xor_b32 s75, exec_lo, s75
; %bb.6914:                             ;   in Loop: Header=BB6_5830 Depth=4
	v_or_b32_e32 v87, 0x7f, v1
                                        ; implicit-def: $vgpr0
; %bb.6915:                             ;   in Loop: Header=BB6_5830 Depth=4
	s_and_not1_saveexec_b32 s75, s75
; %bb.6916:                             ;   in Loop: Header=BB6_5830 Depth=4
	v_cmp_lt_i32_e32 vcc_lo, -1, v0
	v_mov_b32_e32 v0, 0x7c
	s_delay_alu instid0(VALU_DEP_1)
	v_cndmask_b32_e32 v87, 0xfc, v0, vcc_lo
; %bb.6917:                             ;   in Loop: Header=BB6_5830 Depth=4
	s_or_b32 exec_lo, exec_lo, s75
.LBB6_6918:                             ;   in Loop: Header=BB6_5830 Depth=4
	s_delay_alu instid0(SALU_CYCLE_1) | instskip(SKIP_3) | instid1(VALU_DEP_2)
	s_or_b32 exec_lo, exec_lo, s13
	v_and_b32_e32 v1, 0xff, v9
	v_dual_mov_b32 v112, v9 :: v_dual_mov_b32 v0, 0
	s_mov_b32 s75, exec_lo
	v_cmpx_ne_u16_e32 0, v1
	s_cbranch_execz .LBB6_6928
; %bb.6919:                             ;   in Loop: Header=BB6_5830 Depth=4
	v_bfrev_b32_e32 v0, 1
	s_mov_b32 s76, exec_lo
	v_cmpx_ne_u16_e32 0x80, v1
	s_cbranch_execz .LBB6_6927
; %bb.6920:                             ;   in Loop: Header=BB6_5830 Depth=4
	v_and_b32_e32 v0, 0x7c, v9
	v_and_b32_e32 v1, 3, v9
	s_delay_alu instid0(VALU_DEP_2) | instskip(SKIP_1) | instid1(SALU_CYCLE_1)
	v_cmp_ne_u32_e32 vcc_lo, 0x7c, v0
                                        ; implicit-def: $vgpr0
	s_and_saveexec_b32 s13, vcc_lo
	s_xor_b32 s13, exec_lo, s13
	s_cbranch_execz .LBB6_6924
; %bb.6921:                             ;   in Loop: Header=BB6_5830 Depth=4
	v_bfe_u32 v0, v9, 2, 5
	s_mov_b32 s77, exec_lo
	s_delay_alu instid0(VALU_DEP_1)
	v_cmpx_eq_u32_e32 0, v0
; %bb.6922:                             ;   in Loop: Header=BB6_5830 Depth=4
	v_clz_i32_u32_e32 v0, v1
	s_delay_alu instid0(VALU_DEP_1) | instskip(NEXT) | instid1(VALU_DEP_1)
	v_min_u32_e32 v0, 32, v0
	v_subrev_nc_u32_e32 v1, 29, v0
	s_delay_alu instid0(VALU_DEP_1) | instskip(NEXT) | instid1(VALU_DEP_1)
	v_lshlrev_b64_e32 v[2:3], v1, v[112:113]
	v_dual_sub_nc_u32 v0, 30, v0 :: v_dual_bitop2_b32 v1, 3, v2 bitop3:0x40
; %bb.6923:                             ;   in Loop: Header=BB6_5830 Depth=4
	s_or_b32 exec_lo, exec_lo, s77
	v_lshlrev_b32_e32 v2, 24, v9
	s_delay_alu instid0(VALU_DEP_1) | instskip(NEXT) | instid1(VALU_DEP_1)
	v_and_b32_e32 v2, 0x80000000, v2
	v_lshl_add_u32 v0, v0, 23, v2
	s_delay_alu instid0(VALU_DEP_1) | instskip(NEXT) | instid1(VALU_DEP_1)
	v_lshl_or_b32 v0, v1, 21, v0
                                        ; implicit-def: $vgpr1
	v_add_nc_u32_e32 v0, 0x38000000, v0
.LBB6_6924:                             ;   in Loop: Header=BB6_5830 Depth=4
	s_and_not1_saveexec_b32 s77, s13
; %bb.6925:                             ;   in Loop: Header=BB6_5830 Depth=4
	v_bfe_i32 v0, v9, 0, 8
	v_cmp_eq_u32_e32 vcc_lo, 0, v1
	s_delay_alu instid0(VALU_DEP_2) | instskip(SKIP_1) | instid1(VALU_DEP_1)
	v_cmp_lt_i16_e64 s13, -1, v0
	v_mov_b32_e32 v0, 0x7f800000
	v_cndmask_b32_e64 v0, 0xff800000, v0, s13
	s_delay_alu instid0(VALU_DEP_1)
	v_cndmask_b32_e32 v0, 0x7f800001, v0, vcc_lo
; %bb.6926:                             ;   in Loop: Header=BB6_5830 Depth=4
	s_or_b32 exec_lo, exec_lo, s77
.LBB6_6927:                             ;   in Loop: Header=BB6_5830 Depth=4
	s_delay_alu instid0(SALU_CYCLE_1)
	s_or_b32 exec_lo, exec_lo, s76
.LBB6_6928:                             ;   in Loop: Header=BB6_5830 Depth=4
	s_delay_alu instid0(SALU_CYCLE_1) | instskip(NEXT) | instid1(VALU_DEP_1)
	s_or_b32 exec_lo, exec_lo, s75
	v_dual_mul_f32 v2, s74, v0 :: v_dual_mov_b32 v13, v113
	v_mov_b32_e32 v1, v113
                                        ; implicit-def: $vgpr54
	s_mov_b32 s13, exec_lo
	s_delay_alu instid0(VALU_DEP_2) | instskip(SKIP_2) | instid1(VALU_DEP_3)
	v_and_b32_e32 v12, 0x7f800000, v2
	v_and_b32_e32 v0, 0x7fffff, v2
	v_lshrrev_b32_e32 v3, 24, v2
	v_cmpx_ne_u64_e32 0x7f800000, v[12:13]
	s_xor_b32 s75, exec_lo, s13
	s_cbranch_execz .LBB6_6942
; %bb.6929:                             ;   in Loop: Header=BB6_5830 Depth=4
	v_and_b32_e32 v12, 0x7fffffff, v2
	v_mov_b32_e32 v13, v113
	v_and_b32_e32 v7, 0x80, v3
                                        ; implicit-def: $vgpr54
	s_mov_b32 s13, exec_lo
	s_delay_alu instid0(VALU_DEP_2)
	v_cmpx_gt_u64_e32 0x47600001, v[12:13]
	s_xor_b32 s76, exec_lo, s13
	s_cbranch_execz .LBB6_6939
; %bb.6930:                             ;   in Loop: Header=BB6_5830 Depth=4
	v_mov_b32_e32 v54, 0
	s_mov_b32 s77, exec_lo
	v_cmpx_ne_u32_e32 0, v2
	s_cbranch_execz .LBB6_6938
; %bb.6931:                             ;   in Loop: Header=BB6_5830 Depth=4
	v_bfe_u32 v12, v2, 23, 8
	v_or_b32_e32 v3, 0x800000, v0
	s_delay_alu instid0(VALU_DEP_2) | instskip(SKIP_2) | instid1(VALU_DEP_2)
	v_cmp_gt_u32_e64 s13, 0x72, v12
	v_sub_nc_u32_e32 v2, 0x71, v12
	v_cmp_eq_u32_e32 vcc_lo, 0, v12
	v_dual_cndmask_b32 v2, 0, v2, s13 :: v_dual_cndmask_b32 v0, v3, v0, vcc_lo
	s_delay_alu instid0(VALU_DEP_1) | instskip(NEXT) | instid1(VALU_DEP_1)
	v_cndmask_b32_e64 v13, v2, 0x70, vcc_lo
	v_dual_add_nc_u32 v2, 21, v13 :: v_dual_add_nc_u32 v14, 20, v13
	s_delay_alu instid0(VALU_DEP_1) | instskip(NEXT) | instid1(VALU_DEP_2)
	v_lshlrev_b64_e64 v[2:3], v2, -1
	v_lshlrev_b64_e64 v[14:15], v14, 1
	s_delay_alu instid0(VALU_DEP_2) | instskip(SKIP_1) | instid1(VALU_DEP_4)
	v_bfi_b32 v2, v2, 0, v0
	v_lshrrev_b64 v[0:1], v13, v[0:1]
	v_bfi_b32 v3, v3, 0, 0
	s_delay_alu instid0(VALU_DEP_1) | instskip(NEXT) | instid1(VALU_DEP_3)
	v_cmp_eq_u64_e64 s13, v[2:3], v[14:15]
	v_mov_b64_e32 v[2:3], v[0:1]
	s_and_saveexec_b32 s78, s13
; %bb.6932:                             ;   in Loop: Header=BB6_5830 Depth=4
	v_bfe_u32 v2, v0, 21, 1
	v_mov_b32_e32 v3, v113
	s_delay_alu instid0(VALU_DEP_1) | instskip(NEXT) | instid1(VALU_DEP_1)
	v_add_nc_u64_e32 v[2:3], v[0:1], v[2:3]
	v_add_nc_u64_e32 v[2:3], -1, v[2:3]
; %bb.6933:                             ;   in Loop: Header=BB6_5830 Depth=4
	s_or_b32 exec_lo, exec_lo, s78
	v_add_nc_u32_e32 v1, 0xffffff81, v12
	v_lshrrev_b32_e32 v3, 23, v0
	s_mov_b32 s13, exec_lo
	s_delay_alu instid0(VALU_DEP_2) | instskip(NEXT) | instid1(VALU_DEP_1)
	v_cndmask_b32_e64 v1, v1, 0xffffff82, vcc_lo
	v_add3_u32 v12, v13, v1, v3
	v_and_b32_e32 v1, 0x1fffff, v2
                                        ; implicit-def: $vgpr2
	s_delay_alu instid0(VALU_DEP_2) | instskip(NEXT) | instid1(VALU_DEP_2)
	v_add_nc_u32_e32 v3, 14, v12
	v_add_nc_u32_e32 v0, v1, v0
	v_mov_b32_e32 v1, v113
	s_delay_alu instid0(VALU_DEP_3)
	v_cmpx_ne_u32_e32 0, v3
	s_xor_b32 s13, exec_lo, s13
; %bb.6934:                             ;   in Loop: Header=BB6_5830 Depth=4
	s_delay_alu instid0(VALU_DEP_2) | instskip(SKIP_1) | instid1(VALU_DEP_1)
	v_cmp_lt_u64_e32 vcc_lo, 0xffffff, v[0:1]
	v_add_nc_u32_e32 v2, 15, v12
	v_cndmask_b32_e32 v2, v3, v2, vcc_lo
	v_cndmask_b32_e64 v3, 0, 1, vcc_lo
	s_delay_alu instid0(VALU_DEP_1)
	v_lshrrev_b64 v[0:1], v3, v[0:1]
; %bb.6935:                             ;   in Loop: Header=BB6_5830 Depth=4
	s_and_not1_saveexec_b32 s13, s13
; %bb.6936:                             ;   in Loop: Header=BB6_5830 Depth=4
	s_delay_alu instid0(VALU_DEP_1)
	v_bfe_u32 v2, v0, 23, 1
; %bb.6937:                             ;   in Loop: Header=BB6_5830 Depth=4
	s_or_b32 exec_lo, exec_lo, s13
	s_delay_alu instid0(VALU_DEP_2) | instskip(NEXT) | instid1(VALU_DEP_2)
	v_lshrrev_b64 v[0:1], 21, v[0:1]
	v_cmp_gt_i32_e32 vcc_lo, 32, v2
	v_min_i32_e32 v3, 31, v2
	v_cmp_eq_u32_e64 s13, 0, v2
	s_delay_alu instid0(VALU_DEP_2) | instskip(SKIP_1) | instid1(VALU_DEP_2)
	v_dual_cndmask_b32 v1, 0, v1, vcc_lo :: v_dual_lshlrev_b32 v3, 2, v3
	v_cndmask_b32_e32 v0, 3, v0, vcc_lo
	v_and_b32_e32 v3, 0xfc, v3
	s_delay_alu instid0(VALU_DEP_2) | instskip(NEXT) | instid1(VALU_DEP_2)
	v_cmp_eq_u64_e32 vcc_lo, 0, v[0:1]
	v_and_or_b32 v0, v0, 3, v3
	s_and_b32 s13, s13, vcc_lo
	s_delay_alu instid0(VALU_DEP_1) | instid1(SALU_CYCLE_1)
	v_cndmask_b32_e64 v0, v0, 0, s13
	s_delay_alu instid0(VALU_DEP_1)
	v_or_b32_e32 v54, v0, v7
.LBB6_6938:                             ;   in Loop: Header=BB6_5830 Depth=4
	s_or_b32 exec_lo, exec_lo, s77
                                        ; implicit-def: $vgpr7
.LBB6_6939:                             ;   in Loop: Header=BB6_5830 Depth=4
	s_and_not1_saveexec_b32 s13, s76
; %bb.6940:                             ;   in Loop: Header=BB6_5830 Depth=4
	v_or_b32_e32 v54, 0x7b, v7
; %bb.6941:                             ;   in Loop: Header=BB6_5830 Depth=4
	s_or_b32 exec_lo, exec_lo, s13
                                        ; implicit-def: $vgpr2
                                        ; implicit-def: $vgpr0_vgpr1
                                        ; implicit-def: $vgpr3
.LBB6_6942:                             ;   in Loop: Header=BB6_5830 Depth=4
	s_and_not1_saveexec_b32 s13, s75
	s_cbranch_execz .LBB6_6948
; %bb.6943:                             ;   in Loop: Header=BB6_5830 Depth=4
	s_mov_b32 s75, exec_lo
                                        ; implicit-def: $vgpr54
	v_cmpx_ne_u64_e32 0, v[0:1]
	s_xor_b32 s75, exec_lo, s75
; %bb.6944:                             ;   in Loop: Header=BB6_5830 Depth=4
	v_or_b32_e32 v54, 0x7f, v3
                                        ; implicit-def: $vgpr2
; %bb.6945:                             ;   in Loop: Header=BB6_5830 Depth=4
	s_and_not1_saveexec_b32 s75, s75
; %bb.6946:                             ;   in Loop: Header=BB6_5830 Depth=4
	v_cmp_lt_i32_e32 vcc_lo, -1, v2
	v_mov_b32_e32 v0, 0x7c
	s_delay_alu instid0(VALU_DEP_1)
	v_cndmask_b32_e32 v54, 0xfc, v0, vcc_lo
; %bb.6947:                             ;   in Loop: Header=BB6_5830 Depth=4
	s_or_b32 exec_lo, exec_lo, s75
.LBB6_6948:                             ;   in Loop: Header=BB6_5830 Depth=4
	s_delay_alu instid0(SALU_CYCLE_1) | instskip(SKIP_3) | instid1(VALU_DEP_2)
	s_or_b32 exec_lo, exec_lo, s13
	v_lshrrev_b16 v0, 8, v112
	v_mov_b32_e32 v1, 0
	s_mov_b32 s75, exec_lo
	v_cmpx_ne_u16_e32 0, v0
	s_cbranch_execz .LBB6_6958
; %bb.6949:                             ;   in Loop: Header=BB6_5830 Depth=4
	v_bfrev_b32_e32 v1, 1
	s_mov_b32 s76, exec_lo
	v_cmpx_ne_u16_e32 0x80, v0
	s_cbranch_execz .LBB6_6957
; %bb.6950:                             ;   in Loop: Header=BB6_5830 Depth=4
	v_and_b32_e32 v3, 0xffff, v0
	s_delay_alu instid0(VALU_DEP_1) | instskip(SKIP_1) | instid1(VALU_DEP_2)
	v_and_b32_e32 v1, 0x7c, v3
	v_and_b32_e32 v2, 3, v3
	v_cmp_ne_u32_e32 vcc_lo, 0x7c, v1
                                        ; implicit-def: $vgpr1
	s_and_saveexec_b32 s13, vcc_lo
	s_delay_alu instid0(SALU_CYCLE_1)
	s_xor_b32 s13, exec_lo, s13
	s_cbranch_execz .LBB6_6954
; %bb.6951:                             ;   in Loop: Header=BB6_5830 Depth=4
	v_bfe_u32 v1, v3, 2, 5
	s_mov_b32 s77, exec_lo
	s_delay_alu instid0(VALU_DEP_1)
	v_cmpx_eq_u32_e32 0, v1
; %bb.6952:                             ;   in Loop: Header=BB6_5830 Depth=4
	v_clz_i32_u32_e32 v1, v2
	s_delay_alu instid0(VALU_DEP_1) | instskip(SKIP_1) | instid1(VALU_DEP_2)
	v_min_u32_e32 v2, 32, v1
	v_mov_b32_e32 v1, v113
	v_subrev_nc_u32_e32 v3, 29, v2
	s_delay_alu instid0(VALU_DEP_1) | instskip(NEXT) | instid1(VALU_DEP_1)
	v_lshlrev_b64_e32 v[0:1], v3, v[0:1]
	v_dual_sub_nc_u32 v1, 30, v2 :: v_dual_bitop2_b32 v2, 3, v0 bitop3:0x40
; %bb.6953:                             ;   in Loop: Header=BB6_5830 Depth=4
	s_or_b32 exec_lo, exec_lo, s77
	v_lshlrev_b32_e32 v0, 16, v112
	s_delay_alu instid0(VALU_DEP_1) | instskip(NEXT) | instid1(VALU_DEP_1)
	v_and_b32_e32 v0, 0x80000000, v0
	v_lshl_add_u32 v0, v1, 23, v0
	s_delay_alu instid0(VALU_DEP_1) | instskip(NEXT) | instid1(VALU_DEP_1)
	v_lshl_or_b32 v0, v2, 21, v0
                                        ; implicit-def: $vgpr2
	v_add_nc_u32_e32 v1, 0x38000000, v0
.LBB6_6954:                             ;   in Loop: Header=BB6_5830 Depth=4
	s_and_not1_saveexec_b32 s77, s13
; %bb.6955:                             ;   in Loop: Header=BB6_5830 Depth=4
	v_cmp_lt_i16_e64 s13, -1, v112
	v_mov_b32_e32 v0, 0x7f800000
	v_cmp_eq_u32_e32 vcc_lo, 0, v2
	s_delay_alu instid0(VALU_DEP_2) | instskip(NEXT) | instid1(VALU_DEP_1)
	v_cndmask_b32_e64 v0, 0xff800000, v0, s13
	v_cndmask_b32_e32 v1, 0x7f800001, v0, vcc_lo
; %bb.6956:                             ;   in Loop: Header=BB6_5830 Depth=4
	s_or_b32 exec_lo, exec_lo, s77
.LBB6_6957:                             ;   in Loop: Header=BB6_5830 Depth=4
	s_delay_alu instid0(SALU_CYCLE_1)
	s_or_b32 exec_lo, exec_lo, s76
.LBB6_6958:                             ;   in Loop: Header=BB6_5830 Depth=4
	s_delay_alu instid0(SALU_CYCLE_1) | instskip(NEXT) | instid1(VALU_DEP_1)
	s_or_b32 exec_lo, exec_lo, s75
	v_dual_mul_f32 v0, s74, v1 :: v_dual_mov_b32 v3, v113
                                        ; implicit-def: $vgpr70
	s_mov_b32 s13, exec_lo
	s_delay_alu instid0(VALU_DEP_1) | instskip(SKIP_2) | instid1(VALU_DEP_3)
	v_and_b32_e32 v2, 0x7f800000, v0
	v_and_b32_e32 v112, 0x7fffff, v0
	v_lshrrev_b32_e32 v1, 24, v0
	v_cmpx_ne_u64_e32 0x7f800000, v[2:3]
	s_xor_b32 s75, exec_lo, s13
	s_cbranch_execz .LBB6_6972
; %bb.6959:                             ;   in Loop: Header=BB6_5830 Depth=4
	v_and_b32_e32 v2, 0x7fffffff, v0
	v_mov_b32_e32 v3, v113
	v_and_b32_e32 v7, 0x80, v1
                                        ; implicit-def: $vgpr70
	s_mov_b32 s13, exec_lo
	s_delay_alu instid0(VALU_DEP_2)
	v_cmpx_gt_u64_e32 0x47600001, v[2:3]
	s_xor_b32 s76, exec_lo, s13
	s_cbranch_execz .LBB6_6969
; %bb.6960:                             ;   in Loop: Header=BB6_5830 Depth=4
	v_mov_b32_e32 v70, 0
	s_mov_b32 s77, exec_lo
	v_cmpx_ne_u32_e32 0, v0
	s_cbranch_execz .LBB6_6968
; %bb.6961:                             ;   in Loop: Header=BB6_5830 Depth=4
	v_bfe_u32 v12, v0, 23, 8
	v_or_b32_e32 v1, 0x800000, v112
	s_delay_alu instid0(VALU_DEP_2) | instskip(SKIP_2) | instid1(VALU_DEP_2)
	v_cmp_gt_u32_e64 s13, 0x72, v12
	v_sub_nc_u32_e32 v0, 0x71, v12
	v_cmp_eq_u32_e32 vcc_lo, 0, v12
	v_cndmask_b32_e64 v0, 0, v0, s13
	s_delay_alu instid0(VALU_DEP_1) | instskip(SKIP_1) | instid1(VALU_DEP_2)
	v_cndmask_b32_e64 v13, v0, 0x70, vcc_lo
	v_cndmask_b32_e32 v0, v1, v112, vcc_lo
	v_dual_mov_b32 v1, v113 :: v_dual_add_nc_u32 v2, 21, v13
	v_add_nc_u32_e32 v14, 20, v13
	s_delay_alu instid0(VALU_DEP_2) | instskip(NEXT) | instid1(VALU_DEP_2)
	v_lshlrev_b64_e64 v[2:3], v2, -1
	v_lshlrev_b64_e64 v[14:15], v14, 1
	s_delay_alu instid0(VALU_DEP_2) | instskip(SKIP_1) | instid1(VALU_DEP_4)
	v_bfi_b32 v2, v2, 0, v0
	v_lshrrev_b64 v[0:1], v13, v[0:1]
	v_bfi_b32 v3, v3, 0, 0
	s_delay_alu instid0(VALU_DEP_1) | instskip(NEXT) | instid1(VALU_DEP_3)
	v_cmp_eq_u64_e64 s13, v[2:3], v[14:15]
	v_mov_b64_e32 v[2:3], v[0:1]
	s_and_saveexec_b32 s78, s13
; %bb.6962:                             ;   in Loop: Header=BB6_5830 Depth=4
	v_bfe_u32 v2, v0, 21, 1
	v_mov_b32_e32 v3, v113
	s_delay_alu instid0(VALU_DEP_1) | instskip(NEXT) | instid1(VALU_DEP_1)
	v_add_nc_u64_e32 v[2:3], v[0:1], v[2:3]
	v_add_nc_u64_e32 v[2:3], -1, v[2:3]
; %bb.6963:                             ;   in Loop: Header=BB6_5830 Depth=4
	s_or_b32 exec_lo, exec_lo, s78
	v_add_nc_u32_e32 v1, 0xffffff81, v12
	v_lshrrev_b32_e32 v3, 23, v0
	s_mov_b32 s13, exec_lo
	s_delay_alu instid0(VALU_DEP_2) | instskip(NEXT) | instid1(VALU_DEP_1)
	v_cndmask_b32_e64 v1, v1, 0xffffff82, vcc_lo
	v_add3_u32 v12, v13, v1, v3
	v_and_b32_e32 v1, 0x1fffff, v2
                                        ; implicit-def: $vgpr2
	s_delay_alu instid0(VALU_DEP_2) | instskip(NEXT) | instid1(VALU_DEP_2)
	v_add_nc_u32_e32 v3, 14, v12
	v_add_nc_u32_e32 v112, v1, v0
                                        ; implicit-def: $vgpr0_vgpr1
	s_delay_alu instid0(VALU_DEP_2)
	v_cmpx_ne_u32_e32 0, v3
	s_xor_b32 s13, exec_lo, s13
; %bb.6964:                             ;   in Loop: Header=BB6_5830 Depth=4
	s_delay_alu instid0(VALU_DEP_2) | instskip(SKIP_1) | instid1(VALU_DEP_1)
	v_cmp_lt_u64_e32 vcc_lo, 0xffffff, v[112:113]
	v_add_nc_u32_e32 v0, 15, v12
	v_cndmask_b32_e32 v2, v3, v0, vcc_lo
	v_cndmask_b32_e64 v0, 0, 1, vcc_lo
	s_delay_alu instid0(VALU_DEP_1)
	v_lshrrev_b64 v[0:1], v0, v[112:113]
; %bb.6965:                             ;   in Loop: Header=BB6_5830 Depth=4
	s_and_not1_saveexec_b32 s13, s13
; %bb.6966:                             ;   in Loop: Header=BB6_5830 Depth=4
	v_mov_b64_e32 v[0:1], v[112:113]
	v_bfe_u32 v2, v112, 23, 1
; %bb.6967:                             ;   in Loop: Header=BB6_5830 Depth=4
	s_or_b32 exec_lo, exec_lo, s13
	s_delay_alu instid0(VALU_DEP_2) | instskip(NEXT) | instid1(VALU_DEP_2)
	v_lshrrev_b64 v[0:1], 21, v[0:1]
	v_cmp_gt_i32_e32 vcc_lo, 32, v2
	v_min_i32_e32 v3, 31, v2
	v_cmp_eq_u32_e64 s13, 0, v2
	s_delay_alu instid0(VALU_DEP_2) | instskip(SKIP_1) | instid1(VALU_DEP_2)
	v_dual_cndmask_b32 v1, 0, v1, vcc_lo :: v_dual_lshlrev_b32 v3, 2, v3
	v_cndmask_b32_e32 v0, 3, v0, vcc_lo
	v_and_b32_e32 v3, 0xfc, v3
	s_delay_alu instid0(VALU_DEP_2) | instskip(NEXT) | instid1(VALU_DEP_2)
	v_cmp_eq_u64_e32 vcc_lo, 0, v[0:1]
	v_and_or_b32 v0, v0, 3, v3
	s_and_b32 s13, s13, vcc_lo
	s_delay_alu instid0(VALU_DEP_1) | instid1(SALU_CYCLE_1)
	v_cndmask_b32_e64 v0, v0, 0, s13
	s_delay_alu instid0(VALU_DEP_1)
	v_or_b32_e32 v70, v0, v7
.LBB6_6968:                             ;   in Loop: Header=BB6_5830 Depth=4
	s_or_b32 exec_lo, exec_lo, s77
                                        ; implicit-def: $vgpr7
.LBB6_6969:                             ;   in Loop: Header=BB6_5830 Depth=4
	s_and_not1_saveexec_b32 s13, s76
; %bb.6970:                             ;   in Loop: Header=BB6_5830 Depth=4
	v_or_b32_e32 v70, 0x7b, v7
; %bb.6971:                             ;   in Loop: Header=BB6_5830 Depth=4
	s_or_b32 exec_lo, exec_lo, s13
                                        ; implicit-def: $vgpr0
                                        ; implicit-def: $vgpr1
.LBB6_6972:                             ;   in Loop: Header=BB6_5830 Depth=4
	s_and_not1_saveexec_b32 s13, s75
	s_cbranch_execz .LBB6_6978
; %bb.6973:                             ;   in Loop: Header=BB6_5830 Depth=4
	s_mov_b32 s75, exec_lo
                                        ; implicit-def: $vgpr70
	v_cmpx_ne_u64_e32 0, v[112:113]
	s_xor_b32 s75, exec_lo, s75
; %bb.6974:                             ;   in Loop: Header=BB6_5830 Depth=4
	v_or_b32_e32 v70, 0x7f, v1
                                        ; implicit-def: $vgpr0
; %bb.6975:                             ;   in Loop: Header=BB6_5830 Depth=4
	s_and_not1_saveexec_b32 s75, s75
; %bb.6976:                             ;   in Loop: Header=BB6_5830 Depth=4
	v_cmp_lt_i32_e32 vcc_lo, -1, v0
	v_mov_b32_e32 v0, 0x7c
	s_delay_alu instid0(VALU_DEP_1)
	v_cndmask_b32_e32 v70, 0xfc, v0, vcc_lo
; %bb.6977:                             ;   in Loop: Header=BB6_5830 Depth=4
	s_or_b32 exec_lo, exec_lo, s75
.LBB6_6978:                             ;   in Loop: Header=BB6_5830 Depth=4
	s_delay_alu instid0(SALU_CYCLE_1) | instskip(SKIP_2) | instid1(VALU_DEP_1)
	s_or_b32 exec_lo, exec_lo, s13
	v_dual_mov_b32 v1, 0 :: v_dual_lshrrev_b32 v0, 16, v9
	s_mov_b32 s75, exec_lo
	v_and_b32_e32 v2, 0xff, v0
	s_delay_alu instid0(VALU_DEP_1)
	v_cmpx_ne_u16_e32 0, v2
	s_cbranch_execz .LBB6_6988
; %bb.6979:                             ;   in Loop: Header=BB6_5830 Depth=4
	v_bfrev_b32_e32 v1, 1
	s_mov_b32 s76, exec_lo
	v_cmpx_ne_u16_e32 0x80, v2
	s_cbranch_execz .LBB6_6987
; %bb.6980:                             ;   in Loop: Header=BB6_5830 Depth=4
	v_and_b32_e32 v1, 0x7c0000, v9
	v_bfe_u32 v2, v9, 16, 2
	s_delay_alu instid0(VALU_DEP_2) | instskip(SKIP_1) | instid1(SALU_CYCLE_1)
	v_cmp_ne_u32_e32 vcc_lo, 0x7c0000, v1
                                        ; implicit-def: $vgpr1
	s_and_saveexec_b32 s13, vcc_lo
	s_xor_b32 s13, exec_lo, s13
	s_cbranch_execz .LBB6_6984
; %bb.6981:                             ;   in Loop: Header=BB6_5830 Depth=4
	v_bfe_u32 v1, v9, 18, 5
	s_mov_b32 s77, exec_lo
	s_delay_alu instid0(VALU_DEP_1)
	v_cmpx_eq_u32_e32 0, v1
; %bb.6982:                             ;   in Loop: Header=BB6_5830 Depth=4
	v_clz_i32_u32_e32 v1, v2
	s_delay_alu instid0(VALU_DEP_1) | instskip(NEXT) | instid1(VALU_DEP_1)
	v_min_u32_e32 v1, 32, v1
	v_subrev_nc_u32_e32 v2, 29, v1
	s_delay_alu instid0(VALU_DEP_1) | instskip(NEXT) | instid1(VALU_DEP_1)
	v_lshlrev_b64_e32 v[2:3], v2, v[0:1]
	v_dual_sub_nc_u32 v1, 30, v1 :: v_dual_bitop2_b32 v2, 3, v2 bitop3:0x40
; %bb.6983:                             ;   in Loop: Header=BB6_5830 Depth=4
	s_or_b32 exec_lo, exec_lo, s77
	v_lshlrev_b32_e32 v0, 24, v0
	s_delay_alu instid0(VALU_DEP_1) | instskip(NEXT) | instid1(VALU_DEP_1)
	v_and_b32_e32 v0, 0x80000000, v0
	v_lshl_add_u32 v0, v1, 23, v0
	s_delay_alu instid0(VALU_DEP_1) | instskip(NEXT) | instid1(VALU_DEP_1)
	v_lshl_or_b32 v0, v2, 21, v0
                                        ; implicit-def: $vgpr2
	v_add_nc_u32_e32 v1, 0x38000000, v0
                                        ; implicit-def: $vgpr0
.LBB6_6984:                             ;   in Loop: Header=BB6_5830 Depth=4
	s_and_not1_saveexec_b32 s77, s13
; %bb.6985:                             ;   in Loop: Header=BB6_5830 Depth=4
	v_bfe_i32 v0, v0, 0, 8
	v_cmp_eq_u32_e32 vcc_lo, 0, v2
	s_delay_alu instid0(VALU_DEP_2) | instskip(SKIP_1) | instid1(VALU_DEP_1)
	v_cmp_lt_i16_e64 s13, -1, v0
	v_mov_b32_e32 v0, 0x7f800000
	v_cndmask_b32_e64 v0, 0xff800000, v0, s13
	s_delay_alu instid0(VALU_DEP_1)
	v_cndmask_b32_e32 v1, 0x7f800001, v0, vcc_lo
; %bb.6986:                             ;   in Loop: Header=BB6_5830 Depth=4
	s_or_b32 exec_lo, exec_lo, s77
.LBB6_6987:                             ;   in Loop: Header=BB6_5830 Depth=4
	s_delay_alu instid0(SALU_CYCLE_1)
	s_or_b32 exec_lo, exec_lo, s76
.LBB6_6988:                             ;   in Loop: Header=BB6_5830 Depth=4
	s_delay_alu instid0(SALU_CYCLE_1) | instskip(NEXT) | instid1(VALU_DEP_1)
	s_or_b32 exec_lo, exec_lo, s75
	v_dual_mul_f32 v0, s74, v1 :: v_dual_mov_b32 v3, v113
                                        ; implicit-def: $vgpr81
	s_mov_b32 s13, exec_lo
	s_delay_alu instid0(VALU_DEP_1) | instskip(SKIP_2) | instid1(VALU_DEP_3)
	v_and_b32_e32 v2, 0x7f800000, v0
	v_and_b32_e32 v112, 0x7fffff, v0
	v_lshrrev_b32_e32 v1, 24, v0
	v_cmpx_ne_u64_e32 0x7f800000, v[2:3]
	s_xor_b32 s75, exec_lo, s13
	s_cbranch_execz .LBB6_7002
; %bb.6989:                             ;   in Loop: Header=BB6_5830 Depth=4
	v_and_b32_e32 v2, 0x7fffffff, v0
	v_mov_b32_e32 v3, v113
	v_and_b32_e32 v7, 0x80, v1
                                        ; implicit-def: $vgpr81
	s_mov_b32 s13, exec_lo
	s_delay_alu instid0(VALU_DEP_2)
	v_cmpx_gt_u64_e32 0x47600001, v[2:3]
	s_xor_b32 s76, exec_lo, s13
	s_cbranch_execz .LBB6_6999
; %bb.6990:                             ;   in Loop: Header=BB6_5830 Depth=4
	v_mov_b32_e32 v81, 0
	s_mov_b32 s77, exec_lo
	v_cmpx_ne_u32_e32 0, v0
	s_cbranch_execz .LBB6_6998
; %bb.6991:                             ;   in Loop: Header=BB6_5830 Depth=4
	v_bfe_u32 v12, v0, 23, 8
	v_or_b32_e32 v1, 0x800000, v112
	s_delay_alu instid0(VALU_DEP_2) | instskip(SKIP_2) | instid1(VALU_DEP_2)
	v_cmp_gt_u32_e64 s13, 0x72, v12
	v_sub_nc_u32_e32 v0, 0x71, v12
	v_cmp_eq_u32_e32 vcc_lo, 0, v12
	v_cndmask_b32_e64 v0, 0, v0, s13
	s_delay_alu instid0(VALU_DEP_1) | instskip(SKIP_1) | instid1(VALU_DEP_2)
	v_cndmask_b32_e64 v13, v0, 0x70, vcc_lo
	v_cndmask_b32_e32 v0, v1, v112, vcc_lo
	v_dual_mov_b32 v1, v113 :: v_dual_add_nc_u32 v2, 21, v13
	v_add_nc_u32_e32 v14, 20, v13
	s_delay_alu instid0(VALU_DEP_2) | instskip(NEXT) | instid1(VALU_DEP_2)
	v_lshlrev_b64_e64 v[2:3], v2, -1
	v_lshlrev_b64_e64 v[14:15], v14, 1
	s_delay_alu instid0(VALU_DEP_2) | instskip(SKIP_1) | instid1(VALU_DEP_4)
	v_bfi_b32 v2, v2, 0, v0
	v_lshrrev_b64 v[0:1], v13, v[0:1]
	v_bfi_b32 v3, v3, 0, 0
	s_delay_alu instid0(VALU_DEP_1) | instskip(NEXT) | instid1(VALU_DEP_3)
	v_cmp_eq_u64_e64 s13, v[2:3], v[14:15]
	v_mov_b64_e32 v[2:3], v[0:1]
	s_and_saveexec_b32 s78, s13
; %bb.6992:                             ;   in Loop: Header=BB6_5830 Depth=4
	v_bfe_u32 v2, v0, 21, 1
	v_mov_b32_e32 v3, v113
	s_delay_alu instid0(VALU_DEP_1) | instskip(NEXT) | instid1(VALU_DEP_1)
	v_add_nc_u64_e32 v[2:3], v[0:1], v[2:3]
	v_add_nc_u64_e32 v[2:3], -1, v[2:3]
; %bb.6993:                             ;   in Loop: Header=BB6_5830 Depth=4
	s_or_b32 exec_lo, exec_lo, s78
	v_add_nc_u32_e32 v1, 0xffffff81, v12
	v_lshrrev_b32_e32 v3, 23, v0
	s_mov_b32 s13, exec_lo
	s_delay_alu instid0(VALU_DEP_2) | instskip(NEXT) | instid1(VALU_DEP_1)
	v_cndmask_b32_e64 v1, v1, 0xffffff82, vcc_lo
	v_add3_u32 v12, v13, v1, v3
	v_and_b32_e32 v1, 0x1fffff, v2
                                        ; implicit-def: $vgpr2
	s_delay_alu instid0(VALU_DEP_2) | instskip(NEXT) | instid1(VALU_DEP_2)
	v_add_nc_u32_e32 v3, 14, v12
	v_add_nc_u32_e32 v112, v1, v0
                                        ; implicit-def: $vgpr0_vgpr1
	s_delay_alu instid0(VALU_DEP_2)
	v_cmpx_ne_u32_e32 0, v3
	s_xor_b32 s13, exec_lo, s13
; %bb.6994:                             ;   in Loop: Header=BB6_5830 Depth=4
	s_delay_alu instid0(VALU_DEP_2) | instskip(SKIP_1) | instid1(VALU_DEP_1)
	v_cmp_lt_u64_e32 vcc_lo, 0xffffff, v[112:113]
	v_add_nc_u32_e32 v0, 15, v12
	v_cndmask_b32_e32 v2, v3, v0, vcc_lo
	v_cndmask_b32_e64 v0, 0, 1, vcc_lo
	s_delay_alu instid0(VALU_DEP_1)
	v_lshrrev_b64 v[0:1], v0, v[112:113]
; %bb.6995:                             ;   in Loop: Header=BB6_5830 Depth=4
	s_and_not1_saveexec_b32 s13, s13
; %bb.6996:                             ;   in Loop: Header=BB6_5830 Depth=4
	v_mov_b64_e32 v[0:1], v[112:113]
	v_bfe_u32 v2, v112, 23, 1
; %bb.6997:                             ;   in Loop: Header=BB6_5830 Depth=4
	s_or_b32 exec_lo, exec_lo, s13
	s_delay_alu instid0(VALU_DEP_2) | instskip(NEXT) | instid1(VALU_DEP_2)
	v_lshrrev_b64 v[0:1], 21, v[0:1]
	v_cmp_gt_i32_e32 vcc_lo, 32, v2
	v_min_i32_e32 v3, 31, v2
	v_cmp_eq_u32_e64 s13, 0, v2
	s_delay_alu instid0(VALU_DEP_2) | instskip(SKIP_1) | instid1(VALU_DEP_2)
	v_dual_cndmask_b32 v1, 0, v1, vcc_lo :: v_dual_lshlrev_b32 v3, 2, v3
	v_cndmask_b32_e32 v0, 3, v0, vcc_lo
	v_and_b32_e32 v3, 0xfc, v3
	s_delay_alu instid0(VALU_DEP_2) | instskip(NEXT) | instid1(VALU_DEP_2)
	v_cmp_eq_u64_e32 vcc_lo, 0, v[0:1]
	v_and_or_b32 v0, v0, 3, v3
	s_and_b32 s13, s13, vcc_lo
	s_delay_alu instid0(VALU_DEP_1) | instid1(SALU_CYCLE_1)
	v_cndmask_b32_e64 v0, v0, 0, s13
	s_delay_alu instid0(VALU_DEP_1)
	v_or_b32_e32 v81, v0, v7
.LBB6_6998:                             ;   in Loop: Header=BB6_5830 Depth=4
	s_or_b32 exec_lo, exec_lo, s77
                                        ; implicit-def: $vgpr7
.LBB6_6999:                             ;   in Loop: Header=BB6_5830 Depth=4
	s_and_not1_saveexec_b32 s13, s76
; %bb.7000:                             ;   in Loop: Header=BB6_5830 Depth=4
	v_or_b32_e32 v81, 0x7b, v7
; %bb.7001:                             ;   in Loop: Header=BB6_5830 Depth=4
	s_or_b32 exec_lo, exec_lo, s13
                                        ; implicit-def: $vgpr0
                                        ; implicit-def: $vgpr1
.LBB6_7002:                             ;   in Loop: Header=BB6_5830 Depth=4
	s_and_not1_saveexec_b32 s13, s75
	s_cbranch_execz .LBB6_7008
; %bb.7003:                             ;   in Loop: Header=BB6_5830 Depth=4
	s_mov_b32 s75, exec_lo
                                        ; implicit-def: $vgpr81
	v_cmpx_ne_u64_e32 0, v[112:113]
	s_xor_b32 s75, exec_lo, s75
; %bb.7004:                             ;   in Loop: Header=BB6_5830 Depth=4
	v_or_b32_e32 v81, 0x7f, v1
                                        ; implicit-def: $vgpr0
; %bb.7005:                             ;   in Loop: Header=BB6_5830 Depth=4
	s_and_not1_saveexec_b32 s75, s75
; %bb.7006:                             ;   in Loop: Header=BB6_5830 Depth=4
	v_cmp_lt_i32_e32 vcc_lo, -1, v0
	v_mov_b32_e32 v0, 0x7c
	s_delay_alu instid0(VALU_DEP_1)
	v_cndmask_b32_e32 v81, 0xfc, v0, vcc_lo
; %bb.7007:                             ;   in Loop: Header=BB6_5830 Depth=4
	s_or_b32 exec_lo, exec_lo, s75
.LBB6_7008:                             ;   in Loop: Header=BB6_5830 Depth=4
	s_delay_alu instid0(SALU_CYCLE_1)
	s_or_b32 exec_lo, exec_lo, s13
	v_mov_b32_e32 v1, 0
	s_mov_b32 s75, exec_lo
	v_cmpx_lt_u64_e64 s[22:23], v[8:9]
	s_cbranch_execz .LBB6_7018
; %bb.7009:                             ;   in Loop: Header=BB6_5830 Depth=4
	v_lshrrev_b32_e32 v0, 24, v9
	v_bfrev_b32_e32 v1, 1
	s_mov_b32 s76, exec_lo
	s_delay_alu instid0(VALU_DEP_2)
	v_cmpx_ne_u32_e32 0x80, v0
	s_cbranch_execz .LBB6_7017
; %bb.7010:                             ;   in Loop: Header=BB6_5830 Depth=4
	v_and_b32_e32 v1, 0x7c000000, v9
	v_bfe_u32 v2, v9, 24, 2
	s_delay_alu instid0(VALU_DEP_2) | instskip(SKIP_1) | instid1(SALU_CYCLE_1)
	v_cmp_ne_u32_e32 vcc_lo, 0x7c000000, v1
                                        ; implicit-def: $vgpr1
	s_and_saveexec_b32 s13, vcc_lo
	s_xor_b32 s13, exec_lo, s13
	s_cbranch_execz .LBB6_7014
; %bb.7011:                             ;   in Loop: Header=BB6_5830 Depth=4
	v_bfe_u32 v1, v9, 26, 5
	s_mov_b32 s77, exec_lo
	s_delay_alu instid0(VALU_DEP_1)
	v_cmpx_eq_u32_e32 0, v1
; %bb.7012:                             ;   in Loop: Header=BB6_5830 Depth=4
	v_clz_i32_u32_e32 v1, v2
	s_delay_alu instid0(VALU_DEP_1) | instskip(NEXT) | instid1(VALU_DEP_1)
	v_min_u32_e32 v2, 32, v1
	v_subrev_nc_u32_e32 v1, 29, v2
	s_delay_alu instid0(VALU_DEP_1) | instskip(NEXT) | instid1(VALU_DEP_1)
	v_lshlrev_b64_e32 v[0:1], v1, v[0:1]
	v_dual_sub_nc_u32 v1, 30, v2 :: v_dual_bitop2_b32 v2, 3, v0 bitop3:0x40
; %bb.7013:                             ;   in Loop: Header=BB6_5830 Depth=4
	s_or_b32 exec_lo, exec_lo, s77
	v_and_b32_e32 v0, 0x80000000, v9
	s_delay_alu instid0(VALU_DEP_1) | instskip(NEXT) | instid1(VALU_DEP_1)
	v_lshl_add_u32 v0, v1, 23, v0
	v_lshl_or_b32 v0, v2, 21, v0
                                        ; implicit-def: $vgpr2
	s_delay_alu instid0(VALU_DEP_1)
	v_add_nc_u32_e32 v1, 0x38000000, v0
.LBB6_7014:                             ;   in Loop: Header=BB6_5830 Depth=4
	s_and_not1_saveexec_b32 s77, s13
; %bb.7015:                             ;   in Loop: Header=BB6_5830 Depth=4
	v_cmp_lt_i64_e64 s13, -1, v[8:9]
	v_mov_b32_e32 v0, 0x7f800000
	v_cmp_eq_u32_e32 vcc_lo, 0, v2
	s_delay_alu instid0(VALU_DEP_2) | instskip(NEXT) | instid1(VALU_DEP_1)
	v_cndmask_b32_e64 v0, 0xff800000, v0, s13
	v_cndmask_b32_e32 v1, 0x7f800001, v0, vcc_lo
; %bb.7016:                             ;   in Loop: Header=BB6_5830 Depth=4
	s_or_b32 exec_lo, exec_lo, s77
.LBB6_7017:                             ;   in Loop: Header=BB6_5830 Depth=4
	s_delay_alu instid0(SALU_CYCLE_1)
	s_or_b32 exec_lo, exec_lo, s76
.LBB6_7018:                             ;   in Loop: Header=BB6_5830 Depth=4
	s_delay_alu instid0(SALU_CYCLE_1) | instskip(NEXT) | instid1(VALU_DEP_1)
	s_or_b32 exec_lo, exec_lo, s75
	v_dual_mul_f32 v0, s74, v1 :: v_dual_mov_b32 v3, v113
                                        ; implicit-def: $vgpr83
	s_mov_b32 s13, exec_lo
	s_delay_alu instid0(VALU_DEP_1) | instskip(SKIP_2) | instid1(VALU_DEP_3)
	v_and_b32_e32 v2, 0x7f800000, v0
	v_and_b32_e32 v112, 0x7fffff, v0
	v_lshrrev_b32_e32 v1, 24, v0
	v_cmpx_ne_u64_e32 0x7f800000, v[2:3]
	s_xor_b32 s75, exec_lo, s13
	s_cbranch_execz .LBB6_7032
; %bb.7019:                             ;   in Loop: Header=BB6_5830 Depth=4
	v_and_b32_e32 v2, 0x7fffffff, v0
	v_mov_b32_e32 v3, v113
	v_and_b32_e32 v7, 0x80, v1
                                        ; implicit-def: $vgpr83
	s_mov_b32 s13, exec_lo
	s_delay_alu instid0(VALU_DEP_2)
	v_cmpx_gt_u64_e32 0x47600001, v[2:3]
	s_xor_b32 s76, exec_lo, s13
	s_cbranch_execz .LBB6_7029
; %bb.7020:                             ;   in Loop: Header=BB6_5830 Depth=4
	v_mov_b32_e32 v83, 0
	s_mov_b32 s77, exec_lo
	v_cmpx_ne_u32_e32 0, v0
	s_cbranch_execz .LBB6_7028
; %bb.7021:                             ;   in Loop: Header=BB6_5830 Depth=4
	v_bfe_u32 v8, v0, 23, 8
	v_or_b32_e32 v1, 0x800000, v112
	s_delay_alu instid0(VALU_DEP_2) | instskip(SKIP_2) | instid1(VALU_DEP_2)
	v_cmp_gt_u32_e64 s13, 0x72, v8
	v_sub_nc_u32_e32 v0, 0x71, v8
	v_cmp_eq_u32_e32 vcc_lo, 0, v8
	v_cndmask_b32_e64 v0, 0, v0, s13
	s_delay_alu instid0(VALU_DEP_1) | instskip(SKIP_1) | instid1(VALU_DEP_2)
	v_cndmask_b32_e64 v9, v0, 0x70, vcc_lo
	v_cndmask_b32_e32 v0, v1, v112, vcc_lo
	v_dual_mov_b32 v1, v113 :: v_dual_add_nc_u32 v2, 21, v9
	v_add_nc_u32_e32 v12, 20, v9
	s_delay_alu instid0(VALU_DEP_2) | instskip(NEXT) | instid1(VALU_DEP_2)
	v_lshlrev_b64_e64 v[2:3], v2, -1
	v_lshlrev_b64_e64 v[12:13], v12, 1
	s_delay_alu instid0(VALU_DEP_2) | instskip(SKIP_1) | instid1(VALU_DEP_4)
	v_bfi_b32 v2, v2, 0, v0
	v_lshrrev_b64 v[0:1], v9, v[0:1]
	v_bfi_b32 v3, v3, 0, 0
	s_delay_alu instid0(VALU_DEP_1) | instskip(NEXT) | instid1(VALU_DEP_3)
	v_cmp_eq_u64_e64 s13, v[2:3], v[12:13]
	v_mov_b64_e32 v[2:3], v[0:1]
	s_and_saveexec_b32 s78, s13
; %bb.7022:                             ;   in Loop: Header=BB6_5830 Depth=4
	v_bfe_u32 v2, v0, 21, 1
	v_mov_b32_e32 v3, v113
	s_delay_alu instid0(VALU_DEP_1) | instskip(NEXT) | instid1(VALU_DEP_1)
	v_add_nc_u64_e32 v[2:3], v[0:1], v[2:3]
	v_add_nc_u64_e32 v[2:3], -1, v[2:3]
; %bb.7023:                             ;   in Loop: Header=BB6_5830 Depth=4
	s_or_b32 exec_lo, exec_lo, s78
	v_add_nc_u32_e32 v1, 0xffffff81, v8
	v_lshrrev_b32_e32 v3, 23, v0
	s_mov_b32 s13, exec_lo
	s_delay_alu instid0(VALU_DEP_2) | instskip(NEXT) | instid1(VALU_DEP_1)
	v_cndmask_b32_e64 v1, v1, 0xffffff82, vcc_lo
	v_add3_u32 v8, v9, v1, v3
	v_and_b32_e32 v1, 0x1fffff, v2
                                        ; implicit-def: $vgpr2
	s_delay_alu instid0(VALU_DEP_2) | instskip(NEXT) | instid1(VALU_DEP_2)
	v_add_nc_u32_e32 v3, 14, v8
	v_add_nc_u32_e32 v112, v1, v0
                                        ; implicit-def: $vgpr0_vgpr1
	s_delay_alu instid0(VALU_DEP_2)
	v_cmpx_ne_u32_e32 0, v3
	s_xor_b32 s13, exec_lo, s13
; %bb.7024:                             ;   in Loop: Header=BB6_5830 Depth=4
	s_delay_alu instid0(VALU_DEP_2) | instskip(SKIP_1) | instid1(VALU_DEP_1)
	v_cmp_lt_u64_e32 vcc_lo, 0xffffff, v[112:113]
	v_add_nc_u32_e32 v0, 15, v8
	v_cndmask_b32_e32 v2, v3, v0, vcc_lo
	v_cndmask_b32_e64 v0, 0, 1, vcc_lo
	s_delay_alu instid0(VALU_DEP_1)
	v_lshrrev_b64 v[0:1], v0, v[112:113]
; %bb.7025:                             ;   in Loop: Header=BB6_5830 Depth=4
	s_and_not1_saveexec_b32 s13, s13
; %bb.7026:                             ;   in Loop: Header=BB6_5830 Depth=4
	v_mov_b64_e32 v[0:1], v[112:113]
	v_bfe_u32 v2, v112, 23, 1
; %bb.7027:                             ;   in Loop: Header=BB6_5830 Depth=4
	s_or_b32 exec_lo, exec_lo, s13
	s_delay_alu instid0(VALU_DEP_2) | instskip(NEXT) | instid1(VALU_DEP_2)
	v_lshrrev_b64 v[0:1], 21, v[0:1]
	v_cmp_gt_i32_e32 vcc_lo, 32, v2
	v_min_i32_e32 v3, 31, v2
	v_cmp_eq_u32_e64 s13, 0, v2
	s_delay_alu instid0(VALU_DEP_2) | instskip(SKIP_1) | instid1(VALU_DEP_2)
	v_dual_cndmask_b32 v1, 0, v1, vcc_lo :: v_dual_lshlrev_b32 v3, 2, v3
	v_cndmask_b32_e32 v0, 3, v0, vcc_lo
	v_and_b32_e32 v3, 0xfc, v3
	s_delay_alu instid0(VALU_DEP_2) | instskip(NEXT) | instid1(VALU_DEP_2)
	v_cmp_eq_u64_e32 vcc_lo, 0, v[0:1]
	v_and_or_b32 v0, v0, 3, v3
	s_and_b32 s13, s13, vcc_lo
	s_delay_alu instid0(VALU_DEP_1) | instid1(SALU_CYCLE_1)
	v_cndmask_b32_e64 v0, v0, 0, s13
	s_delay_alu instid0(VALU_DEP_1)
	v_or_b32_e32 v83, v0, v7
.LBB6_7028:                             ;   in Loop: Header=BB6_5830 Depth=4
	s_or_b32 exec_lo, exec_lo, s77
                                        ; implicit-def: $vgpr7
.LBB6_7029:                             ;   in Loop: Header=BB6_5830 Depth=4
	s_and_not1_saveexec_b32 s13, s76
; %bb.7030:                             ;   in Loop: Header=BB6_5830 Depth=4
	v_or_b32_e32 v83, 0x7b, v7
; %bb.7031:                             ;   in Loop: Header=BB6_5830 Depth=4
	s_or_b32 exec_lo, exec_lo, s13
                                        ; implicit-def: $vgpr0
                                        ; implicit-def: $vgpr1
.LBB6_7032:                             ;   in Loop: Header=BB6_5830 Depth=4
	s_and_not1_saveexec_b32 s13, s75
	s_cbranch_execz .LBB6_7038
; %bb.7033:                             ;   in Loop: Header=BB6_5830 Depth=4
	s_mov_b32 s75, exec_lo
                                        ; implicit-def: $vgpr83
	v_cmpx_ne_u64_e32 0, v[112:113]
	s_xor_b32 s75, exec_lo, s75
; %bb.7034:                             ;   in Loop: Header=BB6_5830 Depth=4
	v_or_b32_e32 v83, 0x7f, v1
                                        ; implicit-def: $vgpr0
; %bb.7035:                             ;   in Loop: Header=BB6_5830 Depth=4
	s_and_not1_saveexec_b32 s75, s75
; %bb.7036:                             ;   in Loop: Header=BB6_5830 Depth=4
	v_cmp_lt_i32_e32 vcc_lo, -1, v0
	v_mov_b32_e32 v0, 0x7c
	s_delay_alu instid0(VALU_DEP_1)
	v_cndmask_b32_e32 v83, 0xfc, v0, vcc_lo
; %bb.7037:                             ;   in Loop: Header=BB6_5830 Depth=4
	s_or_b32 exec_lo, exec_lo, s75
.LBB6_7038:                             ;   in Loop: Header=BB6_5830 Depth=4
	s_delay_alu instid0(SALU_CYCLE_1) | instskip(SKIP_1) | instid1(VALU_DEP_1)
	s_or_b32 exec_lo, exec_lo, s13
	v_and_b32_e32 v0, 0xff, v10
	v_cmp_ne_u16_e32 vcc_lo, 0, v0
	v_mov_b32_e32 v0, 0
	s_and_saveexec_b32 s75, vcc_lo
	s_cbranch_execz .LBB6_7048
; %bb.7039:                             ;   in Loop: Header=BB6_5830 Depth=4
	v_bfe_i32 v2, v10, 0, 8
	v_bfrev_b32_e32 v0, 1
	s_mov_b32 s76, exec_lo
	s_delay_alu instid0(VALU_DEP_2)
	v_cmpx_ne_u16_e32 0xff80, v2
	s_cbranch_execz .LBB6_7047
; %bb.7040:                             ;   in Loop: Header=BB6_5830 Depth=4
	v_and_b32_e32 v0, 0x7c, v10
	v_and_b32_e32 v1, 3, v10
	s_delay_alu instid0(VALU_DEP_2) | instskip(SKIP_1) | instid1(SALU_CYCLE_1)
	v_cmp_ne_u32_e32 vcc_lo, 0x7c, v0
                                        ; implicit-def: $vgpr0
	s_and_saveexec_b32 s13, vcc_lo
	s_xor_b32 s13, exec_lo, s13
	s_cbranch_execz .LBB6_7044
; %bb.7041:                             ;   in Loop: Header=BB6_5830 Depth=4
	v_bfe_u32 v0, v10, 2, 5
	s_mov_b32 s77, exec_lo
	s_delay_alu instid0(VALU_DEP_1)
	v_cmpx_eq_u32_e32 0, v0
; %bb.7042:                             ;   in Loop: Header=BB6_5830 Depth=4
	v_clz_i32_u32_e32 v0, v1
	s_delay_alu instid0(VALU_DEP_1) | instskip(NEXT) | instid1(VALU_DEP_1)
	v_min_u32_e32 v0, 32, v0
	v_subrev_nc_u32_e32 v1, 29, v0
	s_delay_alu instid0(VALU_DEP_1) | instskip(NEXT) | instid1(VALU_DEP_1)
	v_lshlrev_b64_e32 v[2:3], v1, v[10:11]
	v_dual_sub_nc_u32 v0, 30, v0 :: v_dual_bitop2_b32 v1, 3, v2 bitop3:0x40
; %bb.7043:                             ;   in Loop: Header=BB6_5830 Depth=4
	s_or_b32 exec_lo, exec_lo, s77
	v_lshlrev_b32_e32 v2, 24, v10
	s_delay_alu instid0(VALU_DEP_1) | instskip(NEXT) | instid1(VALU_DEP_1)
	v_and_b32_e32 v2, 0x80000000, v2
	v_lshl_add_u32 v0, v0, 23, v2
                                        ; implicit-def: $vgpr2
	s_delay_alu instid0(VALU_DEP_1) | instskip(NEXT) | instid1(VALU_DEP_1)
	v_lshl_or_b32 v0, v1, 21, v0
                                        ; implicit-def: $vgpr1
	v_add_nc_u32_e32 v0, 0x38000000, v0
.LBB6_7044:                             ;   in Loop: Header=BB6_5830 Depth=4
	s_and_not1_saveexec_b32 s77, s13
; %bb.7045:                             ;   in Loop: Header=BB6_5830 Depth=4
	v_cmp_lt_i16_e64 s13, -1, v2
	v_mov_b32_e32 v0, 0x7f800000
	v_cmp_eq_u32_e32 vcc_lo, 0, v1
	s_delay_alu instid0(VALU_DEP_2) | instskip(NEXT) | instid1(VALU_DEP_1)
	v_cndmask_b32_e64 v0, 0xff800000, v0, s13
	v_cndmask_b32_e32 v0, 0x7f800001, v0, vcc_lo
; %bb.7046:                             ;   in Loop: Header=BB6_5830 Depth=4
	s_or_b32 exec_lo, exec_lo, s77
.LBB6_7047:                             ;   in Loop: Header=BB6_5830 Depth=4
	s_delay_alu instid0(SALU_CYCLE_1)
	s_or_b32 exec_lo, exec_lo, s76
.LBB6_7048:                             ;   in Loop: Header=BB6_5830 Depth=4
	s_delay_alu instid0(SALU_CYCLE_1) | instskip(NEXT) | instid1(VALU_DEP_1)
	s_or_b32 exec_lo, exec_lo, s75
	v_dual_mul_f32 v0, s74, v0 :: v_dual_mov_b32 v3, v113
                                        ; implicit-def: $vgpr49
	s_mov_b32 s13, exec_lo
	s_delay_alu instid0(VALU_DEP_1) | instskip(SKIP_2) | instid1(VALU_DEP_3)
	v_and_b32_e32 v2, 0x7f800000, v0
	v_and_b32_e32 v112, 0x7fffff, v0
	v_lshrrev_b32_e32 v1, 24, v0
	v_cmpx_ne_u64_e32 0x7f800000, v[2:3]
	s_xor_b32 s75, exec_lo, s13
	s_cbranch_execz .LBB6_7062
; %bb.7049:                             ;   in Loop: Header=BB6_5830 Depth=4
	v_and_b32_e32 v2, 0x7fffffff, v0
	v_mov_b32_e32 v3, v113
	v_and_b32_e32 v7, 0x80, v1
                                        ; implicit-def: $vgpr49
	s_mov_b32 s13, exec_lo
	s_delay_alu instid0(VALU_DEP_2)
	v_cmpx_gt_u64_e32 0x47600001, v[2:3]
	s_xor_b32 s76, exec_lo, s13
	s_cbranch_execz .LBB6_7059
; %bb.7050:                             ;   in Loop: Header=BB6_5830 Depth=4
	v_mov_b32_e32 v49, 0
	s_mov_b32 s77, exec_lo
	v_cmpx_ne_u32_e32 0, v0
	s_cbranch_execz .LBB6_7058
; %bb.7051:                             ;   in Loop: Header=BB6_5830 Depth=4
	v_bfe_u32 v8, v0, 23, 8
	v_or_b32_e32 v1, 0x800000, v112
	s_delay_alu instid0(VALU_DEP_2) | instskip(SKIP_2) | instid1(VALU_DEP_2)
	v_cmp_gt_u32_e64 s13, 0x72, v8
	v_sub_nc_u32_e32 v0, 0x71, v8
	v_cmp_eq_u32_e32 vcc_lo, 0, v8
	v_cndmask_b32_e64 v0, 0, v0, s13
	s_delay_alu instid0(VALU_DEP_1) | instskip(SKIP_1) | instid1(VALU_DEP_2)
	v_cndmask_b32_e64 v9, v0, 0x70, vcc_lo
	v_cndmask_b32_e32 v0, v1, v112, vcc_lo
	v_dual_mov_b32 v1, v113 :: v_dual_add_nc_u32 v2, 21, v9
	v_add_nc_u32_e32 v12, 20, v9
	s_delay_alu instid0(VALU_DEP_2) | instskip(NEXT) | instid1(VALU_DEP_2)
	v_lshlrev_b64_e64 v[2:3], v2, -1
	v_lshlrev_b64_e64 v[12:13], v12, 1
	s_delay_alu instid0(VALU_DEP_2) | instskip(SKIP_1) | instid1(VALU_DEP_4)
	v_bfi_b32 v2, v2, 0, v0
	v_lshrrev_b64 v[0:1], v9, v[0:1]
	v_bfi_b32 v3, v3, 0, 0
	s_delay_alu instid0(VALU_DEP_1) | instskip(NEXT) | instid1(VALU_DEP_3)
	v_cmp_eq_u64_e64 s13, v[2:3], v[12:13]
	v_mov_b64_e32 v[2:3], v[0:1]
	s_and_saveexec_b32 s78, s13
; %bb.7052:                             ;   in Loop: Header=BB6_5830 Depth=4
	v_bfe_u32 v2, v0, 21, 1
	v_mov_b32_e32 v3, v113
	s_delay_alu instid0(VALU_DEP_1) | instskip(NEXT) | instid1(VALU_DEP_1)
	v_add_nc_u64_e32 v[2:3], v[0:1], v[2:3]
	v_add_nc_u64_e32 v[2:3], -1, v[2:3]
; %bb.7053:                             ;   in Loop: Header=BB6_5830 Depth=4
	s_or_b32 exec_lo, exec_lo, s78
	v_add_nc_u32_e32 v1, 0xffffff81, v8
	v_lshrrev_b32_e32 v3, 23, v0
	s_mov_b32 s13, exec_lo
	s_delay_alu instid0(VALU_DEP_2) | instskip(NEXT) | instid1(VALU_DEP_1)
	v_cndmask_b32_e64 v1, v1, 0xffffff82, vcc_lo
	v_add3_u32 v8, v9, v1, v3
	v_and_b32_e32 v1, 0x1fffff, v2
                                        ; implicit-def: $vgpr2
	s_delay_alu instid0(VALU_DEP_2) | instskip(NEXT) | instid1(VALU_DEP_2)
	v_add_nc_u32_e32 v3, 14, v8
	v_add_nc_u32_e32 v112, v1, v0
                                        ; implicit-def: $vgpr0_vgpr1
	s_delay_alu instid0(VALU_DEP_2)
	v_cmpx_ne_u32_e32 0, v3
	s_xor_b32 s13, exec_lo, s13
; %bb.7054:                             ;   in Loop: Header=BB6_5830 Depth=4
	s_delay_alu instid0(VALU_DEP_2) | instskip(SKIP_1) | instid1(VALU_DEP_1)
	v_cmp_lt_u64_e32 vcc_lo, 0xffffff, v[112:113]
	v_add_nc_u32_e32 v0, 15, v8
	v_cndmask_b32_e32 v2, v3, v0, vcc_lo
	v_cndmask_b32_e64 v0, 0, 1, vcc_lo
	s_delay_alu instid0(VALU_DEP_1)
	v_lshrrev_b64 v[0:1], v0, v[112:113]
; %bb.7055:                             ;   in Loop: Header=BB6_5830 Depth=4
	s_and_not1_saveexec_b32 s13, s13
; %bb.7056:                             ;   in Loop: Header=BB6_5830 Depth=4
	v_mov_b64_e32 v[0:1], v[112:113]
	v_bfe_u32 v2, v112, 23, 1
; %bb.7057:                             ;   in Loop: Header=BB6_5830 Depth=4
	s_or_b32 exec_lo, exec_lo, s13
	s_delay_alu instid0(VALU_DEP_2) | instskip(NEXT) | instid1(VALU_DEP_2)
	v_lshrrev_b64 v[0:1], 21, v[0:1]
	v_cmp_gt_i32_e32 vcc_lo, 32, v2
	v_min_i32_e32 v3, 31, v2
	v_cmp_eq_u32_e64 s13, 0, v2
	s_delay_alu instid0(VALU_DEP_2) | instskip(SKIP_1) | instid1(VALU_DEP_2)
	v_dual_cndmask_b32 v1, 0, v1, vcc_lo :: v_dual_lshlrev_b32 v3, 2, v3
	v_cndmask_b32_e32 v0, 3, v0, vcc_lo
	v_and_b32_e32 v3, 0xfc, v3
	s_delay_alu instid0(VALU_DEP_2) | instskip(NEXT) | instid1(VALU_DEP_2)
	v_cmp_eq_u64_e32 vcc_lo, 0, v[0:1]
	v_and_or_b32 v0, v0, 3, v3
	s_and_b32 s13, s13, vcc_lo
	s_delay_alu instid0(VALU_DEP_1) | instid1(SALU_CYCLE_1)
	v_cndmask_b32_e64 v0, v0, 0, s13
	s_delay_alu instid0(VALU_DEP_1)
	v_or_b32_e32 v49, v0, v7
.LBB6_7058:                             ;   in Loop: Header=BB6_5830 Depth=4
	s_or_b32 exec_lo, exec_lo, s77
                                        ; implicit-def: $vgpr7
.LBB6_7059:                             ;   in Loop: Header=BB6_5830 Depth=4
	s_and_not1_saveexec_b32 s13, s76
; %bb.7060:                             ;   in Loop: Header=BB6_5830 Depth=4
	v_or_b32_e32 v49, 0x7b, v7
; %bb.7061:                             ;   in Loop: Header=BB6_5830 Depth=4
	s_or_b32 exec_lo, exec_lo, s13
                                        ; implicit-def: $vgpr0
                                        ; implicit-def: $vgpr1
.LBB6_7062:                             ;   in Loop: Header=BB6_5830 Depth=4
	s_and_not1_saveexec_b32 s13, s75
	s_cbranch_execz .LBB6_7068
; %bb.7063:                             ;   in Loop: Header=BB6_5830 Depth=4
	s_mov_b32 s75, exec_lo
                                        ; implicit-def: $vgpr49
	v_cmpx_ne_u64_e32 0, v[112:113]
	s_xor_b32 s75, exec_lo, s75
; %bb.7064:                             ;   in Loop: Header=BB6_5830 Depth=4
	v_or_b32_e32 v49, 0x7f, v1
                                        ; implicit-def: $vgpr0
; %bb.7065:                             ;   in Loop: Header=BB6_5830 Depth=4
	s_and_not1_saveexec_b32 s75, s75
; %bb.7066:                             ;   in Loop: Header=BB6_5830 Depth=4
	v_cmp_lt_i32_e32 vcc_lo, -1, v0
	v_mov_b32_e32 v0, 0x7c
	s_delay_alu instid0(VALU_DEP_1)
	v_cndmask_b32_e32 v49, 0xfc, v0, vcc_lo
; %bb.7067:                             ;   in Loop: Header=BB6_5830 Depth=4
	s_or_b32 exec_lo, exec_lo, s75
.LBB6_7068:                             ;   in Loop: Header=BB6_5830 Depth=4
	s_delay_alu instid0(SALU_CYCLE_1) | instskip(SKIP_3) | instid1(VALU_DEP_2)
	s_or_b32 exec_lo, exec_lo, s13
	v_lshrrev_b16 v0, 8, v10
	v_mov_b32_e32 v1, 0
	s_mov_b32 s75, exec_lo
	v_cmpx_ne_u16_e32 0, v0
	s_cbranch_execz .LBB6_7078
; %bb.7069:                             ;   in Loop: Header=BB6_5830 Depth=4
	v_bfrev_b32_e32 v1, 1
	s_mov_b32 s76, exec_lo
	v_cmpx_ne_u16_e32 0x80, v0
	s_cbranch_execz .LBB6_7077
; %bb.7070:                             ;   in Loop: Header=BB6_5830 Depth=4
	v_and_b32_e32 v3, 0xffff, v0
	s_delay_alu instid0(VALU_DEP_1) | instskip(SKIP_1) | instid1(VALU_DEP_2)
	v_and_b32_e32 v1, 0x7c, v3
	v_and_b32_e32 v2, 3, v3
	v_cmp_ne_u32_e32 vcc_lo, 0x7c, v1
                                        ; implicit-def: $vgpr1
	s_and_saveexec_b32 s13, vcc_lo
	s_delay_alu instid0(SALU_CYCLE_1)
	s_xor_b32 s13, exec_lo, s13
	s_cbranch_execz .LBB6_7074
; %bb.7071:                             ;   in Loop: Header=BB6_5830 Depth=4
	v_bfe_u32 v1, v3, 2, 5
	s_mov_b32 s77, exec_lo
	s_delay_alu instid0(VALU_DEP_1)
	v_cmpx_eq_u32_e32 0, v1
; %bb.7072:                             ;   in Loop: Header=BB6_5830 Depth=4
	v_clz_i32_u32_e32 v1, v2
	s_delay_alu instid0(VALU_DEP_1) | instskip(SKIP_1) | instid1(VALU_DEP_2)
	v_min_u32_e32 v2, 32, v1
	v_mov_b32_e32 v1, v113
	v_subrev_nc_u32_e32 v3, 29, v2
	s_delay_alu instid0(VALU_DEP_1) | instskip(NEXT) | instid1(VALU_DEP_1)
	v_lshlrev_b64_e32 v[0:1], v3, v[0:1]
	v_dual_sub_nc_u32 v1, 30, v2 :: v_dual_bitop2_b32 v2, 3, v0 bitop3:0x40
; %bb.7073:                             ;   in Loop: Header=BB6_5830 Depth=4
	s_or_b32 exec_lo, exec_lo, s77
	v_lshlrev_b32_e32 v0, 16, v10
	s_delay_alu instid0(VALU_DEP_1) | instskip(NEXT) | instid1(VALU_DEP_1)
	v_and_b32_e32 v0, 0x80000000, v0
	v_lshl_add_u32 v0, v1, 23, v0
	s_delay_alu instid0(VALU_DEP_1) | instskip(NEXT) | instid1(VALU_DEP_1)
	v_lshl_or_b32 v0, v2, 21, v0
                                        ; implicit-def: $vgpr2
	v_add_nc_u32_e32 v1, 0x38000000, v0
.LBB6_7074:                             ;   in Loop: Header=BB6_5830 Depth=4
	s_and_not1_saveexec_b32 s77, s13
; %bb.7075:                             ;   in Loop: Header=BB6_5830 Depth=4
	v_cmp_lt_i16_e64 s13, -1, v10
	v_mov_b32_e32 v0, 0x7f800000
	v_cmp_eq_u32_e32 vcc_lo, 0, v2
	s_delay_alu instid0(VALU_DEP_2) | instskip(NEXT) | instid1(VALU_DEP_1)
	v_cndmask_b32_e64 v0, 0xff800000, v0, s13
	v_cndmask_b32_e32 v1, 0x7f800001, v0, vcc_lo
; %bb.7076:                             ;   in Loop: Header=BB6_5830 Depth=4
	s_or_b32 exec_lo, exec_lo, s77
.LBB6_7077:                             ;   in Loop: Header=BB6_5830 Depth=4
	s_delay_alu instid0(SALU_CYCLE_1)
	s_or_b32 exec_lo, exec_lo, s76
.LBB6_7078:                             ;   in Loop: Header=BB6_5830 Depth=4
	s_delay_alu instid0(SALU_CYCLE_1) | instskip(NEXT) | instid1(VALU_DEP_1)
	s_or_b32 exec_lo, exec_lo, s75
	v_dual_mul_f32 v0, s74, v1 :: v_dual_mov_b32 v3, v113
                                        ; implicit-def: $vgpr65
	s_mov_b32 s13, exec_lo
	s_delay_alu instid0(VALU_DEP_1) | instskip(SKIP_2) | instid1(VALU_DEP_3)
	v_and_b32_e32 v2, 0x7f800000, v0
	v_and_b32_e32 v112, 0x7fffff, v0
	v_lshrrev_b32_e32 v1, 24, v0
	v_cmpx_ne_u64_e32 0x7f800000, v[2:3]
	s_xor_b32 s75, exec_lo, s13
	s_cbranch_execz .LBB6_7092
; %bb.7079:                             ;   in Loop: Header=BB6_5830 Depth=4
	v_and_b32_e32 v2, 0x7fffffff, v0
	v_mov_b32_e32 v3, v113
	v_and_b32_e32 v7, 0x80, v1
                                        ; implicit-def: $vgpr65
	s_mov_b32 s13, exec_lo
	s_delay_alu instid0(VALU_DEP_2)
	v_cmpx_gt_u64_e32 0x47600001, v[2:3]
	s_xor_b32 s76, exec_lo, s13
	s_cbranch_execz .LBB6_7089
; %bb.7080:                             ;   in Loop: Header=BB6_5830 Depth=4
	v_mov_b32_e32 v65, 0
	s_mov_b32 s77, exec_lo
	v_cmpx_ne_u32_e32 0, v0
	s_cbranch_execz .LBB6_7088
; %bb.7081:                             ;   in Loop: Header=BB6_5830 Depth=4
	v_bfe_u32 v8, v0, 23, 8
	v_or_b32_e32 v1, 0x800000, v112
	s_delay_alu instid0(VALU_DEP_2) | instskip(SKIP_2) | instid1(VALU_DEP_2)
	v_cmp_gt_u32_e64 s13, 0x72, v8
	v_sub_nc_u32_e32 v0, 0x71, v8
	v_cmp_eq_u32_e32 vcc_lo, 0, v8
	v_cndmask_b32_e64 v0, 0, v0, s13
	s_delay_alu instid0(VALU_DEP_1) | instskip(SKIP_1) | instid1(VALU_DEP_2)
	v_cndmask_b32_e64 v9, v0, 0x70, vcc_lo
	v_cndmask_b32_e32 v0, v1, v112, vcc_lo
	v_dual_mov_b32 v1, v113 :: v_dual_add_nc_u32 v2, 21, v9
	v_add_nc_u32_e32 v12, 20, v9
	s_delay_alu instid0(VALU_DEP_2) | instskip(NEXT) | instid1(VALU_DEP_2)
	v_lshlrev_b64_e64 v[2:3], v2, -1
	v_lshlrev_b64_e64 v[12:13], v12, 1
	s_delay_alu instid0(VALU_DEP_2) | instskip(SKIP_1) | instid1(VALU_DEP_4)
	v_bfi_b32 v2, v2, 0, v0
	v_lshrrev_b64 v[0:1], v9, v[0:1]
	v_bfi_b32 v3, v3, 0, 0
	s_delay_alu instid0(VALU_DEP_1) | instskip(NEXT) | instid1(VALU_DEP_3)
	v_cmp_eq_u64_e64 s13, v[2:3], v[12:13]
	v_mov_b64_e32 v[2:3], v[0:1]
	s_and_saveexec_b32 s78, s13
; %bb.7082:                             ;   in Loop: Header=BB6_5830 Depth=4
	v_bfe_u32 v2, v0, 21, 1
	v_mov_b32_e32 v3, v113
	s_delay_alu instid0(VALU_DEP_1) | instskip(NEXT) | instid1(VALU_DEP_1)
	v_add_nc_u64_e32 v[2:3], v[0:1], v[2:3]
	v_add_nc_u64_e32 v[2:3], -1, v[2:3]
; %bb.7083:                             ;   in Loop: Header=BB6_5830 Depth=4
	s_or_b32 exec_lo, exec_lo, s78
	v_add_nc_u32_e32 v1, 0xffffff81, v8
	v_lshrrev_b32_e32 v3, 23, v0
	s_mov_b32 s13, exec_lo
	s_delay_alu instid0(VALU_DEP_2) | instskip(NEXT) | instid1(VALU_DEP_1)
	v_cndmask_b32_e64 v1, v1, 0xffffff82, vcc_lo
	v_add3_u32 v8, v9, v1, v3
	v_and_b32_e32 v1, 0x1fffff, v2
                                        ; implicit-def: $vgpr2
	s_delay_alu instid0(VALU_DEP_2) | instskip(NEXT) | instid1(VALU_DEP_2)
	v_add_nc_u32_e32 v3, 14, v8
	v_add_nc_u32_e32 v112, v1, v0
                                        ; implicit-def: $vgpr0_vgpr1
	s_delay_alu instid0(VALU_DEP_2)
	v_cmpx_ne_u32_e32 0, v3
	s_xor_b32 s13, exec_lo, s13
; %bb.7084:                             ;   in Loop: Header=BB6_5830 Depth=4
	s_delay_alu instid0(VALU_DEP_2) | instskip(SKIP_1) | instid1(VALU_DEP_1)
	v_cmp_lt_u64_e32 vcc_lo, 0xffffff, v[112:113]
	v_add_nc_u32_e32 v0, 15, v8
	v_cndmask_b32_e32 v2, v3, v0, vcc_lo
	v_cndmask_b32_e64 v0, 0, 1, vcc_lo
	s_delay_alu instid0(VALU_DEP_1)
	v_lshrrev_b64 v[0:1], v0, v[112:113]
; %bb.7085:                             ;   in Loop: Header=BB6_5830 Depth=4
	s_and_not1_saveexec_b32 s13, s13
; %bb.7086:                             ;   in Loop: Header=BB6_5830 Depth=4
	v_mov_b64_e32 v[0:1], v[112:113]
	v_bfe_u32 v2, v112, 23, 1
; %bb.7087:                             ;   in Loop: Header=BB6_5830 Depth=4
	s_or_b32 exec_lo, exec_lo, s13
	s_delay_alu instid0(VALU_DEP_2) | instskip(NEXT) | instid1(VALU_DEP_2)
	v_lshrrev_b64 v[0:1], 21, v[0:1]
	v_cmp_gt_i32_e32 vcc_lo, 32, v2
	v_min_i32_e32 v3, 31, v2
	v_cmp_eq_u32_e64 s13, 0, v2
	s_delay_alu instid0(VALU_DEP_2) | instskip(SKIP_1) | instid1(VALU_DEP_2)
	v_dual_cndmask_b32 v1, 0, v1, vcc_lo :: v_dual_lshlrev_b32 v3, 2, v3
	v_cndmask_b32_e32 v0, 3, v0, vcc_lo
	v_and_b32_e32 v3, 0xfc, v3
	s_delay_alu instid0(VALU_DEP_2) | instskip(NEXT) | instid1(VALU_DEP_2)
	v_cmp_eq_u64_e32 vcc_lo, 0, v[0:1]
	v_and_or_b32 v0, v0, 3, v3
	s_and_b32 s13, s13, vcc_lo
	s_delay_alu instid0(VALU_DEP_1) | instid1(SALU_CYCLE_1)
	v_cndmask_b32_e64 v0, v0, 0, s13
	s_delay_alu instid0(VALU_DEP_1)
	v_or_b32_e32 v65, v0, v7
.LBB6_7088:                             ;   in Loop: Header=BB6_5830 Depth=4
	s_or_b32 exec_lo, exec_lo, s77
                                        ; implicit-def: $vgpr7
.LBB6_7089:                             ;   in Loop: Header=BB6_5830 Depth=4
	s_and_not1_saveexec_b32 s13, s76
; %bb.7090:                             ;   in Loop: Header=BB6_5830 Depth=4
	v_or_b32_e32 v65, 0x7b, v7
; %bb.7091:                             ;   in Loop: Header=BB6_5830 Depth=4
	s_or_b32 exec_lo, exec_lo, s13
                                        ; implicit-def: $vgpr0
                                        ; implicit-def: $vgpr1
.LBB6_7092:                             ;   in Loop: Header=BB6_5830 Depth=4
	s_and_not1_saveexec_b32 s13, s75
	s_cbranch_execz .LBB6_7098
; %bb.7093:                             ;   in Loop: Header=BB6_5830 Depth=4
	s_mov_b32 s75, exec_lo
                                        ; implicit-def: $vgpr65
	v_cmpx_ne_u64_e32 0, v[112:113]
	s_xor_b32 s75, exec_lo, s75
; %bb.7094:                             ;   in Loop: Header=BB6_5830 Depth=4
	v_or_b32_e32 v65, 0x7f, v1
                                        ; implicit-def: $vgpr0
; %bb.7095:                             ;   in Loop: Header=BB6_5830 Depth=4
	s_and_not1_saveexec_b32 s75, s75
; %bb.7096:                             ;   in Loop: Header=BB6_5830 Depth=4
	v_cmp_lt_i32_e32 vcc_lo, -1, v0
	v_mov_b32_e32 v0, 0x7c
	s_delay_alu instid0(VALU_DEP_1)
	v_cndmask_b32_e32 v65, 0xfc, v0, vcc_lo
; %bb.7097:                             ;   in Loop: Header=BB6_5830 Depth=4
	s_or_b32 exec_lo, exec_lo, s75
.LBB6_7098:                             ;   in Loop: Header=BB6_5830 Depth=4
	s_delay_alu instid0(SALU_CYCLE_1) | instskip(SKIP_2) | instid1(VALU_DEP_1)
	s_or_b32 exec_lo, exec_lo, s13
	v_dual_mov_b32 v1, 0 :: v_dual_lshrrev_b32 v0, 16, v10
	s_mov_b32 s75, exec_lo
	v_and_b32_e32 v2, 0xff, v0
	s_delay_alu instid0(VALU_DEP_1)
	v_cmpx_ne_u16_e32 0, v2
	s_cbranch_execz .LBB6_7108
; %bb.7099:                             ;   in Loop: Header=BB6_5830 Depth=4
	v_bfrev_b32_e32 v1, 1
	s_mov_b32 s76, exec_lo
	v_cmpx_ne_u16_e32 0x80, v2
	s_cbranch_execz .LBB6_7107
; %bb.7100:                             ;   in Loop: Header=BB6_5830 Depth=4
	v_and_b32_e32 v1, 0x7c0000, v10
	v_bfe_u32 v2, v10, 16, 2
	s_delay_alu instid0(VALU_DEP_2) | instskip(SKIP_1) | instid1(SALU_CYCLE_1)
	v_cmp_ne_u32_e32 vcc_lo, 0x7c0000, v1
                                        ; implicit-def: $vgpr1
	s_and_saveexec_b32 s13, vcc_lo
	s_xor_b32 s13, exec_lo, s13
	s_cbranch_execz .LBB6_7104
; %bb.7101:                             ;   in Loop: Header=BB6_5830 Depth=4
	v_bfe_u32 v1, v10, 18, 5
	s_mov_b32 s77, exec_lo
	s_delay_alu instid0(VALU_DEP_1)
	v_cmpx_eq_u32_e32 0, v1
; %bb.7102:                             ;   in Loop: Header=BB6_5830 Depth=4
	v_clz_i32_u32_e32 v1, v2
	s_delay_alu instid0(VALU_DEP_1) | instskip(NEXT) | instid1(VALU_DEP_1)
	v_min_u32_e32 v1, 32, v1
	v_subrev_nc_u32_e32 v2, 29, v1
	s_delay_alu instid0(VALU_DEP_1) | instskip(NEXT) | instid1(VALU_DEP_1)
	v_lshlrev_b64_e32 v[2:3], v2, v[0:1]
	v_dual_sub_nc_u32 v1, 30, v1 :: v_dual_bitop2_b32 v2, 3, v2 bitop3:0x40
; %bb.7103:                             ;   in Loop: Header=BB6_5830 Depth=4
	s_or_b32 exec_lo, exec_lo, s77
	v_lshlrev_b32_e32 v0, 24, v0
	s_delay_alu instid0(VALU_DEP_1) | instskip(NEXT) | instid1(VALU_DEP_1)
	v_and_b32_e32 v0, 0x80000000, v0
	v_lshl_add_u32 v0, v1, 23, v0
	s_delay_alu instid0(VALU_DEP_1) | instskip(NEXT) | instid1(VALU_DEP_1)
	v_lshl_or_b32 v0, v2, 21, v0
                                        ; implicit-def: $vgpr2
	v_add_nc_u32_e32 v1, 0x38000000, v0
                                        ; implicit-def: $vgpr0
.LBB6_7104:                             ;   in Loop: Header=BB6_5830 Depth=4
	s_and_not1_saveexec_b32 s77, s13
; %bb.7105:                             ;   in Loop: Header=BB6_5830 Depth=4
	v_bfe_i32 v0, v0, 0, 8
	v_cmp_eq_u32_e32 vcc_lo, 0, v2
	s_delay_alu instid0(VALU_DEP_2) | instskip(SKIP_1) | instid1(VALU_DEP_1)
	v_cmp_lt_i16_e64 s13, -1, v0
	v_mov_b32_e32 v0, 0x7f800000
	v_cndmask_b32_e64 v0, 0xff800000, v0, s13
	s_delay_alu instid0(VALU_DEP_1)
	v_cndmask_b32_e32 v1, 0x7f800001, v0, vcc_lo
; %bb.7106:                             ;   in Loop: Header=BB6_5830 Depth=4
	s_or_b32 exec_lo, exec_lo, s77
.LBB6_7107:                             ;   in Loop: Header=BB6_5830 Depth=4
	s_delay_alu instid0(SALU_CYCLE_1)
	s_or_b32 exec_lo, exec_lo, s76
.LBB6_7108:                             ;   in Loop: Header=BB6_5830 Depth=4
	s_delay_alu instid0(SALU_CYCLE_1) | instskip(NEXT) | instid1(VALU_DEP_1)
	s_or_b32 exec_lo, exec_lo, s75
	v_dual_mul_f32 v0, s74, v1 :: v_dual_mov_b32 v3, v113
                                        ; implicit-def: $vgpr69
	s_mov_b32 s13, exec_lo
	s_delay_alu instid0(VALU_DEP_1) | instskip(SKIP_2) | instid1(VALU_DEP_3)
	v_and_b32_e32 v2, 0x7f800000, v0
	v_and_b32_e32 v112, 0x7fffff, v0
	v_lshrrev_b32_e32 v1, 24, v0
	v_cmpx_ne_u64_e32 0x7f800000, v[2:3]
	s_xor_b32 s75, exec_lo, s13
	s_cbranch_execz .LBB6_7122
; %bb.7109:                             ;   in Loop: Header=BB6_5830 Depth=4
	v_and_b32_e32 v2, 0x7fffffff, v0
	v_mov_b32_e32 v3, v113
	v_and_b32_e32 v7, 0x80, v1
                                        ; implicit-def: $vgpr69
	s_mov_b32 s13, exec_lo
	s_delay_alu instid0(VALU_DEP_2)
	v_cmpx_gt_u64_e32 0x47600001, v[2:3]
	s_xor_b32 s76, exec_lo, s13
	s_cbranch_execz .LBB6_7119
; %bb.7110:                             ;   in Loop: Header=BB6_5830 Depth=4
	v_mov_b32_e32 v69, 0
	s_mov_b32 s77, exec_lo
	v_cmpx_ne_u32_e32 0, v0
	s_cbranch_execz .LBB6_7118
; %bb.7111:                             ;   in Loop: Header=BB6_5830 Depth=4
	v_bfe_u32 v8, v0, 23, 8
	v_or_b32_e32 v1, 0x800000, v112
	s_delay_alu instid0(VALU_DEP_2) | instskip(SKIP_2) | instid1(VALU_DEP_2)
	v_cmp_gt_u32_e64 s13, 0x72, v8
	v_sub_nc_u32_e32 v0, 0x71, v8
	v_cmp_eq_u32_e32 vcc_lo, 0, v8
	v_cndmask_b32_e64 v0, 0, v0, s13
	s_delay_alu instid0(VALU_DEP_1) | instskip(SKIP_1) | instid1(VALU_DEP_2)
	v_cndmask_b32_e64 v9, v0, 0x70, vcc_lo
	v_cndmask_b32_e32 v0, v1, v112, vcc_lo
	v_dual_mov_b32 v1, v113 :: v_dual_add_nc_u32 v2, 21, v9
	v_add_nc_u32_e32 v12, 20, v9
	s_delay_alu instid0(VALU_DEP_2) | instskip(NEXT) | instid1(VALU_DEP_2)
	v_lshlrev_b64_e64 v[2:3], v2, -1
	v_lshlrev_b64_e64 v[12:13], v12, 1
	s_delay_alu instid0(VALU_DEP_2) | instskip(SKIP_1) | instid1(VALU_DEP_4)
	v_bfi_b32 v2, v2, 0, v0
	v_lshrrev_b64 v[0:1], v9, v[0:1]
	v_bfi_b32 v3, v3, 0, 0
	s_delay_alu instid0(VALU_DEP_1) | instskip(NEXT) | instid1(VALU_DEP_3)
	v_cmp_eq_u64_e64 s13, v[2:3], v[12:13]
	v_mov_b64_e32 v[2:3], v[0:1]
	s_and_saveexec_b32 s78, s13
; %bb.7112:                             ;   in Loop: Header=BB6_5830 Depth=4
	v_bfe_u32 v2, v0, 21, 1
	v_mov_b32_e32 v3, v113
	s_delay_alu instid0(VALU_DEP_1) | instskip(NEXT) | instid1(VALU_DEP_1)
	v_add_nc_u64_e32 v[2:3], v[0:1], v[2:3]
	v_add_nc_u64_e32 v[2:3], -1, v[2:3]
; %bb.7113:                             ;   in Loop: Header=BB6_5830 Depth=4
	s_or_b32 exec_lo, exec_lo, s78
	v_add_nc_u32_e32 v1, 0xffffff81, v8
	v_lshrrev_b32_e32 v3, 23, v0
	s_mov_b32 s13, exec_lo
	s_delay_alu instid0(VALU_DEP_2) | instskip(NEXT) | instid1(VALU_DEP_1)
	v_cndmask_b32_e64 v1, v1, 0xffffff82, vcc_lo
	v_add3_u32 v8, v9, v1, v3
	v_and_b32_e32 v1, 0x1fffff, v2
                                        ; implicit-def: $vgpr2
	s_delay_alu instid0(VALU_DEP_2) | instskip(NEXT) | instid1(VALU_DEP_2)
	v_add_nc_u32_e32 v3, 14, v8
	v_add_nc_u32_e32 v112, v1, v0
                                        ; implicit-def: $vgpr0_vgpr1
	s_delay_alu instid0(VALU_DEP_2)
	v_cmpx_ne_u32_e32 0, v3
	s_xor_b32 s13, exec_lo, s13
; %bb.7114:                             ;   in Loop: Header=BB6_5830 Depth=4
	s_delay_alu instid0(VALU_DEP_2) | instskip(SKIP_1) | instid1(VALU_DEP_1)
	v_cmp_lt_u64_e32 vcc_lo, 0xffffff, v[112:113]
	v_add_nc_u32_e32 v0, 15, v8
	v_cndmask_b32_e32 v2, v3, v0, vcc_lo
	v_cndmask_b32_e64 v0, 0, 1, vcc_lo
	s_delay_alu instid0(VALU_DEP_1)
	v_lshrrev_b64 v[0:1], v0, v[112:113]
; %bb.7115:                             ;   in Loop: Header=BB6_5830 Depth=4
	s_and_not1_saveexec_b32 s13, s13
; %bb.7116:                             ;   in Loop: Header=BB6_5830 Depth=4
	v_mov_b64_e32 v[0:1], v[112:113]
	v_bfe_u32 v2, v112, 23, 1
; %bb.7117:                             ;   in Loop: Header=BB6_5830 Depth=4
	s_or_b32 exec_lo, exec_lo, s13
	s_delay_alu instid0(VALU_DEP_2) | instskip(NEXT) | instid1(VALU_DEP_2)
	v_lshrrev_b64 v[0:1], 21, v[0:1]
	v_cmp_gt_i32_e32 vcc_lo, 32, v2
	v_min_i32_e32 v3, 31, v2
	v_cmp_eq_u32_e64 s13, 0, v2
	s_delay_alu instid0(VALU_DEP_2) | instskip(SKIP_1) | instid1(VALU_DEP_2)
	v_dual_cndmask_b32 v1, 0, v1, vcc_lo :: v_dual_lshlrev_b32 v3, 2, v3
	v_cndmask_b32_e32 v0, 3, v0, vcc_lo
	v_and_b32_e32 v3, 0xfc, v3
	s_delay_alu instid0(VALU_DEP_2) | instskip(NEXT) | instid1(VALU_DEP_2)
	v_cmp_eq_u64_e32 vcc_lo, 0, v[0:1]
	v_and_or_b32 v0, v0, 3, v3
	s_and_b32 s13, s13, vcc_lo
	s_delay_alu instid0(VALU_DEP_1) | instid1(SALU_CYCLE_1)
	v_cndmask_b32_e64 v0, v0, 0, s13
	s_delay_alu instid0(VALU_DEP_1)
	v_or_b32_e32 v69, v0, v7
.LBB6_7118:                             ;   in Loop: Header=BB6_5830 Depth=4
	s_or_b32 exec_lo, exec_lo, s77
                                        ; implicit-def: $vgpr7
.LBB6_7119:                             ;   in Loop: Header=BB6_5830 Depth=4
	s_and_not1_saveexec_b32 s13, s76
; %bb.7120:                             ;   in Loop: Header=BB6_5830 Depth=4
	v_or_b32_e32 v69, 0x7b, v7
; %bb.7121:                             ;   in Loop: Header=BB6_5830 Depth=4
	s_or_b32 exec_lo, exec_lo, s13
                                        ; implicit-def: $vgpr0
                                        ; implicit-def: $vgpr1
.LBB6_7122:                             ;   in Loop: Header=BB6_5830 Depth=4
	s_and_not1_saveexec_b32 s13, s75
	s_cbranch_execz .LBB6_7128
; %bb.7123:                             ;   in Loop: Header=BB6_5830 Depth=4
	s_mov_b32 s75, exec_lo
                                        ; implicit-def: $vgpr69
	v_cmpx_ne_u64_e32 0, v[112:113]
	s_xor_b32 s75, exec_lo, s75
; %bb.7124:                             ;   in Loop: Header=BB6_5830 Depth=4
	v_or_b32_e32 v69, 0x7f, v1
                                        ; implicit-def: $vgpr0
; %bb.7125:                             ;   in Loop: Header=BB6_5830 Depth=4
	s_and_not1_saveexec_b32 s75, s75
; %bb.7126:                             ;   in Loop: Header=BB6_5830 Depth=4
	v_cmp_lt_i32_e32 vcc_lo, -1, v0
	v_mov_b32_e32 v0, 0x7c
	s_delay_alu instid0(VALU_DEP_1)
	v_cndmask_b32_e32 v69, 0xfc, v0, vcc_lo
; %bb.7127:                             ;   in Loop: Header=BB6_5830 Depth=4
	s_or_b32 exec_lo, exec_lo, s75
.LBB6_7128:                             ;   in Loop: Header=BB6_5830 Depth=4
	s_delay_alu instid0(SALU_CYCLE_1)
	s_or_b32 exec_lo, exec_lo, s13
	v_mov_b32_e32 v1, 0
	s_mov_b32 s75, exec_lo
	v_cmpx_lt_u32_e32 0xffffff, v10
	s_cbranch_execz .LBB6_7138
; %bb.7129:                             ;   in Loop: Header=BB6_5830 Depth=4
	v_lshrrev_b32_e32 v0, 24, v10
	v_bfrev_b32_e32 v1, 1
	s_mov_b32 s76, exec_lo
	s_delay_alu instid0(VALU_DEP_2)
	v_cmpx_ne_u32_e32 0x80, v0
	s_cbranch_execz .LBB6_7137
; %bb.7130:                             ;   in Loop: Header=BB6_5830 Depth=4
	v_and_b32_e32 v1, 0x7c000000, v10
	v_bfe_u32 v2, v10, 24, 2
	s_delay_alu instid0(VALU_DEP_2) | instskip(SKIP_1) | instid1(SALU_CYCLE_1)
	v_cmp_ne_u32_e32 vcc_lo, 0x7c000000, v1
                                        ; implicit-def: $vgpr1
	s_and_saveexec_b32 s13, vcc_lo
	s_xor_b32 s13, exec_lo, s13
	s_cbranch_execz .LBB6_7134
; %bb.7131:                             ;   in Loop: Header=BB6_5830 Depth=4
	v_bfe_u32 v1, v10, 26, 5
	s_mov_b32 s77, exec_lo
	s_delay_alu instid0(VALU_DEP_1)
	v_cmpx_eq_u32_e32 0, v1
; %bb.7132:                             ;   in Loop: Header=BB6_5830 Depth=4
	v_clz_i32_u32_e32 v1, v2
	s_delay_alu instid0(VALU_DEP_1) | instskip(NEXT) | instid1(VALU_DEP_1)
	v_min_u32_e32 v2, 32, v1
	v_subrev_nc_u32_e32 v1, 29, v2
	s_delay_alu instid0(VALU_DEP_1) | instskip(NEXT) | instid1(VALU_DEP_1)
	v_lshlrev_b64_e32 v[0:1], v1, v[0:1]
	v_dual_sub_nc_u32 v1, 30, v2 :: v_dual_bitop2_b32 v2, 3, v0 bitop3:0x40
; %bb.7133:                             ;   in Loop: Header=BB6_5830 Depth=4
	s_or_b32 exec_lo, exec_lo, s77
	v_and_b32_e32 v0, 0x80000000, v10
	s_delay_alu instid0(VALU_DEP_1) | instskip(NEXT) | instid1(VALU_DEP_1)
	v_lshl_add_u32 v0, v1, 23, v0
	v_lshl_or_b32 v0, v2, 21, v0
                                        ; implicit-def: $vgpr2
	s_delay_alu instid0(VALU_DEP_1)
	v_add_nc_u32_e32 v1, 0x38000000, v0
.LBB6_7134:                             ;   in Loop: Header=BB6_5830 Depth=4
	s_and_not1_saveexec_b32 s77, s13
; %bb.7135:                             ;   in Loop: Header=BB6_5830 Depth=4
	v_cmp_lt_i32_e64 s13, -1, v10
	v_mov_b32_e32 v0, 0x7f800000
	v_cmp_eq_u32_e32 vcc_lo, 0, v2
	s_delay_alu instid0(VALU_DEP_2) | instskip(NEXT) | instid1(VALU_DEP_1)
	v_cndmask_b32_e64 v0, 0xff800000, v0, s13
	v_cndmask_b32_e32 v1, 0x7f800001, v0, vcc_lo
; %bb.7136:                             ;   in Loop: Header=BB6_5830 Depth=4
	s_or_b32 exec_lo, exec_lo, s77
.LBB6_7137:                             ;   in Loop: Header=BB6_5830 Depth=4
	s_delay_alu instid0(SALU_CYCLE_1)
	s_or_b32 exec_lo, exec_lo, s76
.LBB6_7138:                             ;   in Loop: Header=BB6_5830 Depth=4
	s_delay_alu instid0(SALU_CYCLE_1) | instskip(NEXT) | instid1(VALU_DEP_1)
	s_or_b32 exec_lo, exec_lo, s75
	v_dual_mul_f32 v0, s74, v1 :: v_dual_mov_b32 v3, v113
                                        ; implicit-def: $vgpr80
	s_mov_b32 s13, exec_lo
	s_delay_alu instid0(VALU_DEP_1) | instskip(SKIP_2) | instid1(VALU_DEP_3)
	v_and_b32_e32 v2, 0x7f800000, v0
	v_and_b32_e32 v112, 0x7fffff, v0
	v_lshrrev_b32_e32 v1, 24, v0
	v_cmpx_ne_u64_e32 0x7f800000, v[2:3]
	s_xor_b32 s75, exec_lo, s13
	s_cbranch_execz .LBB6_7152
; %bb.7139:                             ;   in Loop: Header=BB6_5830 Depth=4
	v_and_b32_e32 v2, 0x7fffffff, v0
	v_mov_b32_e32 v3, v113
	v_and_b32_e32 v7, 0x80, v1
                                        ; implicit-def: $vgpr80
	s_mov_b32 s13, exec_lo
	s_delay_alu instid0(VALU_DEP_2)
	v_cmpx_gt_u64_e32 0x47600001, v[2:3]
	s_xor_b32 s76, exec_lo, s13
	s_cbranch_execz .LBB6_7149
; %bb.7140:                             ;   in Loop: Header=BB6_5830 Depth=4
	v_mov_b32_e32 v80, 0
	s_mov_b32 s77, exec_lo
	v_cmpx_ne_u32_e32 0, v0
	s_cbranch_execz .LBB6_7148
; %bb.7141:                             ;   in Loop: Header=BB6_5830 Depth=4
	v_bfe_u32 v8, v0, 23, 8
	v_or_b32_e32 v1, 0x800000, v112
	s_delay_alu instid0(VALU_DEP_2) | instskip(SKIP_2) | instid1(VALU_DEP_2)
	v_cmp_gt_u32_e64 s13, 0x72, v8
	v_sub_nc_u32_e32 v0, 0x71, v8
	v_cmp_eq_u32_e32 vcc_lo, 0, v8
	v_cndmask_b32_e64 v0, 0, v0, s13
	s_delay_alu instid0(VALU_DEP_1) | instskip(SKIP_1) | instid1(VALU_DEP_2)
	v_cndmask_b32_e64 v9, v0, 0x70, vcc_lo
	v_cndmask_b32_e32 v0, v1, v112, vcc_lo
	v_dual_mov_b32 v1, v113 :: v_dual_add_nc_u32 v2, 21, v9
	v_add_nc_u32_e32 v12, 20, v9
	s_delay_alu instid0(VALU_DEP_2) | instskip(NEXT) | instid1(VALU_DEP_2)
	v_lshlrev_b64_e64 v[2:3], v2, -1
	v_lshlrev_b64_e64 v[12:13], v12, 1
	s_delay_alu instid0(VALU_DEP_2) | instskip(SKIP_1) | instid1(VALU_DEP_4)
	v_bfi_b32 v2, v2, 0, v0
	v_lshrrev_b64 v[0:1], v9, v[0:1]
	v_bfi_b32 v3, v3, 0, 0
	s_delay_alu instid0(VALU_DEP_1) | instskip(NEXT) | instid1(VALU_DEP_3)
	v_cmp_eq_u64_e64 s13, v[2:3], v[12:13]
	v_mov_b64_e32 v[2:3], v[0:1]
	s_and_saveexec_b32 s78, s13
; %bb.7142:                             ;   in Loop: Header=BB6_5830 Depth=4
	v_bfe_u32 v2, v0, 21, 1
	v_mov_b32_e32 v3, v113
	s_delay_alu instid0(VALU_DEP_1) | instskip(NEXT) | instid1(VALU_DEP_1)
	v_add_nc_u64_e32 v[2:3], v[0:1], v[2:3]
	v_add_nc_u64_e32 v[2:3], -1, v[2:3]
; %bb.7143:                             ;   in Loop: Header=BB6_5830 Depth=4
	s_or_b32 exec_lo, exec_lo, s78
	v_add_nc_u32_e32 v1, 0xffffff81, v8
	v_lshrrev_b32_e32 v3, 23, v0
	s_mov_b32 s13, exec_lo
	s_delay_alu instid0(VALU_DEP_2) | instskip(NEXT) | instid1(VALU_DEP_1)
	v_cndmask_b32_e64 v1, v1, 0xffffff82, vcc_lo
	v_add3_u32 v8, v9, v1, v3
	v_and_b32_e32 v1, 0x1fffff, v2
                                        ; implicit-def: $vgpr2
	s_delay_alu instid0(VALU_DEP_2) | instskip(NEXT) | instid1(VALU_DEP_2)
	v_add_nc_u32_e32 v3, 14, v8
	v_add_nc_u32_e32 v112, v1, v0
                                        ; implicit-def: $vgpr0_vgpr1
	s_delay_alu instid0(VALU_DEP_2)
	v_cmpx_ne_u32_e32 0, v3
	s_xor_b32 s13, exec_lo, s13
; %bb.7144:                             ;   in Loop: Header=BB6_5830 Depth=4
	s_delay_alu instid0(VALU_DEP_2) | instskip(SKIP_1) | instid1(VALU_DEP_1)
	v_cmp_lt_u64_e32 vcc_lo, 0xffffff, v[112:113]
	v_add_nc_u32_e32 v0, 15, v8
	v_cndmask_b32_e32 v2, v3, v0, vcc_lo
	v_cndmask_b32_e64 v0, 0, 1, vcc_lo
	s_delay_alu instid0(VALU_DEP_1)
	v_lshrrev_b64 v[0:1], v0, v[112:113]
; %bb.7145:                             ;   in Loop: Header=BB6_5830 Depth=4
	s_and_not1_saveexec_b32 s13, s13
; %bb.7146:                             ;   in Loop: Header=BB6_5830 Depth=4
	v_mov_b64_e32 v[0:1], v[112:113]
	v_bfe_u32 v2, v112, 23, 1
; %bb.7147:                             ;   in Loop: Header=BB6_5830 Depth=4
	s_or_b32 exec_lo, exec_lo, s13
	s_delay_alu instid0(VALU_DEP_2) | instskip(NEXT) | instid1(VALU_DEP_2)
	v_lshrrev_b64 v[0:1], 21, v[0:1]
	v_cmp_gt_i32_e32 vcc_lo, 32, v2
	v_min_i32_e32 v3, 31, v2
	v_cmp_eq_u32_e64 s13, 0, v2
	s_delay_alu instid0(VALU_DEP_2) | instskip(SKIP_1) | instid1(VALU_DEP_2)
	v_dual_cndmask_b32 v1, 0, v1, vcc_lo :: v_dual_lshlrev_b32 v3, 2, v3
	v_cndmask_b32_e32 v0, 3, v0, vcc_lo
	v_and_b32_e32 v3, 0xfc, v3
	s_delay_alu instid0(VALU_DEP_2) | instskip(NEXT) | instid1(VALU_DEP_2)
	v_cmp_eq_u64_e32 vcc_lo, 0, v[0:1]
	v_and_or_b32 v0, v0, 3, v3
	s_and_b32 s13, s13, vcc_lo
	s_delay_alu instid0(VALU_DEP_1) | instid1(SALU_CYCLE_1)
	v_cndmask_b32_e64 v0, v0, 0, s13
	s_delay_alu instid0(VALU_DEP_1)
	v_or_b32_e32 v80, v0, v7
.LBB6_7148:                             ;   in Loop: Header=BB6_5830 Depth=4
	s_or_b32 exec_lo, exec_lo, s77
                                        ; implicit-def: $vgpr7
.LBB6_7149:                             ;   in Loop: Header=BB6_5830 Depth=4
	s_and_not1_saveexec_b32 s13, s76
; %bb.7150:                             ;   in Loop: Header=BB6_5830 Depth=4
	v_or_b32_e32 v80, 0x7b, v7
; %bb.7151:                             ;   in Loop: Header=BB6_5830 Depth=4
	s_or_b32 exec_lo, exec_lo, s13
                                        ; implicit-def: $vgpr0
                                        ; implicit-def: $vgpr1
.LBB6_7152:                             ;   in Loop: Header=BB6_5830 Depth=4
	s_and_not1_saveexec_b32 s13, s75
	s_cbranch_execz .LBB6_7158
; %bb.7153:                             ;   in Loop: Header=BB6_5830 Depth=4
	s_mov_b32 s75, exec_lo
                                        ; implicit-def: $vgpr80
	v_cmpx_ne_u64_e32 0, v[112:113]
	s_xor_b32 s75, exec_lo, s75
; %bb.7154:                             ;   in Loop: Header=BB6_5830 Depth=4
	v_or_b32_e32 v80, 0x7f, v1
                                        ; implicit-def: $vgpr0
; %bb.7155:                             ;   in Loop: Header=BB6_5830 Depth=4
	s_and_not1_saveexec_b32 s75, s75
; %bb.7156:                             ;   in Loop: Header=BB6_5830 Depth=4
	v_cmp_lt_i32_e32 vcc_lo, -1, v0
	v_mov_b32_e32 v0, 0x7c
	s_delay_alu instid0(VALU_DEP_1)
	v_cndmask_b32_e32 v80, 0xfc, v0, vcc_lo
; %bb.7157:                             ;   in Loop: Header=BB6_5830 Depth=4
	s_or_b32 exec_lo, exec_lo, s75
.LBB6_7158:                             ;   in Loop: Header=BB6_5830 Depth=4
	s_delay_alu instid0(SALU_CYCLE_1) | instskip(SKIP_3) | instid1(VALU_DEP_2)
	s_or_b32 exec_lo, exec_lo, s13
	v_and_b32_e32 v1, 0xff, v11
	v_dual_mov_b32 v112, v11 :: v_dual_mov_b32 v0, 0
	s_mov_b32 s75, exec_lo
	v_cmpx_ne_u16_e32 0, v1
	s_cbranch_execz .LBB6_7168
; %bb.7159:                             ;   in Loop: Header=BB6_5830 Depth=4
	v_bfrev_b32_e32 v0, 1
	s_mov_b32 s76, exec_lo
	v_cmpx_ne_u16_e32 0x80, v1
	s_cbranch_execz .LBB6_7167
; %bb.7160:                             ;   in Loop: Header=BB6_5830 Depth=4
	v_and_b32_e32 v0, 0x7c, v11
	v_and_b32_e32 v1, 3, v11
	s_delay_alu instid0(VALU_DEP_2) | instskip(SKIP_1) | instid1(SALU_CYCLE_1)
	v_cmp_ne_u32_e32 vcc_lo, 0x7c, v0
                                        ; implicit-def: $vgpr0
	s_and_saveexec_b32 s13, vcc_lo
	s_xor_b32 s13, exec_lo, s13
	s_cbranch_execz .LBB6_7164
; %bb.7161:                             ;   in Loop: Header=BB6_5830 Depth=4
	v_bfe_u32 v0, v11, 2, 5
	s_mov_b32 s77, exec_lo
	s_delay_alu instid0(VALU_DEP_1)
	v_cmpx_eq_u32_e32 0, v0
; %bb.7162:                             ;   in Loop: Header=BB6_5830 Depth=4
	v_clz_i32_u32_e32 v0, v1
	s_delay_alu instid0(VALU_DEP_1) | instskip(NEXT) | instid1(VALU_DEP_1)
	v_min_u32_e32 v0, 32, v0
	v_subrev_nc_u32_e32 v1, 29, v0
	s_delay_alu instid0(VALU_DEP_1) | instskip(NEXT) | instid1(VALU_DEP_1)
	v_lshlrev_b64_e32 v[2:3], v1, v[112:113]
	v_dual_sub_nc_u32 v0, 30, v0 :: v_dual_bitop2_b32 v1, 3, v2 bitop3:0x40
; %bb.7163:                             ;   in Loop: Header=BB6_5830 Depth=4
	s_or_b32 exec_lo, exec_lo, s77
	v_lshlrev_b32_e32 v2, 24, v11
	s_delay_alu instid0(VALU_DEP_1) | instskip(NEXT) | instid1(VALU_DEP_1)
	v_and_b32_e32 v2, 0x80000000, v2
	v_lshl_add_u32 v0, v0, 23, v2
	s_delay_alu instid0(VALU_DEP_1) | instskip(NEXT) | instid1(VALU_DEP_1)
	v_lshl_or_b32 v0, v1, 21, v0
                                        ; implicit-def: $vgpr1
	v_add_nc_u32_e32 v0, 0x38000000, v0
.LBB6_7164:                             ;   in Loop: Header=BB6_5830 Depth=4
	s_and_not1_saveexec_b32 s77, s13
; %bb.7165:                             ;   in Loop: Header=BB6_5830 Depth=4
	v_bfe_i32 v0, v11, 0, 8
	v_cmp_eq_u32_e32 vcc_lo, 0, v1
	s_delay_alu instid0(VALU_DEP_2) | instskip(SKIP_1) | instid1(VALU_DEP_1)
	v_cmp_lt_i16_e64 s13, -1, v0
	v_mov_b32_e32 v0, 0x7f800000
	v_cndmask_b32_e64 v0, 0xff800000, v0, s13
	s_delay_alu instid0(VALU_DEP_1)
	v_cndmask_b32_e32 v0, 0x7f800001, v0, vcc_lo
; %bb.7166:                             ;   in Loop: Header=BB6_5830 Depth=4
	s_or_b32 exec_lo, exec_lo, s77
.LBB6_7167:                             ;   in Loop: Header=BB6_5830 Depth=4
	s_delay_alu instid0(SALU_CYCLE_1)
	s_or_b32 exec_lo, exec_lo, s76
.LBB6_7168:                             ;   in Loop: Header=BB6_5830 Depth=4
	s_delay_alu instid0(SALU_CYCLE_1) | instskip(NEXT) | instid1(VALU_DEP_1)
	s_or_b32 exec_lo, exec_lo, s75
	v_dual_mul_f32 v2, s74, v0 :: v_dual_mov_b32 v9, v113
	v_mov_b32_e32 v1, v113
                                        ; implicit-def: $vgpr36
	s_mov_b32 s13, exec_lo
	s_delay_alu instid0(VALU_DEP_2) | instskip(SKIP_2) | instid1(VALU_DEP_3)
	v_and_b32_e32 v8, 0x7f800000, v2
	v_and_b32_e32 v0, 0x7fffff, v2
	v_lshrrev_b32_e32 v3, 24, v2
	v_cmpx_ne_u64_e32 0x7f800000, v[8:9]
	s_xor_b32 s75, exec_lo, s13
	s_cbranch_execz .LBB6_7182
; %bb.7169:                             ;   in Loop: Header=BB6_5830 Depth=4
	v_and_b32_e32 v8, 0x7fffffff, v2
	v_mov_b32_e32 v9, v113
	v_and_b32_e32 v7, 0x80, v3
                                        ; implicit-def: $vgpr36
	s_mov_b32 s13, exec_lo
	s_delay_alu instid0(VALU_DEP_2)
	v_cmpx_gt_u64_e32 0x47600001, v[8:9]
	s_xor_b32 s76, exec_lo, s13
	s_cbranch_execz .LBB6_7179
; %bb.7170:                             ;   in Loop: Header=BB6_5830 Depth=4
	v_mov_b32_e32 v36, 0
	s_mov_b32 s77, exec_lo
	v_cmpx_ne_u32_e32 0, v2
	s_cbranch_execz .LBB6_7178
; %bb.7171:                             ;   in Loop: Header=BB6_5830 Depth=4
	v_bfe_u32 v8, v2, 23, 8
	v_or_b32_e32 v3, 0x800000, v0
	s_delay_alu instid0(VALU_DEP_2) | instskip(SKIP_2) | instid1(VALU_DEP_2)
	v_cmp_gt_u32_e64 s13, 0x72, v8
	v_sub_nc_u32_e32 v2, 0x71, v8
	v_cmp_eq_u32_e32 vcc_lo, 0, v8
	v_dual_cndmask_b32 v2, 0, v2, s13 :: v_dual_cndmask_b32 v0, v3, v0, vcc_lo
	s_delay_alu instid0(VALU_DEP_1) | instskip(NEXT) | instid1(VALU_DEP_1)
	v_cndmask_b32_e64 v9, v2, 0x70, vcc_lo
	v_dual_add_nc_u32 v2, 21, v9 :: v_dual_add_nc_u32 v12, 20, v9
	s_delay_alu instid0(VALU_DEP_1) | instskip(NEXT) | instid1(VALU_DEP_2)
	v_lshlrev_b64_e64 v[2:3], v2, -1
	v_lshlrev_b64_e64 v[12:13], v12, 1
	s_delay_alu instid0(VALU_DEP_2) | instskip(SKIP_1) | instid1(VALU_DEP_4)
	v_bfi_b32 v2, v2, 0, v0
	v_lshrrev_b64 v[0:1], v9, v[0:1]
	v_bfi_b32 v3, v3, 0, 0
	s_delay_alu instid0(VALU_DEP_1) | instskip(NEXT) | instid1(VALU_DEP_3)
	v_cmp_eq_u64_e64 s13, v[2:3], v[12:13]
	v_mov_b64_e32 v[2:3], v[0:1]
	s_and_saveexec_b32 s78, s13
; %bb.7172:                             ;   in Loop: Header=BB6_5830 Depth=4
	v_bfe_u32 v2, v0, 21, 1
	v_mov_b32_e32 v3, v113
	s_delay_alu instid0(VALU_DEP_1) | instskip(NEXT) | instid1(VALU_DEP_1)
	v_add_nc_u64_e32 v[2:3], v[0:1], v[2:3]
	v_add_nc_u64_e32 v[2:3], -1, v[2:3]
; %bb.7173:                             ;   in Loop: Header=BB6_5830 Depth=4
	s_or_b32 exec_lo, exec_lo, s78
	v_add_nc_u32_e32 v1, 0xffffff81, v8
	v_lshrrev_b32_e32 v3, 23, v0
	s_mov_b32 s13, exec_lo
	s_delay_alu instid0(VALU_DEP_2) | instskip(NEXT) | instid1(VALU_DEP_1)
	v_cndmask_b32_e64 v1, v1, 0xffffff82, vcc_lo
	v_add3_u32 v8, v9, v1, v3
	v_and_b32_e32 v1, 0x1fffff, v2
                                        ; implicit-def: $vgpr2
	s_delay_alu instid0(VALU_DEP_2) | instskip(NEXT) | instid1(VALU_DEP_2)
	v_add_nc_u32_e32 v3, 14, v8
	v_add_nc_u32_e32 v0, v1, v0
	v_mov_b32_e32 v1, v113
	s_delay_alu instid0(VALU_DEP_3)
	v_cmpx_ne_u32_e32 0, v3
	s_xor_b32 s13, exec_lo, s13
; %bb.7174:                             ;   in Loop: Header=BB6_5830 Depth=4
	s_delay_alu instid0(VALU_DEP_2) | instskip(SKIP_1) | instid1(VALU_DEP_1)
	v_cmp_lt_u64_e32 vcc_lo, 0xffffff, v[0:1]
	v_add_nc_u32_e32 v2, 15, v8
	v_cndmask_b32_e32 v2, v3, v2, vcc_lo
	v_cndmask_b32_e64 v3, 0, 1, vcc_lo
	s_delay_alu instid0(VALU_DEP_1)
	v_lshrrev_b64 v[0:1], v3, v[0:1]
; %bb.7175:                             ;   in Loop: Header=BB6_5830 Depth=4
	s_and_not1_saveexec_b32 s13, s13
; %bb.7176:                             ;   in Loop: Header=BB6_5830 Depth=4
	s_delay_alu instid0(VALU_DEP_1)
	v_bfe_u32 v2, v0, 23, 1
; %bb.7177:                             ;   in Loop: Header=BB6_5830 Depth=4
	s_or_b32 exec_lo, exec_lo, s13
	s_delay_alu instid0(VALU_DEP_2) | instskip(NEXT) | instid1(VALU_DEP_2)
	v_lshrrev_b64 v[0:1], 21, v[0:1]
	v_cmp_gt_i32_e32 vcc_lo, 32, v2
	v_min_i32_e32 v3, 31, v2
	v_cmp_eq_u32_e64 s13, 0, v2
	s_delay_alu instid0(VALU_DEP_2) | instskip(SKIP_1) | instid1(VALU_DEP_2)
	v_dual_cndmask_b32 v1, 0, v1, vcc_lo :: v_dual_lshlrev_b32 v3, 2, v3
	v_cndmask_b32_e32 v0, 3, v0, vcc_lo
	v_and_b32_e32 v3, 0xfc, v3
	s_delay_alu instid0(VALU_DEP_2) | instskip(NEXT) | instid1(VALU_DEP_2)
	v_cmp_eq_u64_e32 vcc_lo, 0, v[0:1]
	v_and_or_b32 v0, v0, 3, v3
	s_and_b32 s13, s13, vcc_lo
	s_delay_alu instid0(VALU_DEP_1) | instid1(SALU_CYCLE_1)
	v_cndmask_b32_e64 v0, v0, 0, s13
	s_delay_alu instid0(VALU_DEP_1)
	v_or_b32_e32 v36, v0, v7
.LBB6_7178:                             ;   in Loop: Header=BB6_5830 Depth=4
	s_or_b32 exec_lo, exec_lo, s77
                                        ; implicit-def: $vgpr7
.LBB6_7179:                             ;   in Loop: Header=BB6_5830 Depth=4
	s_and_not1_saveexec_b32 s13, s76
; %bb.7180:                             ;   in Loop: Header=BB6_5830 Depth=4
	v_or_b32_e32 v36, 0x7b, v7
; %bb.7181:                             ;   in Loop: Header=BB6_5830 Depth=4
	s_or_b32 exec_lo, exec_lo, s13
                                        ; implicit-def: $vgpr2
                                        ; implicit-def: $vgpr0_vgpr1
                                        ; implicit-def: $vgpr3
.LBB6_7182:                             ;   in Loop: Header=BB6_5830 Depth=4
	s_and_not1_saveexec_b32 s13, s75
	s_cbranch_execz .LBB6_7188
; %bb.7183:                             ;   in Loop: Header=BB6_5830 Depth=4
	s_mov_b32 s75, exec_lo
                                        ; implicit-def: $vgpr36
	v_cmpx_ne_u64_e32 0, v[0:1]
	s_xor_b32 s75, exec_lo, s75
; %bb.7184:                             ;   in Loop: Header=BB6_5830 Depth=4
	v_or_b32_e32 v36, 0x7f, v3
                                        ; implicit-def: $vgpr2
; %bb.7185:                             ;   in Loop: Header=BB6_5830 Depth=4
	s_and_not1_saveexec_b32 s75, s75
; %bb.7186:                             ;   in Loop: Header=BB6_5830 Depth=4
	v_cmp_lt_i32_e32 vcc_lo, -1, v2
	v_mov_b32_e32 v0, 0x7c
	s_delay_alu instid0(VALU_DEP_1)
	v_cndmask_b32_e32 v36, 0xfc, v0, vcc_lo
; %bb.7187:                             ;   in Loop: Header=BB6_5830 Depth=4
	s_or_b32 exec_lo, exec_lo, s75
.LBB6_7188:                             ;   in Loop: Header=BB6_5830 Depth=4
	s_delay_alu instid0(SALU_CYCLE_1) | instskip(SKIP_3) | instid1(VALU_DEP_2)
	s_or_b32 exec_lo, exec_lo, s13
	v_lshrrev_b16 v0, 8, v112
	v_mov_b32_e32 v1, 0
	s_mov_b32 s75, exec_lo
	v_cmpx_ne_u16_e32 0, v0
	s_cbranch_execz .LBB6_7198
; %bb.7189:                             ;   in Loop: Header=BB6_5830 Depth=4
	v_bfrev_b32_e32 v1, 1
	s_mov_b32 s76, exec_lo
	v_cmpx_ne_u16_e32 0x80, v0
	s_cbranch_execz .LBB6_7197
; %bb.7190:                             ;   in Loop: Header=BB6_5830 Depth=4
	v_and_b32_e32 v3, 0xffff, v0
	s_delay_alu instid0(VALU_DEP_1) | instskip(SKIP_1) | instid1(VALU_DEP_2)
	v_and_b32_e32 v1, 0x7c, v3
	v_and_b32_e32 v2, 3, v3
	v_cmp_ne_u32_e32 vcc_lo, 0x7c, v1
                                        ; implicit-def: $vgpr1
	s_and_saveexec_b32 s13, vcc_lo
	s_delay_alu instid0(SALU_CYCLE_1)
	s_xor_b32 s13, exec_lo, s13
	s_cbranch_execz .LBB6_7194
; %bb.7191:                             ;   in Loop: Header=BB6_5830 Depth=4
	v_bfe_u32 v1, v3, 2, 5
	s_mov_b32 s77, exec_lo
	s_delay_alu instid0(VALU_DEP_1)
	v_cmpx_eq_u32_e32 0, v1
; %bb.7192:                             ;   in Loop: Header=BB6_5830 Depth=4
	v_clz_i32_u32_e32 v1, v2
	s_delay_alu instid0(VALU_DEP_1) | instskip(SKIP_1) | instid1(VALU_DEP_2)
	v_min_u32_e32 v2, 32, v1
	v_mov_b32_e32 v1, v113
	v_subrev_nc_u32_e32 v3, 29, v2
	s_delay_alu instid0(VALU_DEP_1) | instskip(NEXT) | instid1(VALU_DEP_1)
	v_lshlrev_b64_e32 v[0:1], v3, v[0:1]
	v_dual_sub_nc_u32 v1, 30, v2 :: v_dual_bitop2_b32 v2, 3, v0 bitop3:0x40
; %bb.7193:                             ;   in Loop: Header=BB6_5830 Depth=4
	s_or_b32 exec_lo, exec_lo, s77
	v_lshlrev_b32_e32 v0, 16, v112
	s_delay_alu instid0(VALU_DEP_1) | instskip(NEXT) | instid1(VALU_DEP_1)
	v_and_b32_e32 v0, 0x80000000, v0
	v_lshl_add_u32 v0, v1, 23, v0
	s_delay_alu instid0(VALU_DEP_1) | instskip(NEXT) | instid1(VALU_DEP_1)
	v_lshl_or_b32 v0, v2, 21, v0
                                        ; implicit-def: $vgpr2
	v_add_nc_u32_e32 v1, 0x38000000, v0
.LBB6_7194:                             ;   in Loop: Header=BB6_5830 Depth=4
	s_and_not1_saveexec_b32 s77, s13
; %bb.7195:                             ;   in Loop: Header=BB6_5830 Depth=4
	v_cmp_lt_i16_e64 s13, -1, v112
	v_mov_b32_e32 v0, 0x7f800000
	v_cmp_eq_u32_e32 vcc_lo, 0, v2
	s_delay_alu instid0(VALU_DEP_2) | instskip(NEXT) | instid1(VALU_DEP_1)
	v_cndmask_b32_e64 v0, 0xff800000, v0, s13
	v_cndmask_b32_e32 v1, 0x7f800001, v0, vcc_lo
; %bb.7196:                             ;   in Loop: Header=BB6_5830 Depth=4
	s_or_b32 exec_lo, exec_lo, s77
.LBB6_7197:                             ;   in Loop: Header=BB6_5830 Depth=4
	s_delay_alu instid0(SALU_CYCLE_1)
	s_or_b32 exec_lo, exec_lo, s76
.LBB6_7198:                             ;   in Loop: Header=BB6_5830 Depth=4
	s_delay_alu instid0(SALU_CYCLE_1) | instskip(NEXT) | instid1(VALU_DEP_1)
	s_or_b32 exec_lo, exec_lo, s75
	v_dual_mul_f32 v0, s74, v1 :: v_dual_mov_b32 v3, v113
                                        ; implicit-def: $vgpr52
	s_mov_b32 s13, exec_lo
	s_delay_alu instid0(VALU_DEP_1) | instskip(SKIP_2) | instid1(VALU_DEP_3)
	v_and_b32_e32 v2, 0x7f800000, v0
	v_and_b32_e32 v112, 0x7fffff, v0
	v_lshrrev_b32_e32 v1, 24, v0
	v_cmpx_ne_u64_e32 0x7f800000, v[2:3]
	s_xor_b32 s75, exec_lo, s13
	s_cbranch_execz .LBB6_7212
; %bb.7199:                             ;   in Loop: Header=BB6_5830 Depth=4
	v_and_b32_e32 v2, 0x7fffffff, v0
	v_mov_b32_e32 v3, v113
	v_and_b32_e32 v7, 0x80, v1
                                        ; implicit-def: $vgpr52
	s_mov_b32 s13, exec_lo
	s_delay_alu instid0(VALU_DEP_2)
	v_cmpx_gt_u64_e32 0x47600001, v[2:3]
	s_xor_b32 s76, exec_lo, s13
	s_cbranch_execz .LBB6_7209
; %bb.7200:                             ;   in Loop: Header=BB6_5830 Depth=4
	v_mov_b32_e32 v52, 0
	s_mov_b32 s77, exec_lo
	v_cmpx_ne_u32_e32 0, v0
	s_cbranch_execz .LBB6_7208
; %bb.7201:                             ;   in Loop: Header=BB6_5830 Depth=4
	v_bfe_u32 v8, v0, 23, 8
	v_or_b32_e32 v1, 0x800000, v112
	s_delay_alu instid0(VALU_DEP_2) | instskip(SKIP_2) | instid1(VALU_DEP_2)
	v_cmp_gt_u32_e64 s13, 0x72, v8
	v_sub_nc_u32_e32 v0, 0x71, v8
	v_cmp_eq_u32_e32 vcc_lo, 0, v8
	v_cndmask_b32_e64 v0, 0, v0, s13
	s_delay_alu instid0(VALU_DEP_1) | instskip(SKIP_1) | instid1(VALU_DEP_2)
	v_cndmask_b32_e64 v9, v0, 0x70, vcc_lo
	v_cndmask_b32_e32 v0, v1, v112, vcc_lo
	v_dual_mov_b32 v1, v113 :: v_dual_add_nc_u32 v2, 21, v9
	v_add_nc_u32_e32 v12, 20, v9
	s_delay_alu instid0(VALU_DEP_2) | instskip(NEXT) | instid1(VALU_DEP_2)
	v_lshlrev_b64_e64 v[2:3], v2, -1
	v_lshlrev_b64_e64 v[12:13], v12, 1
	s_delay_alu instid0(VALU_DEP_2) | instskip(SKIP_1) | instid1(VALU_DEP_4)
	v_bfi_b32 v2, v2, 0, v0
	v_lshrrev_b64 v[0:1], v9, v[0:1]
	v_bfi_b32 v3, v3, 0, 0
	s_delay_alu instid0(VALU_DEP_1) | instskip(NEXT) | instid1(VALU_DEP_3)
	v_cmp_eq_u64_e64 s13, v[2:3], v[12:13]
	v_mov_b64_e32 v[2:3], v[0:1]
	s_and_saveexec_b32 s78, s13
; %bb.7202:                             ;   in Loop: Header=BB6_5830 Depth=4
	v_bfe_u32 v2, v0, 21, 1
	v_mov_b32_e32 v3, v113
	s_delay_alu instid0(VALU_DEP_1) | instskip(NEXT) | instid1(VALU_DEP_1)
	v_add_nc_u64_e32 v[2:3], v[0:1], v[2:3]
	v_add_nc_u64_e32 v[2:3], -1, v[2:3]
; %bb.7203:                             ;   in Loop: Header=BB6_5830 Depth=4
	s_or_b32 exec_lo, exec_lo, s78
	v_add_nc_u32_e32 v1, 0xffffff81, v8
	v_lshrrev_b32_e32 v3, 23, v0
	s_mov_b32 s13, exec_lo
	s_delay_alu instid0(VALU_DEP_2) | instskip(NEXT) | instid1(VALU_DEP_1)
	v_cndmask_b32_e64 v1, v1, 0xffffff82, vcc_lo
	v_add3_u32 v8, v9, v1, v3
	v_and_b32_e32 v1, 0x1fffff, v2
                                        ; implicit-def: $vgpr2
	s_delay_alu instid0(VALU_DEP_2) | instskip(NEXT) | instid1(VALU_DEP_2)
	v_add_nc_u32_e32 v3, 14, v8
	v_add_nc_u32_e32 v112, v1, v0
                                        ; implicit-def: $vgpr0_vgpr1
	s_delay_alu instid0(VALU_DEP_2)
	v_cmpx_ne_u32_e32 0, v3
	s_xor_b32 s13, exec_lo, s13
; %bb.7204:                             ;   in Loop: Header=BB6_5830 Depth=4
	s_delay_alu instid0(VALU_DEP_2) | instskip(SKIP_1) | instid1(VALU_DEP_1)
	v_cmp_lt_u64_e32 vcc_lo, 0xffffff, v[112:113]
	v_add_nc_u32_e32 v0, 15, v8
	v_cndmask_b32_e32 v2, v3, v0, vcc_lo
	v_cndmask_b32_e64 v0, 0, 1, vcc_lo
	s_delay_alu instid0(VALU_DEP_1)
	v_lshrrev_b64 v[0:1], v0, v[112:113]
; %bb.7205:                             ;   in Loop: Header=BB6_5830 Depth=4
	s_and_not1_saveexec_b32 s13, s13
; %bb.7206:                             ;   in Loop: Header=BB6_5830 Depth=4
	v_mov_b64_e32 v[0:1], v[112:113]
	v_bfe_u32 v2, v112, 23, 1
; %bb.7207:                             ;   in Loop: Header=BB6_5830 Depth=4
	s_or_b32 exec_lo, exec_lo, s13
	s_delay_alu instid0(VALU_DEP_2) | instskip(NEXT) | instid1(VALU_DEP_2)
	v_lshrrev_b64 v[0:1], 21, v[0:1]
	v_cmp_gt_i32_e32 vcc_lo, 32, v2
	v_min_i32_e32 v3, 31, v2
	v_cmp_eq_u32_e64 s13, 0, v2
	s_delay_alu instid0(VALU_DEP_2) | instskip(SKIP_1) | instid1(VALU_DEP_2)
	v_dual_cndmask_b32 v1, 0, v1, vcc_lo :: v_dual_lshlrev_b32 v3, 2, v3
	v_cndmask_b32_e32 v0, 3, v0, vcc_lo
	v_and_b32_e32 v3, 0xfc, v3
	s_delay_alu instid0(VALU_DEP_2) | instskip(NEXT) | instid1(VALU_DEP_2)
	v_cmp_eq_u64_e32 vcc_lo, 0, v[0:1]
	v_and_or_b32 v0, v0, 3, v3
	s_and_b32 s13, s13, vcc_lo
	s_delay_alu instid0(VALU_DEP_1) | instid1(SALU_CYCLE_1)
	v_cndmask_b32_e64 v0, v0, 0, s13
	s_delay_alu instid0(VALU_DEP_1)
	v_or_b32_e32 v52, v0, v7
.LBB6_7208:                             ;   in Loop: Header=BB6_5830 Depth=4
	s_or_b32 exec_lo, exec_lo, s77
                                        ; implicit-def: $vgpr7
.LBB6_7209:                             ;   in Loop: Header=BB6_5830 Depth=4
	s_and_not1_saveexec_b32 s13, s76
; %bb.7210:                             ;   in Loop: Header=BB6_5830 Depth=4
	v_or_b32_e32 v52, 0x7b, v7
; %bb.7211:                             ;   in Loop: Header=BB6_5830 Depth=4
	s_or_b32 exec_lo, exec_lo, s13
                                        ; implicit-def: $vgpr0
                                        ; implicit-def: $vgpr1
.LBB6_7212:                             ;   in Loop: Header=BB6_5830 Depth=4
	s_and_not1_saveexec_b32 s13, s75
	s_cbranch_execz .LBB6_7218
; %bb.7213:                             ;   in Loop: Header=BB6_5830 Depth=4
	s_mov_b32 s75, exec_lo
                                        ; implicit-def: $vgpr52
	v_cmpx_ne_u64_e32 0, v[112:113]
	s_xor_b32 s75, exec_lo, s75
; %bb.7214:                             ;   in Loop: Header=BB6_5830 Depth=4
	v_or_b32_e32 v52, 0x7f, v1
                                        ; implicit-def: $vgpr0
; %bb.7215:                             ;   in Loop: Header=BB6_5830 Depth=4
	s_and_not1_saveexec_b32 s75, s75
; %bb.7216:                             ;   in Loop: Header=BB6_5830 Depth=4
	v_cmp_lt_i32_e32 vcc_lo, -1, v0
	v_mov_b32_e32 v0, 0x7c
	s_delay_alu instid0(VALU_DEP_1)
	v_cndmask_b32_e32 v52, 0xfc, v0, vcc_lo
; %bb.7217:                             ;   in Loop: Header=BB6_5830 Depth=4
	s_or_b32 exec_lo, exec_lo, s75
.LBB6_7218:                             ;   in Loop: Header=BB6_5830 Depth=4
	s_delay_alu instid0(SALU_CYCLE_1) | instskip(SKIP_2) | instid1(VALU_DEP_1)
	s_or_b32 exec_lo, exec_lo, s13
	v_dual_mov_b32 v1, 0 :: v_dual_lshrrev_b32 v0, 16, v11
	s_mov_b32 s75, exec_lo
	v_and_b32_e32 v2, 0xff, v0
	s_delay_alu instid0(VALU_DEP_1)
	v_cmpx_ne_u16_e32 0, v2
	s_cbranch_execz .LBB6_7228
; %bb.7219:                             ;   in Loop: Header=BB6_5830 Depth=4
	v_bfrev_b32_e32 v1, 1
	s_mov_b32 s76, exec_lo
	v_cmpx_ne_u16_e32 0x80, v2
	s_cbranch_execz .LBB6_7227
; %bb.7220:                             ;   in Loop: Header=BB6_5830 Depth=4
	v_and_b32_e32 v1, 0x7c0000, v11
	v_bfe_u32 v2, v11, 16, 2
	s_delay_alu instid0(VALU_DEP_2) | instskip(SKIP_1) | instid1(SALU_CYCLE_1)
	v_cmp_ne_u32_e32 vcc_lo, 0x7c0000, v1
                                        ; implicit-def: $vgpr1
	s_and_saveexec_b32 s13, vcc_lo
	s_xor_b32 s13, exec_lo, s13
	s_cbranch_execz .LBB6_7224
; %bb.7221:                             ;   in Loop: Header=BB6_5830 Depth=4
	v_bfe_u32 v1, v11, 18, 5
	s_mov_b32 s77, exec_lo
	s_delay_alu instid0(VALU_DEP_1)
	v_cmpx_eq_u32_e32 0, v1
; %bb.7222:                             ;   in Loop: Header=BB6_5830 Depth=4
	v_clz_i32_u32_e32 v1, v2
	s_delay_alu instid0(VALU_DEP_1) | instskip(NEXT) | instid1(VALU_DEP_1)
	v_min_u32_e32 v1, 32, v1
	v_subrev_nc_u32_e32 v2, 29, v1
	s_delay_alu instid0(VALU_DEP_1) | instskip(NEXT) | instid1(VALU_DEP_1)
	v_lshlrev_b64_e32 v[2:3], v2, v[0:1]
	v_dual_sub_nc_u32 v1, 30, v1 :: v_dual_bitop2_b32 v2, 3, v2 bitop3:0x40
; %bb.7223:                             ;   in Loop: Header=BB6_5830 Depth=4
	s_or_b32 exec_lo, exec_lo, s77
	v_lshlrev_b32_e32 v0, 24, v0
	s_delay_alu instid0(VALU_DEP_1) | instskip(NEXT) | instid1(VALU_DEP_1)
	v_and_b32_e32 v0, 0x80000000, v0
	v_lshl_add_u32 v0, v1, 23, v0
	s_delay_alu instid0(VALU_DEP_1) | instskip(NEXT) | instid1(VALU_DEP_1)
	v_lshl_or_b32 v0, v2, 21, v0
                                        ; implicit-def: $vgpr2
	v_add_nc_u32_e32 v1, 0x38000000, v0
                                        ; implicit-def: $vgpr0
.LBB6_7224:                             ;   in Loop: Header=BB6_5830 Depth=4
	s_and_not1_saveexec_b32 s77, s13
; %bb.7225:                             ;   in Loop: Header=BB6_5830 Depth=4
	v_bfe_i32 v0, v0, 0, 8
	v_cmp_eq_u32_e32 vcc_lo, 0, v2
	s_delay_alu instid0(VALU_DEP_2) | instskip(SKIP_1) | instid1(VALU_DEP_1)
	v_cmp_lt_i16_e64 s13, -1, v0
	v_mov_b32_e32 v0, 0x7f800000
	v_cndmask_b32_e64 v0, 0xff800000, v0, s13
	s_delay_alu instid0(VALU_DEP_1)
	v_cndmask_b32_e32 v1, 0x7f800001, v0, vcc_lo
; %bb.7226:                             ;   in Loop: Header=BB6_5830 Depth=4
	s_or_b32 exec_lo, exec_lo, s77
.LBB6_7227:                             ;   in Loop: Header=BB6_5830 Depth=4
	s_delay_alu instid0(SALU_CYCLE_1)
	s_or_b32 exec_lo, exec_lo, s76
.LBB6_7228:                             ;   in Loop: Header=BB6_5830 Depth=4
	s_delay_alu instid0(SALU_CYCLE_1) | instskip(NEXT) | instid1(VALU_DEP_1)
	s_or_b32 exec_lo, exec_lo, s75
	v_dual_mul_f32 v0, s74, v1 :: v_dual_mov_b32 v3, v113
                                        ; implicit-def: $vgpr64
	s_mov_b32 s13, exec_lo
	s_delay_alu instid0(VALU_DEP_1) | instskip(SKIP_2) | instid1(VALU_DEP_3)
	v_and_b32_e32 v2, 0x7f800000, v0
	v_and_b32_e32 v112, 0x7fffff, v0
	v_lshrrev_b32_e32 v1, 24, v0
	v_cmpx_ne_u64_e32 0x7f800000, v[2:3]
	s_xor_b32 s75, exec_lo, s13
	s_cbranch_execz .LBB6_7242
; %bb.7229:                             ;   in Loop: Header=BB6_5830 Depth=4
	v_and_b32_e32 v2, 0x7fffffff, v0
	v_mov_b32_e32 v3, v113
	v_and_b32_e32 v7, 0x80, v1
                                        ; implicit-def: $vgpr64
	s_mov_b32 s13, exec_lo
	s_delay_alu instid0(VALU_DEP_2)
	v_cmpx_gt_u64_e32 0x47600001, v[2:3]
	s_xor_b32 s76, exec_lo, s13
	s_cbranch_execz .LBB6_7239
; %bb.7230:                             ;   in Loop: Header=BB6_5830 Depth=4
	v_mov_b32_e32 v64, 0
	s_mov_b32 s77, exec_lo
	v_cmpx_ne_u32_e32 0, v0
	s_cbranch_execz .LBB6_7238
; %bb.7231:                             ;   in Loop: Header=BB6_5830 Depth=4
	v_bfe_u32 v8, v0, 23, 8
	v_or_b32_e32 v1, 0x800000, v112
	s_delay_alu instid0(VALU_DEP_2) | instskip(SKIP_2) | instid1(VALU_DEP_2)
	v_cmp_gt_u32_e64 s13, 0x72, v8
	v_sub_nc_u32_e32 v0, 0x71, v8
	v_cmp_eq_u32_e32 vcc_lo, 0, v8
	v_cndmask_b32_e64 v0, 0, v0, s13
	s_delay_alu instid0(VALU_DEP_1) | instskip(SKIP_1) | instid1(VALU_DEP_2)
	v_cndmask_b32_e64 v9, v0, 0x70, vcc_lo
	v_cndmask_b32_e32 v0, v1, v112, vcc_lo
	v_dual_mov_b32 v1, v113 :: v_dual_add_nc_u32 v2, 21, v9
	v_add_nc_u32_e32 v12, 20, v9
	s_delay_alu instid0(VALU_DEP_2) | instskip(NEXT) | instid1(VALU_DEP_2)
	v_lshlrev_b64_e64 v[2:3], v2, -1
	v_lshlrev_b64_e64 v[12:13], v12, 1
	s_delay_alu instid0(VALU_DEP_2) | instskip(SKIP_1) | instid1(VALU_DEP_4)
	v_bfi_b32 v2, v2, 0, v0
	v_lshrrev_b64 v[0:1], v9, v[0:1]
	v_bfi_b32 v3, v3, 0, 0
	s_delay_alu instid0(VALU_DEP_1) | instskip(NEXT) | instid1(VALU_DEP_3)
	v_cmp_eq_u64_e64 s13, v[2:3], v[12:13]
	v_mov_b64_e32 v[2:3], v[0:1]
	s_and_saveexec_b32 s78, s13
; %bb.7232:                             ;   in Loop: Header=BB6_5830 Depth=4
	v_bfe_u32 v2, v0, 21, 1
	v_mov_b32_e32 v3, v113
	s_delay_alu instid0(VALU_DEP_1) | instskip(NEXT) | instid1(VALU_DEP_1)
	v_add_nc_u64_e32 v[2:3], v[0:1], v[2:3]
	v_add_nc_u64_e32 v[2:3], -1, v[2:3]
; %bb.7233:                             ;   in Loop: Header=BB6_5830 Depth=4
	s_or_b32 exec_lo, exec_lo, s78
	v_add_nc_u32_e32 v1, 0xffffff81, v8
	v_lshrrev_b32_e32 v3, 23, v0
	s_mov_b32 s13, exec_lo
	s_delay_alu instid0(VALU_DEP_2) | instskip(NEXT) | instid1(VALU_DEP_1)
	v_cndmask_b32_e64 v1, v1, 0xffffff82, vcc_lo
	v_add3_u32 v8, v9, v1, v3
	v_and_b32_e32 v1, 0x1fffff, v2
                                        ; implicit-def: $vgpr2
	s_delay_alu instid0(VALU_DEP_2) | instskip(NEXT) | instid1(VALU_DEP_2)
	v_add_nc_u32_e32 v3, 14, v8
	v_add_nc_u32_e32 v112, v1, v0
                                        ; implicit-def: $vgpr0_vgpr1
	s_delay_alu instid0(VALU_DEP_2)
	v_cmpx_ne_u32_e32 0, v3
	s_xor_b32 s13, exec_lo, s13
; %bb.7234:                             ;   in Loop: Header=BB6_5830 Depth=4
	s_delay_alu instid0(VALU_DEP_2) | instskip(SKIP_1) | instid1(VALU_DEP_1)
	v_cmp_lt_u64_e32 vcc_lo, 0xffffff, v[112:113]
	v_add_nc_u32_e32 v0, 15, v8
	v_cndmask_b32_e32 v2, v3, v0, vcc_lo
	v_cndmask_b32_e64 v0, 0, 1, vcc_lo
	s_delay_alu instid0(VALU_DEP_1)
	v_lshrrev_b64 v[0:1], v0, v[112:113]
; %bb.7235:                             ;   in Loop: Header=BB6_5830 Depth=4
	s_and_not1_saveexec_b32 s13, s13
; %bb.7236:                             ;   in Loop: Header=BB6_5830 Depth=4
	v_mov_b64_e32 v[0:1], v[112:113]
	v_bfe_u32 v2, v112, 23, 1
; %bb.7237:                             ;   in Loop: Header=BB6_5830 Depth=4
	s_or_b32 exec_lo, exec_lo, s13
	s_delay_alu instid0(VALU_DEP_2) | instskip(NEXT) | instid1(VALU_DEP_2)
	v_lshrrev_b64 v[0:1], 21, v[0:1]
	v_cmp_gt_i32_e32 vcc_lo, 32, v2
	v_min_i32_e32 v3, 31, v2
	v_cmp_eq_u32_e64 s13, 0, v2
	s_delay_alu instid0(VALU_DEP_2) | instskip(SKIP_1) | instid1(VALU_DEP_2)
	v_dual_cndmask_b32 v1, 0, v1, vcc_lo :: v_dual_lshlrev_b32 v3, 2, v3
	v_cndmask_b32_e32 v0, 3, v0, vcc_lo
	v_and_b32_e32 v3, 0xfc, v3
	s_delay_alu instid0(VALU_DEP_2) | instskip(NEXT) | instid1(VALU_DEP_2)
	v_cmp_eq_u64_e32 vcc_lo, 0, v[0:1]
	v_and_or_b32 v0, v0, 3, v3
	s_and_b32 s13, s13, vcc_lo
	s_delay_alu instid0(VALU_DEP_1) | instid1(SALU_CYCLE_1)
	v_cndmask_b32_e64 v0, v0, 0, s13
	s_delay_alu instid0(VALU_DEP_1)
	v_or_b32_e32 v64, v0, v7
.LBB6_7238:                             ;   in Loop: Header=BB6_5830 Depth=4
	s_or_b32 exec_lo, exec_lo, s77
                                        ; implicit-def: $vgpr7
.LBB6_7239:                             ;   in Loop: Header=BB6_5830 Depth=4
	s_and_not1_saveexec_b32 s13, s76
; %bb.7240:                             ;   in Loop: Header=BB6_5830 Depth=4
	v_or_b32_e32 v64, 0x7b, v7
; %bb.7241:                             ;   in Loop: Header=BB6_5830 Depth=4
	s_or_b32 exec_lo, exec_lo, s13
                                        ; implicit-def: $vgpr0
                                        ; implicit-def: $vgpr1
.LBB6_7242:                             ;   in Loop: Header=BB6_5830 Depth=4
	s_and_not1_saveexec_b32 s13, s75
	s_cbranch_execz .LBB6_7248
; %bb.7243:                             ;   in Loop: Header=BB6_5830 Depth=4
	s_mov_b32 s75, exec_lo
                                        ; implicit-def: $vgpr64
	v_cmpx_ne_u64_e32 0, v[112:113]
	s_xor_b32 s75, exec_lo, s75
; %bb.7244:                             ;   in Loop: Header=BB6_5830 Depth=4
	v_or_b32_e32 v64, 0x7f, v1
                                        ; implicit-def: $vgpr0
; %bb.7245:                             ;   in Loop: Header=BB6_5830 Depth=4
	s_and_not1_saveexec_b32 s75, s75
; %bb.7246:                             ;   in Loop: Header=BB6_5830 Depth=4
	v_cmp_lt_i32_e32 vcc_lo, -1, v0
	v_mov_b32_e32 v0, 0x7c
	s_delay_alu instid0(VALU_DEP_1)
	v_cndmask_b32_e32 v64, 0xfc, v0, vcc_lo
; %bb.7247:                             ;   in Loop: Header=BB6_5830 Depth=4
	s_or_b32 exec_lo, exec_lo, s75
.LBB6_7248:                             ;   in Loop: Header=BB6_5830 Depth=4
	s_delay_alu instid0(SALU_CYCLE_1)
	s_or_b32 exec_lo, exec_lo, s13
	v_mov_b32_e32 v1, 0
	s_mov_b32 s75, exec_lo
	v_cmpx_lt_u64_e64 s[22:23], v[10:11]
	s_cbranch_execz .LBB6_7258
; %bb.7249:                             ;   in Loop: Header=BB6_5830 Depth=4
	v_lshrrev_b32_e32 v0, 24, v11
	v_bfrev_b32_e32 v1, 1
	s_mov_b32 s76, exec_lo
	s_delay_alu instid0(VALU_DEP_2)
	v_cmpx_ne_u32_e32 0x80, v0
	s_cbranch_execz .LBB6_7257
; %bb.7250:                             ;   in Loop: Header=BB6_5830 Depth=4
	v_and_b32_e32 v1, 0x7c000000, v11
	v_bfe_u32 v2, v11, 24, 2
	s_delay_alu instid0(VALU_DEP_2) | instskip(SKIP_1) | instid1(SALU_CYCLE_1)
	v_cmp_ne_u32_e32 vcc_lo, 0x7c000000, v1
                                        ; implicit-def: $vgpr1
	s_and_saveexec_b32 s13, vcc_lo
	s_xor_b32 s13, exec_lo, s13
	s_cbranch_execz .LBB6_7254
; %bb.7251:                             ;   in Loop: Header=BB6_5830 Depth=4
	v_bfe_u32 v1, v11, 26, 5
	s_mov_b32 s77, exec_lo
	s_delay_alu instid0(VALU_DEP_1)
	v_cmpx_eq_u32_e32 0, v1
; %bb.7252:                             ;   in Loop: Header=BB6_5830 Depth=4
	v_clz_i32_u32_e32 v1, v2
	s_delay_alu instid0(VALU_DEP_1) | instskip(NEXT) | instid1(VALU_DEP_1)
	v_min_u32_e32 v2, 32, v1
	v_subrev_nc_u32_e32 v1, 29, v2
	s_delay_alu instid0(VALU_DEP_1) | instskip(NEXT) | instid1(VALU_DEP_1)
	v_lshlrev_b64_e32 v[0:1], v1, v[0:1]
	v_dual_sub_nc_u32 v1, 30, v2 :: v_dual_bitop2_b32 v2, 3, v0 bitop3:0x40
; %bb.7253:                             ;   in Loop: Header=BB6_5830 Depth=4
	s_or_b32 exec_lo, exec_lo, s77
	v_and_b32_e32 v0, 0x80000000, v11
                                        ; implicit-def: $vgpr10_vgpr11
	s_delay_alu instid0(VALU_DEP_1) | instskip(NEXT) | instid1(VALU_DEP_1)
	v_lshl_add_u32 v0, v1, 23, v0
	v_lshl_or_b32 v0, v2, 21, v0
                                        ; implicit-def: $vgpr2
	s_delay_alu instid0(VALU_DEP_1)
	v_add_nc_u32_e32 v1, 0x38000000, v0
.LBB6_7254:                             ;   in Loop: Header=BB6_5830 Depth=4
	s_and_not1_saveexec_b32 s77, s13
; %bb.7255:                             ;   in Loop: Header=BB6_5830 Depth=4
	v_cmp_lt_i64_e64 s13, -1, v[10:11]
	v_mov_b32_e32 v0, 0x7f800000
	v_cmp_eq_u32_e32 vcc_lo, 0, v2
	s_delay_alu instid0(VALU_DEP_2) | instskip(NEXT) | instid1(VALU_DEP_1)
	v_cndmask_b32_e64 v0, 0xff800000, v0, s13
	v_cndmask_b32_e32 v1, 0x7f800001, v0, vcc_lo
; %bb.7256:                             ;   in Loop: Header=BB6_5830 Depth=4
	s_or_b32 exec_lo, exec_lo, s77
.LBB6_7257:                             ;   in Loop: Header=BB6_5830 Depth=4
	s_delay_alu instid0(SALU_CYCLE_1)
	s_or_b32 exec_lo, exec_lo, s76
.LBB6_7258:                             ;   in Loop: Header=BB6_5830 Depth=4
	s_delay_alu instid0(SALU_CYCLE_1) | instskip(NEXT) | instid1(VALU_DEP_1)
	s_or_b32 exec_lo, exec_lo, s75
	v_dual_mul_f32 v0, s74, v1 :: v_dual_mov_b32 v3, v113
                                        ; implicit-def: $vgpr68
	s_mov_b32 s13, exec_lo
	s_delay_alu instid0(VALU_DEP_1) | instskip(SKIP_2) | instid1(VALU_DEP_3)
	v_and_b32_e32 v2, 0x7f800000, v0
	v_and_b32_e32 v112, 0x7fffff, v0
	v_lshrrev_b32_e32 v1, 24, v0
	v_cmpx_ne_u64_e32 0x7f800000, v[2:3]
	s_xor_b32 s75, exec_lo, s13
	s_cbranch_execz .LBB6_7272
; %bb.7259:                             ;   in Loop: Header=BB6_5830 Depth=4
	v_and_b32_e32 v2, 0x7fffffff, v0
	v_mov_b32_e32 v3, v113
	v_and_b32_e32 v7, 0x80, v1
                                        ; implicit-def: $vgpr68
	s_mov_b32 s13, exec_lo
	s_delay_alu instid0(VALU_DEP_2)
	v_cmpx_gt_u64_e32 0x47600001, v[2:3]
	s_xor_b32 s76, exec_lo, s13
	s_cbranch_execz .LBB6_7269
; %bb.7260:                             ;   in Loop: Header=BB6_5830 Depth=4
	v_mov_b32_e32 v68, 0
	s_mov_b32 s77, exec_lo
	v_cmpx_ne_u32_e32 0, v0
	s_cbranch_execz .LBB6_7268
; %bb.7261:                             ;   in Loop: Header=BB6_5830 Depth=4
	v_bfe_u32 v8, v0, 23, 8
	v_or_b32_e32 v1, 0x800000, v112
	s_delay_alu instid0(VALU_DEP_2) | instskip(SKIP_2) | instid1(VALU_DEP_2)
	v_cmp_gt_u32_e64 s13, 0x72, v8
	v_sub_nc_u32_e32 v0, 0x71, v8
	v_cmp_eq_u32_e32 vcc_lo, 0, v8
	v_cndmask_b32_e64 v0, 0, v0, s13
	s_delay_alu instid0(VALU_DEP_1) | instskip(SKIP_1) | instid1(VALU_DEP_2)
	v_cndmask_b32_e64 v9, v0, 0x70, vcc_lo
	v_cndmask_b32_e32 v0, v1, v112, vcc_lo
	v_dual_mov_b32 v1, v113 :: v_dual_add_nc_u32 v2, 21, v9
	v_add_nc_u32_e32 v10, 20, v9
	s_delay_alu instid0(VALU_DEP_2) | instskip(NEXT) | instid1(VALU_DEP_2)
	v_lshlrev_b64_e64 v[2:3], v2, -1
	v_lshlrev_b64_e64 v[10:11], v10, 1
	s_delay_alu instid0(VALU_DEP_2) | instskip(SKIP_1) | instid1(VALU_DEP_4)
	v_bfi_b32 v2, v2, 0, v0
	v_lshrrev_b64 v[0:1], v9, v[0:1]
	v_bfi_b32 v3, v3, 0, 0
	s_delay_alu instid0(VALU_DEP_1) | instskip(NEXT) | instid1(VALU_DEP_3)
	v_cmp_eq_u64_e64 s13, v[2:3], v[10:11]
	v_mov_b64_e32 v[2:3], v[0:1]
	s_and_saveexec_b32 s78, s13
; %bb.7262:                             ;   in Loop: Header=BB6_5830 Depth=4
	v_bfe_u32 v2, v0, 21, 1
	v_mov_b32_e32 v3, v113
	s_delay_alu instid0(VALU_DEP_1) | instskip(NEXT) | instid1(VALU_DEP_1)
	v_add_nc_u64_e32 v[2:3], v[0:1], v[2:3]
	v_add_nc_u64_e32 v[2:3], -1, v[2:3]
; %bb.7263:                             ;   in Loop: Header=BB6_5830 Depth=4
	s_or_b32 exec_lo, exec_lo, s78
	v_add_nc_u32_e32 v1, 0xffffff81, v8
	v_lshrrev_b32_e32 v3, 23, v0
	s_mov_b32 s13, exec_lo
	s_delay_alu instid0(VALU_DEP_2) | instskip(NEXT) | instid1(VALU_DEP_1)
	v_cndmask_b32_e64 v1, v1, 0xffffff82, vcc_lo
	v_add3_u32 v8, v9, v1, v3
	v_and_b32_e32 v1, 0x1fffff, v2
                                        ; implicit-def: $vgpr2
	s_delay_alu instid0(VALU_DEP_2) | instskip(NEXT) | instid1(VALU_DEP_2)
	v_add_nc_u32_e32 v3, 14, v8
	v_add_nc_u32_e32 v112, v1, v0
                                        ; implicit-def: $vgpr0_vgpr1
	s_delay_alu instid0(VALU_DEP_2)
	v_cmpx_ne_u32_e32 0, v3
	s_xor_b32 s13, exec_lo, s13
; %bb.7264:                             ;   in Loop: Header=BB6_5830 Depth=4
	s_delay_alu instid0(VALU_DEP_2) | instskip(SKIP_1) | instid1(VALU_DEP_1)
	v_cmp_lt_u64_e32 vcc_lo, 0xffffff, v[112:113]
	v_add_nc_u32_e32 v0, 15, v8
	v_cndmask_b32_e32 v2, v3, v0, vcc_lo
	v_cndmask_b32_e64 v0, 0, 1, vcc_lo
	s_delay_alu instid0(VALU_DEP_1)
	v_lshrrev_b64 v[0:1], v0, v[112:113]
; %bb.7265:                             ;   in Loop: Header=BB6_5830 Depth=4
	s_and_not1_saveexec_b32 s13, s13
; %bb.7266:                             ;   in Loop: Header=BB6_5830 Depth=4
	v_mov_b64_e32 v[0:1], v[112:113]
	v_bfe_u32 v2, v112, 23, 1
; %bb.7267:                             ;   in Loop: Header=BB6_5830 Depth=4
	s_or_b32 exec_lo, exec_lo, s13
	s_delay_alu instid0(VALU_DEP_2) | instskip(NEXT) | instid1(VALU_DEP_2)
	v_lshrrev_b64 v[0:1], 21, v[0:1]
	v_cmp_gt_i32_e32 vcc_lo, 32, v2
	v_min_i32_e32 v3, 31, v2
	v_cmp_eq_u32_e64 s13, 0, v2
	s_delay_alu instid0(VALU_DEP_2) | instskip(SKIP_1) | instid1(VALU_DEP_2)
	v_dual_cndmask_b32 v1, 0, v1, vcc_lo :: v_dual_lshlrev_b32 v3, 2, v3
	v_cndmask_b32_e32 v0, 3, v0, vcc_lo
	v_and_b32_e32 v3, 0xfc, v3
	s_delay_alu instid0(VALU_DEP_2) | instskip(NEXT) | instid1(VALU_DEP_2)
	v_cmp_eq_u64_e32 vcc_lo, 0, v[0:1]
	v_and_or_b32 v0, v0, 3, v3
	s_and_b32 s13, s13, vcc_lo
	s_delay_alu instid0(VALU_DEP_1) | instid1(SALU_CYCLE_1)
	v_cndmask_b32_e64 v0, v0, 0, s13
	s_delay_alu instid0(VALU_DEP_1)
	v_or_b32_e32 v68, v0, v7
.LBB6_7268:                             ;   in Loop: Header=BB6_5830 Depth=4
	s_or_b32 exec_lo, exec_lo, s77
                                        ; implicit-def: $vgpr7
.LBB6_7269:                             ;   in Loop: Header=BB6_5830 Depth=4
	s_and_not1_saveexec_b32 s13, s76
; %bb.7270:                             ;   in Loop: Header=BB6_5830 Depth=4
	v_or_b32_e32 v68, 0x7b, v7
; %bb.7271:                             ;   in Loop: Header=BB6_5830 Depth=4
	s_or_b32 exec_lo, exec_lo, s13
                                        ; implicit-def: $vgpr0
                                        ; implicit-def: $vgpr1
.LBB6_7272:                             ;   in Loop: Header=BB6_5830 Depth=4
	s_and_not1_saveexec_b32 s13, s75
	s_cbranch_execz .LBB6_7278
; %bb.7273:                             ;   in Loop: Header=BB6_5830 Depth=4
	s_mov_b32 s75, exec_lo
                                        ; implicit-def: $vgpr68
	v_cmpx_ne_u64_e32 0, v[112:113]
	s_xor_b32 s75, exec_lo, s75
; %bb.7274:                             ;   in Loop: Header=BB6_5830 Depth=4
	v_or_b32_e32 v68, 0x7f, v1
                                        ; implicit-def: $vgpr0
; %bb.7275:                             ;   in Loop: Header=BB6_5830 Depth=4
	s_and_not1_saveexec_b32 s75, s75
; %bb.7276:                             ;   in Loop: Header=BB6_5830 Depth=4
	v_cmp_lt_i32_e32 vcc_lo, -1, v0
	v_mov_b32_e32 v0, 0x7c
	s_delay_alu instid0(VALU_DEP_1)
	v_cndmask_b32_e32 v68, 0xfc, v0, vcc_lo
; %bb.7277:                             ;   in Loop: Header=BB6_5830 Depth=4
	s_or_b32 exec_lo, exec_lo, s75
.LBB6_7278:                             ;   in Loop: Header=BB6_5830 Depth=4
	s_delay_alu instid0(SALU_CYCLE_1) | instskip(SKIP_3) | instid1(VALU_DEP_1)
	s_or_b32 exec_lo, exec_lo, s13
	global_load_b128 v[8:11], v[60:61], off offset:1536 th:TH_LOAD_NT
	s_wait_loadcnt 0x0
	v_and_b32_e32 v0, 0xff, v8
	v_cmp_ne_u16_e32 vcc_lo, 0, v0
	v_mov_b32_e32 v0, 0
	s_wait_xcnt 0x0
	s_and_saveexec_b32 s75, vcc_lo
	s_cbranch_execz .LBB6_7288
; %bb.7279:                             ;   in Loop: Header=BB6_5830 Depth=4
	v_bfe_i32 v2, v8, 0, 8
	v_bfrev_b32_e32 v0, 1
	s_mov_b32 s76, exec_lo
	s_delay_alu instid0(VALU_DEP_2)
	v_cmpx_ne_u16_e32 0xff80, v2
	s_cbranch_execz .LBB6_7287
; %bb.7280:                             ;   in Loop: Header=BB6_5830 Depth=4
	v_and_b32_e32 v0, 0x7c, v8
	v_and_b32_e32 v1, 3, v8
	s_delay_alu instid0(VALU_DEP_2) | instskip(SKIP_1) | instid1(SALU_CYCLE_1)
	v_cmp_ne_u32_e32 vcc_lo, 0x7c, v0
                                        ; implicit-def: $vgpr0
	s_and_saveexec_b32 s13, vcc_lo
	s_xor_b32 s13, exec_lo, s13
	s_cbranch_execz .LBB6_7284
; %bb.7281:                             ;   in Loop: Header=BB6_5830 Depth=4
	v_bfe_u32 v0, v8, 2, 5
	s_mov_b32 s77, exec_lo
	s_delay_alu instid0(VALU_DEP_1)
	v_cmpx_eq_u32_e32 0, v0
; %bb.7282:                             ;   in Loop: Header=BB6_5830 Depth=4
	v_clz_i32_u32_e32 v0, v1
	s_delay_alu instid0(VALU_DEP_1) | instskip(NEXT) | instid1(VALU_DEP_1)
	v_min_u32_e32 v0, 32, v0
	v_subrev_nc_u32_e32 v1, 29, v0
	s_delay_alu instid0(VALU_DEP_1) | instskip(NEXT) | instid1(VALU_DEP_1)
	v_lshlrev_b64_e32 v[2:3], v1, v[8:9]
	v_dual_sub_nc_u32 v0, 30, v0 :: v_dual_bitop2_b32 v1, 3, v2 bitop3:0x40
; %bb.7283:                             ;   in Loop: Header=BB6_5830 Depth=4
	s_or_b32 exec_lo, exec_lo, s77
	v_lshlrev_b32_e32 v2, 24, v8
	s_delay_alu instid0(VALU_DEP_1) | instskip(NEXT) | instid1(VALU_DEP_1)
	v_and_b32_e32 v2, 0x80000000, v2
	v_lshl_add_u32 v0, v0, 23, v2
                                        ; implicit-def: $vgpr2
	s_delay_alu instid0(VALU_DEP_1) | instskip(NEXT) | instid1(VALU_DEP_1)
	v_lshl_or_b32 v0, v1, 21, v0
                                        ; implicit-def: $vgpr1
	v_add_nc_u32_e32 v0, 0x38000000, v0
.LBB6_7284:                             ;   in Loop: Header=BB6_5830 Depth=4
	s_and_not1_saveexec_b32 s77, s13
; %bb.7285:                             ;   in Loop: Header=BB6_5830 Depth=4
	v_cmp_lt_i16_e64 s13, -1, v2
	v_mov_b32_e32 v0, 0x7f800000
	v_cmp_eq_u32_e32 vcc_lo, 0, v1
	s_delay_alu instid0(VALU_DEP_2) | instskip(NEXT) | instid1(VALU_DEP_1)
	v_cndmask_b32_e64 v0, 0xff800000, v0, s13
	v_cndmask_b32_e32 v0, 0x7f800001, v0, vcc_lo
; %bb.7286:                             ;   in Loop: Header=BB6_5830 Depth=4
	s_or_b32 exec_lo, exec_lo, s77
.LBB6_7287:                             ;   in Loop: Header=BB6_5830 Depth=4
	s_delay_alu instid0(SALU_CYCLE_1)
	s_or_b32 exec_lo, exec_lo, s76
.LBB6_7288:                             ;   in Loop: Header=BB6_5830 Depth=4
	s_delay_alu instid0(SALU_CYCLE_1) | instskip(NEXT) | instid1(VALU_DEP_1)
	s_or_b32 exec_lo, exec_lo, s75
	v_dual_mul_f32 v0, s74, v0 :: v_dual_mov_b32 v3, v113
                                        ; implicit-def: $vgpr31
	s_mov_b32 s13, exec_lo
	s_delay_alu instid0(VALU_DEP_1) | instskip(SKIP_2) | instid1(VALU_DEP_3)
	v_and_b32_e32 v2, 0x7f800000, v0
	v_and_b32_e32 v112, 0x7fffff, v0
	v_lshrrev_b32_e32 v1, 24, v0
	v_cmpx_ne_u64_e32 0x7f800000, v[2:3]
	s_xor_b32 s75, exec_lo, s13
	s_cbranch_execz .LBB6_7302
; %bb.7289:                             ;   in Loop: Header=BB6_5830 Depth=4
	v_and_b32_e32 v2, 0x7fffffff, v0
	v_mov_b32_e32 v3, v113
	v_and_b32_e32 v7, 0x80, v1
                                        ; implicit-def: $vgpr31
	s_mov_b32 s13, exec_lo
	s_delay_alu instid0(VALU_DEP_2)
	v_cmpx_gt_u64_e32 0x47600001, v[2:3]
	s_xor_b32 s76, exec_lo, s13
	s_cbranch_execz .LBB6_7299
; %bb.7290:                             ;   in Loop: Header=BB6_5830 Depth=4
	v_mov_b32_e32 v31, 0
	s_mov_b32 s77, exec_lo
	v_cmpx_ne_u32_e32 0, v0
	s_cbranch_execz .LBB6_7298
; %bb.7291:                             ;   in Loop: Header=BB6_5830 Depth=4
	v_bfe_u32 v12, v0, 23, 8
	v_or_b32_e32 v1, 0x800000, v112
	s_delay_alu instid0(VALU_DEP_2) | instskip(SKIP_2) | instid1(VALU_DEP_2)
	v_cmp_gt_u32_e64 s13, 0x72, v12
	v_sub_nc_u32_e32 v0, 0x71, v12
	v_cmp_eq_u32_e32 vcc_lo, 0, v12
	v_cndmask_b32_e64 v0, 0, v0, s13
	s_delay_alu instid0(VALU_DEP_1) | instskip(SKIP_1) | instid1(VALU_DEP_2)
	v_cndmask_b32_e64 v13, v0, 0x70, vcc_lo
	v_cndmask_b32_e32 v0, v1, v112, vcc_lo
	v_dual_mov_b32 v1, v113 :: v_dual_add_nc_u32 v2, 21, v13
	v_add_nc_u32_e32 v14, 20, v13
	s_delay_alu instid0(VALU_DEP_2) | instskip(NEXT) | instid1(VALU_DEP_2)
	v_lshlrev_b64_e64 v[2:3], v2, -1
	v_lshlrev_b64_e64 v[14:15], v14, 1
	s_delay_alu instid0(VALU_DEP_2) | instskip(SKIP_1) | instid1(VALU_DEP_4)
	v_bfi_b32 v2, v2, 0, v0
	v_lshrrev_b64 v[0:1], v13, v[0:1]
	v_bfi_b32 v3, v3, 0, 0
	s_delay_alu instid0(VALU_DEP_1) | instskip(NEXT) | instid1(VALU_DEP_3)
	v_cmp_eq_u64_e64 s13, v[2:3], v[14:15]
	v_mov_b64_e32 v[2:3], v[0:1]
	s_and_saveexec_b32 s78, s13
; %bb.7292:                             ;   in Loop: Header=BB6_5830 Depth=4
	v_bfe_u32 v2, v0, 21, 1
	v_mov_b32_e32 v3, v113
	s_delay_alu instid0(VALU_DEP_1) | instskip(NEXT) | instid1(VALU_DEP_1)
	v_add_nc_u64_e32 v[2:3], v[0:1], v[2:3]
	v_add_nc_u64_e32 v[2:3], -1, v[2:3]
; %bb.7293:                             ;   in Loop: Header=BB6_5830 Depth=4
	s_or_b32 exec_lo, exec_lo, s78
	v_add_nc_u32_e32 v1, 0xffffff81, v12
	v_lshrrev_b32_e32 v3, 23, v0
	s_mov_b32 s13, exec_lo
	s_delay_alu instid0(VALU_DEP_2) | instskip(NEXT) | instid1(VALU_DEP_1)
	v_cndmask_b32_e64 v1, v1, 0xffffff82, vcc_lo
	v_add3_u32 v12, v13, v1, v3
	v_and_b32_e32 v1, 0x1fffff, v2
                                        ; implicit-def: $vgpr2
	s_delay_alu instid0(VALU_DEP_2) | instskip(NEXT) | instid1(VALU_DEP_2)
	v_add_nc_u32_e32 v3, 14, v12
	v_add_nc_u32_e32 v112, v1, v0
                                        ; implicit-def: $vgpr0_vgpr1
	s_delay_alu instid0(VALU_DEP_2)
	v_cmpx_ne_u32_e32 0, v3
	s_xor_b32 s13, exec_lo, s13
; %bb.7294:                             ;   in Loop: Header=BB6_5830 Depth=4
	s_delay_alu instid0(VALU_DEP_2) | instskip(SKIP_1) | instid1(VALU_DEP_1)
	v_cmp_lt_u64_e32 vcc_lo, 0xffffff, v[112:113]
	v_add_nc_u32_e32 v0, 15, v12
	v_cndmask_b32_e32 v2, v3, v0, vcc_lo
	v_cndmask_b32_e64 v0, 0, 1, vcc_lo
	s_delay_alu instid0(VALU_DEP_1)
	v_lshrrev_b64 v[0:1], v0, v[112:113]
; %bb.7295:                             ;   in Loop: Header=BB6_5830 Depth=4
	s_and_not1_saveexec_b32 s13, s13
; %bb.7296:                             ;   in Loop: Header=BB6_5830 Depth=4
	v_mov_b64_e32 v[0:1], v[112:113]
	v_bfe_u32 v2, v112, 23, 1
; %bb.7297:                             ;   in Loop: Header=BB6_5830 Depth=4
	s_or_b32 exec_lo, exec_lo, s13
	s_delay_alu instid0(VALU_DEP_2) | instskip(NEXT) | instid1(VALU_DEP_2)
	v_lshrrev_b64 v[0:1], 21, v[0:1]
	v_cmp_gt_i32_e32 vcc_lo, 32, v2
	v_min_i32_e32 v3, 31, v2
	v_cmp_eq_u32_e64 s13, 0, v2
	s_delay_alu instid0(VALU_DEP_2) | instskip(SKIP_1) | instid1(VALU_DEP_2)
	v_dual_cndmask_b32 v1, 0, v1, vcc_lo :: v_dual_lshlrev_b32 v3, 2, v3
	v_cndmask_b32_e32 v0, 3, v0, vcc_lo
	v_and_b32_e32 v3, 0xfc, v3
	s_delay_alu instid0(VALU_DEP_2) | instskip(NEXT) | instid1(VALU_DEP_2)
	v_cmp_eq_u64_e32 vcc_lo, 0, v[0:1]
	v_and_or_b32 v0, v0, 3, v3
	s_and_b32 s13, s13, vcc_lo
	s_delay_alu instid0(VALU_DEP_1) | instid1(SALU_CYCLE_1)
	v_cndmask_b32_e64 v0, v0, 0, s13
	s_delay_alu instid0(VALU_DEP_1)
	v_or_b32_e32 v31, v0, v7
.LBB6_7298:                             ;   in Loop: Header=BB6_5830 Depth=4
	s_or_b32 exec_lo, exec_lo, s77
                                        ; implicit-def: $vgpr7
.LBB6_7299:                             ;   in Loop: Header=BB6_5830 Depth=4
	s_and_not1_saveexec_b32 s13, s76
; %bb.7300:                             ;   in Loop: Header=BB6_5830 Depth=4
	v_or_b32_e32 v31, 0x7b, v7
; %bb.7301:                             ;   in Loop: Header=BB6_5830 Depth=4
	s_or_b32 exec_lo, exec_lo, s13
                                        ; implicit-def: $vgpr0
                                        ; implicit-def: $vgpr1
.LBB6_7302:                             ;   in Loop: Header=BB6_5830 Depth=4
	s_and_not1_saveexec_b32 s13, s75
	s_cbranch_execz .LBB6_7308
; %bb.7303:                             ;   in Loop: Header=BB6_5830 Depth=4
	s_mov_b32 s75, exec_lo
                                        ; implicit-def: $vgpr31
	v_cmpx_ne_u64_e32 0, v[112:113]
	s_xor_b32 s75, exec_lo, s75
; %bb.7304:                             ;   in Loop: Header=BB6_5830 Depth=4
	v_or_b32_e32 v31, 0x7f, v1
                                        ; implicit-def: $vgpr0
; %bb.7305:                             ;   in Loop: Header=BB6_5830 Depth=4
	s_and_not1_saveexec_b32 s75, s75
; %bb.7306:                             ;   in Loop: Header=BB6_5830 Depth=4
	v_cmp_lt_i32_e32 vcc_lo, -1, v0
	v_mov_b32_e32 v0, 0x7c
	s_delay_alu instid0(VALU_DEP_1)
	v_cndmask_b32_e32 v31, 0xfc, v0, vcc_lo
; %bb.7307:                             ;   in Loop: Header=BB6_5830 Depth=4
	s_or_b32 exec_lo, exec_lo, s75
.LBB6_7308:                             ;   in Loop: Header=BB6_5830 Depth=4
	s_delay_alu instid0(SALU_CYCLE_1) | instskip(SKIP_3) | instid1(VALU_DEP_2)
	s_or_b32 exec_lo, exec_lo, s13
	v_lshrrev_b16 v0, 8, v8
	v_mov_b32_e32 v1, 0
	s_mov_b32 s75, exec_lo
	v_cmpx_ne_u16_e32 0, v0
	s_cbranch_execz .LBB6_7318
; %bb.7309:                             ;   in Loop: Header=BB6_5830 Depth=4
	v_bfrev_b32_e32 v1, 1
	s_mov_b32 s76, exec_lo
	v_cmpx_ne_u16_e32 0x80, v0
	s_cbranch_execz .LBB6_7317
; %bb.7310:                             ;   in Loop: Header=BB6_5830 Depth=4
	v_and_b32_e32 v3, 0xffff, v0
	s_delay_alu instid0(VALU_DEP_1) | instskip(SKIP_1) | instid1(VALU_DEP_2)
	v_and_b32_e32 v1, 0x7c, v3
	v_and_b32_e32 v2, 3, v3
	v_cmp_ne_u32_e32 vcc_lo, 0x7c, v1
                                        ; implicit-def: $vgpr1
	s_and_saveexec_b32 s13, vcc_lo
	s_delay_alu instid0(SALU_CYCLE_1)
	s_xor_b32 s13, exec_lo, s13
	s_cbranch_execz .LBB6_7314
; %bb.7311:                             ;   in Loop: Header=BB6_5830 Depth=4
	v_bfe_u32 v1, v3, 2, 5
	s_mov_b32 s77, exec_lo
	s_delay_alu instid0(VALU_DEP_1)
	v_cmpx_eq_u32_e32 0, v1
; %bb.7312:                             ;   in Loop: Header=BB6_5830 Depth=4
	v_clz_i32_u32_e32 v1, v2
	s_delay_alu instid0(VALU_DEP_1) | instskip(SKIP_1) | instid1(VALU_DEP_2)
	v_min_u32_e32 v2, 32, v1
	v_mov_b32_e32 v1, v113
	v_subrev_nc_u32_e32 v3, 29, v2
	s_delay_alu instid0(VALU_DEP_1) | instskip(NEXT) | instid1(VALU_DEP_1)
	v_lshlrev_b64_e32 v[0:1], v3, v[0:1]
	v_dual_sub_nc_u32 v1, 30, v2 :: v_dual_bitop2_b32 v2, 3, v0 bitop3:0x40
; %bb.7313:                             ;   in Loop: Header=BB6_5830 Depth=4
	s_or_b32 exec_lo, exec_lo, s77
	v_lshlrev_b32_e32 v0, 16, v8
	s_delay_alu instid0(VALU_DEP_1) | instskip(NEXT) | instid1(VALU_DEP_1)
	v_and_b32_e32 v0, 0x80000000, v0
	v_lshl_add_u32 v0, v1, 23, v0
	s_delay_alu instid0(VALU_DEP_1) | instskip(NEXT) | instid1(VALU_DEP_1)
	v_lshl_or_b32 v0, v2, 21, v0
                                        ; implicit-def: $vgpr2
	v_add_nc_u32_e32 v1, 0x38000000, v0
.LBB6_7314:                             ;   in Loop: Header=BB6_5830 Depth=4
	s_and_not1_saveexec_b32 s77, s13
; %bb.7315:                             ;   in Loop: Header=BB6_5830 Depth=4
	v_cmp_lt_i16_e64 s13, -1, v8
	v_mov_b32_e32 v0, 0x7f800000
	v_cmp_eq_u32_e32 vcc_lo, 0, v2
	s_delay_alu instid0(VALU_DEP_2) | instskip(NEXT) | instid1(VALU_DEP_1)
	v_cndmask_b32_e64 v0, 0xff800000, v0, s13
	v_cndmask_b32_e32 v1, 0x7f800001, v0, vcc_lo
; %bb.7316:                             ;   in Loop: Header=BB6_5830 Depth=4
	s_or_b32 exec_lo, exec_lo, s77
.LBB6_7317:                             ;   in Loop: Header=BB6_5830 Depth=4
	s_delay_alu instid0(SALU_CYCLE_1)
	s_or_b32 exec_lo, exec_lo, s76
.LBB6_7318:                             ;   in Loop: Header=BB6_5830 Depth=4
	s_delay_alu instid0(SALU_CYCLE_1) | instskip(NEXT) | instid1(VALU_DEP_1)
	s_or_b32 exec_lo, exec_lo, s75
	v_dual_mul_f32 v0, s74, v1 :: v_dual_mov_b32 v3, v113
                                        ; implicit-def: $vgpr39
	s_mov_b32 s13, exec_lo
	s_delay_alu instid0(VALU_DEP_1) | instskip(SKIP_2) | instid1(VALU_DEP_3)
	v_and_b32_e32 v2, 0x7f800000, v0
	v_and_b32_e32 v112, 0x7fffff, v0
	v_lshrrev_b32_e32 v1, 24, v0
	v_cmpx_ne_u64_e32 0x7f800000, v[2:3]
	s_xor_b32 s75, exec_lo, s13
	s_cbranch_execz .LBB6_7332
; %bb.7319:                             ;   in Loop: Header=BB6_5830 Depth=4
	v_and_b32_e32 v2, 0x7fffffff, v0
	v_mov_b32_e32 v3, v113
	v_and_b32_e32 v7, 0x80, v1
                                        ; implicit-def: $vgpr39
	s_mov_b32 s13, exec_lo
	s_delay_alu instid0(VALU_DEP_2)
	v_cmpx_gt_u64_e32 0x47600001, v[2:3]
	s_xor_b32 s76, exec_lo, s13
	s_cbranch_execz .LBB6_7329
; %bb.7320:                             ;   in Loop: Header=BB6_5830 Depth=4
	v_mov_b32_e32 v39, 0
	s_mov_b32 s77, exec_lo
	v_cmpx_ne_u32_e32 0, v0
	s_cbranch_execz .LBB6_7328
; %bb.7321:                             ;   in Loop: Header=BB6_5830 Depth=4
	v_bfe_u32 v12, v0, 23, 8
	v_or_b32_e32 v1, 0x800000, v112
	s_delay_alu instid0(VALU_DEP_2) | instskip(SKIP_2) | instid1(VALU_DEP_2)
	v_cmp_gt_u32_e64 s13, 0x72, v12
	v_sub_nc_u32_e32 v0, 0x71, v12
	v_cmp_eq_u32_e32 vcc_lo, 0, v12
	v_cndmask_b32_e64 v0, 0, v0, s13
	s_delay_alu instid0(VALU_DEP_1) | instskip(SKIP_1) | instid1(VALU_DEP_2)
	v_cndmask_b32_e64 v13, v0, 0x70, vcc_lo
	v_cndmask_b32_e32 v0, v1, v112, vcc_lo
	v_dual_mov_b32 v1, v113 :: v_dual_add_nc_u32 v2, 21, v13
	v_add_nc_u32_e32 v14, 20, v13
	s_delay_alu instid0(VALU_DEP_2) | instskip(NEXT) | instid1(VALU_DEP_2)
	v_lshlrev_b64_e64 v[2:3], v2, -1
	v_lshlrev_b64_e64 v[14:15], v14, 1
	s_delay_alu instid0(VALU_DEP_2) | instskip(SKIP_1) | instid1(VALU_DEP_4)
	v_bfi_b32 v2, v2, 0, v0
	v_lshrrev_b64 v[0:1], v13, v[0:1]
	v_bfi_b32 v3, v3, 0, 0
	s_delay_alu instid0(VALU_DEP_1) | instskip(NEXT) | instid1(VALU_DEP_3)
	v_cmp_eq_u64_e64 s13, v[2:3], v[14:15]
	v_mov_b64_e32 v[2:3], v[0:1]
	s_and_saveexec_b32 s78, s13
; %bb.7322:                             ;   in Loop: Header=BB6_5830 Depth=4
	v_bfe_u32 v2, v0, 21, 1
	v_mov_b32_e32 v3, v113
	s_delay_alu instid0(VALU_DEP_1) | instskip(NEXT) | instid1(VALU_DEP_1)
	v_add_nc_u64_e32 v[2:3], v[0:1], v[2:3]
	v_add_nc_u64_e32 v[2:3], -1, v[2:3]
; %bb.7323:                             ;   in Loop: Header=BB6_5830 Depth=4
	s_or_b32 exec_lo, exec_lo, s78
	v_add_nc_u32_e32 v1, 0xffffff81, v12
	v_lshrrev_b32_e32 v3, 23, v0
	s_mov_b32 s13, exec_lo
	s_delay_alu instid0(VALU_DEP_2) | instskip(NEXT) | instid1(VALU_DEP_1)
	v_cndmask_b32_e64 v1, v1, 0xffffff82, vcc_lo
	v_add3_u32 v12, v13, v1, v3
	v_and_b32_e32 v1, 0x1fffff, v2
                                        ; implicit-def: $vgpr2
	s_delay_alu instid0(VALU_DEP_2) | instskip(NEXT) | instid1(VALU_DEP_2)
	v_add_nc_u32_e32 v3, 14, v12
	v_add_nc_u32_e32 v112, v1, v0
                                        ; implicit-def: $vgpr0_vgpr1
	s_delay_alu instid0(VALU_DEP_2)
	v_cmpx_ne_u32_e32 0, v3
	s_xor_b32 s13, exec_lo, s13
; %bb.7324:                             ;   in Loop: Header=BB6_5830 Depth=4
	s_delay_alu instid0(VALU_DEP_2) | instskip(SKIP_1) | instid1(VALU_DEP_1)
	v_cmp_lt_u64_e32 vcc_lo, 0xffffff, v[112:113]
	v_add_nc_u32_e32 v0, 15, v12
	v_cndmask_b32_e32 v2, v3, v0, vcc_lo
	v_cndmask_b32_e64 v0, 0, 1, vcc_lo
	s_delay_alu instid0(VALU_DEP_1)
	v_lshrrev_b64 v[0:1], v0, v[112:113]
; %bb.7325:                             ;   in Loop: Header=BB6_5830 Depth=4
	s_and_not1_saveexec_b32 s13, s13
; %bb.7326:                             ;   in Loop: Header=BB6_5830 Depth=4
	v_mov_b64_e32 v[0:1], v[112:113]
	v_bfe_u32 v2, v112, 23, 1
; %bb.7327:                             ;   in Loop: Header=BB6_5830 Depth=4
	s_or_b32 exec_lo, exec_lo, s13
	s_delay_alu instid0(VALU_DEP_2) | instskip(NEXT) | instid1(VALU_DEP_2)
	v_lshrrev_b64 v[0:1], 21, v[0:1]
	v_cmp_gt_i32_e32 vcc_lo, 32, v2
	v_min_i32_e32 v3, 31, v2
	v_cmp_eq_u32_e64 s13, 0, v2
	s_delay_alu instid0(VALU_DEP_2) | instskip(SKIP_1) | instid1(VALU_DEP_2)
	v_dual_cndmask_b32 v1, 0, v1, vcc_lo :: v_dual_lshlrev_b32 v3, 2, v3
	v_cndmask_b32_e32 v0, 3, v0, vcc_lo
	v_and_b32_e32 v3, 0xfc, v3
	s_delay_alu instid0(VALU_DEP_2) | instskip(NEXT) | instid1(VALU_DEP_2)
	v_cmp_eq_u64_e32 vcc_lo, 0, v[0:1]
	v_and_or_b32 v0, v0, 3, v3
	s_and_b32 s13, s13, vcc_lo
	s_delay_alu instid0(VALU_DEP_1) | instid1(SALU_CYCLE_1)
	v_cndmask_b32_e64 v0, v0, 0, s13
	s_delay_alu instid0(VALU_DEP_1)
	v_or_b32_e32 v39, v0, v7
.LBB6_7328:                             ;   in Loop: Header=BB6_5830 Depth=4
	s_or_b32 exec_lo, exec_lo, s77
                                        ; implicit-def: $vgpr7
.LBB6_7329:                             ;   in Loop: Header=BB6_5830 Depth=4
	s_and_not1_saveexec_b32 s13, s76
; %bb.7330:                             ;   in Loop: Header=BB6_5830 Depth=4
	v_or_b32_e32 v39, 0x7b, v7
; %bb.7331:                             ;   in Loop: Header=BB6_5830 Depth=4
	s_or_b32 exec_lo, exec_lo, s13
                                        ; implicit-def: $vgpr0
                                        ; implicit-def: $vgpr1
.LBB6_7332:                             ;   in Loop: Header=BB6_5830 Depth=4
	s_and_not1_saveexec_b32 s13, s75
	s_cbranch_execz .LBB6_7338
; %bb.7333:                             ;   in Loop: Header=BB6_5830 Depth=4
	s_mov_b32 s75, exec_lo
                                        ; implicit-def: $vgpr39
	v_cmpx_ne_u64_e32 0, v[112:113]
	s_xor_b32 s75, exec_lo, s75
; %bb.7334:                             ;   in Loop: Header=BB6_5830 Depth=4
	v_or_b32_e32 v39, 0x7f, v1
                                        ; implicit-def: $vgpr0
; %bb.7335:                             ;   in Loop: Header=BB6_5830 Depth=4
	s_and_not1_saveexec_b32 s75, s75
; %bb.7336:                             ;   in Loop: Header=BB6_5830 Depth=4
	v_cmp_lt_i32_e32 vcc_lo, -1, v0
	v_mov_b32_e32 v0, 0x7c
	s_delay_alu instid0(VALU_DEP_1)
	v_cndmask_b32_e32 v39, 0xfc, v0, vcc_lo
; %bb.7337:                             ;   in Loop: Header=BB6_5830 Depth=4
	s_or_b32 exec_lo, exec_lo, s75
.LBB6_7338:                             ;   in Loop: Header=BB6_5830 Depth=4
	s_delay_alu instid0(SALU_CYCLE_1) | instskip(SKIP_2) | instid1(VALU_DEP_1)
	s_or_b32 exec_lo, exec_lo, s13
	v_dual_mov_b32 v1, 0 :: v_dual_lshrrev_b32 v0, 16, v8
	s_mov_b32 s75, exec_lo
	v_and_b32_e32 v2, 0xff, v0
	s_delay_alu instid0(VALU_DEP_1)
	v_cmpx_ne_u16_e32 0, v2
	s_cbranch_execz .LBB6_7348
; %bb.7339:                             ;   in Loop: Header=BB6_5830 Depth=4
	v_bfrev_b32_e32 v1, 1
	s_mov_b32 s76, exec_lo
	v_cmpx_ne_u16_e32 0x80, v2
	s_cbranch_execz .LBB6_7347
; %bb.7340:                             ;   in Loop: Header=BB6_5830 Depth=4
	v_and_b32_e32 v1, 0x7c0000, v8
	v_bfe_u32 v2, v8, 16, 2
	s_delay_alu instid0(VALU_DEP_2) | instskip(SKIP_1) | instid1(SALU_CYCLE_1)
	v_cmp_ne_u32_e32 vcc_lo, 0x7c0000, v1
                                        ; implicit-def: $vgpr1
	s_and_saveexec_b32 s13, vcc_lo
	s_xor_b32 s13, exec_lo, s13
	s_cbranch_execz .LBB6_7344
; %bb.7341:                             ;   in Loop: Header=BB6_5830 Depth=4
	v_bfe_u32 v1, v8, 18, 5
	s_mov_b32 s77, exec_lo
	s_delay_alu instid0(VALU_DEP_1)
	v_cmpx_eq_u32_e32 0, v1
; %bb.7342:                             ;   in Loop: Header=BB6_5830 Depth=4
	v_clz_i32_u32_e32 v1, v2
	s_delay_alu instid0(VALU_DEP_1) | instskip(NEXT) | instid1(VALU_DEP_1)
	v_min_u32_e32 v1, 32, v1
	v_subrev_nc_u32_e32 v2, 29, v1
	s_delay_alu instid0(VALU_DEP_1) | instskip(NEXT) | instid1(VALU_DEP_1)
	v_lshlrev_b64_e32 v[2:3], v2, v[0:1]
	v_dual_sub_nc_u32 v1, 30, v1 :: v_dual_bitop2_b32 v2, 3, v2 bitop3:0x40
; %bb.7343:                             ;   in Loop: Header=BB6_5830 Depth=4
	s_or_b32 exec_lo, exec_lo, s77
	v_lshlrev_b32_e32 v0, 24, v0
	s_delay_alu instid0(VALU_DEP_1) | instskip(NEXT) | instid1(VALU_DEP_1)
	v_and_b32_e32 v0, 0x80000000, v0
	v_lshl_add_u32 v0, v1, 23, v0
	s_delay_alu instid0(VALU_DEP_1) | instskip(NEXT) | instid1(VALU_DEP_1)
	v_lshl_or_b32 v0, v2, 21, v0
                                        ; implicit-def: $vgpr2
	v_add_nc_u32_e32 v1, 0x38000000, v0
                                        ; implicit-def: $vgpr0
.LBB6_7344:                             ;   in Loop: Header=BB6_5830 Depth=4
	s_and_not1_saveexec_b32 s77, s13
; %bb.7345:                             ;   in Loop: Header=BB6_5830 Depth=4
	v_bfe_i32 v0, v0, 0, 8
	v_cmp_eq_u32_e32 vcc_lo, 0, v2
	s_delay_alu instid0(VALU_DEP_2) | instskip(SKIP_1) | instid1(VALU_DEP_1)
	v_cmp_lt_i16_e64 s13, -1, v0
	v_mov_b32_e32 v0, 0x7f800000
	v_cndmask_b32_e64 v0, 0xff800000, v0, s13
	s_delay_alu instid0(VALU_DEP_1)
	v_cndmask_b32_e32 v1, 0x7f800001, v0, vcc_lo
; %bb.7346:                             ;   in Loop: Header=BB6_5830 Depth=4
	s_or_b32 exec_lo, exec_lo, s77
.LBB6_7347:                             ;   in Loop: Header=BB6_5830 Depth=4
	s_delay_alu instid0(SALU_CYCLE_1)
	s_or_b32 exec_lo, exec_lo, s76
.LBB6_7348:                             ;   in Loop: Header=BB6_5830 Depth=4
	s_delay_alu instid0(SALU_CYCLE_1) | instskip(NEXT) | instid1(VALU_DEP_1)
	s_or_b32 exec_lo, exec_lo, s75
	v_dual_mul_f32 v0, s74, v1 :: v_dual_mov_b32 v3, v113
                                        ; implicit-def: $vgpr51
	s_mov_b32 s13, exec_lo
	s_delay_alu instid0(VALU_DEP_1) | instskip(SKIP_2) | instid1(VALU_DEP_3)
	v_and_b32_e32 v2, 0x7f800000, v0
	v_and_b32_e32 v112, 0x7fffff, v0
	v_lshrrev_b32_e32 v1, 24, v0
	v_cmpx_ne_u64_e32 0x7f800000, v[2:3]
	s_xor_b32 s75, exec_lo, s13
	s_cbranch_execz .LBB6_7362
; %bb.7349:                             ;   in Loop: Header=BB6_5830 Depth=4
	v_and_b32_e32 v2, 0x7fffffff, v0
	v_mov_b32_e32 v3, v113
	v_and_b32_e32 v7, 0x80, v1
                                        ; implicit-def: $vgpr51
	s_mov_b32 s13, exec_lo
	s_delay_alu instid0(VALU_DEP_2)
	v_cmpx_gt_u64_e32 0x47600001, v[2:3]
	s_xor_b32 s76, exec_lo, s13
	s_cbranch_execz .LBB6_7359
; %bb.7350:                             ;   in Loop: Header=BB6_5830 Depth=4
	v_mov_b32_e32 v51, 0
	s_mov_b32 s77, exec_lo
	v_cmpx_ne_u32_e32 0, v0
	s_cbranch_execz .LBB6_7358
; %bb.7351:                             ;   in Loop: Header=BB6_5830 Depth=4
	v_bfe_u32 v12, v0, 23, 8
	v_or_b32_e32 v1, 0x800000, v112
	s_delay_alu instid0(VALU_DEP_2) | instskip(SKIP_2) | instid1(VALU_DEP_2)
	v_cmp_gt_u32_e64 s13, 0x72, v12
	v_sub_nc_u32_e32 v0, 0x71, v12
	v_cmp_eq_u32_e32 vcc_lo, 0, v12
	v_cndmask_b32_e64 v0, 0, v0, s13
	s_delay_alu instid0(VALU_DEP_1) | instskip(SKIP_1) | instid1(VALU_DEP_2)
	v_cndmask_b32_e64 v13, v0, 0x70, vcc_lo
	v_cndmask_b32_e32 v0, v1, v112, vcc_lo
	v_dual_mov_b32 v1, v113 :: v_dual_add_nc_u32 v2, 21, v13
	v_add_nc_u32_e32 v14, 20, v13
	s_delay_alu instid0(VALU_DEP_2) | instskip(NEXT) | instid1(VALU_DEP_2)
	v_lshlrev_b64_e64 v[2:3], v2, -1
	v_lshlrev_b64_e64 v[14:15], v14, 1
	s_delay_alu instid0(VALU_DEP_2) | instskip(SKIP_1) | instid1(VALU_DEP_4)
	v_bfi_b32 v2, v2, 0, v0
	v_lshrrev_b64 v[0:1], v13, v[0:1]
	v_bfi_b32 v3, v3, 0, 0
	s_delay_alu instid0(VALU_DEP_1) | instskip(NEXT) | instid1(VALU_DEP_3)
	v_cmp_eq_u64_e64 s13, v[2:3], v[14:15]
	v_mov_b64_e32 v[2:3], v[0:1]
	s_and_saveexec_b32 s78, s13
; %bb.7352:                             ;   in Loop: Header=BB6_5830 Depth=4
	v_bfe_u32 v2, v0, 21, 1
	v_mov_b32_e32 v3, v113
	s_delay_alu instid0(VALU_DEP_1) | instskip(NEXT) | instid1(VALU_DEP_1)
	v_add_nc_u64_e32 v[2:3], v[0:1], v[2:3]
	v_add_nc_u64_e32 v[2:3], -1, v[2:3]
; %bb.7353:                             ;   in Loop: Header=BB6_5830 Depth=4
	s_or_b32 exec_lo, exec_lo, s78
	v_add_nc_u32_e32 v1, 0xffffff81, v12
	v_lshrrev_b32_e32 v3, 23, v0
	s_mov_b32 s13, exec_lo
	s_delay_alu instid0(VALU_DEP_2) | instskip(NEXT) | instid1(VALU_DEP_1)
	v_cndmask_b32_e64 v1, v1, 0xffffff82, vcc_lo
	v_add3_u32 v12, v13, v1, v3
	v_and_b32_e32 v1, 0x1fffff, v2
                                        ; implicit-def: $vgpr2
	s_delay_alu instid0(VALU_DEP_2) | instskip(NEXT) | instid1(VALU_DEP_2)
	v_add_nc_u32_e32 v3, 14, v12
	v_add_nc_u32_e32 v112, v1, v0
                                        ; implicit-def: $vgpr0_vgpr1
	s_delay_alu instid0(VALU_DEP_2)
	v_cmpx_ne_u32_e32 0, v3
	s_xor_b32 s13, exec_lo, s13
; %bb.7354:                             ;   in Loop: Header=BB6_5830 Depth=4
	s_delay_alu instid0(VALU_DEP_2) | instskip(SKIP_1) | instid1(VALU_DEP_1)
	v_cmp_lt_u64_e32 vcc_lo, 0xffffff, v[112:113]
	v_add_nc_u32_e32 v0, 15, v12
	v_cndmask_b32_e32 v2, v3, v0, vcc_lo
	v_cndmask_b32_e64 v0, 0, 1, vcc_lo
	s_delay_alu instid0(VALU_DEP_1)
	v_lshrrev_b64 v[0:1], v0, v[112:113]
; %bb.7355:                             ;   in Loop: Header=BB6_5830 Depth=4
	s_and_not1_saveexec_b32 s13, s13
; %bb.7356:                             ;   in Loop: Header=BB6_5830 Depth=4
	v_mov_b64_e32 v[0:1], v[112:113]
	v_bfe_u32 v2, v112, 23, 1
; %bb.7357:                             ;   in Loop: Header=BB6_5830 Depth=4
	s_or_b32 exec_lo, exec_lo, s13
	s_delay_alu instid0(VALU_DEP_2) | instskip(NEXT) | instid1(VALU_DEP_2)
	v_lshrrev_b64 v[0:1], 21, v[0:1]
	v_cmp_gt_i32_e32 vcc_lo, 32, v2
	v_min_i32_e32 v3, 31, v2
	v_cmp_eq_u32_e64 s13, 0, v2
	s_delay_alu instid0(VALU_DEP_2) | instskip(SKIP_1) | instid1(VALU_DEP_2)
	v_dual_cndmask_b32 v1, 0, v1, vcc_lo :: v_dual_lshlrev_b32 v3, 2, v3
	v_cndmask_b32_e32 v0, 3, v0, vcc_lo
	v_and_b32_e32 v3, 0xfc, v3
	s_delay_alu instid0(VALU_DEP_2) | instskip(NEXT) | instid1(VALU_DEP_2)
	v_cmp_eq_u64_e32 vcc_lo, 0, v[0:1]
	v_and_or_b32 v0, v0, 3, v3
	s_and_b32 s13, s13, vcc_lo
	s_delay_alu instid0(VALU_DEP_1) | instid1(SALU_CYCLE_1)
	v_cndmask_b32_e64 v0, v0, 0, s13
	s_delay_alu instid0(VALU_DEP_1)
	v_or_b32_e32 v51, v0, v7
.LBB6_7358:                             ;   in Loop: Header=BB6_5830 Depth=4
	s_or_b32 exec_lo, exec_lo, s77
                                        ; implicit-def: $vgpr7
.LBB6_7359:                             ;   in Loop: Header=BB6_5830 Depth=4
	s_and_not1_saveexec_b32 s13, s76
; %bb.7360:                             ;   in Loop: Header=BB6_5830 Depth=4
	v_or_b32_e32 v51, 0x7b, v7
; %bb.7361:                             ;   in Loop: Header=BB6_5830 Depth=4
	s_or_b32 exec_lo, exec_lo, s13
                                        ; implicit-def: $vgpr0
                                        ; implicit-def: $vgpr1
.LBB6_7362:                             ;   in Loop: Header=BB6_5830 Depth=4
	s_and_not1_saveexec_b32 s13, s75
	s_cbranch_execz .LBB6_7368
; %bb.7363:                             ;   in Loop: Header=BB6_5830 Depth=4
	s_mov_b32 s75, exec_lo
                                        ; implicit-def: $vgpr51
	v_cmpx_ne_u64_e32 0, v[112:113]
	s_xor_b32 s75, exec_lo, s75
; %bb.7364:                             ;   in Loop: Header=BB6_5830 Depth=4
	v_or_b32_e32 v51, 0x7f, v1
                                        ; implicit-def: $vgpr0
; %bb.7365:                             ;   in Loop: Header=BB6_5830 Depth=4
	s_and_not1_saveexec_b32 s75, s75
; %bb.7366:                             ;   in Loop: Header=BB6_5830 Depth=4
	v_cmp_lt_i32_e32 vcc_lo, -1, v0
	v_mov_b32_e32 v0, 0x7c
	s_delay_alu instid0(VALU_DEP_1)
	v_cndmask_b32_e32 v51, 0xfc, v0, vcc_lo
; %bb.7367:                             ;   in Loop: Header=BB6_5830 Depth=4
	s_or_b32 exec_lo, exec_lo, s75
.LBB6_7368:                             ;   in Loop: Header=BB6_5830 Depth=4
	s_delay_alu instid0(SALU_CYCLE_1)
	s_or_b32 exec_lo, exec_lo, s13
	v_mov_b32_e32 v1, 0
	s_mov_b32 s75, exec_lo
	v_cmpx_lt_u32_e32 0xffffff, v8
	s_cbranch_execz .LBB6_7378
; %bb.7369:                             ;   in Loop: Header=BB6_5830 Depth=4
	v_lshrrev_b32_e32 v0, 24, v8
	v_bfrev_b32_e32 v1, 1
	s_mov_b32 s76, exec_lo
	s_delay_alu instid0(VALU_DEP_2)
	v_cmpx_ne_u32_e32 0x80, v0
	s_cbranch_execz .LBB6_7377
; %bb.7370:                             ;   in Loop: Header=BB6_5830 Depth=4
	v_and_b32_e32 v1, 0x7c000000, v8
	v_bfe_u32 v2, v8, 24, 2
	s_delay_alu instid0(VALU_DEP_2) | instskip(SKIP_1) | instid1(SALU_CYCLE_1)
	v_cmp_ne_u32_e32 vcc_lo, 0x7c000000, v1
                                        ; implicit-def: $vgpr1
	s_and_saveexec_b32 s13, vcc_lo
	s_xor_b32 s13, exec_lo, s13
	s_cbranch_execz .LBB6_7374
; %bb.7371:                             ;   in Loop: Header=BB6_5830 Depth=4
	v_bfe_u32 v1, v8, 26, 5
	s_mov_b32 s77, exec_lo
	s_delay_alu instid0(VALU_DEP_1)
	v_cmpx_eq_u32_e32 0, v1
; %bb.7372:                             ;   in Loop: Header=BB6_5830 Depth=4
	v_clz_i32_u32_e32 v1, v2
	s_delay_alu instid0(VALU_DEP_1) | instskip(NEXT) | instid1(VALU_DEP_1)
	v_min_u32_e32 v2, 32, v1
	v_subrev_nc_u32_e32 v1, 29, v2
	s_delay_alu instid0(VALU_DEP_1) | instskip(NEXT) | instid1(VALU_DEP_1)
	v_lshlrev_b64_e32 v[0:1], v1, v[0:1]
	v_dual_sub_nc_u32 v1, 30, v2 :: v_dual_bitop2_b32 v2, 3, v0 bitop3:0x40
; %bb.7373:                             ;   in Loop: Header=BB6_5830 Depth=4
	s_or_b32 exec_lo, exec_lo, s77
	v_and_b32_e32 v0, 0x80000000, v8
	s_delay_alu instid0(VALU_DEP_1) | instskip(NEXT) | instid1(VALU_DEP_1)
	v_lshl_add_u32 v0, v1, 23, v0
	v_lshl_or_b32 v0, v2, 21, v0
                                        ; implicit-def: $vgpr2
	s_delay_alu instid0(VALU_DEP_1)
	v_add_nc_u32_e32 v1, 0x38000000, v0
.LBB6_7374:                             ;   in Loop: Header=BB6_5830 Depth=4
	s_and_not1_saveexec_b32 s77, s13
; %bb.7375:                             ;   in Loop: Header=BB6_5830 Depth=4
	v_cmp_lt_i32_e64 s13, -1, v8
	v_mov_b32_e32 v0, 0x7f800000
	v_cmp_eq_u32_e32 vcc_lo, 0, v2
	s_delay_alu instid0(VALU_DEP_2) | instskip(NEXT) | instid1(VALU_DEP_1)
	v_cndmask_b32_e64 v0, 0xff800000, v0, s13
	v_cndmask_b32_e32 v1, 0x7f800001, v0, vcc_lo
; %bb.7376:                             ;   in Loop: Header=BB6_5830 Depth=4
	s_or_b32 exec_lo, exec_lo, s77
.LBB6_7377:                             ;   in Loop: Header=BB6_5830 Depth=4
	s_delay_alu instid0(SALU_CYCLE_1)
	s_or_b32 exec_lo, exec_lo, s76
.LBB6_7378:                             ;   in Loop: Header=BB6_5830 Depth=4
	s_delay_alu instid0(SALU_CYCLE_1) | instskip(NEXT) | instid1(VALU_DEP_1)
	s_or_b32 exec_lo, exec_lo, s75
	v_dual_mul_f32 v0, s74, v1 :: v_dual_mov_b32 v3, v113
                                        ; implicit-def: $vgpr55
	s_mov_b32 s13, exec_lo
	s_delay_alu instid0(VALU_DEP_1) | instskip(SKIP_2) | instid1(VALU_DEP_3)
	v_and_b32_e32 v2, 0x7f800000, v0
	v_and_b32_e32 v112, 0x7fffff, v0
	v_lshrrev_b32_e32 v1, 24, v0
	v_cmpx_ne_u64_e32 0x7f800000, v[2:3]
	s_xor_b32 s75, exec_lo, s13
	s_cbranch_execz .LBB6_7392
; %bb.7379:                             ;   in Loop: Header=BB6_5830 Depth=4
	v_and_b32_e32 v2, 0x7fffffff, v0
	v_mov_b32_e32 v3, v113
	v_and_b32_e32 v7, 0x80, v1
                                        ; implicit-def: $vgpr55
	s_mov_b32 s13, exec_lo
	s_delay_alu instid0(VALU_DEP_2)
	v_cmpx_gt_u64_e32 0x47600001, v[2:3]
	s_xor_b32 s76, exec_lo, s13
	s_cbranch_execz .LBB6_7389
; %bb.7380:                             ;   in Loop: Header=BB6_5830 Depth=4
	v_mov_b32_e32 v55, 0
	s_mov_b32 s77, exec_lo
	v_cmpx_ne_u32_e32 0, v0
	s_cbranch_execz .LBB6_7388
; %bb.7381:                             ;   in Loop: Header=BB6_5830 Depth=4
	v_bfe_u32 v12, v0, 23, 8
	v_or_b32_e32 v1, 0x800000, v112
	s_delay_alu instid0(VALU_DEP_2) | instskip(SKIP_2) | instid1(VALU_DEP_2)
	v_cmp_gt_u32_e64 s13, 0x72, v12
	v_sub_nc_u32_e32 v0, 0x71, v12
	v_cmp_eq_u32_e32 vcc_lo, 0, v12
	v_cndmask_b32_e64 v0, 0, v0, s13
	s_delay_alu instid0(VALU_DEP_1) | instskip(SKIP_1) | instid1(VALU_DEP_2)
	v_cndmask_b32_e64 v13, v0, 0x70, vcc_lo
	v_cndmask_b32_e32 v0, v1, v112, vcc_lo
	v_dual_mov_b32 v1, v113 :: v_dual_add_nc_u32 v2, 21, v13
	v_add_nc_u32_e32 v14, 20, v13
	s_delay_alu instid0(VALU_DEP_2) | instskip(NEXT) | instid1(VALU_DEP_2)
	v_lshlrev_b64_e64 v[2:3], v2, -1
	v_lshlrev_b64_e64 v[14:15], v14, 1
	s_delay_alu instid0(VALU_DEP_2) | instskip(SKIP_1) | instid1(VALU_DEP_4)
	v_bfi_b32 v2, v2, 0, v0
	v_lshrrev_b64 v[0:1], v13, v[0:1]
	v_bfi_b32 v3, v3, 0, 0
	s_delay_alu instid0(VALU_DEP_1) | instskip(NEXT) | instid1(VALU_DEP_3)
	v_cmp_eq_u64_e64 s13, v[2:3], v[14:15]
	v_mov_b64_e32 v[2:3], v[0:1]
	s_and_saveexec_b32 s78, s13
; %bb.7382:                             ;   in Loop: Header=BB6_5830 Depth=4
	v_bfe_u32 v2, v0, 21, 1
	v_mov_b32_e32 v3, v113
	s_delay_alu instid0(VALU_DEP_1) | instskip(NEXT) | instid1(VALU_DEP_1)
	v_add_nc_u64_e32 v[2:3], v[0:1], v[2:3]
	v_add_nc_u64_e32 v[2:3], -1, v[2:3]
; %bb.7383:                             ;   in Loop: Header=BB6_5830 Depth=4
	s_or_b32 exec_lo, exec_lo, s78
	v_add_nc_u32_e32 v1, 0xffffff81, v12
	v_lshrrev_b32_e32 v3, 23, v0
	s_mov_b32 s13, exec_lo
	s_delay_alu instid0(VALU_DEP_2) | instskip(NEXT) | instid1(VALU_DEP_1)
	v_cndmask_b32_e64 v1, v1, 0xffffff82, vcc_lo
	v_add3_u32 v12, v13, v1, v3
	v_and_b32_e32 v1, 0x1fffff, v2
                                        ; implicit-def: $vgpr2
	s_delay_alu instid0(VALU_DEP_2) | instskip(NEXT) | instid1(VALU_DEP_2)
	v_add_nc_u32_e32 v3, 14, v12
	v_add_nc_u32_e32 v112, v1, v0
                                        ; implicit-def: $vgpr0_vgpr1
	s_delay_alu instid0(VALU_DEP_2)
	v_cmpx_ne_u32_e32 0, v3
	s_xor_b32 s13, exec_lo, s13
; %bb.7384:                             ;   in Loop: Header=BB6_5830 Depth=4
	s_delay_alu instid0(VALU_DEP_2) | instskip(SKIP_1) | instid1(VALU_DEP_1)
	v_cmp_lt_u64_e32 vcc_lo, 0xffffff, v[112:113]
	v_add_nc_u32_e32 v0, 15, v12
	v_cndmask_b32_e32 v2, v3, v0, vcc_lo
	v_cndmask_b32_e64 v0, 0, 1, vcc_lo
	s_delay_alu instid0(VALU_DEP_1)
	v_lshrrev_b64 v[0:1], v0, v[112:113]
; %bb.7385:                             ;   in Loop: Header=BB6_5830 Depth=4
	s_and_not1_saveexec_b32 s13, s13
; %bb.7386:                             ;   in Loop: Header=BB6_5830 Depth=4
	v_mov_b64_e32 v[0:1], v[112:113]
	v_bfe_u32 v2, v112, 23, 1
; %bb.7387:                             ;   in Loop: Header=BB6_5830 Depth=4
	s_or_b32 exec_lo, exec_lo, s13
	s_delay_alu instid0(VALU_DEP_2) | instskip(NEXT) | instid1(VALU_DEP_2)
	v_lshrrev_b64 v[0:1], 21, v[0:1]
	v_cmp_gt_i32_e32 vcc_lo, 32, v2
	v_min_i32_e32 v3, 31, v2
	v_cmp_eq_u32_e64 s13, 0, v2
	s_delay_alu instid0(VALU_DEP_2) | instskip(SKIP_1) | instid1(VALU_DEP_2)
	v_dual_cndmask_b32 v1, 0, v1, vcc_lo :: v_dual_lshlrev_b32 v3, 2, v3
	v_cndmask_b32_e32 v0, 3, v0, vcc_lo
	v_and_b32_e32 v3, 0xfc, v3
	s_delay_alu instid0(VALU_DEP_2) | instskip(NEXT) | instid1(VALU_DEP_2)
	v_cmp_eq_u64_e32 vcc_lo, 0, v[0:1]
	v_and_or_b32 v0, v0, 3, v3
	s_and_b32 s13, s13, vcc_lo
	s_delay_alu instid0(VALU_DEP_1) | instid1(SALU_CYCLE_1)
	v_cndmask_b32_e64 v0, v0, 0, s13
	s_delay_alu instid0(VALU_DEP_1)
	v_or_b32_e32 v55, v0, v7
.LBB6_7388:                             ;   in Loop: Header=BB6_5830 Depth=4
	s_or_b32 exec_lo, exec_lo, s77
                                        ; implicit-def: $vgpr7
.LBB6_7389:                             ;   in Loop: Header=BB6_5830 Depth=4
	s_and_not1_saveexec_b32 s13, s76
; %bb.7390:                             ;   in Loop: Header=BB6_5830 Depth=4
	v_or_b32_e32 v55, 0x7b, v7
; %bb.7391:                             ;   in Loop: Header=BB6_5830 Depth=4
	s_or_b32 exec_lo, exec_lo, s13
                                        ; implicit-def: $vgpr0
                                        ; implicit-def: $vgpr1
.LBB6_7392:                             ;   in Loop: Header=BB6_5830 Depth=4
	s_and_not1_saveexec_b32 s13, s75
	s_cbranch_execz .LBB6_7398
; %bb.7393:                             ;   in Loop: Header=BB6_5830 Depth=4
	s_mov_b32 s75, exec_lo
                                        ; implicit-def: $vgpr55
	v_cmpx_ne_u64_e32 0, v[112:113]
	s_xor_b32 s75, exec_lo, s75
; %bb.7394:                             ;   in Loop: Header=BB6_5830 Depth=4
	v_or_b32_e32 v55, 0x7f, v1
                                        ; implicit-def: $vgpr0
; %bb.7395:                             ;   in Loop: Header=BB6_5830 Depth=4
	s_and_not1_saveexec_b32 s75, s75
; %bb.7396:                             ;   in Loop: Header=BB6_5830 Depth=4
	v_cmp_lt_i32_e32 vcc_lo, -1, v0
	v_mov_b32_e32 v0, 0x7c
	s_delay_alu instid0(VALU_DEP_1)
	v_cndmask_b32_e32 v55, 0xfc, v0, vcc_lo
; %bb.7397:                             ;   in Loop: Header=BB6_5830 Depth=4
	s_or_b32 exec_lo, exec_lo, s75
.LBB6_7398:                             ;   in Loop: Header=BB6_5830 Depth=4
	s_delay_alu instid0(SALU_CYCLE_1) | instskip(SKIP_3) | instid1(VALU_DEP_2)
	s_or_b32 exec_lo, exec_lo, s13
	v_and_b32_e32 v1, 0xff, v9
	v_dual_mov_b32 v112, v9 :: v_dual_mov_b32 v0, 0
	s_mov_b32 s75, exec_lo
	v_cmpx_ne_u16_e32 0, v1
	s_cbranch_execz .LBB6_7408
; %bb.7399:                             ;   in Loop: Header=BB6_5830 Depth=4
	v_bfrev_b32_e32 v0, 1
	s_mov_b32 s76, exec_lo
	v_cmpx_ne_u16_e32 0x80, v1
	s_cbranch_execz .LBB6_7407
; %bb.7400:                             ;   in Loop: Header=BB6_5830 Depth=4
	v_and_b32_e32 v0, 0x7c, v9
	v_and_b32_e32 v1, 3, v9
	s_delay_alu instid0(VALU_DEP_2) | instskip(SKIP_1) | instid1(SALU_CYCLE_1)
	v_cmp_ne_u32_e32 vcc_lo, 0x7c, v0
                                        ; implicit-def: $vgpr0
	s_and_saveexec_b32 s13, vcc_lo
	s_xor_b32 s13, exec_lo, s13
	s_cbranch_execz .LBB6_7404
; %bb.7401:                             ;   in Loop: Header=BB6_5830 Depth=4
	v_bfe_u32 v0, v9, 2, 5
	s_mov_b32 s77, exec_lo
	s_delay_alu instid0(VALU_DEP_1)
	v_cmpx_eq_u32_e32 0, v0
; %bb.7402:                             ;   in Loop: Header=BB6_5830 Depth=4
	v_clz_i32_u32_e32 v0, v1
	s_delay_alu instid0(VALU_DEP_1) | instskip(NEXT) | instid1(VALU_DEP_1)
	v_min_u32_e32 v0, 32, v0
	v_subrev_nc_u32_e32 v1, 29, v0
	s_delay_alu instid0(VALU_DEP_1) | instskip(NEXT) | instid1(VALU_DEP_1)
	v_lshlrev_b64_e32 v[2:3], v1, v[112:113]
	v_dual_sub_nc_u32 v0, 30, v0 :: v_dual_bitop2_b32 v1, 3, v2 bitop3:0x40
; %bb.7403:                             ;   in Loop: Header=BB6_5830 Depth=4
	s_or_b32 exec_lo, exec_lo, s77
	v_lshlrev_b32_e32 v2, 24, v9
	s_delay_alu instid0(VALU_DEP_1) | instskip(NEXT) | instid1(VALU_DEP_1)
	v_and_b32_e32 v2, 0x80000000, v2
	v_lshl_add_u32 v0, v0, 23, v2
	s_delay_alu instid0(VALU_DEP_1) | instskip(NEXT) | instid1(VALU_DEP_1)
	v_lshl_or_b32 v0, v1, 21, v0
                                        ; implicit-def: $vgpr1
	v_add_nc_u32_e32 v0, 0x38000000, v0
.LBB6_7404:                             ;   in Loop: Header=BB6_5830 Depth=4
	s_and_not1_saveexec_b32 s77, s13
; %bb.7405:                             ;   in Loop: Header=BB6_5830 Depth=4
	v_bfe_i32 v0, v9, 0, 8
	v_cmp_eq_u32_e32 vcc_lo, 0, v1
	s_delay_alu instid0(VALU_DEP_2) | instskip(SKIP_1) | instid1(VALU_DEP_1)
	v_cmp_lt_i16_e64 s13, -1, v0
	v_mov_b32_e32 v0, 0x7f800000
	v_cndmask_b32_e64 v0, 0xff800000, v0, s13
	s_delay_alu instid0(VALU_DEP_1)
	v_cndmask_b32_e32 v0, 0x7f800001, v0, vcc_lo
; %bb.7406:                             ;   in Loop: Header=BB6_5830 Depth=4
	s_or_b32 exec_lo, exec_lo, s77
.LBB6_7407:                             ;   in Loop: Header=BB6_5830 Depth=4
	s_delay_alu instid0(SALU_CYCLE_1)
	s_or_b32 exec_lo, exec_lo, s76
.LBB6_7408:                             ;   in Loop: Header=BB6_5830 Depth=4
	s_delay_alu instid0(SALU_CYCLE_1) | instskip(NEXT) | instid1(VALU_DEP_1)
	s_or_b32 exec_lo, exec_lo, s75
	v_dual_mul_f32 v2, s74, v0 :: v_dual_mov_b32 v13, v113
	v_mov_b32_e32 v1, v113
                                        ; implicit-def: $vgpr28
	s_mov_b32 s13, exec_lo
	s_delay_alu instid0(VALU_DEP_2) | instskip(SKIP_2) | instid1(VALU_DEP_3)
	v_and_b32_e32 v12, 0x7f800000, v2
	v_and_b32_e32 v0, 0x7fffff, v2
	v_lshrrev_b32_e32 v3, 24, v2
	v_cmpx_ne_u64_e32 0x7f800000, v[12:13]
	s_xor_b32 s75, exec_lo, s13
	s_cbranch_execz .LBB6_7422
; %bb.7409:                             ;   in Loop: Header=BB6_5830 Depth=4
	v_and_b32_e32 v12, 0x7fffffff, v2
	v_mov_b32_e32 v13, v113
	v_and_b32_e32 v7, 0x80, v3
                                        ; implicit-def: $vgpr28
	s_mov_b32 s13, exec_lo
	s_delay_alu instid0(VALU_DEP_2)
	v_cmpx_gt_u64_e32 0x47600001, v[12:13]
	s_xor_b32 s76, exec_lo, s13
	s_cbranch_execz .LBB6_7419
; %bb.7410:                             ;   in Loop: Header=BB6_5830 Depth=4
	v_mov_b32_e32 v28, 0
	s_mov_b32 s77, exec_lo
	v_cmpx_ne_u32_e32 0, v2
	s_cbranch_execz .LBB6_7418
; %bb.7411:                             ;   in Loop: Header=BB6_5830 Depth=4
	v_bfe_u32 v12, v2, 23, 8
	v_or_b32_e32 v3, 0x800000, v0
	s_delay_alu instid0(VALU_DEP_2) | instskip(SKIP_2) | instid1(VALU_DEP_2)
	v_cmp_gt_u32_e64 s13, 0x72, v12
	v_sub_nc_u32_e32 v2, 0x71, v12
	v_cmp_eq_u32_e32 vcc_lo, 0, v12
	v_dual_cndmask_b32 v2, 0, v2, s13 :: v_dual_cndmask_b32 v0, v3, v0, vcc_lo
	s_delay_alu instid0(VALU_DEP_1) | instskip(NEXT) | instid1(VALU_DEP_1)
	v_cndmask_b32_e64 v13, v2, 0x70, vcc_lo
	v_dual_add_nc_u32 v2, 21, v13 :: v_dual_add_nc_u32 v14, 20, v13
	s_delay_alu instid0(VALU_DEP_1) | instskip(NEXT) | instid1(VALU_DEP_2)
	v_lshlrev_b64_e64 v[2:3], v2, -1
	v_lshlrev_b64_e64 v[14:15], v14, 1
	s_delay_alu instid0(VALU_DEP_2) | instskip(SKIP_1) | instid1(VALU_DEP_4)
	v_bfi_b32 v2, v2, 0, v0
	v_lshrrev_b64 v[0:1], v13, v[0:1]
	v_bfi_b32 v3, v3, 0, 0
	s_delay_alu instid0(VALU_DEP_1) | instskip(NEXT) | instid1(VALU_DEP_3)
	v_cmp_eq_u64_e64 s13, v[2:3], v[14:15]
	v_mov_b64_e32 v[2:3], v[0:1]
	s_and_saveexec_b32 s78, s13
; %bb.7412:                             ;   in Loop: Header=BB6_5830 Depth=4
	v_bfe_u32 v2, v0, 21, 1
	v_mov_b32_e32 v3, v113
	s_delay_alu instid0(VALU_DEP_1) | instskip(NEXT) | instid1(VALU_DEP_1)
	v_add_nc_u64_e32 v[2:3], v[0:1], v[2:3]
	v_add_nc_u64_e32 v[2:3], -1, v[2:3]
; %bb.7413:                             ;   in Loop: Header=BB6_5830 Depth=4
	s_or_b32 exec_lo, exec_lo, s78
	v_add_nc_u32_e32 v1, 0xffffff81, v12
	v_lshrrev_b32_e32 v3, 23, v0
	s_mov_b32 s13, exec_lo
	s_delay_alu instid0(VALU_DEP_2) | instskip(NEXT) | instid1(VALU_DEP_1)
	v_cndmask_b32_e64 v1, v1, 0xffffff82, vcc_lo
	v_add3_u32 v12, v13, v1, v3
	v_and_b32_e32 v1, 0x1fffff, v2
                                        ; implicit-def: $vgpr2
	s_delay_alu instid0(VALU_DEP_2) | instskip(NEXT) | instid1(VALU_DEP_2)
	v_add_nc_u32_e32 v3, 14, v12
	v_add_nc_u32_e32 v0, v1, v0
	v_mov_b32_e32 v1, v113
	s_delay_alu instid0(VALU_DEP_3)
	v_cmpx_ne_u32_e32 0, v3
	s_xor_b32 s13, exec_lo, s13
; %bb.7414:                             ;   in Loop: Header=BB6_5830 Depth=4
	s_delay_alu instid0(VALU_DEP_2) | instskip(SKIP_1) | instid1(VALU_DEP_1)
	v_cmp_lt_u64_e32 vcc_lo, 0xffffff, v[0:1]
	v_add_nc_u32_e32 v2, 15, v12
	v_cndmask_b32_e32 v2, v3, v2, vcc_lo
	v_cndmask_b32_e64 v3, 0, 1, vcc_lo
	s_delay_alu instid0(VALU_DEP_1)
	v_lshrrev_b64 v[0:1], v3, v[0:1]
; %bb.7415:                             ;   in Loop: Header=BB6_5830 Depth=4
	s_and_not1_saveexec_b32 s13, s13
; %bb.7416:                             ;   in Loop: Header=BB6_5830 Depth=4
	s_delay_alu instid0(VALU_DEP_1)
	v_bfe_u32 v2, v0, 23, 1
; %bb.7417:                             ;   in Loop: Header=BB6_5830 Depth=4
	s_or_b32 exec_lo, exec_lo, s13
	s_delay_alu instid0(VALU_DEP_2) | instskip(NEXT) | instid1(VALU_DEP_2)
	v_lshrrev_b64 v[0:1], 21, v[0:1]
	v_cmp_gt_i32_e32 vcc_lo, 32, v2
	v_min_i32_e32 v3, 31, v2
	v_cmp_eq_u32_e64 s13, 0, v2
	s_delay_alu instid0(VALU_DEP_2) | instskip(SKIP_1) | instid1(VALU_DEP_2)
	v_dual_cndmask_b32 v1, 0, v1, vcc_lo :: v_dual_lshlrev_b32 v3, 2, v3
	v_cndmask_b32_e32 v0, 3, v0, vcc_lo
	v_and_b32_e32 v3, 0xfc, v3
	s_delay_alu instid0(VALU_DEP_2) | instskip(NEXT) | instid1(VALU_DEP_2)
	v_cmp_eq_u64_e32 vcc_lo, 0, v[0:1]
	v_and_or_b32 v0, v0, 3, v3
	s_and_b32 s13, s13, vcc_lo
	s_delay_alu instid0(VALU_DEP_1) | instid1(SALU_CYCLE_1)
	v_cndmask_b32_e64 v0, v0, 0, s13
	s_delay_alu instid0(VALU_DEP_1)
	v_or_b32_e32 v28, v0, v7
.LBB6_7418:                             ;   in Loop: Header=BB6_5830 Depth=4
	s_or_b32 exec_lo, exec_lo, s77
                                        ; implicit-def: $vgpr7
.LBB6_7419:                             ;   in Loop: Header=BB6_5830 Depth=4
	s_and_not1_saveexec_b32 s13, s76
; %bb.7420:                             ;   in Loop: Header=BB6_5830 Depth=4
	v_or_b32_e32 v28, 0x7b, v7
; %bb.7421:                             ;   in Loop: Header=BB6_5830 Depth=4
	s_or_b32 exec_lo, exec_lo, s13
                                        ; implicit-def: $vgpr2
                                        ; implicit-def: $vgpr0_vgpr1
                                        ; implicit-def: $vgpr3
.LBB6_7422:                             ;   in Loop: Header=BB6_5830 Depth=4
	s_and_not1_saveexec_b32 s13, s75
	s_cbranch_execz .LBB6_7428
; %bb.7423:                             ;   in Loop: Header=BB6_5830 Depth=4
	s_mov_b32 s75, exec_lo
                                        ; implicit-def: $vgpr28
	v_cmpx_ne_u64_e32 0, v[0:1]
	s_xor_b32 s75, exec_lo, s75
; %bb.7424:                             ;   in Loop: Header=BB6_5830 Depth=4
	v_or_b32_e32 v28, 0x7f, v3
                                        ; implicit-def: $vgpr2
; %bb.7425:                             ;   in Loop: Header=BB6_5830 Depth=4
	s_and_not1_saveexec_b32 s75, s75
; %bb.7426:                             ;   in Loop: Header=BB6_5830 Depth=4
	v_cmp_lt_i32_e32 vcc_lo, -1, v2
	v_mov_b32_e32 v0, 0x7c
	s_delay_alu instid0(VALU_DEP_1)
	v_cndmask_b32_e32 v28, 0xfc, v0, vcc_lo
; %bb.7427:                             ;   in Loop: Header=BB6_5830 Depth=4
	s_or_b32 exec_lo, exec_lo, s75
.LBB6_7428:                             ;   in Loop: Header=BB6_5830 Depth=4
	s_delay_alu instid0(SALU_CYCLE_1) | instskip(SKIP_3) | instid1(VALU_DEP_2)
	s_or_b32 exec_lo, exec_lo, s13
	v_lshrrev_b16 v0, 8, v112
	v_mov_b32_e32 v1, 0
	s_mov_b32 s75, exec_lo
	v_cmpx_ne_u16_e32 0, v0
	s_cbranch_execz .LBB6_7438
; %bb.7429:                             ;   in Loop: Header=BB6_5830 Depth=4
	v_bfrev_b32_e32 v1, 1
	s_mov_b32 s76, exec_lo
	v_cmpx_ne_u16_e32 0x80, v0
	s_cbranch_execz .LBB6_7437
; %bb.7430:                             ;   in Loop: Header=BB6_5830 Depth=4
	v_and_b32_e32 v3, 0xffff, v0
	s_delay_alu instid0(VALU_DEP_1) | instskip(SKIP_1) | instid1(VALU_DEP_2)
	v_and_b32_e32 v1, 0x7c, v3
	v_and_b32_e32 v2, 3, v3
	v_cmp_ne_u32_e32 vcc_lo, 0x7c, v1
                                        ; implicit-def: $vgpr1
	s_and_saveexec_b32 s13, vcc_lo
	s_delay_alu instid0(SALU_CYCLE_1)
	s_xor_b32 s13, exec_lo, s13
	s_cbranch_execz .LBB6_7434
; %bb.7431:                             ;   in Loop: Header=BB6_5830 Depth=4
	v_bfe_u32 v1, v3, 2, 5
	s_mov_b32 s77, exec_lo
	s_delay_alu instid0(VALU_DEP_1)
	v_cmpx_eq_u32_e32 0, v1
; %bb.7432:                             ;   in Loop: Header=BB6_5830 Depth=4
	v_clz_i32_u32_e32 v1, v2
	s_delay_alu instid0(VALU_DEP_1) | instskip(SKIP_1) | instid1(VALU_DEP_2)
	v_min_u32_e32 v2, 32, v1
	v_mov_b32_e32 v1, v113
	v_subrev_nc_u32_e32 v3, 29, v2
	s_delay_alu instid0(VALU_DEP_1) | instskip(NEXT) | instid1(VALU_DEP_1)
	v_lshlrev_b64_e32 v[0:1], v3, v[0:1]
	v_dual_sub_nc_u32 v1, 30, v2 :: v_dual_bitop2_b32 v2, 3, v0 bitop3:0x40
; %bb.7433:                             ;   in Loop: Header=BB6_5830 Depth=4
	s_or_b32 exec_lo, exec_lo, s77
	v_lshlrev_b32_e32 v0, 16, v112
	s_delay_alu instid0(VALU_DEP_1) | instskip(NEXT) | instid1(VALU_DEP_1)
	v_and_b32_e32 v0, 0x80000000, v0
	v_lshl_add_u32 v0, v1, 23, v0
	s_delay_alu instid0(VALU_DEP_1) | instskip(NEXT) | instid1(VALU_DEP_1)
	v_lshl_or_b32 v0, v2, 21, v0
                                        ; implicit-def: $vgpr2
	v_add_nc_u32_e32 v1, 0x38000000, v0
.LBB6_7434:                             ;   in Loop: Header=BB6_5830 Depth=4
	s_and_not1_saveexec_b32 s77, s13
; %bb.7435:                             ;   in Loop: Header=BB6_5830 Depth=4
	v_cmp_lt_i16_e64 s13, -1, v112
	v_mov_b32_e32 v0, 0x7f800000
	v_cmp_eq_u32_e32 vcc_lo, 0, v2
	s_delay_alu instid0(VALU_DEP_2) | instskip(NEXT) | instid1(VALU_DEP_1)
	v_cndmask_b32_e64 v0, 0xff800000, v0, s13
	v_cndmask_b32_e32 v1, 0x7f800001, v0, vcc_lo
; %bb.7436:                             ;   in Loop: Header=BB6_5830 Depth=4
	s_or_b32 exec_lo, exec_lo, s77
.LBB6_7437:                             ;   in Loop: Header=BB6_5830 Depth=4
	s_delay_alu instid0(SALU_CYCLE_1)
	s_or_b32 exec_lo, exec_lo, s76
.LBB6_7438:                             ;   in Loop: Header=BB6_5830 Depth=4
	s_delay_alu instid0(SALU_CYCLE_1) | instskip(NEXT) | instid1(VALU_DEP_1)
	s_or_b32 exec_lo, exec_lo, s75
	v_dual_mul_f32 v0, s74, v1 :: v_dual_mov_b32 v3, v113
                                        ; implicit-def: $vgpr35
	s_mov_b32 s13, exec_lo
	s_delay_alu instid0(VALU_DEP_1) | instskip(SKIP_2) | instid1(VALU_DEP_3)
	v_and_b32_e32 v2, 0x7f800000, v0
	v_and_b32_e32 v112, 0x7fffff, v0
	v_lshrrev_b32_e32 v1, 24, v0
	v_cmpx_ne_u64_e32 0x7f800000, v[2:3]
	s_xor_b32 s75, exec_lo, s13
	s_cbranch_execz .LBB6_7452
; %bb.7439:                             ;   in Loop: Header=BB6_5830 Depth=4
	v_and_b32_e32 v2, 0x7fffffff, v0
	v_mov_b32_e32 v3, v113
	v_and_b32_e32 v7, 0x80, v1
                                        ; implicit-def: $vgpr35
	s_mov_b32 s13, exec_lo
	s_delay_alu instid0(VALU_DEP_2)
	v_cmpx_gt_u64_e32 0x47600001, v[2:3]
	s_xor_b32 s76, exec_lo, s13
	s_cbranch_execz .LBB6_7449
; %bb.7440:                             ;   in Loop: Header=BB6_5830 Depth=4
	v_mov_b32_e32 v35, 0
	s_mov_b32 s77, exec_lo
	v_cmpx_ne_u32_e32 0, v0
	s_cbranch_execz .LBB6_7448
; %bb.7441:                             ;   in Loop: Header=BB6_5830 Depth=4
	v_bfe_u32 v12, v0, 23, 8
	v_or_b32_e32 v1, 0x800000, v112
	s_delay_alu instid0(VALU_DEP_2) | instskip(SKIP_2) | instid1(VALU_DEP_2)
	v_cmp_gt_u32_e64 s13, 0x72, v12
	v_sub_nc_u32_e32 v0, 0x71, v12
	v_cmp_eq_u32_e32 vcc_lo, 0, v12
	v_cndmask_b32_e64 v0, 0, v0, s13
	s_delay_alu instid0(VALU_DEP_1) | instskip(SKIP_1) | instid1(VALU_DEP_2)
	v_cndmask_b32_e64 v13, v0, 0x70, vcc_lo
	v_cndmask_b32_e32 v0, v1, v112, vcc_lo
	v_dual_mov_b32 v1, v113 :: v_dual_add_nc_u32 v2, 21, v13
	v_add_nc_u32_e32 v14, 20, v13
	s_delay_alu instid0(VALU_DEP_2) | instskip(NEXT) | instid1(VALU_DEP_2)
	v_lshlrev_b64_e64 v[2:3], v2, -1
	v_lshlrev_b64_e64 v[14:15], v14, 1
	s_delay_alu instid0(VALU_DEP_2) | instskip(SKIP_1) | instid1(VALU_DEP_4)
	v_bfi_b32 v2, v2, 0, v0
	v_lshrrev_b64 v[0:1], v13, v[0:1]
	v_bfi_b32 v3, v3, 0, 0
	s_delay_alu instid0(VALU_DEP_1) | instskip(NEXT) | instid1(VALU_DEP_3)
	v_cmp_eq_u64_e64 s13, v[2:3], v[14:15]
	v_mov_b64_e32 v[2:3], v[0:1]
	s_and_saveexec_b32 s78, s13
; %bb.7442:                             ;   in Loop: Header=BB6_5830 Depth=4
	v_bfe_u32 v2, v0, 21, 1
	v_mov_b32_e32 v3, v113
	s_delay_alu instid0(VALU_DEP_1) | instskip(NEXT) | instid1(VALU_DEP_1)
	v_add_nc_u64_e32 v[2:3], v[0:1], v[2:3]
	v_add_nc_u64_e32 v[2:3], -1, v[2:3]
; %bb.7443:                             ;   in Loop: Header=BB6_5830 Depth=4
	s_or_b32 exec_lo, exec_lo, s78
	v_add_nc_u32_e32 v1, 0xffffff81, v12
	v_lshrrev_b32_e32 v3, 23, v0
	s_mov_b32 s13, exec_lo
	s_delay_alu instid0(VALU_DEP_2) | instskip(NEXT) | instid1(VALU_DEP_1)
	v_cndmask_b32_e64 v1, v1, 0xffffff82, vcc_lo
	v_add3_u32 v12, v13, v1, v3
	v_and_b32_e32 v1, 0x1fffff, v2
                                        ; implicit-def: $vgpr2
	s_delay_alu instid0(VALU_DEP_2) | instskip(NEXT) | instid1(VALU_DEP_2)
	v_add_nc_u32_e32 v3, 14, v12
	v_add_nc_u32_e32 v112, v1, v0
                                        ; implicit-def: $vgpr0_vgpr1
	s_delay_alu instid0(VALU_DEP_2)
	v_cmpx_ne_u32_e32 0, v3
	s_xor_b32 s13, exec_lo, s13
; %bb.7444:                             ;   in Loop: Header=BB6_5830 Depth=4
	s_delay_alu instid0(VALU_DEP_2) | instskip(SKIP_1) | instid1(VALU_DEP_1)
	v_cmp_lt_u64_e32 vcc_lo, 0xffffff, v[112:113]
	v_add_nc_u32_e32 v0, 15, v12
	v_cndmask_b32_e32 v2, v3, v0, vcc_lo
	v_cndmask_b32_e64 v0, 0, 1, vcc_lo
	s_delay_alu instid0(VALU_DEP_1)
	v_lshrrev_b64 v[0:1], v0, v[112:113]
; %bb.7445:                             ;   in Loop: Header=BB6_5830 Depth=4
	s_and_not1_saveexec_b32 s13, s13
; %bb.7446:                             ;   in Loop: Header=BB6_5830 Depth=4
	v_mov_b64_e32 v[0:1], v[112:113]
	v_bfe_u32 v2, v112, 23, 1
; %bb.7447:                             ;   in Loop: Header=BB6_5830 Depth=4
	s_or_b32 exec_lo, exec_lo, s13
	s_delay_alu instid0(VALU_DEP_2) | instskip(NEXT) | instid1(VALU_DEP_2)
	v_lshrrev_b64 v[0:1], 21, v[0:1]
	v_cmp_gt_i32_e32 vcc_lo, 32, v2
	v_min_i32_e32 v3, 31, v2
	v_cmp_eq_u32_e64 s13, 0, v2
	s_delay_alu instid0(VALU_DEP_2) | instskip(SKIP_1) | instid1(VALU_DEP_2)
	v_dual_cndmask_b32 v1, 0, v1, vcc_lo :: v_dual_lshlrev_b32 v3, 2, v3
	v_cndmask_b32_e32 v0, 3, v0, vcc_lo
	v_and_b32_e32 v3, 0xfc, v3
	s_delay_alu instid0(VALU_DEP_2) | instskip(NEXT) | instid1(VALU_DEP_2)
	v_cmp_eq_u64_e32 vcc_lo, 0, v[0:1]
	v_and_or_b32 v0, v0, 3, v3
	s_and_b32 s13, s13, vcc_lo
	s_delay_alu instid0(VALU_DEP_1) | instid1(SALU_CYCLE_1)
	v_cndmask_b32_e64 v0, v0, 0, s13
	s_delay_alu instid0(VALU_DEP_1)
	v_or_b32_e32 v35, v0, v7
.LBB6_7448:                             ;   in Loop: Header=BB6_5830 Depth=4
	s_or_b32 exec_lo, exec_lo, s77
                                        ; implicit-def: $vgpr7
.LBB6_7449:                             ;   in Loop: Header=BB6_5830 Depth=4
	s_and_not1_saveexec_b32 s13, s76
; %bb.7450:                             ;   in Loop: Header=BB6_5830 Depth=4
	v_or_b32_e32 v35, 0x7b, v7
; %bb.7451:                             ;   in Loop: Header=BB6_5830 Depth=4
	s_or_b32 exec_lo, exec_lo, s13
                                        ; implicit-def: $vgpr0
                                        ; implicit-def: $vgpr1
.LBB6_7452:                             ;   in Loop: Header=BB6_5830 Depth=4
	s_and_not1_saveexec_b32 s13, s75
	s_cbranch_execz .LBB6_7458
; %bb.7453:                             ;   in Loop: Header=BB6_5830 Depth=4
	s_mov_b32 s75, exec_lo
                                        ; implicit-def: $vgpr35
	v_cmpx_ne_u64_e32 0, v[112:113]
	s_xor_b32 s75, exec_lo, s75
; %bb.7454:                             ;   in Loop: Header=BB6_5830 Depth=4
	v_or_b32_e32 v35, 0x7f, v1
                                        ; implicit-def: $vgpr0
; %bb.7455:                             ;   in Loop: Header=BB6_5830 Depth=4
	s_and_not1_saveexec_b32 s75, s75
; %bb.7456:                             ;   in Loop: Header=BB6_5830 Depth=4
	v_cmp_lt_i32_e32 vcc_lo, -1, v0
	v_mov_b32_e32 v0, 0x7c
	s_delay_alu instid0(VALU_DEP_1)
	v_cndmask_b32_e32 v35, 0xfc, v0, vcc_lo
; %bb.7457:                             ;   in Loop: Header=BB6_5830 Depth=4
	s_or_b32 exec_lo, exec_lo, s75
.LBB6_7458:                             ;   in Loop: Header=BB6_5830 Depth=4
	s_delay_alu instid0(SALU_CYCLE_1) | instskip(SKIP_2) | instid1(VALU_DEP_1)
	s_or_b32 exec_lo, exec_lo, s13
	v_dual_mov_b32 v1, 0 :: v_dual_lshrrev_b32 v0, 16, v9
	s_mov_b32 s75, exec_lo
	v_and_b32_e32 v2, 0xff, v0
	s_delay_alu instid0(VALU_DEP_1)
	v_cmpx_ne_u16_e32 0, v2
	s_cbranch_execz .LBB6_7468
; %bb.7459:                             ;   in Loop: Header=BB6_5830 Depth=4
	v_bfrev_b32_e32 v1, 1
	s_mov_b32 s76, exec_lo
	v_cmpx_ne_u16_e32 0x80, v2
	s_cbranch_execz .LBB6_7467
; %bb.7460:                             ;   in Loop: Header=BB6_5830 Depth=4
	v_and_b32_e32 v1, 0x7c0000, v9
	v_bfe_u32 v2, v9, 16, 2
	s_delay_alu instid0(VALU_DEP_2) | instskip(SKIP_1) | instid1(SALU_CYCLE_1)
	v_cmp_ne_u32_e32 vcc_lo, 0x7c0000, v1
                                        ; implicit-def: $vgpr1
	s_and_saveexec_b32 s13, vcc_lo
	s_xor_b32 s13, exec_lo, s13
	s_cbranch_execz .LBB6_7464
; %bb.7461:                             ;   in Loop: Header=BB6_5830 Depth=4
	v_bfe_u32 v1, v9, 18, 5
	s_mov_b32 s77, exec_lo
	s_delay_alu instid0(VALU_DEP_1)
	v_cmpx_eq_u32_e32 0, v1
; %bb.7462:                             ;   in Loop: Header=BB6_5830 Depth=4
	v_clz_i32_u32_e32 v1, v2
	s_delay_alu instid0(VALU_DEP_1) | instskip(NEXT) | instid1(VALU_DEP_1)
	v_min_u32_e32 v1, 32, v1
	v_subrev_nc_u32_e32 v2, 29, v1
	s_delay_alu instid0(VALU_DEP_1) | instskip(NEXT) | instid1(VALU_DEP_1)
	v_lshlrev_b64_e32 v[2:3], v2, v[0:1]
	v_dual_sub_nc_u32 v1, 30, v1 :: v_dual_bitop2_b32 v2, 3, v2 bitop3:0x40
; %bb.7463:                             ;   in Loop: Header=BB6_5830 Depth=4
	s_or_b32 exec_lo, exec_lo, s77
	v_lshlrev_b32_e32 v0, 24, v0
	s_delay_alu instid0(VALU_DEP_1) | instskip(NEXT) | instid1(VALU_DEP_1)
	v_and_b32_e32 v0, 0x80000000, v0
	v_lshl_add_u32 v0, v1, 23, v0
	s_delay_alu instid0(VALU_DEP_1) | instskip(NEXT) | instid1(VALU_DEP_1)
	v_lshl_or_b32 v0, v2, 21, v0
                                        ; implicit-def: $vgpr2
	v_add_nc_u32_e32 v1, 0x38000000, v0
                                        ; implicit-def: $vgpr0
.LBB6_7464:                             ;   in Loop: Header=BB6_5830 Depth=4
	s_and_not1_saveexec_b32 s77, s13
; %bb.7465:                             ;   in Loop: Header=BB6_5830 Depth=4
	v_bfe_i32 v0, v0, 0, 8
	v_cmp_eq_u32_e32 vcc_lo, 0, v2
	s_delay_alu instid0(VALU_DEP_2) | instskip(SKIP_1) | instid1(VALU_DEP_1)
	v_cmp_lt_i16_e64 s13, -1, v0
	v_mov_b32_e32 v0, 0x7f800000
	v_cndmask_b32_e64 v0, 0xff800000, v0, s13
	s_delay_alu instid0(VALU_DEP_1)
	v_cndmask_b32_e32 v1, 0x7f800001, v0, vcc_lo
; %bb.7466:                             ;   in Loop: Header=BB6_5830 Depth=4
	s_or_b32 exec_lo, exec_lo, s77
.LBB6_7467:                             ;   in Loop: Header=BB6_5830 Depth=4
	s_delay_alu instid0(SALU_CYCLE_1)
	s_or_b32 exec_lo, exec_lo, s76
.LBB6_7468:                             ;   in Loop: Header=BB6_5830 Depth=4
	s_delay_alu instid0(SALU_CYCLE_1) | instskip(NEXT) | instid1(VALU_DEP_1)
	s_or_b32 exec_lo, exec_lo, s75
	v_dual_mul_f32 v0, s74, v1 :: v_dual_mov_b32 v3, v113
                                        ; implicit-def: $vgpr38
	s_mov_b32 s13, exec_lo
	s_delay_alu instid0(VALU_DEP_1) | instskip(SKIP_2) | instid1(VALU_DEP_3)
	v_and_b32_e32 v2, 0x7f800000, v0
	v_and_b32_e32 v112, 0x7fffff, v0
	v_lshrrev_b32_e32 v1, 24, v0
	v_cmpx_ne_u64_e32 0x7f800000, v[2:3]
	s_xor_b32 s75, exec_lo, s13
	s_cbranch_execz .LBB6_7482
; %bb.7469:                             ;   in Loop: Header=BB6_5830 Depth=4
	v_and_b32_e32 v2, 0x7fffffff, v0
	v_mov_b32_e32 v3, v113
	v_and_b32_e32 v7, 0x80, v1
                                        ; implicit-def: $vgpr38
	s_mov_b32 s13, exec_lo
	s_delay_alu instid0(VALU_DEP_2)
	v_cmpx_gt_u64_e32 0x47600001, v[2:3]
	s_xor_b32 s76, exec_lo, s13
	s_cbranch_execz .LBB6_7479
; %bb.7470:                             ;   in Loop: Header=BB6_5830 Depth=4
	v_mov_b32_e32 v38, 0
	s_mov_b32 s77, exec_lo
	v_cmpx_ne_u32_e32 0, v0
	s_cbranch_execz .LBB6_7478
; %bb.7471:                             ;   in Loop: Header=BB6_5830 Depth=4
	v_bfe_u32 v12, v0, 23, 8
	v_or_b32_e32 v1, 0x800000, v112
	s_delay_alu instid0(VALU_DEP_2) | instskip(SKIP_2) | instid1(VALU_DEP_2)
	v_cmp_gt_u32_e64 s13, 0x72, v12
	v_sub_nc_u32_e32 v0, 0x71, v12
	v_cmp_eq_u32_e32 vcc_lo, 0, v12
	v_cndmask_b32_e64 v0, 0, v0, s13
	s_delay_alu instid0(VALU_DEP_1) | instskip(SKIP_1) | instid1(VALU_DEP_2)
	v_cndmask_b32_e64 v13, v0, 0x70, vcc_lo
	v_cndmask_b32_e32 v0, v1, v112, vcc_lo
	v_dual_mov_b32 v1, v113 :: v_dual_add_nc_u32 v2, 21, v13
	v_add_nc_u32_e32 v14, 20, v13
	s_delay_alu instid0(VALU_DEP_2) | instskip(NEXT) | instid1(VALU_DEP_2)
	v_lshlrev_b64_e64 v[2:3], v2, -1
	v_lshlrev_b64_e64 v[14:15], v14, 1
	s_delay_alu instid0(VALU_DEP_2) | instskip(SKIP_1) | instid1(VALU_DEP_4)
	v_bfi_b32 v2, v2, 0, v0
	v_lshrrev_b64 v[0:1], v13, v[0:1]
	v_bfi_b32 v3, v3, 0, 0
	s_delay_alu instid0(VALU_DEP_1) | instskip(NEXT) | instid1(VALU_DEP_3)
	v_cmp_eq_u64_e64 s13, v[2:3], v[14:15]
	v_mov_b64_e32 v[2:3], v[0:1]
	s_and_saveexec_b32 s78, s13
; %bb.7472:                             ;   in Loop: Header=BB6_5830 Depth=4
	v_bfe_u32 v2, v0, 21, 1
	v_mov_b32_e32 v3, v113
	s_delay_alu instid0(VALU_DEP_1) | instskip(NEXT) | instid1(VALU_DEP_1)
	v_add_nc_u64_e32 v[2:3], v[0:1], v[2:3]
	v_add_nc_u64_e32 v[2:3], -1, v[2:3]
; %bb.7473:                             ;   in Loop: Header=BB6_5830 Depth=4
	s_or_b32 exec_lo, exec_lo, s78
	v_add_nc_u32_e32 v1, 0xffffff81, v12
	v_lshrrev_b32_e32 v3, 23, v0
	s_mov_b32 s13, exec_lo
	s_delay_alu instid0(VALU_DEP_2) | instskip(NEXT) | instid1(VALU_DEP_1)
	v_cndmask_b32_e64 v1, v1, 0xffffff82, vcc_lo
	v_add3_u32 v12, v13, v1, v3
	v_and_b32_e32 v1, 0x1fffff, v2
                                        ; implicit-def: $vgpr2
	s_delay_alu instid0(VALU_DEP_2) | instskip(NEXT) | instid1(VALU_DEP_2)
	v_add_nc_u32_e32 v3, 14, v12
	v_add_nc_u32_e32 v112, v1, v0
                                        ; implicit-def: $vgpr0_vgpr1
	s_delay_alu instid0(VALU_DEP_2)
	v_cmpx_ne_u32_e32 0, v3
	s_xor_b32 s13, exec_lo, s13
; %bb.7474:                             ;   in Loop: Header=BB6_5830 Depth=4
	s_delay_alu instid0(VALU_DEP_2) | instskip(SKIP_1) | instid1(VALU_DEP_1)
	v_cmp_lt_u64_e32 vcc_lo, 0xffffff, v[112:113]
	v_add_nc_u32_e32 v0, 15, v12
	v_cndmask_b32_e32 v2, v3, v0, vcc_lo
	v_cndmask_b32_e64 v0, 0, 1, vcc_lo
	s_delay_alu instid0(VALU_DEP_1)
	v_lshrrev_b64 v[0:1], v0, v[112:113]
; %bb.7475:                             ;   in Loop: Header=BB6_5830 Depth=4
	s_and_not1_saveexec_b32 s13, s13
; %bb.7476:                             ;   in Loop: Header=BB6_5830 Depth=4
	v_mov_b64_e32 v[0:1], v[112:113]
	v_bfe_u32 v2, v112, 23, 1
; %bb.7477:                             ;   in Loop: Header=BB6_5830 Depth=4
	s_or_b32 exec_lo, exec_lo, s13
	s_delay_alu instid0(VALU_DEP_2) | instskip(NEXT) | instid1(VALU_DEP_2)
	v_lshrrev_b64 v[0:1], 21, v[0:1]
	v_cmp_gt_i32_e32 vcc_lo, 32, v2
	v_min_i32_e32 v3, 31, v2
	v_cmp_eq_u32_e64 s13, 0, v2
	s_delay_alu instid0(VALU_DEP_2) | instskip(SKIP_1) | instid1(VALU_DEP_2)
	v_dual_cndmask_b32 v1, 0, v1, vcc_lo :: v_dual_lshlrev_b32 v3, 2, v3
	v_cndmask_b32_e32 v0, 3, v0, vcc_lo
	v_and_b32_e32 v3, 0xfc, v3
	s_delay_alu instid0(VALU_DEP_2) | instskip(NEXT) | instid1(VALU_DEP_2)
	v_cmp_eq_u64_e32 vcc_lo, 0, v[0:1]
	v_and_or_b32 v0, v0, 3, v3
	s_and_b32 s13, s13, vcc_lo
	s_delay_alu instid0(VALU_DEP_1) | instid1(SALU_CYCLE_1)
	v_cndmask_b32_e64 v0, v0, 0, s13
	s_delay_alu instid0(VALU_DEP_1)
	v_or_b32_e32 v38, v0, v7
.LBB6_7478:                             ;   in Loop: Header=BB6_5830 Depth=4
	s_or_b32 exec_lo, exec_lo, s77
                                        ; implicit-def: $vgpr7
.LBB6_7479:                             ;   in Loop: Header=BB6_5830 Depth=4
	s_and_not1_saveexec_b32 s13, s76
; %bb.7480:                             ;   in Loop: Header=BB6_5830 Depth=4
	v_or_b32_e32 v38, 0x7b, v7
; %bb.7481:                             ;   in Loop: Header=BB6_5830 Depth=4
	s_or_b32 exec_lo, exec_lo, s13
                                        ; implicit-def: $vgpr0
                                        ; implicit-def: $vgpr1
.LBB6_7482:                             ;   in Loop: Header=BB6_5830 Depth=4
	s_and_not1_saveexec_b32 s13, s75
	s_cbranch_execz .LBB6_7488
; %bb.7483:                             ;   in Loop: Header=BB6_5830 Depth=4
	s_mov_b32 s75, exec_lo
                                        ; implicit-def: $vgpr38
	v_cmpx_ne_u64_e32 0, v[112:113]
	s_xor_b32 s75, exec_lo, s75
; %bb.7484:                             ;   in Loop: Header=BB6_5830 Depth=4
	v_or_b32_e32 v38, 0x7f, v1
                                        ; implicit-def: $vgpr0
; %bb.7485:                             ;   in Loop: Header=BB6_5830 Depth=4
	s_and_not1_saveexec_b32 s75, s75
; %bb.7486:                             ;   in Loop: Header=BB6_5830 Depth=4
	v_cmp_lt_i32_e32 vcc_lo, -1, v0
	v_mov_b32_e32 v0, 0x7c
	s_delay_alu instid0(VALU_DEP_1)
	v_cndmask_b32_e32 v38, 0xfc, v0, vcc_lo
; %bb.7487:                             ;   in Loop: Header=BB6_5830 Depth=4
	s_or_b32 exec_lo, exec_lo, s75
.LBB6_7488:                             ;   in Loop: Header=BB6_5830 Depth=4
	s_delay_alu instid0(SALU_CYCLE_1)
	s_or_b32 exec_lo, exec_lo, s13
	v_mov_b32_e32 v1, 0
	s_mov_b32 s75, exec_lo
	v_cmpx_lt_u64_e64 s[22:23], v[8:9]
	s_cbranch_execz .LBB6_7498
; %bb.7489:                             ;   in Loop: Header=BB6_5830 Depth=4
	v_lshrrev_b32_e32 v0, 24, v9
	v_bfrev_b32_e32 v1, 1
	s_mov_b32 s76, exec_lo
	s_delay_alu instid0(VALU_DEP_2)
	v_cmpx_ne_u32_e32 0x80, v0
	s_cbranch_execz .LBB6_7497
; %bb.7490:                             ;   in Loop: Header=BB6_5830 Depth=4
	v_and_b32_e32 v1, 0x7c000000, v9
	v_bfe_u32 v2, v9, 24, 2
	s_delay_alu instid0(VALU_DEP_2) | instskip(SKIP_1) | instid1(SALU_CYCLE_1)
	v_cmp_ne_u32_e32 vcc_lo, 0x7c000000, v1
                                        ; implicit-def: $vgpr1
	s_and_saveexec_b32 s13, vcc_lo
	s_xor_b32 s13, exec_lo, s13
	s_cbranch_execz .LBB6_7494
; %bb.7491:                             ;   in Loop: Header=BB6_5830 Depth=4
	v_bfe_u32 v1, v9, 26, 5
	s_mov_b32 s77, exec_lo
	s_delay_alu instid0(VALU_DEP_1)
	v_cmpx_eq_u32_e32 0, v1
; %bb.7492:                             ;   in Loop: Header=BB6_5830 Depth=4
	v_clz_i32_u32_e32 v1, v2
	s_delay_alu instid0(VALU_DEP_1) | instskip(NEXT) | instid1(VALU_DEP_1)
	v_min_u32_e32 v2, 32, v1
	v_subrev_nc_u32_e32 v1, 29, v2
	s_delay_alu instid0(VALU_DEP_1) | instskip(NEXT) | instid1(VALU_DEP_1)
	v_lshlrev_b64_e32 v[0:1], v1, v[0:1]
	v_dual_sub_nc_u32 v1, 30, v2 :: v_dual_bitop2_b32 v2, 3, v0 bitop3:0x40
; %bb.7493:                             ;   in Loop: Header=BB6_5830 Depth=4
	s_or_b32 exec_lo, exec_lo, s77
	v_and_b32_e32 v0, 0x80000000, v9
	s_delay_alu instid0(VALU_DEP_1) | instskip(NEXT) | instid1(VALU_DEP_1)
	v_lshl_add_u32 v0, v1, 23, v0
	v_lshl_or_b32 v0, v2, 21, v0
                                        ; implicit-def: $vgpr2
	s_delay_alu instid0(VALU_DEP_1)
	v_add_nc_u32_e32 v1, 0x38000000, v0
.LBB6_7494:                             ;   in Loop: Header=BB6_5830 Depth=4
	s_and_not1_saveexec_b32 s77, s13
; %bb.7495:                             ;   in Loop: Header=BB6_5830 Depth=4
	v_cmp_lt_i64_e64 s13, -1, v[8:9]
	v_mov_b32_e32 v0, 0x7f800000
	v_cmp_eq_u32_e32 vcc_lo, 0, v2
	s_delay_alu instid0(VALU_DEP_2) | instskip(NEXT) | instid1(VALU_DEP_1)
	v_cndmask_b32_e64 v0, 0xff800000, v0, s13
	v_cndmask_b32_e32 v1, 0x7f800001, v0, vcc_lo
; %bb.7496:                             ;   in Loop: Header=BB6_5830 Depth=4
	s_or_b32 exec_lo, exec_lo, s77
.LBB6_7497:                             ;   in Loop: Header=BB6_5830 Depth=4
	s_delay_alu instid0(SALU_CYCLE_1)
	s_or_b32 exec_lo, exec_lo, s76
.LBB6_7498:                             ;   in Loop: Header=BB6_5830 Depth=4
	s_delay_alu instid0(SALU_CYCLE_1) | instskip(NEXT) | instid1(VALU_DEP_1)
	s_or_b32 exec_lo, exec_lo, s75
	v_dual_mul_f32 v0, s74, v1 :: v_dual_mov_b32 v3, v113
                                        ; implicit-def: $vgpr50
	s_mov_b32 s13, exec_lo
	s_delay_alu instid0(VALU_DEP_1) | instskip(SKIP_2) | instid1(VALU_DEP_3)
	v_and_b32_e32 v2, 0x7f800000, v0
	v_and_b32_e32 v112, 0x7fffff, v0
	v_lshrrev_b32_e32 v1, 24, v0
	v_cmpx_ne_u64_e32 0x7f800000, v[2:3]
	s_xor_b32 s75, exec_lo, s13
	s_cbranch_execz .LBB6_7512
; %bb.7499:                             ;   in Loop: Header=BB6_5830 Depth=4
	v_and_b32_e32 v2, 0x7fffffff, v0
	v_mov_b32_e32 v3, v113
	v_and_b32_e32 v7, 0x80, v1
                                        ; implicit-def: $vgpr50
	s_mov_b32 s13, exec_lo
	s_delay_alu instid0(VALU_DEP_2)
	v_cmpx_gt_u64_e32 0x47600001, v[2:3]
	s_xor_b32 s76, exec_lo, s13
	s_cbranch_execz .LBB6_7509
; %bb.7500:                             ;   in Loop: Header=BB6_5830 Depth=4
	v_mov_b32_e32 v50, 0
	s_mov_b32 s77, exec_lo
	v_cmpx_ne_u32_e32 0, v0
	s_cbranch_execz .LBB6_7508
; %bb.7501:                             ;   in Loop: Header=BB6_5830 Depth=4
	v_bfe_u32 v8, v0, 23, 8
	v_or_b32_e32 v1, 0x800000, v112
	s_delay_alu instid0(VALU_DEP_2) | instskip(SKIP_2) | instid1(VALU_DEP_2)
	v_cmp_gt_u32_e64 s13, 0x72, v8
	v_sub_nc_u32_e32 v0, 0x71, v8
	v_cmp_eq_u32_e32 vcc_lo, 0, v8
	v_cndmask_b32_e64 v0, 0, v0, s13
	s_delay_alu instid0(VALU_DEP_1) | instskip(SKIP_1) | instid1(VALU_DEP_2)
	v_cndmask_b32_e64 v9, v0, 0x70, vcc_lo
	v_cndmask_b32_e32 v0, v1, v112, vcc_lo
	v_dual_mov_b32 v1, v113 :: v_dual_add_nc_u32 v2, 21, v9
	v_add_nc_u32_e32 v12, 20, v9
	s_delay_alu instid0(VALU_DEP_2) | instskip(NEXT) | instid1(VALU_DEP_2)
	v_lshlrev_b64_e64 v[2:3], v2, -1
	v_lshlrev_b64_e64 v[12:13], v12, 1
	s_delay_alu instid0(VALU_DEP_2) | instskip(SKIP_1) | instid1(VALU_DEP_4)
	v_bfi_b32 v2, v2, 0, v0
	v_lshrrev_b64 v[0:1], v9, v[0:1]
	v_bfi_b32 v3, v3, 0, 0
	s_delay_alu instid0(VALU_DEP_1) | instskip(NEXT) | instid1(VALU_DEP_3)
	v_cmp_eq_u64_e64 s13, v[2:3], v[12:13]
	v_mov_b64_e32 v[2:3], v[0:1]
	s_and_saveexec_b32 s78, s13
; %bb.7502:                             ;   in Loop: Header=BB6_5830 Depth=4
	v_bfe_u32 v2, v0, 21, 1
	v_mov_b32_e32 v3, v113
	s_delay_alu instid0(VALU_DEP_1) | instskip(NEXT) | instid1(VALU_DEP_1)
	v_add_nc_u64_e32 v[2:3], v[0:1], v[2:3]
	v_add_nc_u64_e32 v[2:3], -1, v[2:3]
; %bb.7503:                             ;   in Loop: Header=BB6_5830 Depth=4
	s_or_b32 exec_lo, exec_lo, s78
	v_add_nc_u32_e32 v1, 0xffffff81, v8
	v_lshrrev_b32_e32 v3, 23, v0
	s_mov_b32 s13, exec_lo
	s_delay_alu instid0(VALU_DEP_2) | instskip(NEXT) | instid1(VALU_DEP_1)
	v_cndmask_b32_e64 v1, v1, 0xffffff82, vcc_lo
	v_add3_u32 v8, v9, v1, v3
	v_and_b32_e32 v1, 0x1fffff, v2
                                        ; implicit-def: $vgpr2
	s_delay_alu instid0(VALU_DEP_2) | instskip(NEXT) | instid1(VALU_DEP_2)
	v_add_nc_u32_e32 v3, 14, v8
	v_add_nc_u32_e32 v112, v1, v0
                                        ; implicit-def: $vgpr0_vgpr1
	s_delay_alu instid0(VALU_DEP_2)
	v_cmpx_ne_u32_e32 0, v3
	s_xor_b32 s13, exec_lo, s13
; %bb.7504:                             ;   in Loop: Header=BB6_5830 Depth=4
	s_delay_alu instid0(VALU_DEP_2) | instskip(SKIP_1) | instid1(VALU_DEP_1)
	v_cmp_lt_u64_e32 vcc_lo, 0xffffff, v[112:113]
	v_add_nc_u32_e32 v0, 15, v8
	v_cndmask_b32_e32 v2, v3, v0, vcc_lo
	v_cndmask_b32_e64 v0, 0, 1, vcc_lo
	s_delay_alu instid0(VALU_DEP_1)
	v_lshrrev_b64 v[0:1], v0, v[112:113]
; %bb.7505:                             ;   in Loop: Header=BB6_5830 Depth=4
	s_and_not1_saveexec_b32 s13, s13
; %bb.7506:                             ;   in Loop: Header=BB6_5830 Depth=4
	v_mov_b64_e32 v[0:1], v[112:113]
	v_bfe_u32 v2, v112, 23, 1
; %bb.7507:                             ;   in Loop: Header=BB6_5830 Depth=4
	s_or_b32 exec_lo, exec_lo, s13
	s_delay_alu instid0(VALU_DEP_2) | instskip(NEXT) | instid1(VALU_DEP_2)
	v_lshrrev_b64 v[0:1], 21, v[0:1]
	v_cmp_gt_i32_e32 vcc_lo, 32, v2
	v_min_i32_e32 v3, 31, v2
	v_cmp_eq_u32_e64 s13, 0, v2
	s_delay_alu instid0(VALU_DEP_2) | instskip(SKIP_1) | instid1(VALU_DEP_2)
	v_dual_cndmask_b32 v1, 0, v1, vcc_lo :: v_dual_lshlrev_b32 v3, 2, v3
	v_cndmask_b32_e32 v0, 3, v0, vcc_lo
	v_and_b32_e32 v3, 0xfc, v3
	s_delay_alu instid0(VALU_DEP_2) | instskip(NEXT) | instid1(VALU_DEP_2)
	v_cmp_eq_u64_e32 vcc_lo, 0, v[0:1]
	v_and_or_b32 v0, v0, 3, v3
	s_and_b32 s13, s13, vcc_lo
	s_delay_alu instid0(VALU_DEP_1) | instid1(SALU_CYCLE_1)
	v_cndmask_b32_e64 v0, v0, 0, s13
	s_delay_alu instid0(VALU_DEP_1)
	v_or_b32_e32 v50, v0, v7
.LBB6_7508:                             ;   in Loop: Header=BB6_5830 Depth=4
	s_or_b32 exec_lo, exec_lo, s77
                                        ; implicit-def: $vgpr7
.LBB6_7509:                             ;   in Loop: Header=BB6_5830 Depth=4
	s_and_not1_saveexec_b32 s13, s76
; %bb.7510:                             ;   in Loop: Header=BB6_5830 Depth=4
	v_or_b32_e32 v50, 0x7b, v7
; %bb.7511:                             ;   in Loop: Header=BB6_5830 Depth=4
	s_or_b32 exec_lo, exec_lo, s13
                                        ; implicit-def: $vgpr0
                                        ; implicit-def: $vgpr1
.LBB6_7512:                             ;   in Loop: Header=BB6_5830 Depth=4
	s_and_not1_saveexec_b32 s13, s75
	s_cbranch_execz .LBB6_7518
; %bb.7513:                             ;   in Loop: Header=BB6_5830 Depth=4
	s_mov_b32 s75, exec_lo
                                        ; implicit-def: $vgpr50
	v_cmpx_ne_u64_e32 0, v[112:113]
	s_xor_b32 s75, exec_lo, s75
; %bb.7514:                             ;   in Loop: Header=BB6_5830 Depth=4
	v_or_b32_e32 v50, 0x7f, v1
                                        ; implicit-def: $vgpr0
; %bb.7515:                             ;   in Loop: Header=BB6_5830 Depth=4
	s_and_not1_saveexec_b32 s75, s75
; %bb.7516:                             ;   in Loop: Header=BB6_5830 Depth=4
	v_cmp_lt_i32_e32 vcc_lo, -1, v0
	v_mov_b32_e32 v0, 0x7c
	s_delay_alu instid0(VALU_DEP_1)
	v_cndmask_b32_e32 v50, 0xfc, v0, vcc_lo
; %bb.7517:                             ;   in Loop: Header=BB6_5830 Depth=4
	s_or_b32 exec_lo, exec_lo, s75
.LBB6_7518:                             ;   in Loop: Header=BB6_5830 Depth=4
	s_delay_alu instid0(SALU_CYCLE_1) | instskip(SKIP_1) | instid1(VALU_DEP_1)
	s_or_b32 exec_lo, exec_lo, s13
	v_and_b32_e32 v0, 0xff, v10
	v_cmp_ne_u16_e32 vcc_lo, 0, v0
	v_mov_b32_e32 v0, 0
	s_and_saveexec_b32 s75, vcc_lo
	s_cbranch_execz .LBB6_7528
; %bb.7519:                             ;   in Loop: Header=BB6_5830 Depth=4
	v_bfe_i32 v2, v10, 0, 8
	v_bfrev_b32_e32 v0, 1
	s_mov_b32 s76, exec_lo
	s_delay_alu instid0(VALU_DEP_2)
	v_cmpx_ne_u16_e32 0xff80, v2
	s_cbranch_execz .LBB6_7527
; %bb.7520:                             ;   in Loop: Header=BB6_5830 Depth=4
	v_and_b32_e32 v0, 0x7c, v10
	v_and_b32_e32 v1, 3, v10
	s_delay_alu instid0(VALU_DEP_2) | instskip(SKIP_1) | instid1(SALU_CYCLE_1)
	v_cmp_ne_u32_e32 vcc_lo, 0x7c, v0
                                        ; implicit-def: $vgpr0
	s_and_saveexec_b32 s13, vcc_lo
	s_xor_b32 s13, exec_lo, s13
	s_cbranch_execz .LBB6_7524
; %bb.7521:                             ;   in Loop: Header=BB6_5830 Depth=4
	v_bfe_u32 v0, v10, 2, 5
	s_mov_b32 s77, exec_lo
	s_delay_alu instid0(VALU_DEP_1)
	v_cmpx_eq_u32_e32 0, v0
; %bb.7522:                             ;   in Loop: Header=BB6_5830 Depth=4
	v_clz_i32_u32_e32 v0, v1
	s_delay_alu instid0(VALU_DEP_1) | instskip(NEXT) | instid1(VALU_DEP_1)
	v_min_u32_e32 v0, 32, v0
	v_subrev_nc_u32_e32 v1, 29, v0
	s_delay_alu instid0(VALU_DEP_1) | instskip(NEXT) | instid1(VALU_DEP_1)
	v_lshlrev_b64_e32 v[2:3], v1, v[10:11]
	v_dual_sub_nc_u32 v0, 30, v0 :: v_dual_bitop2_b32 v1, 3, v2 bitop3:0x40
; %bb.7523:                             ;   in Loop: Header=BB6_5830 Depth=4
	s_or_b32 exec_lo, exec_lo, s77
	v_lshlrev_b32_e32 v2, 24, v10
	s_delay_alu instid0(VALU_DEP_1) | instskip(NEXT) | instid1(VALU_DEP_1)
	v_and_b32_e32 v2, 0x80000000, v2
	v_lshl_add_u32 v0, v0, 23, v2
                                        ; implicit-def: $vgpr2
	s_delay_alu instid0(VALU_DEP_1) | instskip(NEXT) | instid1(VALU_DEP_1)
	v_lshl_or_b32 v0, v1, 21, v0
                                        ; implicit-def: $vgpr1
	v_add_nc_u32_e32 v0, 0x38000000, v0
.LBB6_7524:                             ;   in Loop: Header=BB6_5830 Depth=4
	s_and_not1_saveexec_b32 s77, s13
; %bb.7525:                             ;   in Loop: Header=BB6_5830 Depth=4
	v_cmp_lt_i16_e64 s13, -1, v2
	v_mov_b32_e32 v0, 0x7f800000
	v_cmp_eq_u32_e32 vcc_lo, 0, v1
	s_delay_alu instid0(VALU_DEP_2) | instskip(NEXT) | instid1(VALU_DEP_1)
	v_cndmask_b32_e64 v0, 0xff800000, v0, s13
	v_cndmask_b32_e32 v0, 0x7f800001, v0, vcc_lo
; %bb.7526:                             ;   in Loop: Header=BB6_5830 Depth=4
	s_or_b32 exec_lo, exec_lo, s77
.LBB6_7527:                             ;   in Loop: Header=BB6_5830 Depth=4
	s_delay_alu instid0(SALU_CYCLE_1)
	s_or_b32 exec_lo, exec_lo, s76
.LBB6_7528:                             ;   in Loop: Header=BB6_5830 Depth=4
	s_delay_alu instid0(SALU_CYCLE_1) | instskip(NEXT) | instid1(VALU_DEP_1)
	s_or_b32 exec_lo, exec_lo, s75
	v_dual_mul_f32 v0, s74, v0 :: v_dual_mov_b32 v3, v113
                                        ; implicit-def: $vgpr25
	s_mov_b32 s13, exec_lo
	s_delay_alu instid0(VALU_DEP_1) | instskip(SKIP_2) | instid1(VALU_DEP_3)
	v_and_b32_e32 v2, 0x7f800000, v0
	v_and_b32_e32 v112, 0x7fffff, v0
	v_lshrrev_b32_e32 v1, 24, v0
	v_cmpx_ne_u64_e32 0x7f800000, v[2:3]
	s_xor_b32 s75, exec_lo, s13
	s_cbranch_execz .LBB6_7542
; %bb.7529:                             ;   in Loop: Header=BB6_5830 Depth=4
	v_and_b32_e32 v2, 0x7fffffff, v0
	v_mov_b32_e32 v3, v113
	v_and_b32_e32 v7, 0x80, v1
                                        ; implicit-def: $vgpr25
	s_mov_b32 s13, exec_lo
	s_delay_alu instid0(VALU_DEP_2)
	v_cmpx_gt_u64_e32 0x47600001, v[2:3]
	s_xor_b32 s76, exec_lo, s13
	s_cbranch_execz .LBB6_7539
; %bb.7530:                             ;   in Loop: Header=BB6_5830 Depth=4
	v_mov_b32_e32 v25, 0
	s_mov_b32 s77, exec_lo
	v_cmpx_ne_u32_e32 0, v0
	s_cbranch_execz .LBB6_7538
; %bb.7531:                             ;   in Loop: Header=BB6_5830 Depth=4
	v_bfe_u32 v8, v0, 23, 8
	v_or_b32_e32 v1, 0x800000, v112
	s_delay_alu instid0(VALU_DEP_2) | instskip(SKIP_2) | instid1(VALU_DEP_2)
	v_cmp_gt_u32_e64 s13, 0x72, v8
	v_sub_nc_u32_e32 v0, 0x71, v8
	v_cmp_eq_u32_e32 vcc_lo, 0, v8
	v_cndmask_b32_e64 v0, 0, v0, s13
	s_delay_alu instid0(VALU_DEP_1) | instskip(SKIP_1) | instid1(VALU_DEP_2)
	v_cndmask_b32_e64 v9, v0, 0x70, vcc_lo
	v_cndmask_b32_e32 v0, v1, v112, vcc_lo
	v_dual_mov_b32 v1, v113 :: v_dual_add_nc_u32 v2, 21, v9
	v_add_nc_u32_e32 v12, 20, v9
	s_delay_alu instid0(VALU_DEP_2) | instskip(NEXT) | instid1(VALU_DEP_2)
	v_lshlrev_b64_e64 v[2:3], v2, -1
	v_lshlrev_b64_e64 v[12:13], v12, 1
	s_delay_alu instid0(VALU_DEP_2) | instskip(SKIP_1) | instid1(VALU_DEP_4)
	v_bfi_b32 v2, v2, 0, v0
	v_lshrrev_b64 v[0:1], v9, v[0:1]
	v_bfi_b32 v3, v3, 0, 0
	s_delay_alu instid0(VALU_DEP_1) | instskip(NEXT) | instid1(VALU_DEP_3)
	v_cmp_eq_u64_e64 s13, v[2:3], v[12:13]
	v_mov_b64_e32 v[2:3], v[0:1]
	s_and_saveexec_b32 s78, s13
; %bb.7532:                             ;   in Loop: Header=BB6_5830 Depth=4
	v_bfe_u32 v2, v0, 21, 1
	v_mov_b32_e32 v3, v113
	s_delay_alu instid0(VALU_DEP_1) | instskip(NEXT) | instid1(VALU_DEP_1)
	v_add_nc_u64_e32 v[2:3], v[0:1], v[2:3]
	v_add_nc_u64_e32 v[2:3], -1, v[2:3]
; %bb.7533:                             ;   in Loop: Header=BB6_5830 Depth=4
	s_or_b32 exec_lo, exec_lo, s78
	v_add_nc_u32_e32 v1, 0xffffff81, v8
	v_lshrrev_b32_e32 v3, 23, v0
	s_mov_b32 s13, exec_lo
	s_delay_alu instid0(VALU_DEP_2) | instskip(NEXT) | instid1(VALU_DEP_1)
	v_cndmask_b32_e64 v1, v1, 0xffffff82, vcc_lo
	v_add3_u32 v8, v9, v1, v3
	v_and_b32_e32 v1, 0x1fffff, v2
                                        ; implicit-def: $vgpr2
	s_delay_alu instid0(VALU_DEP_2) | instskip(NEXT) | instid1(VALU_DEP_2)
	v_add_nc_u32_e32 v3, 14, v8
	v_add_nc_u32_e32 v112, v1, v0
                                        ; implicit-def: $vgpr0_vgpr1
	s_delay_alu instid0(VALU_DEP_2)
	v_cmpx_ne_u32_e32 0, v3
	s_xor_b32 s13, exec_lo, s13
; %bb.7534:                             ;   in Loop: Header=BB6_5830 Depth=4
	s_delay_alu instid0(VALU_DEP_2) | instskip(SKIP_1) | instid1(VALU_DEP_1)
	v_cmp_lt_u64_e32 vcc_lo, 0xffffff, v[112:113]
	v_add_nc_u32_e32 v0, 15, v8
	v_cndmask_b32_e32 v2, v3, v0, vcc_lo
	v_cndmask_b32_e64 v0, 0, 1, vcc_lo
	s_delay_alu instid0(VALU_DEP_1)
	v_lshrrev_b64 v[0:1], v0, v[112:113]
; %bb.7535:                             ;   in Loop: Header=BB6_5830 Depth=4
	s_and_not1_saveexec_b32 s13, s13
; %bb.7536:                             ;   in Loop: Header=BB6_5830 Depth=4
	v_mov_b64_e32 v[0:1], v[112:113]
	v_bfe_u32 v2, v112, 23, 1
; %bb.7537:                             ;   in Loop: Header=BB6_5830 Depth=4
	s_or_b32 exec_lo, exec_lo, s13
	s_delay_alu instid0(VALU_DEP_2) | instskip(NEXT) | instid1(VALU_DEP_2)
	v_lshrrev_b64 v[0:1], 21, v[0:1]
	v_cmp_gt_i32_e32 vcc_lo, 32, v2
	v_min_i32_e32 v3, 31, v2
	v_cmp_eq_u32_e64 s13, 0, v2
	s_delay_alu instid0(VALU_DEP_2) | instskip(SKIP_1) | instid1(VALU_DEP_2)
	v_dual_cndmask_b32 v1, 0, v1, vcc_lo :: v_dual_lshlrev_b32 v3, 2, v3
	v_cndmask_b32_e32 v0, 3, v0, vcc_lo
	v_and_b32_e32 v3, 0xfc, v3
	s_delay_alu instid0(VALU_DEP_2) | instskip(NEXT) | instid1(VALU_DEP_2)
	v_cmp_eq_u64_e32 vcc_lo, 0, v[0:1]
	v_and_or_b32 v0, v0, 3, v3
	s_and_b32 s13, s13, vcc_lo
	s_delay_alu instid0(VALU_DEP_1) | instid1(SALU_CYCLE_1)
	v_cndmask_b32_e64 v0, v0, 0, s13
	s_delay_alu instid0(VALU_DEP_1)
	v_or_b32_e32 v25, v0, v7
.LBB6_7538:                             ;   in Loop: Header=BB6_5830 Depth=4
	s_or_b32 exec_lo, exec_lo, s77
                                        ; implicit-def: $vgpr7
.LBB6_7539:                             ;   in Loop: Header=BB6_5830 Depth=4
	s_and_not1_saveexec_b32 s13, s76
; %bb.7540:                             ;   in Loop: Header=BB6_5830 Depth=4
	v_or_b32_e32 v25, 0x7b, v7
; %bb.7541:                             ;   in Loop: Header=BB6_5830 Depth=4
	s_or_b32 exec_lo, exec_lo, s13
                                        ; implicit-def: $vgpr0
                                        ; implicit-def: $vgpr1
.LBB6_7542:                             ;   in Loop: Header=BB6_5830 Depth=4
	s_and_not1_saveexec_b32 s13, s75
	s_cbranch_execz .LBB6_7548
; %bb.7543:                             ;   in Loop: Header=BB6_5830 Depth=4
	s_mov_b32 s75, exec_lo
                                        ; implicit-def: $vgpr25
	v_cmpx_ne_u64_e32 0, v[112:113]
	s_xor_b32 s75, exec_lo, s75
; %bb.7544:                             ;   in Loop: Header=BB6_5830 Depth=4
	v_or_b32_e32 v25, 0x7f, v1
                                        ; implicit-def: $vgpr0
; %bb.7545:                             ;   in Loop: Header=BB6_5830 Depth=4
	s_and_not1_saveexec_b32 s75, s75
; %bb.7546:                             ;   in Loop: Header=BB6_5830 Depth=4
	v_cmp_lt_i32_e32 vcc_lo, -1, v0
	v_mov_b32_e32 v0, 0x7c
	s_delay_alu instid0(VALU_DEP_1)
	v_cndmask_b32_e32 v25, 0xfc, v0, vcc_lo
; %bb.7547:                             ;   in Loop: Header=BB6_5830 Depth=4
	s_or_b32 exec_lo, exec_lo, s75
.LBB6_7548:                             ;   in Loop: Header=BB6_5830 Depth=4
	s_delay_alu instid0(SALU_CYCLE_1) | instskip(SKIP_3) | instid1(VALU_DEP_2)
	s_or_b32 exec_lo, exec_lo, s13
	v_lshrrev_b16 v0, 8, v10
	v_mov_b32_e32 v1, 0
	s_mov_b32 s75, exec_lo
	v_cmpx_ne_u16_e32 0, v0
	s_cbranch_execz .LBB6_7558
; %bb.7549:                             ;   in Loop: Header=BB6_5830 Depth=4
	v_bfrev_b32_e32 v1, 1
	s_mov_b32 s76, exec_lo
	v_cmpx_ne_u16_e32 0x80, v0
	s_cbranch_execz .LBB6_7557
; %bb.7550:                             ;   in Loop: Header=BB6_5830 Depth=4
	v_and_b32_e32 v3, 0xffff, v0
	s_delay_alu instid0(VALU_DEP_1) | instskip(SKIP_1) | instid1(VALU_DEP_2)
	v_and_b32_e32 v1, 0x7c, v3
	v_and_b32_e32 v2, 3, v3
	v_cmp_ne_u32_e32 vcc_lo, 0x7c, v1
                                        ; implicit-def: $vgpr1
	s_and_saveexec_b32 s13, vcc_lo
	s_delay_alu instid0(SALU_CYCLE_1)
	s_xor_b32 s13, exec_lo, s13
	s_cbranch_execz .LBB6_7554
; %bb.7551:                             ;   in Loop: Header=BB6_5830 Depth=4
	v_bfe_u32 v1, v3, 2, 5
	s_mov_b32 s77, exec_lo
	s_delay_alu instid0(VALU_DEP_1)
	v_cmpx_eq_u32_e32 0, v1
; %bb.7552:                             ;   in Loop: Header=BB6_5830 Depth=4
	v_clz_i32_u32_e32 v1, v2
	s_delay_alu instid0(VALU_DEP_1) | instskip(SKIP_1) | instid1(VALU_DEP_2)
	v_min_u32_e32 v2, 32, v1
	v_mov_b32_e32 v1, v113
	v_subrev_nc_u32_e32 v3, 29, v2
	s_delay_alu instid0(VALU_DEP_1) | instskip(NEXT) | instid1(VALU_DEP_1)
	v_lshlrev_b64_e32 v[0:1], v3, v[0:1]
	v_dual_sub_nc_u32 v1, 30, v2 :: v_dual_bitop2_b32 v2, 3, v0 bitop3:0x40
; %bb.7553:                             ;   in Loop: Header=BB6_5830 Depth=4
	s_or_b32 exec_lo, exec_lo, s77
	v_lshlrev_b32_e32 v0, 16, v10
	s_delay_alu instid0(VALU_DEP_1) | instskip(NEXT) | instid1(VALU_DEP_1)
	v_and_b32_e32 v0, 0x80000000, v0
	v_lshl_add_u32 v0, v1, 23, v0
	s_delay_alu instid0(VALU_DEP_1) | instskip(NEXT) | instid1(VALU_DEP_1)
	v_lshl_or_b32 v0, v2, 21, v0
                                        ; implicit-def: $vgpr2
	v_add_nc_u32_e32 v1, 0x38000000, v0
.LBB6_7554:                             ;   in Loop: Header=BB6_5830 Depth=4
	s_and_not1_saveexec_b32 s77, s13
; %bb.7555:                             ;   in Loop: Header=BB6_5830 Depth=4
	v_cmp_lt_i16_e64 s13, -1, v10
	v_mov_b32_e32 v0, 0x7f800000
	v_cmp_eq_u32_e32 vcc_lo, 0, v2
	s_delay_alu instid0(VALU_DEP_2) | instskip(NEXT) | instid1(VALU_DEP_1)
	v_cndmask_b32_e64 v0, 0xff800000, v0, s13
	v_cndmask_b32_e32 v1, 0x7f800001, v0, vcc_lo
; %bb.7556:                             ;   in Loop: Header=BB6_5830 Depth=4
	s_or_b32 exec_lo, exec_lo, s77
.LBB6_7557:                             ;   in Loop: Header=BB6_5830 Depth=4
	s_delay_alu instid0(SALU_CYCLE_1)
	s_or_b32 exec_lo, exec_lo, s76
.LBB6_7558:                             ;   in Loop: Header=BB6_5830 Depth=4
	s_delay_alu instid0(SALU_CYCLE_1) | instskip(NEXT) | instid1(VALU_DEP_1)
	s_or_b32 exec_lo, exec_lo, s75
	v_dual_mul_f32 v0, s74, v1 :: v_dual_mov_b32 v3, v113
                                        ; implicit-def: $vgpr30
	s_mov_b32 s13, exec_lo
	s_delay_alu instid0(VALU_DEP_1) | instskip(SKIP_2) | instid1(VALU_DEP_3)
	v_and_b32_e32 v2, 0x7f800000, v0
	v_and_b32_e32 v112, 0x7fffff, v0
	v_lshrrev_b32_e32 v1, 24, v0
	v_cmpx_ne_u64_e32 0x7f800000, v[2:3]
	s_xor_b32 s75, exec_lo, s13
	s_cbranch_execz .LBB6_7572
; %bb.7559:                             ;   in Loop: Header=BB6_5830 Depth=4
	v_and_b32_e32 v2, 0x7fffffff, v0
	v_mov_b32_e32 v3, v113
	v_and_b32_e32 v7, 0x80, v1
                                        ; implicit-def: $vgpr30
	s_mov_b32 s13, exec_lo
	s_delay_alu instid0(VALU_DEP_2)
	v_cmpx_gt_u64_e32 0x47600001, v[2:3]
	s_xor_b32 s76, exec_lo, s13
	s_cbranch_execz .LBB6_7569
; %bb.7560:                             ;   in Loop: Header=BB6_5830 Depth=4
	v_mov_b32_e32 v30, 0
	s_mov_b32 s77, exec_lo
	v_cmpx_ne_u32_e32 0, v0
	s_cbranch_execz .LBB6_7568
; %bb.7561:                             ;   in Loop: Header=BB6_5830 Depth=4
	v_bfe_u32 v8, v0, 23, 8
	v_or_b32_e32 v1, 0x800000, v112
	s_delay_alu instid0(VALU_DEP_2) | instskip(SKIP_2) | instid1(VALU_DEP_2)
	v_cmp_gt_u32_e64 s13, 0x72, v8
	v_sub_nc_u32_e32 v0, 0x71, v8
	v_cmp_eq_u32_e32 vcc_lo, 0, v8
	v_cndmask_b32_e64 v0, 0, v0, s13
	s_delay_alu instid0(VALU_DEP_1) | instskip(SKIP_1) | instid1(VALU_DEP_2)
	v_cndmask_b32_e64 v9, v0, 0x70, vcc_lo
	v_cndmask_b32_e32 v0, v1, v112, vcc_lo
	v_dual_mov_b32 v1, v113 :: v_dual_add_nc_u32 v2, 21, v9
	v_add_nc_u32_e32 v12, 20, v9
	s_delay_alu instid0(VALU_DEP_2) | instskip(NEXT) | instid1(VALU_DEP_2)
	v_lshlrev_b64_e64 v[2:3], v2, -1
	v_lshlrev_b64_e64 v[12:13], v12, 1
	s_delay_alu instid0(VALU_DEP_2) | instskip(SKIP_1) | instid1(VALU_DEP_4)
	v_bfi_b32 v2, v2, 0, v0
	v_lshrrev_b64 v[0:1], v9, v[0:1]
	v_bfi_b32 v3, v3, 0, 0
	s_delay_alu instid0(VALU_DEP_1) | instskip(NEXT) | instid1(VALU_DEP_3)
	v_cmp_eq_u64_e64 s13, v[2:3], v[12:13]
	v_mov_b64_e32 v[2:3], v[0:1]
	s_and_saveexec_b32 s78, s13
; %bb.7562:                             ;   in Loop: Header=BB6_5830 Depth=4
	v_bfe_u32 v2, v0, 21, 1
	v_mov_b32_e32 v3, v113
	s_delay_alu instid0(VALU_DEP_1) | instskip(NEXT) | instid1(VALU_DEP_1)
	v_add_nc_u64_e32 v[2:3], v[0:1], v[2:3]
	v_add_nc_u64_e32 v[2:3], -1, v[2:3]
; %bb.7563:                             ;   in Loop: Header=BB6_5830 Depth=4
	s_or_b32 exec_lo, exec_lo, s78
	v_add_nc_u32_e32 v1, 0xffffff81, v8
	v_lshrrev_b32_e32 v3, 23, v0
	s_mov_b32 s13, exec_lo
	s_delay_alu instid0(VALU_DEP_2) | instskip(NEXT) | instid1(VALU_DEP_1)
	v_cndmask_b32_e64 v1, v1, 0xffffff82, vcc_lo
	v_add3_u32 v8, v9, v1, v3
	v_and_b32_e32 v1, 0x1fffff, v2
                                        ; implicit-def: $vgpr2
	s_delay_alu instid0(VALU_DEP_2) | instskip(NEXT) | instid1(VALU_DEP_2)
	v_add_nc_u32_e32 v3, 14, v8
	v_add_nc_u32_e32 v112, v1, v0
                                        ; implicit-def: $vgpr0_vgpr1
	s_delay_alu instid0(VALU_DEP_2)
	v_cmpx_ne_u32_e32 0, v3
	s_xor_b32 s13, exec_lo, s13
; %bb.7564:                             ;   in Loop: Header=BB6_5830 Depth=4
	s_delay_alu instid0(VALU_DEP_2) | instskip(SKIP_1) | instid1(VALU_DEP_1)
	v_cmp_lt_u64_e32 vcc_lo, 0xffffff, v[112:113]
	v_add_nc_u32_e32 v0, 15, v8
	v_cndmask_b32_e32 v2, v3, v0, vcc_lo
	v_cndmask_b32_e64 v0, 0, 1, vcc_lo
	s_delay_alu instid0(VALU_DEP_1)
	v_lshrrev_b64 v[0:1], v0, v[112:113]
; %bb.7565:                             ;   in Loop: Header=BB6_5830 Depth=4
	s_and_not1_saveexec_b32 s13, s13
; %bb.7566:                             ;   in Loop: Header=BB6_5830 Depth=4
	v_mov_b64_e32 v[0:1], v[112:113]
	v_bfe_u32 v2, v112, 23, 1
; %bb.7567:                             ;   in Loop: Header=BB6_5830 Depth=4
	s_or_b32 exec_lo, exec_lo, s13
	s_delay_alu instid0(VALU_DEP_2) | instskip(NEXT) | instid1(VALU_DEP_2)
	v_lshrrev_b64 v[0:1], 21, v[0:1]
	v_cmp_gt_i32_e32 vcc_lo, 32, v2
	v_min_i32_e32 v3, 31, v2
	v_cmp_eq_u32_e64 s13, 0, v2
	s_delay_alu instid0(VALU_DEP_2) | instskip(SKIP_1) | instid1(VALU_DEP_2)
	v_dual_cndmask_b32 v1, 0, v1, vcc_lo :: v_dual_lshlrev_b32 v3, 2, v3
	v_cndmask_b32_e32 v0, 3, v0, vcc_lo
	v_and_b32_e32 v3, 0xfc, v3
	s_delay_alu instid0(VALU_DEP_2) | instskip(NEXT) | instid1(VALU_DEP_2)
	v_cmp_eq_u64_e32 vcc_lo, 0, v[0:1]
	v_and_or_b32 v0, v0, 3, v3
	s_and_b32 s13, s13, vcc_lo
	s_delay_alu instid0(VALU_DEP_1) | instid1(SALU_CYCLE_1)
	v_cndmask_b32_e64 v0, v0, 0, s13
	s_delay_alu instid0(VALU_DEP_1)
	v_or_b32_e32 v30, v0, v7
.LBB6_7568:                             ;   in Loop: Header=BB6_5830 Depth=4
	s_or_b32 exec_lo, exec_lo, s77
                                        ; implicit-def: $vgpr7
.LBB6_7569:                             ;   in Loop: Header=BB6_5830 Depth=4
	s_and_not1_saveexec_b32 s13, s76
; %bb.7570:                             ;   in Loop: Header=BB6_5830 Depth=4
	v_or_b32_e32 v30, 0x7b, v7
; %bb.7571:                             ;   in Loop: Header=BB6_5830 Depth=4
	s_or_b32 exec_lo, exec_lo, s13
                                        ; implicit-def: $vgpr0
                                        ; implicit-def: $vgpr1
.LBB6_7572:                             ;   in Loop: Header=BB6_5830 Depth=4
	s_and_not1_saveexec_b32 s13, s75
	s_cbranch_execz .LBB6_7578
; %bb.7573:                             ;   in Loop: Header=BB6_5830 Depth=4
	s_mov_b32 s75, exec_lo
                                        ; implicit-def: $vgpr30
	v_cmpx_ne_u64_e32 0, v[112:113]
	s_xor_b32 s75, exec_lo, s75
; %bb.7574:                             ;   in Loop: Header=BB6_5830 Depth=4
	v_or_b32_e32 v30, 0x7f, v1
                                        ; implicit-def: $vgpr0
; %bb.7575:                             ;   in Loop: Header=BB6_5830 Depth=4
	s_and_not1_saveexec_b32 s75, s75
; %bb.7576:                             ;   in Loop: Header=BB6_5830 Depth=4
	v_cmp_lt_i32_e32 vcc_lo, -1, v0
	v_mov_b32_e32 v0, 0x7c
	s_delay_alu instid0(VALU_DEP_1)
	v_cndmask_b32_e32 v30, 0xfc, v0, vcc_lo
; %bb.7577:                             ;   in Loop: Header=BB6_5830 Depth=4
	s_or_b32 exec_lo, exec_lo, s75
.LBB6_7578:                             ;   in Loop: Header=BB6_5830 Depth=4
	s_delay_alu instid0(SALU_CYCLE_1) | instskip(SKIP_2) | instid1(VALU_DEP_1)
	s_or_b32 exec_lo, exec_lo, s13
	v_dual_mov_b32 v1, 0 :: v_dual_lshrrev_b32 v0, 16, v10
	s_mov_b32 s75, exec_lo
	v_and_b32_e32 v2, 0xff, v0
	s_delay_alu instid0(VALU_DEP_1)
	v_cmpx_ne_u16_e32 0, v2
	s_cbranch_execz .LBB6_7588
; %bb.7579:                             ;   in Loop: Header=BB6_5830 Depth=4
	v_bfrev_b32_e32 v1, 1
	s_mov_b32 s76, exec_lo
	v_cmpx_ne_u16_e32 0x80, v2
	s_cbranch_execz .LBB6_7587
; %bb.7580:                             ;   in Loop: Header=BB6_5830 Depth=4
	v_and_b32_e32 v1, 0x7c0000, v10
	v_bfe_u32 v2, v10, 16, 2
	s_delay_alu instid0(VALU_DEP_2) | instskip(SKIP_1) | instid1(SALU_CYCLE_1)
	v_cmp_ne_u32_e32 vcc_lo, 0x7c0000, v1
                                        ; implicit-def: $vgpr1
	s_and_saveexec_b32 s13, vcc_lo
	s_xor_b32 s13, exec_lo, s13
	s_cbranch_execz .LBB6_7584
; %bb.7581:                             ;   in Loop: Header=BB6_5830 Depth=4
	v_bfe_u32 v1, v10, 18, 5
	s_mov_b32 s77, exec_lo
	s_delay_alu instid0(VALU_DEP_1)
	v_cmpx_eq_u32_e32 0, v1
; %bb.7582:                             ;   in Loop: Header=BB6_5830 Depth=4
	v_clz_i32_u32_e32 v1, v2
	s_delay_alu instid0(VALU_DEP_1) | instskip(NEXT) | instid1(VALU_DEP_1)
	v_min_u32_e32 v1, 32, v1
	v_subrev_nc_u32_e32 v2, 29, v1
	s_delay_alu instid0(VALU_DEP_1) | instskip(NEXT) | instid1(VALU_DEP_1)
	v_lshlrev_b64_e32 v[2:3], v2, v[0:1]
	v_dual_sub_nc_u32 v1, 30, v1 :: v_dual_bitop2_b32 v2, 3, v2 bitop3:0x40
; %bb.7583:                             ;   in Loop: Header=BB6_5830 Depth=4
	s_or_b32 exec_lo, exec_lo, s77
	v_lshlrev_b32_e32 v0, 24, v0
	s_delay_alu instid0(VALU_DEP_1) | instskip(NEXT) | instid1(VALU_DEP_1)
	v_and_b32_e32 v0, 0x80000000, v0
	v_lshl_add_u32 v0, v1, 23, v0
	s_delay_alu instid0(VALU_DEP_1) | instskip(NEXT) | instid1(VALU_DEP_1)
	v_lshl_or_b32 v0, v2, 21, v0
                                        ; implicit-def: $vgpr2
	v_add_nc_u32_e32 v1, 0x38000000, v0
                                        ; implicit-def: $vgpr0
.LBB6_7584:                             ;   in Loop: Header=BB6_5830 Depth=4
	s_and_not1_saveexec_b32 s77, s13
; %bb.7585:                             ;   in Loop: Header=BB6_5830 Depth=4
	v_bfe_i32 v0, v0, 0, 8
	v_cmp_eq_u32_e32 vcc_lo, 0, v2
	s_delay_alu instid0(VALU_DEP_2) | instskip(SKIP_1) | instid1(VALU_DEP_1)
	v_cmp_lt_i16_e64 s13, -1, v0
	v_mov_b32_e32 v0, 0x7f800000
	v_cndmask_b32_e64 v0, 0xff800000, v0, s13
	s_delay_alu instid0(VALU_DEP_1)
	v_cndmask_b32_e32 v1, 0x7f800001, v0, vcc_lo
; %bb.7586:                             ;   in Loop: Header=BB6_5830 Depth=4
	s_or_b32 exec_lo, exec_lo, s77
.LBB6_7587:                             ;   in Loop: Header=BB6_5830 Depth=4
	s_delay_alu instid0(SALU_CYCLE_1)
	s_or_b32 exec_lo, exec_lo, s76
.LBB6_7588:                             ;   in Loop: Header=BB6_5830 Depth=4
	s_delay_alu instid0(SALU_CYCLE_1) | instskip(NEXT) | instid1(VALU_DEP_1)
	s_or_b32 exec_lo, exec_lo, s75
	v_dual_mul_f32 v0, s74, v1 :: v_dual_mov_b32 v3, v113
                                        ; implicit-def: $vgpr34
	s_mov_b32 s13, exec_lo
	s_delay_alu instid0(VALU_DEP_1) | instskip(SKIP_2) | instid1(VALU_DEP_3)
	v_and_b32_e32 v2, 0x7f800000, v0
	v_and_b32_e32 v112, 0x7fffff, v0
	v_lshrrev_b32_e32 v1, 24, v0
	v_cmpx_ne_u64_e32 0x7f800000, v[2:3]
	s_xor_b32 s75, exec_lo, s13
	s_cbranch_execz .LBB6_7602
; %bb.7589:                             ;   in Loop: Header=BB6_5830 Depth=4
	v_and_b32_e32 v2, 0x7fffffff, v0
	v_mov_b32_e32 v3, v113
	v_and_b32_e32 v7, 0x80, v1
                                        ; implicit-def: $vgpr34
	s_mov_b32 s13, exec_lo
	s_delay_alu instid0(VALU_DEP_2)
	v_cmpx_gt_u64_e32 0x47600001, v[2:3]
	s_xor_b32 s76, exec_lo, s13
	s_cbranch_execz .LBB6_7599
; %bb.7590:                             ;   in Loop: Header=BB6_5830 Depth=4
	v_mov_b32_e32 v34, 0
	s_mov_b32 s77, exec_lo
	v_cmpx_ne_u32_e32 0, v0
	s_cbranch_execz .LBB6_7598
; %bb.7591:                             ;   in Loop: Header=BB6_5830 Depth=4
	v_bfe_u32 v8, v0, 23, 8
	v_or_b32_e32 v1, 0x800000, v112
	s_delay_alu instid0(VALU_DEP_2) | instskip(SKIP_2) | instid1(VALU_DEP_2)
	v_cmp_gt_u32_e64 s13, 0x72, v8
	v_sub_nc_u32_e32 v0, 0x71, v8
	v_cmp_eq_u32_e32 vcc_lo, 0, v8
	v_cndmask_b32_e64 v0, 0, v0, s13
	s_delay_alu instid0(VALU_DEP_1) | instskip(SKIP_1) | instid1(VALU_DEP_2)
	v_cndmask_b32_e64 v9, v0, 0x70, vcc_lo
	v_cndmask_b32_e32 v0, v1, v112, vcc_lo
	v_dual_mov_b32 v1, v113 :: v_dual_add_nc_u32 v2, 21, v9
	v_add_nc_u32_e32 v12, 20, v9
	s_delay_alu instid0(VALU_DEP_2) | instskip(NEXT) | instid1(VALU_DEP_2)
	v_lshlrev_b64_e64 v[2:3], v2, -1
	v_lshlrev_b64_e64 v[12:13], v12, 1
	s_delay_alu instid0(VALU_DEP_2) | instskip(SKIP_1) | instid1(VALU_DEP_4)
	v_bfi_b32 v2, v2, 0, v0
	v_lshrrev_b64 v[0:1], v9, v[0:1]
	v_bfi_b32 v3, v3, 0, 0
	s_delay_alu instid0(VALU_DEP_1) | instskip(NEXT) | instid1(VALU_DEP_3)
	v_cmp_eq_u64_e64 s13, v[2:3], v[12:13]
	v_mov_b64_e32 v[2:3], v[0:1]
	s_and_saveexec_b32 s78, s13
; %bb.7592:                             ;   in Loop: Header=BB6_5830 Depth=4
	v_bfe_u32 v2, v0, 21, 1
	v_mov_b32_e32 v3, v113
	s_delay_alu instid0(VALU_DEP_1) | instskip(NEXT) | instid1(VALU_DEP_1)
	v_add_nc_u64_e32 v[2:3], v[0:1], v[2:3]
	v_add_nc_u64_e32 v[2:3], -1, v[2:3]
; %bb.7593:                             ;   in Loop: Header=BB6_5830 Depth=4
	s_or_b32 exec_lo, exec_lo, s78
	v_add_nc_u32_e32 v1, 0xffffff81, v8
	v_lshrrev_b32_e32 v3, 23, v0
	s_mov_b32 s13, exec_lo
	s_delay_alu instid0(VALU_DEP_2) | instskip(NEXT) | instid1(VALU_DEP_1)
	v_cndmask_b32_e64 v1, v1, 0xffffff82, vcc_lo
	v_add3_u32 v8, v9, v1, v3
	v_and_b32_e32 v1, 0x1fffff, v2
                                        ; implicit-def: $vgpr2
	s_delay_alu instid0(VALU_DEP_2) | instskip(NEXT) | instid1(VALU_DEP_2)
	v_add_nc_u32_e32 v3, 14, v8
	v_add_nc_u32_e32 v112, v1, v0
                                        ; implicit-def: $vgpr0_vgpr1
	s_delay_alu instid0(VALU_DEP_2)
	v_cmpx_ne_u32_e32 0, v3
	s_xor_b32 s13, exec_lo, s13
; %bb.7594:                             ;   in Loop: Header=BB6_5830 Depth=4
	s_delay_alu instid0(VALU_DEP_2) | instskip(SKIP_1) | instid1(VALU_DEP_1)
	v_cmp_lt_u64_e32 vcc_lo, 0xffffff, v[112:113]
	v_add_nc_u32_e32 v0, 15, v8
	v_cndmask_b32_e32 v2, v3, v0, vcc_lo
	v_cndmask_b32_e64 v0, 0, 1, vcc_lo
	s_delay_alu instid0(VALU_DEP_1)
	v_lshrrev_b64 v[0:1], v0, v[112:113]
; %bb.7595:                             ;   in Loop: Header=BB6_5830 Depth=4
	s_and_not1_saveexec_b32 s13, s13
; %bb.7596:                             ;   in Loop: Header=BB6_5830 Depth=4
	v_mov_b64_e32 v[0:1], v[112:113]
	v_bfe_u32 v2, v112, 23, 1
; %bb.7597:                             ;   in Loop: Header=BB6_5830 Depth=4
	s_or_b32 exec_lo, exec_lo, s13
	s_delay_alu instid0(VALU_DEP_2) | instskip(NEXT) | instid1(VALU_DEP_2)
	v_lshrrev_b64 v[0:1], 21, v[0:1]
	v_cmp_gt_i32_e32 vcc_lo, 32, v2
	v_min_i32_e32 v3, 31, v2
	v_cmp_eq_u32_e64 s13, 0, v2
	s_delay_alu instid0(VALU_DEP_2) | instskip(SKIP_1) | instid1(VALU_DEP_2)
	v_dual_cndmask_b32 v1, 0, v1, vcc_lo :: v_dual_lshlrev_b32 v3, 2, v3
	v_cndmask_b32_e32 v0, 3, v0, vcc_lo
	v_and_b32_e32 v3, 0xfc, v3
	s_delay_alu instid0(VALU_DEP_2) | instskip(NEXT) | instid1(VALU_DEP_2)
	v_cmp_eq_u64_e32 vcc_lo, 0, v[0:1]
	v_and_or_b32 v0, v0, 3, v3
	s_and_b32 s13, s13, vcc_lo
	s_delay_alu instid0(VALU_DEP_1) | instid1(SALU_CYCLE_1)
	v_cndmask_b32_e64 v0, v0, 0, s13
	s_delay_alu instid0(VALU_DEP_1)
	v_or_b32_e32 v34, v0, v7
.LBB6_7598:                             ;   in Loop: Header=BB6_5830 Depth=4
	s_or_b32 exec_lo, exec_lo, s77
                                        ; implicit-def: $vgpr7
.LBB6_7599:                             ;   in Loop: Header=BB6_5830 Depth=4
	s_and_not1_saveexec_b32 s13, s76
; %bb.7600:                             ;   in Loop: Header=BB6_5830 Depth=4
	v_or_b32_e32 v34, 0x7b, v7
; %bb.7601:                             ;   in Loop: Header=BB6_5830 Depth=4
	s_or_b32 exec_lo, exec_lo, s13
                                        ; implicit-def: $vgpr0
                                        ; implicit-def: $vgpr1
.LBB6_7602:                             ;   in Loop: Header=BB6_5830 Depth=4
	s_and_not1_saveexec_b32 s13, s75
	s_cbranch_execz .LBB6_7608
; %bb.7603:                             ;   in Loop: Header=BB6_5830 Depth=4
	s_mov_b32 s75, exec_lo
                                        ; implicit-def: $vgpr34
	v_cmpx_ne_u64_e32 0, v[112:113]
	s_xor_b32 s75, exec_lo, s75
; %bb.7604:                             ;   in Loop: Header=BB6_5830 Depth=4
	v_or_b32_e32 v34, 0x7f, v1
                                        ; implicit-def: $vgpr0
; %bb.7605:                             ;   in Loop: Header=BB6_5830 Depth=4
	s_and_not1_saveexec_b32 s75, s75
; %bb.7606:                             ;   in Loop: Header=BB6_5830 Depth=4
	v_cmp_lt_i32_e32 vcc_lo, -1, v0
	v_mov_b32_e32 v0, 0x7c
	s_delay_alu instid0(VALU_DEP_1)
	v_cndmask_b32_e32 v34, 0xfc, v0, vcc_lo
; %bb.7607:                             ;   in Loop: Header=BB6_5830 Depth=4
	s_or_b32 exec_lo, exec_lo, s75
.LBB6_7608:                             ;   in Loop: Header=BB6_5830 Depth=4
	s_delay_alu instid0(SALU_CYCLE_1)
	s_or_b32 exec_lo, exec_lo, s13
	v_mov_b32_e32 v1, 0
	s_mov_b32 s75, exec_lo
	v_cmpx_lt_u32_e32 0xffffff, v10
	s_cbranch_execz .LBB6_7618
; %bb.7609:                             ;   in Loop: Header=BB6_5830 Depth=4
	v_lshrrev_b32_e32 v0, 24, v10
	v_bfrev_b32_e32 v1, 1
	s_mov_b32 s76, exec_lo
	s_delay_alu instid0(VALU_DEP_2)
	v_cmpx_ne_u32_e32 0x80, v0
	s_cbranch_execz .LBB6_7617
; %bb.7610:                             ;   in Loop: Header=BB6_5830 Depth=4
	v_and_b32_e32 v1, 0x7c000000, v10
	v_bfe_u32 v2, v10, 24, 2
	s_delay_alu instid0(VALU_DEP_2) | instskip(SKIP_1) | instid1(SALU_CYCLE_1)
	v_cmp_ne_u32_e32 vcc_lo, 0x7c000000, v1
                                        ; implicit-def: $vgpr1
	s_and_saveexec_b32 s13, vcc_lo
	s_xor_b32 s13, exec_lo, s13
	s_cbranch_execz .LBB6_7614
; %bb.7611:                             ;   in Loop: Header=BB6_5830 Depth=4
	v_bfe_u32 v1, v10, 26, 5
	s_mov_b32 s77, exec_lo
	s_delay_alu instid0(VALU_DEP_1)
	v_cmpx_eq_u32_e32 0, v1
; %bb.7612:                             ;   in Loop: Header=BB6_5830 Depth=4
	v_clz_i32_u32_e32 v1, v2
	s_delay_alu instid0(VALU_DEP_1) | instskip(NEXT) | instid1(VALU_DEP_1)
	v_min_u32_e32 v2, 32, v1
	v_subrev_nc_u32_e32 v1, 29, v2
	s_delay_alu instid0(VALU_DEP_1) | instskip(NEXT) | instid1(VALU_DEP_1)
	v_lshlrev_b64_e32 v[0:1], v1, v[0:1]
	v_dual_sub_nc_u32 v1, 30, v2 :: v_dual_bitop2_b32 v2, 3, v0 bitop3:0x40
; %bb.7613:                             ;   in Loop: Header=BB6_5830 Depth=4
	s_or_b32 exec_lo, exec_lo, s77
	v_and_b32_e32 v0, 0x80000000, v10
	s_delay_alu instid0(VALU_DEP_1) | instskip(NEXT) | instid1(VALU_DEP_1)
	v_lshl_add_u32 v0, v1, 23, v0
	v_lshl_or_b32 v0, v2, 21, v0
                                        ; implicit-def: $vgpr2
	s_delay_alu instid0(VALU_DEP_1)
	v_add_nc_u32_e32 v1, 0x38000000, v0
.LBB6_7614:                             ;   in Loop: Header=BB6_5830 Depth=4
	s_and_not1_saveexec_b32 s77, s13
; %bb.7615:                             ;   in Loop: Header=BB6_5830 Depth=4
	v_cmp_lt_i32_e64 s13, -1, v10
	v_mov_b32_e32 v0, 0x7f800000
	v_cmp_eq_u32_e32 vcc_lo, 0, v2
	s_delay_alu instid0(VALU_DEP_2) | instskip(NEXT) | instid1(VALU_DEP_1)
	v_cndmask_b32_e64 v0, 0xff800000, v0, s13
	v_cndmask_b32_e32 v1, 0x7f800001, v0, vcc_lo
; %bb.7616:                             ;   in Loop: Header=BB6_5830 Depth=4
	s_or_b32 exec_lo, exec_lo, s77
.LBB6_7617:                             ;   in Loop: Header=BB6_5830 Depth=4
	s_delay_alu instid0(SALU_CYCLE_1)
	s_or_b32 exec_lo, exec_lo, s76
.LBB6_7618:                             ;   in Loop: Header=BB6_5830 Depth=4
	s_delay_alu instid0(SALU_CYCLE_1) | instskip(NEXT) | instid1(VALU_DEP_1)
	s_or_b32 exec_lo, exec_lo, s75
	v_dual_mul_f32 v0, s74, v1 :: v_dual_mov_b32 v3, v113
                                        ; implicit-def: $vgpr37
	s_mov_b32 s13, exec_lo
	s_delay_alu instid0(VALU_DEP_1) | instskip(SKIP_2) | instid1(VALU_DEP_3)
	v_and_b32_e32 v2, 0x7f800000, v0
	v_and_b32_e32 v112, 0x7fffff, v0
	v_lshrrev_b32_e32 v1, 24, v0
	v_cmpx_ne_u64_e32 0x7f800000, v[2:3]
	s_xor_b32 s75, exec_lo, s13
	s_cbranch_execz .LBB6_7632
; %bb.7619:                             ;   in Loop: Header=BB6_5830 Depth=4
	v_and_b32_e32 v2, 0x7fffffff, v0
	v_mov_b32_e32 v3, v113
	v_and_b32_e32 v7, 0x80, v1
                                        ; implicit-def: $vgpr37
	s_mov_b32 s13, exec_lo
	s_delay_alu instid0(VALU_DEP_2)
	v_cmpx_gt_u64_e32 0x47600001, v[2:3]
	s_xor_b32 s76, exec_lo, s13
	s_cbranch_execz .LBB6_7629
; %bb.7620:                             ;   in Loop: Header=BB6_5830 Depth=4
	v_mov_b32_e32 v37, 0
	s_mov_b32 s77, exec_lo
	v_cmpx_ne_u32_e32 0, v0
	s_cbranch_execz .LBB6_7628
; %bb.7621:                             ;   in Loop: Header=BB6_5830 Depth=4
	v_bfe_u32 v8, v0, 23, 8
	v_or_b32_e32 v1, 0x800000, v112
	s_delay_alu instid0(VALU_DEP_2) | instskip(SKIP_2) | instid1(VALU_DEP_2)
	v_cmp_gt_u32_e64 s13, 0x72, v8
	v_sub_nc_u32_e32 v0, 0x71, v8
	v_cmp_eq_u32_e32 vcc_lo, 0, v8
	v_cndmask_b32_e64 v0, 0, v0, s13
	s_delay_alu instid0(VALU_DEP_1) | instskip(SKIP_1) | instid1(VALU_DEP_2)
	v_cndmask_b32_e64 v9, v0, 0x70, vcc_lo
	v_cndmask_b32_e32 v0, v1, v112, vcc_lo
	v_dual_mov_b32 v1, v113 :: v_dual_add_nc_u32 v2, 21, v9
	v_add_nc_u32_e32 v12, 20, v9
	s_delay_alu instid0(VALU_DEP_2) | instskip(NEXT) | instid1(VALU_DEP_2)
	v_lshlrev_b64_e64 v[2:3], v2, -1
	v_lshlrev_b64_e64 v[12:13], v12, 1
	s_delay_alu instid0(VALU_DEP_2) | instskip(SKIP_1) | instid1(VALU_DEP_4)
	v_bfi_b32 v2, v2, 0, v0
	v_lshrrev_b64 v[0:1], v9, v[0:1]
	v_bfi_b32 v3, v3, 0, 0
	s_delay_alu instid0(VALU_DEP_1) | instskip(NEXT) | instid1(VALU_DEP_3)
	v_cmp_eq_u64_e64 s13, v[2:3], v[12:13]
	v_mov_b64_e32 v[2:3], v[0:1]
	s_and_saveexec_b32 s78, s13
; %bb.7622:                             ;   in Loop: Header=BB6_5830 Depth=4
	v_bfe_u32 v2, v0, 21, 1
	v_mov_b32_e32 v3, v113
	s_delay_alu instid0(VALU_DEP_1) | instskip(NEXT) | instid1(VALU_DEP_1)
	v_add_nc_u64_e32 v[2:3], v[0:1], v[2:3]
	v_add_nc_u64_e32 v[2:3], -1, v[2:3]
; %bb.7623:                             ;   in Loop: Header=BB6_5830 Depth=4
	s_or_b32 exec_lo, exec_lo, s78
	v_add_nc_u32_e32 v1, 0xffffff81, v8
	v_lshrrev_b32_e32 v3, 23, v0
	s_mov_b32 s13, exec_lo
	s_delay_alu instid0(VALU_DEP_2) | instskip(NEXT) | instid1(VALU_DEP_1)
	v_cndmask_b32_e64 v1, v1, 0xffffff82, vcc_lo
	v_add3_u32 v8, v9, v1, v3
	v_and_b32_e32 v1, 0x1fffff, v2
                                        ; implicit-def: $vgpr2
	s_delay_alu instid0(VALU_DEP_2) | instskip(NEXT) | instid1(VALU_DEP_2)
	v_add_nc_u32_e32 v3, 14, v8
	v_add_nc_u32_e32 v112, v1, v0
                                        ; implicit-def: $vgpr0_vgpr1
	s_delay_alu instid0(VALU_DEP_2)
	v_cmpx_ne_u32_e32 0, v3
	s_xor_b32 s13, exec_lo, s13
; %bb.7624:                             ;   in Loop: Header=BB6_5830 Depth=4
	s_delay_alu instid0(VALU_DEP_2) | instskip(SKIP_1) | instid1(VALU_DEP_1)
	v_cmp_lt_u64_e32 vcc_lo, 0xffffff, v[112:113]
	v_add_nc_u32_e32 v0, 15, v8
	v_cndmask_b32_e32 v2, v3, v0, vcc_lo
	v_cndmask_b32_e64 v0, 0, 1, vcc_lo
	s_delay_alu instid0(VALU_DEP_1)
	v_lshrrev_b64 v[0:1], v0, v[112:113]
; %bb.7625:                             ;   in Loop: Header=BB6_5830 Depth=4
	s_and_not1_saveexec_b32 s13, s13
; %bb.7626:                             ;   in Loop: Header=BB6_5830 Depth=4
	v_mov_b64_e32 v[0:1], v[112:113]
	v_bfe_u32 v2, v112, 23, 1
; %bb.7627:                             ;   in Loop: Header=BB6_5830 Depth=4
	s_or_b32 exec_lo, exec_lo, s13
	s_delay_alu instid0(VALU_DEP_2) | instskip(NEXT) | instid1(VALU_DEP_2)
	v_lshrrev_b64 v[0:1], 21, v[0:1]
	v_cmp_gt_i32_e32 vcc_lo, 32, v2
	v_min_i32_e32 v3, 31, v2
	v_cmp_eq_u32_e64 s13, 0, v2
	s_delay_alu instid0(VALU_DEP_2) | instskip(SKIP_1) | instid1(VALU_DEP_2)
	v_dual_cndmask_b32 v1, 0, v1, vcc_lo :: v_dual_lshlrev_b32 v3, 2, v3
	v_cndmask_b32_e32 v0, 3, v0, vcc_lo
	v_and_b32_e32 v3, 0xfc, v3
	s_delay_alu instid0(VALU_DEP_2) | instskip(NEXT) | instid1(VALU_DEP_2)
	v_cmp_eq_u64_e32 vcc_lo, 0, v[0:1]
	v_and_or_b32 v0, v0, 3, v3
	s_and_b32 s13, s13, vcc_lo
	s_delay_alu instid0(VALU_DEP_1) | instid1(SALU_CYCLE_1)
	v_cndmask_b32_e64 v0, v0, 0, s13
	s_delay_alu instid0(VALU_DEP_1)
	v_or_b32_e32 v37, v0, v7
.LBB6_7628:                             ;   in Loop: Header=BB6_5830 Depth=4
	s_or_b32 exec_lo, exec_lo, s77
                                        ; implicit-def: $vgpr7
.LBB6_7629:                             ;   in Loop: Header=BB6_5830 Depth=4
	s_and_not1_saveexec_b32 s13, s76
; %bb.7630:                             ;   in Loop: Header=BB6_5830 Depth=4
	v_or_b32_e32 v37, 0x7b, v7
; %bb.7631:                             ;   in Loop: Header=BB6_5830 Depth=4
	s_or_b32 exec_lo, exec_lo, s13
                                        ; implicit-def: $vgpr0
                                        ; implicit-def: $vgpr1
.LBB6_7632:                             ;   in Loop: Header=BB6_5830 Depth=4
	s_and_not1_saveexec_b32 s13, s75
	s_cbranch_execz .LBB6_7638
; %bb.7633:                             ;   in Loop: Header=BB6_5830 Depth=4
	s_mov_b32 s75, exec_lo
                                        ; implicit-def: $vgpr37
	v_cmpx_ne_u64_e32 0, v[112:113]
	s_xor_b32 s75, exec_lo, s75
; %bb.7634:                             ;   in Loop: Header=BB6_5830 Depth=4
	v_or_b32_e32 v37, 0x7f, v1
                                        ; implicit-def: $vgpr0
; %bb.7635:                             ;   in Loop: Header=BB6_5830 Depth=4
	s_and_not1_saveexec_b32 s75, s75
; %bb.7636:                             ;   in Loop: Header=BB6_5830 Depth=4
	v_cmp_lt_i32_e32 vcc_lo, -1, v0
	v_mov_b32_e32 v0, 0x7c
	s_delay_alu instid0(VALU_DEP_1)
	v_cndmask_b32_e32 v37, 0xfc, v0, vcc_lo
; %bb.7637:                             ;   in Loop: Header=BB6_5830 Depth=4
	s_or_b32 exec_lo, exec_lo, s75
.LBB6_7638:                             ;   in Loop: Header=BB6_5830 Depth=4
	s_delay_alu instid0(SALU_CYCLE_1) | instskip(SKIP_3) | instid1(VALU_DEP_2)
	s_or_b32 exec_lo, exec_lo, s13
	v_and_b32_e32 v1, 0xff, v11
	v_dual_mov_b32 v112, v11 :: v_dual_mov_b32 v0, 0
	s_mov_b32 s75, exec_lo
	v_cmpx_ne_u16_e32 0, v1
	s_cbranch_execz .LBB6_7648
; %bb.7639:                             ;   in Loop: Header=BB6_5830 Depth=4
	v_bfrev_b32_e32 v0, 1
	s_mov_b32 s76, exec_lo
	v_cmpx_ne_u16_e32 0x80, v1
	s_cbranch_execz .LBB6_7647
; %bb.7640:                             ;   in Loop: Header=BB6_5830 Depth=4
	v_and_b32_e32 v0, 0x7c, v11
	v_and_b32_e32 v1, 3, v11
	s_delay_alu instid0(VALU_DEP_2) | instskip(SKIP_1) | instid1(SALU_CYCLE_1)
	v_cmp_ne_u32_e32 vcc_lo, 0x7c, v0
                                        ; implicit-def: $vgpr0
	s_and_saveexec_b32 s13, vcc_lo
	s_xor_b32 s13, exec_lo, s13
	s_cbranch_execz .LBB6_7644
; %bb.7641:                             ;   in Loop: Header=BB6_5830 Depth=4
	v_bfe_u32 v0, v11, 2, 5
	s_mov_b32 s77, exec_lo
	s_delay_alu instid0(VALU_DEP_1)
	v_cmpx_eq_u32_e32 0, v0
; %bb.7642:                             ;   in Loop: Header=BB6_5830 Depth=4
	v_clz_i32_u32_e32 v0, v1
	s_delay_alu instid0(VALU_DEP_1) | instskip(NEXT) | instid1(VALU_DEP_1)
	v_min_u32_e32 v0, 32, v0
	v_subrev_nc_u32_e32 v1, 29, v0
	s_delay_alu instid0(VALU_DEP_1) | instskip(NEXT) | instid1(VALU_DEP_1)
	v_lshlrev_b64_e32 v[2:3], v1, v[112:113]
	v_dual_sub_nc_u32 v0, 30, v0 :: v_dual_bitop2_b32 v1, 3, v2 bitop3:0x40
; %bb.7643:                             ;   in Loop: Header=BB6_5830 Depth=4
	s_or_b32 exec_lo, exec_lo, s77
	v_lshlrev_b32_e32 v2, 24, v11
	s_delay_alu instid0(VALU_DEP_1) | instskip(NEXT) | instid1(VALU_DEP_1)
	v_and_b32_e32 v2, 0x80000000, v2
	v_lshl_add_u32 v0, v0, 23, v2
	s_delay_alu instid0(VALU_DEP_1) | instskip(NEXT) | instid1(VALU_DEP_1)
	v_lshl_or_b32 v0, v1, 21, v0
                                        ; implicit-def: $vgpr1
	v_add_nc_u32_e32 v0, 0x38000000, v0
.LBB6_7644:                             ;   in Loop: Header=BB6_5830 Depth=4
	s_and_not1_saveexec_b32 s77, s13
; %bb.7645:                             ;   in Loop: Header=BB6_5830 Depth=4
	v_bfe_i32 v0, v11, 0, 8
	v_cmp_eq_u32_e32 vcc_lo, 0, v1
	s_delay_alu instid0(VALU_DEP_2) | instskip(SKIP_1) | instid1(VALU_DEP_1)
	v_cmp_lt_i16_e64 s13, -1, v0
	v_mov_b32_e32 v0, 0x7f800000
	v_cndmask_b32_e64 v0, 0xff800000, v0, s13
	s_delay_alu instid0(VALU_DEP_1)
	v_cndmask_b32_e32 v0, 0x7f800001, v0, vcc_lo
; %bb.7646:                             ;   in Loop: Header=BB6_5830 Depth=4
	s_or_b32 exec_lo, exec_lo, s77
.LBB6_7647:                             ;   in Loop: Header=BB6_5830 Depth=4
	s_delay_alu instid0(SALU_CYCLE_1)
	s_or_b32 exec_lo, exec_lo, s76
.LBB6_7648:                             ;   in Loop: Header=BB6_5830 Depth=4
	s_delay_alu instid0(SALU_CYCLE_1) | instskip(NEXT) | instid1(VALU_DEP_1)
	s_or_b32 exec_lo, exec_lo, s75
	v_dual_mul_f32 v2, s74, v0 :: v_dual_mov_b32 v9, v113
	v_mov_b32_e32 v1, v113
                                        ; implicit-def: $vgpr7
	s_mov_b32 s13, exec_lo
	s_delay_alu instid0(VALU_DEP_2) | instskip(SKIP_2) | instid1(VALU_DEP_3)
	v_and_b32_e32 v8, 0x7f800000, v2
	v_and_b32_e32 v0, 0x7fffff, v2
	v_lshrrev_b32_e32 v3, 24, v2
	v_cmpx_ne_u64_e32 0x7f800000, v[8:9]
	s_xor_b32 s75, exec_lo, s13
	s_cbranch_execz .LBB6_7662
; %bb.7649:                             ;   in Loop: Header=BB6_5830 Depth=4
	v_and_b32_e32 v8, 0x7fffffff, v2
	v_mov_b32_e32 v9, v113
                                        ; implicit-def: $vgpr7
	s_delay_alu instid0(VALU_DEP_1) | instskip(SKIP_2) | instid1(SALU_CYCLE_1)
	v_cmp_gt_u64_e32 vcc_lo, 0x47600001, v[8:9]
	v_and_b32_e32 v8, 0x80, v3
	s_and_saveexec_b32 s13, vcc_lo
	s_xor_b32 s76, exec_lo, s13
	s_cbranch_execz .LBB6_7659
; %bb.7650:                             ;   in Loop: Header=BB6_5830 Depth=4
	v_mov_b32_e32 v7, 0
	s_mov_b32 s77, exec_lo
	v_cmpx_ne_u32_e32 0, v2
	s_cbranch_execz .LBB6_7658
; %bb.7651:                             ;   in Loop: Header=BB6_5830 Depth=4
	v_bfe_u32 v7, v2, 23, 8
	v_or_b32_e32 v3, 0x800000, v0
	s_delay_alu instid0(VALU_DEP_2) | instskip(SKIP_2) | instid1(VALU_DEP_2)
	v_cmp_gt_u32_e64 s13, 0x72, v7
	v_sub_nc_u32_e32 v2, 0x71, v7
	v_cmp_eq_u32_e32 vcc_lo, 0, v7
	v_dual_cndmask_b32 v2, 0, v2, s13 :: v_dual_cndmask_b32 v0, v3, v0, vcc_lo
	s_delay_alu instid0(VALU_DEP_1) | instskip(NEXT) | instid1(VALU_DEP_1)
	v_cndmask_b32_e64 v9, v2, 0x70, vcc_lo
	v_dual_add_nc_u32 v2, 21, v9 :: v_dual_add_nc_u32 v12, 20, v9
	s_delay_alu instid0(VALU_DEP_1) | instskip(NEXT) | instid1(VALU_DEP_2)
	v_lshlrev_b64_e64 v[2:3], v2, -1
	v_lshlrev_b64_e64 v[12:13], v12, 1
	s_delay_alu instid0(VALU_DEP_2) | instskip(SKIP_1) | instid1(VALU_DEP_4)
	v_bfi_b32 v2, v2, 0, v0
	v_lshrrev_b64 v[0:1], v9, v[0:1]
	v_bfi_b32 v3, v3, 0, 0
	s_delay_alu instid0(VALU_DEP_1) | instskip(NEXT) | instid1(VALU_DEP_3)
	v_cmp_eq_u64_e64 s13, v[2:3], v[12:13]
	v_mov_b64_e32 v[2:3], v[0:1]
	s_and_saveexec_b32 s78, s13
; %bb.7652:                             ;   in Loop: Header=BB6_5830 Depth=4
	v_bfe_u32 v2, v0, 21, 1
	v_mov_b32_e32 v3, v113
	s_delay_alu instid0(VALU_DEP_1) | instskip(NEXT) | instid1(VALU_DEP_1)
	v_add_nc_u64_e32 v[2:3], v[0:1], v[2:3]
	v_add_nc_u64_e32 v[2:3], -1, v[2:3]
; %bb.7653:                             ;   in Loop: Header=BB6_5830 Depth=4
	s_or_b32 exec_lo, exec_lo, s78
	v_add_nc_u32_e32 v1, 0xffffff81, v7
	v_lshrrev_b32_e32 v3, 23, v0
	s_mov_b32 s13, exec_lo
	s_delay_alu instid0(VALU_DEP_2) | instskip(NEXT) | instid1(VALU_DEP_1)
	v_cndmask_b32_e64 v1, v1, 0xffffff82, vcc_lo
	v_add3_u32 v7, v9, v1, v3
	v_and_b32_e32 v1, 0x1fffff, v2
                                        ; implicit-def: $vgpr2
	s_delay_alu instid0(VALU_DEP_1) | instskip(SKIP_1) | instid1(VALU_DEP_2)
	v_dual_add_nc_u32 v3, 14, v7 :: v_dual_add_nc_u32 v0, v1, v0
	v_mov_b32_e32 v1, v113
	v_cmpx_ne_u32_e32 0, v3
	s_xor_b32 s13, exec_lo, s13
; %bb.7654:                             ;   in Loop: Header=BB6_5830 Depth=4
	s_delay_alu instid0(VALU_DEP_2) | instskip(SKIP_1) | instid1(VALU_DEP_1)
	v_cmp_lt_u64_e32 vcc_lo, 0xffffff, v[0:1]
	v_add_nc_u32_e32 v2, 15, v7
	v_cndmask_b32_e32 v2, v3, v2, vcc_lo
	v_cndmask_b32_e64 v3, 0, 1, vcc_lo
	s_delay_alu instid0(VALU_DEP_1)
	v_lshrrev_b64 v[0:1], v3, v[0:1]
; %bb.7655:                             ;   in Loop: Header=BB6_5830 Depth=4
	s_and_not1_saveexec_b32 s13, s13
; %bb.7656:                             ;   in Loop: Header=BB6_5830 Depth=4
	s_delay_alu instid0(VALU_DEP_1)
	v_bfe_u32 v2, v0, 23, 1
; %bb.7657:                             ;   in Loop: Header=BB6_5830 Depth=4
	s_or_b32 exec_lo, exec_lo, s13
	s_delay_alu instid0(VALU_DEP_2) | instskip(NEXT) | instid1(VALU_DEP_2)
	v_lshrrev_b64 v[0:1], 21, v[0:1]
	v_cmp_gt_i32_e32 vcc_lo, 32, v2
	v_min_i32_e32 v3, 31, v2
	v_cmp_eq_u32_e64 s13, 0, v2
	s_delay_alu instid0(VALU_DEP_2) | instskip(SKIP_1) | instid1(VALU_DEP_2)
	v_dual_cndmask_b32 v1, 0, v1, vcc_lo :: v_dual_lshlrev_b32 v3, 2, v3
	v_cndmask_b32_e32 v0, 3, v0, vcc_lo
	v_and_b32_e32 v3, 0xfc, v3
	s_delay_alu instid0(VALU_DEP_2) | instskip(NEXT) | instid1(VALU_DEP_2)
	v_cmp_eq_u64_e32 vcc_lo, 0, v[0:1]
	v_and_or_b32 v0, v0, 3, v3
	s_and_b32 s13, s13, vcc_lo
	s_delay_alu instid0(VALU_DEP_1) | instid1(SALU_CYCLE_1)
	v_cndmask_b32_e64 v0, v0, 0, s13
	s_delay_alu instid0(VALU_DEP_1)
	v_or_b32_e32 v7, v0, v8
.LBB6_7658:                             ;   in Loop: Header=BB6_5830 Depth=4
	s_or_b32 exec_lo, exec_lo, s77
                                        ; implicit-def: $vgpr8
.LBB6_7659:                             ;   in Loop: Header=BB6_5830 Depth=4
	s_and_not1_saveexec_b32 s13, s76
; %bb.7660:                             ;   in Loop: Header=BB6_5830 Depth=4
	v_or_b32_e32 v7, 0x7b, v8
; %bb.7661:                             ;   in Loop: Header=BB6_5830 Depth=4
	s_or_b32 exec_lo, exec_lo, s13
                                        ; implicit-def: $vgpr2
                                        ; implicit-def: $vgpr0_vgpr1
                                        ; implicit-def: $vgpr3
.LBB6_7662:                             ;   in Loop: Header=BB6_5830 Depth=4
	s_and_not1_saveexec_b32 s13, s75
	s_cbranch_execz .LBB6_7668
; %bb.7663:                             ;   in Loop: Header=BB6_5830 Depth=4
	s_mov_b32 s75, exec_lo
                                        ; implicit-def: $vgpr7
	v_cmpx_ne_u64_e32 0, v[0:1]
	s_xor_b32 s75, exec_lo, s75
; %bb.7664:                             ;   in Loop: Header=BB6_5830 Depth=4
	v_or_b32_e32 v7, 0x7f, v3
                                        ; implicit-def: $vgpr2
; %bb.7665:                             ;   in Loop: Header=BB6_5830 Depth=4
	s_and_not1_saveexec_b32 s75, s75
; %bb.7666:                             ;   in Loop: Header=BB6_5830 Depth=4
	v_cmp_lt_i32_e32 vcc_lo, -1, v2
	v_mov_b32_e32 v0, 0x7c
	s_delay_alu instid0(VALU_DEP_1)
	v_cndmask_b32_e32 v7, 0xfc, v0, vcc_lo
; %bb.7667:                             ;   in Loop: Header=BB6_5830 Depth=4
	s_or_b32 exec_lo, exec_lo, s75
.LBB6_7668:                             ;   in Loop: Header=BB6_5830 Depth=4
	s_delay_alu instid0(SALU_CYCLE_1) | instskip(SKIP_3) | instid1(VALU_DEP_2)
	s_or_b32 exec_lo, exec_lo, s13
	v_lshrrev_b16 v0, 8, v112
	v_mov_b32_e32 v1, 0
	s_mov_b32 s75, exec_lo
	v_cmpx_ne_u16_e32 0, v0
	s_cbranch_execz .LBB6_7678
; %bb.7669:                             ;   in Loop: Header=BB6_5830 Depth=4
	v_bfrev_b32_e32 v1, 1
	s_mov_b32 s76, exec_lo
	v_cmpx_ne_u16_e32 0x80, v0
	s_cbranch_execz .LBB6_7677
; %bb.7670:                             ;   in Loop: Header=BB6_5830 Depth=4
	v_and_b32_e32 v3, 0xffff, v0
	s_delay_alu instid0(VALU_DEP_1) | instskip(SKIP_1) | instid1(VALU_DEP_2)
	v_and_b32_e32 v1, 0x7c, v3
	v_and_b32_e32 v2, 3, v3
	v_cmp_ne_u32_e32 vcc_lo, 0x7c, v1
                                        ; implicit-def: $vgpr1
	s_and_saveexec_b32 s13, vcc_lo
	s_delay_alu instid0(SALU_CYCLE_1)
	s_xor_b32 s13, exec_lo, s13
	s_cbranch_execz .LBB6_7674
; %bb.7671:                             ;   in Loop: Header=BB6_5830 Depth=4
	v_bfe_u32 v1, v3, 2, 5
	s_mov_b32 s77, exec_lo
	s_delay_alu instid0(VALU_DEP_1)
	v_cmpx_eq_u32_e32 0, v1
; %bb.7672:                             ;   in Loop: Header=BB6_5830 Depth=4
	v_clz_i32_u32_e32 v1, v2
	s_delay_alu instid0(VALU_DEP_1) | instskip(SKIP_1) | instid1(VALU_DEP_2)
	v_min_u32_e32 v2, 32, v1
	v_mov_b32_e32 v1, v113
	v_subrev_nc_u32_e32 v3, 29, v2
	s_delay_alu instid0(VALU_DEP_1) | instskip(NEXT) | instid1(VALU_DEP_1)
	v_lshlrev_b64_e32 v[0:1], v3, v[0:1]
	v_dual_sub_nc_u32 v1, 30, v2 :: v_dual_bitop2_b32 v2, 3, v0 bitop3:0x40
; %bb.7673:                             ;   in Loop: Header=BB6_5830 Depth=4
	s_or_b32 exec_lo, exec_lo, s77
	v_lshlrev_b32_e32 v0, 16, v112
	s_delay_alu instid0(VALU_DEP_1) | instskip(NEXT) | instid1(VALU_DEP_1)
	v_and_b32_e32 v0, 0x80000000, v0
	v_lshl_add_u32 v0, v1, 23, v0
	s_delay_alu instid0(VALU_DEP_1) | instskip(NEXT) | instid1(VALU_DEP_1)
	v_lshl_or_b32 v0, v2, 21, v0
                                        ; implicit-def: $vgpr2
	v_add_nc_u32_e32 v1, 0x38000000, v0
.LBB6_7674:                             ;   in Loop: Header=BB6_5830 Depth=4
	s_and_not1_saveexec_b32 s77, s13
; %bb.7675:                             ;   in Loop: Header=BB6_5830 Depth=4
	v_cmp_lt_i16_e64 s13, -1, v112
	v_mov_b32_e32 v0, 0x7f800000
	v_cmp_eq_u32_e32 vcc_lo, 0, v2
	s_delay_alu instid0(VALU_DEP_2) | instskip(NEXT) | instid1(VALU_DEP_1)
	v_cndmask_b32_e64 v0, 0xff800000, v0, s13
	v_cndmask_b32_e32 v1, 0x7f800001, v0, vcc_lo
; %bb.7676:                             ;   in Loop: Header=BB6_5830 Depth=4
	s_or_b32 exec_lo, exec_lo, s77
.LBB6_7677:                             ;   in Loop: Header=BB6_5830 Depth=4
	s_delay_alu instid0(SALU_CYCLE_1)
	s_or_b32 exec_lo, exec_lo, s76
.LBB6_7678:                             ;   in Loop: Header=BB6_5830 Depth=4
	s_delay_alu instid0(SALU_CYCLE_1) | instskip(NEXT) | instid1(VALU_DEP_1)
	s_or_b32 exec_lo, exec_lo, s75
	v_dual_mul_f32 v0, s74, v1 :: v_dual_mov_b32 v3, v113
                                        ; implicit-def: $vgpr26
	s_mov_b32 s13, exec_lo
	s_delay_alu instid0(VALU_DEP_1) | instskip(SKIP_2) | instid1(VALU_DEP_3)
	v_and_b32_e32 v2, 0x7f800000, v0
	v_and_b32_e32 v112, 0x7fffff, v0
	v_lshrrev_b32_e32 v1, 24, v0
	v_cmpx_ne_u64_e32 0x7f800000, v[2:3]
	s_xor_b32 s75, exec_lo, s13
	s_cbranch_execz .LBB6_7692
; %bb.7679:                             ;   in Loop: Header=BB6_5830 Depth=4
	v_and_b32_e32 v2, 0x7fffffff, v0
	v_mov_b32_e32 v3, v113
	v_and_b32_e32 v8, 0x80, v1
                                        ; implicit-def: $vgpr26
	s_mov_b32 s13, exec_lo
	s_delay_alu instid0(VALU_DEP_2)
	v_cmpx_gt_u64_e32 0x47600001, v[2:3]
	s_xor_b32 s76, exec_lo, s13
	s_cbranch_execz .LBB6_7689
; %bb.7680:                             ;   in Loop: Header=BB6_5830 Depth=4
	v_mov_b32_e32 v26, 0
	s_mov_b32 s77, exec_lo
	v_cmpx_ne_u32_e32 0, v0
	s_cbranch_execz .LBB6_7688
; %bb.7681:                             ;   in Loop: Header=BB6_5830 Depth=4
	v_bfe_u32 v9, v0, 23, 8
	v_or_b32_e32 v1, 0x800000, v112
	s_delay_alu instid0(VALU_DEP_2) | instskip(SKIP_2) | instid1(VALU_DEP_2)
	v_cmp_gt_u32_e64 s13, 0x72, v9
	v_sub_nc_u32_e32 v0, 0x71, v9
	v_cmp_eq_u32_e32 vcc_lo, 0, v9
	v_cndmask_b32_e64 v0, 0, v0, s13
	s_delay_alu instid0(VALU_DEP_1) | instskip(SKIP_1) | instid1(VALU_DEP_2)
	v_cndmask_b32_e64 v12, v0, 0x70, vcc_lo
	v_cndmask_b32_e32 v0, v1, v112, vcc_lo
	v_dual_mov_b32 v1, v113 :: v_dual_add_nc_u32 v2, 21, v12
	v_add_nc_u32_e32 v13, 20, v12
	s_delay_alu instid0(VALU_DEP_2) | instskip(NEXT) | instid1(VALU_DEP_2)
	v_lshlrev_b64_e64 v[2:3], v2, -1
	v_lshlrev_b64_e64 v[14:15], v13, 1
	s_delay_alu instid0(VALU_DEP_2) | instskip(SKIP_1) | instid1(VALU_DEP_4)
	v_bfi_b32 v2, v2, 0, v0
	v_lshrrev_b64 v[0:1], v12, v[0:1]
	v_bfi_b32 v3, v3, 0, 0
	s_delay_alu instid0(VALU_DEP_1) | instskip(NEXT) | instid1(VALU_DEP_3)
	v_cmp_eq_u64_e64 s13, v[2:3], v[14:15]
	v_mov_b64_e32 v[2:3], v[0:1]
	s_and_saveexec_b32 s78, s13
; %bb.7682:                             ;   in Loop: Header=BB6_5830 Depth=4
	v_bfe_u32 v2, v0, 21, 1
	v_mov_b32_e32 v3, v113
	s_delay_alu instid0(VALU_DEP_1) | instskip(NEXT) | instid1(VALU_DEP_1)
	v_add_nc_u64_e32 v[2:3], v[0:1], v[2:3]
	v_add_nc_u64_e32 v[2:3], -1, v[2:3]
; %bb.7683:                             ;   in Loop: Header=BB6_5830 Depth=4
	s_or_b32 exec_lo, exec_lo, s78
	v_add_nc_u32_e32 v1, 0xffffff81, v9
	v_lshrrev_b32_e32 v3, 23, v0
	s_mov_b32 s13, exec_lo
	s_delay_alu instid0(VALU_DEP_2) | instskip(NEXT) | instid1(VALU_DEP_1)
	v_cndmask_b32_e64 v1, v1, 0xffffff82, vcc_lo
	v_add3_u32 v9, v12, v1, v3
	v_and_b32_e32 v1, 0x1fffff, v2
                                        ; implicit-def: $vgpr2
	s_delay_alu instid0(VALU_DEP_1) | instskip(NEXT) | instid1(VALU_DEP_1)
	v_dual_add_nc_u32 v3, 14, v9 :: v_dual_add_nc_u32 v112, v1, v0
                                        ; implicit-def: $vgpr0_vgpr1
	v_cmpx_ne_u32_e32 0, v3
	s_xor_b32 s13, exec_lo, s13
; %bb.7684:                             ;   in Loop: Header=BB6_5830 Depth=4
	s_delay_alu instid0(VALU_DEP_2) | instskip(SKIP_1) | instid1(VALU_DEP_1)
	v_cmp_lt_u64_e32 vcc_lo, 0xffffff, v[112:113]
	v_add_nc_u32_e32 v0, 15, v9
	v_cndmask_b32_e32 v2, v3, v0, vcc_lo
	v_cndmask_b32_e64 v0, 0, 1, vcc_lo
	s_delay_alu instid0(VALU_DEP_1)
	v_lshrrev_b64 v[0:1], v0, v[112:113]
; %bb.7685:                             ;   in Loop: Header=BB6_5830 Depth=4
	s_and_not1_saveexec_b32 s13, s13
; %bb.7686:                             ;   in Loop: Header=BB6_5830 Depth=4
	v_mov_b64_e32 v[0:1], v[112:113]
	v_bfe_u32 v2, v112, 23, 1
; %bb.7687:                             ;   in Loop: Header=BB6_5830 Depth=4
	s_or_b32 exec_lo, exec_lo, s13
	s_delay_alu instid0(VALU_DEP_2) | instskip(NEXT) | instid1(VALU_DEP_2)
	v_lshrrev_b64 v[0:1], 21, v[0:1]
	v_cmp_gt_i32_e32 vcc_lo, 32, v2
	v_min_i32_e32 v3, 31, v2
	v_cmp_eq_u32_e64 s13, 0, v2
	s_delay_alu instid0(VALU_DEP_2) | instskip(SKIP_1) | instid1(VALU_DEP_2)
	v_dual_cndmask_b32 v1, 0, v1, vcc_lo :: v_dual_lshlrev_b32 v3, 2, v3
	v_cndmask_b32_e32 v0, 3, v0, vcc_lo
	v_and_b32_e32 v3, 0xfc, v3
	s_delay_alu instid0(VALU_DEP_2) | instskip(NEXT) | instid1(VALU_DEP_2)
	v_cmp_eq_u64_e32 vcc_lo, 0, v[0:1]
	v_and_or_b32 v0, v0, 3, v3
	s_and_b32 s13, s13, vcc_lo
	s_delay_alu instid0(VALU_DEP_1) | instid1(SALU_CYCLE_1)
	v_cndmask_b32_e64 v0, v0, 0, s13
	s_delay_alu instid0(VALU_DEP_1)
	v_or_b32_e32 v26, v0, v8
.LBB6_7688:                             ;   in Loop: Header=BB6_5830 Depth=4
	s_or_b32 exec_lo, exec_lo, s77
                                        ; implicit-def: $vgpr8
.LBB6_7689:                             ;   in Loop: Header=BB6_5830 Depth=4
	s_and_not1_saveexec_b32 s13, s76
; %bb.7690:                             ;   in Loop: Header=BB6_5830 Depth=4
	v_or_b32_e32 v26, 0x7b, v8
; %bb.7691:                             ;   in Loop: Header=BB6_5830 Depth=4
	s_or_b32 exec_lo, exec_lo, s13
                                        ; implicit-def: $vgpr0
                                        ; implicit-def: $vgpr1
.LBB6_7692:                             ;   in Loop: Header=BB6_5830 Depth=4
	s_and_not1_saveexec_b32 s13, s75
	s_cbranch_execz .LBB6_7698
; %bb.7693:                             ;   in Loop: Header=BB6_5830 Depth=4
	s_mov_b32 s75, exec_lo
                                        ; implicit-def: $vgpr26
	v_cmpx_ne_u64_e32 0, v[112:113]
	s_xor_b32 s75, exec_lo, s75
; %bb.7694:                             ;   in Loop: Header=BB6_5830 Depth=4
	v_or_b32_e32 v26, 0x7f, v1
                                        ; implicit-def: $vgpr0
; %bb.7695:                             ;   in Loop: Header=BB6_5830 Depth=4
	s_and_not1_saveexec_b32 s75, s75
; %bb.7696:                             ;   in Loop: Header=BB6_5830 Depth=4
	v_cmp_lt_i32_e32 vcc_lo, -1, v0
	v_mov_b32_e32 v0, 0x7c
	s_delay_alu instid0(VALU_DEP_1)
	v_cndmask_b32_e32 v26, 0xfc, v0, vcc_lo
; %bb.7697:                             ;   in Loop: Header=BB6_5830 Depth=4
	s_or_b32 exec_lo, exec_lo, s75
.LBB6_7698:                             ;   in Loop: Header=BB6_5830 Depth=4
	s_delay_alu instid0(SALU_CYCLE_1) | instskip(SKIP_2) | instid1(VALU_DEP_1)
	s_or_b32 exec_lo, exec_lo, s13
	v_dual_mov_b32 v1, 0 :: v_dual_lshrrev_b32 v0, 16, v11
	s_mov_b32 s75, exec_lo
	v_and_b32_e32 v2, 0xff, v0
	s_delay_alu instid0(VALU_DEP_1)
	v_cmpx_ne_u16_e32 0, v2
	s_cbranch_execz .LBB6_7708
; %bb.7699:                             ;   in Loop: Header=BB6_5830 Depth=4
	v_bfrev_b32_e32 v1, 1
	s_mov_b32 s76, exec_lo
	v_cmpx_ne_u16_e32 0x80, v2
	s_cbranch_execz .LBB6_7707
; %bb.7700:                             ;   in Loop: Header=BB6_5830 Depth=4
	v_and_b32_e32 v1, 0x7c0000, v11
	v_bfe_u32 v2, v11, 16, 2
	s_delay_alu instid0(VALU_DEP_2) | instskip(SKIP_1) | instid1(SALU_CYCLE_1)
	v_cmp_ne_u32_e32 vcc_lo, 0x7c0000, v1
                                        ; implicit-def: $vgpr1
	s_and_saveexec_b32 s13, vcc_lo
	s_xor_b32 s13, exec_lo, s13
	s_cbranch_execz .LBB6_7704
; %bb.7701:                             ;   in Loop: Header=BB6_5830 Depth=4
	v_bfe_u32 v1, v11, 18, 5
	s_mov_b32 s77, exec_lo
	s_delay_alu instid0(VALU_DEP_1)
	v_cmpx_eq_u32_e32 0, v1
; %bb.7702:                             ;   in Loop: Header=BB6_5830 Depth=4
	v_clz_i32_u32_e32 v1, v2
	s_delay_alu instid0(VALU_DEP_1) | instskip(NEXT) | instid1(VALU_DEP_1)
	v_min_u32_e32 v1, 32, v1
	v_subrev_nc_u32_e32 v2, 29, v1
	s_delay_alu instid0(VALU_DEP_1) | instskip(NEXT) | instid1(VALU_DEP_1)
	v_lshlrev_b64_e32 v[2:3], v2, v[0:1]
	v_dual_sub_nc_u32 v1, 30, v1 :: v_dual_bitop2_b32 v2, 3, v2 bitop3:0x40
; %bb.7703:                             ;   in Loop: Header=BB6_5830 Depth=4
	s_or_b32 exec_lo, exec_lo, s77
	v_lshlrev_b32_e32 v0, 24, v0
	s_delay_alu instid0(VALU_DEP_1) | instskip(NEXT) | instid1(VALU_DEP_1)
	v_and_b32_e32 v0, 0x80000000, v0
	v_lshl_add_u32 v0, v1, 23, v0
	s_delay_alu instid0(VALU_DEP_1) | instskip(NEXT) | instid1(VALU_DEP_1)
	v_lshl_or_b32 v0, v2, 21, v0
                                        ; implicit-def: $vgpr2
	v_add_nc_u32_e32 v1, 0x38000000, v0
                                        ; implicit-def: $vgpr0
.LBB6_7704:                             ;   in Loop: Header=BB6_5830 Depth=4
	s_and_not1_saveexec_b32 s77, s13
; %bb.7705:                             ;   in Loop: Header=BB6_5830 Depth=4
	v_bfe_i32 v0, v0, 0, 8
	v_cmp_eq_u32_e32 vcc_lo, 0, v2
	s_delay_alu instid0(VALU_DEP_2) | instskip(SKIP_1) | instid1(VALU_DEP_1)
	v_cmp_lt_i16_e64 s13, -1, v0
	v_mov_b32_e32 v0, 0x7f800000
	v_cndmask_b32_e64 v0, 0xff800000, v0, s13
	s_delay_alu instid0(VALU_DEP_1)
	v_cndmask_b32_e32 v1, 0x7f800001, v0, vcc_lo
; %bb.7706:                             ;   in Loop: Header=BB6_5830 Depth=4
	s_or_b32 exec_lo, exec_lo, s77
.LBB6_7707:                             ;   in Loop: Header=BB6_5830 Depth=4
	s_delay_alu instid0(SALU_CYCLE_1)
	s_or_b32 exec_lo, exec_lo, s76
.LBB6_7708:                             ;   in Loop: Header=BB6_5830 Depth=4
	s_delay_alu instid0(SALU_CYCLE_1) | instskip(NEXT) | instid1(VALU_DEP_1)
	s_or_b32 exec_lo, exec_lo, s75
	v_dual_mul_f32 v0, s74, v1 :: v_dual_mov_b32 v3, v113
                                        ; implicit-def: $vgpr29
	s_mov_b32 s13, exec_lo
	s_delay_alu instid0(VALU_DEP_1) | instskip(SKIP_2) | instid1(VALU_DEP_3)
	v_and_b32_e32 v2, 0x7f800000, v0
	v_and_b32_e32 v112, 0x7fffff, v0
	v_lshrrev_b32_e32 v1, 24, v0
	v_cmpx_ne_u64_e32 0x7f800000, v[2:3]
	s_xor_b32 s75, exec_lo, s13
	s_cbranch_execz .LBB6_7722
; %bb.7709:                             ;   in Loop: Header=BB6_5830 Depth=4
	v_and_b32_e32 v2, 0x7fffffff, v0
	v_mov_b32_e32 v3, v113
	v_and_b32_e32 v8, 0x80, v1
                                        ; implicit-def: $vgpr29
	s_mov_b32 s13, exec_lo
	s_delay_alu instid0(VALU_DEP_2)
	v_cmpx_gt_u64_e32 0x47600001, v[2:3]
	s_xor_b32 s76, exec_lo, s13
	s_cbranch_execz .LBB6_7719
; %bb.7710:                             ;   in Loop: Header=BB6_5830 Depth=4
	v_mov_b32_e32 v29, 0
	s_mov_b32 s77, exec_lo
	v_cmpx_ne_u32_e32 0, v0
	s_cbranch_execz .LBB6_7718
; %bb.7711:                             ;   in Loop: Header=BB6_5830 Depth=4
	v_bfe_u32 v9, v0, 23, 8
	v_or_b32_e32 v1, 0x800000, v112
	s_delay_alu instid0(VALU_DEP_2) | instskip(SKIP_2) | instid1(VALU_DEP_2)
	v_cmp_gt_u32_e64 s13, 0x72, v9
	v_sub_nc_u32_e32 v0, 0x71, v9
	v_cmp_eq_u32_e32 vcc_lo, 0, v9
	v_cndmask_b32_e64 v0, 0, v0, s13
	s_delay_alu instid0(VALU_DEP_1) | instskip(SKIP_1) | instid1(VALU_DEP_2)
	v_cndmask_b32_e64 v12, v0, 0x70, vcc_lo
	v_cndmask_b32_e32 v0, v1, v112, vcc_lo
	v_dual_mov_b32 v1, v113 :: v_dual_add_nc_u32 v2, 21, v12
	v_add_nc_u32_e32 v13, 20, v12
	s_delay_alu instid0(VALU_DEP_2) | instskip(NEXT) | instid1(VALU_DEP_2)
	v_lshlrev_b64_e64 v[2:3], v2, -1
	v_lshlrev_b64_e64 v[14:15], v13, 1
	s_delay_alu instid0(VALU_DEP_2) | instskip(SKIP_1) | instid1(VALU_DEP_4)
	v_bfi_b32 v2, v2, 0, v0
	v_lshrrev_b64 v[0:1], v12, v[0:1]
	v_bfi_b32 v3, v3, 0, 0
	s_delay_alu instid0(VALU_DEP_1) | instskip(NEXT) | instid1(VALU_DEP_3)
	v_cmp_eq_u64_e64 s13, v[2:3], v[14:15]
	v_mov_b64_e32 v[2:3], v[0:1]
	s_and_saveexec_b32 s78, s13
; %bb.7712:                             ;   in Loop: Header=BB6_5830 Depth=4
	v_bfe_u32 v2, v0, 21, 1
	v_mov_b32_e32 v3, v113
	s_delay_alu instid0(VALU_DEP_1) | instskip(NEXT) | instid1(VALU_DEP_1)
	v_add_nc_u64_e32 v[2:3], v[0:1], v[2:3]
	v_add_nc_u64_e32 v[2:3], -1, v[2:3]
; %bb.7713:                             ;   in Loop: Header=BB6_5830 Depth=4
	s_or_b32 exec_lo, exec_lo, s78
	v_add_nc_u32_e32 v1, 0xffffff81, v9
	v_lshrrev_b32_e32 v3, 23, v0
	s_mov_b32 s13, exec_lo
	s_delay_alu instid0(VALU_DEP_2) | instskip(NEXT) | instid1(VALU_DEP_1)
	v_cndmask_b32_e64 v1, v1, 0xffffff82, vcc_lo
	v_add3_u32 v9, v12, v1, v3
	v_and_b32_e32 v1, 0x1fffff, v2
                                        ; implicit-def: $vgpr2
	s_delay_alu instid0(VALU_DEP_1) | instskip(NEXT) | instid1(VALU_DEP_1)
	v_dual_add_nc_u32 v3, 14, v9 :: v_dual_add_nc_u32 v112, v1, v0
                                        ; implicit-def: $vgpr0_vgpr1
	v_cmpx_ne_u32_e32 0, v3
	s_xor_b32 s13, exec_lo, s13
; %bb.7714:                             ;   in Loop: Header=BB6_5830 Depth=4
	s_delay_alu instid0(VALU_DEP_2) | instskip(SKIP_1) | instid1(VALU_DEP_1)
	v_cmp_lt_u64_e32 vcc_lo, 0xffffff, v[112:113]
	v_add_nc_u32_e32 v0, 15, v9
	v_cndmask_b32_e32 v2, v3, v0, vcc_lo
	v_cndmask_b32_e64 v0, 0, 1, vcc_lo
	s_delay_alu instid0(VALU_DEP_1)
	v_lshrrev_b64 v[0:1], v0, v[112:113]
; %bb.7715:                             ;   in Loop: Header=BB6_5830 Depth=4
	s_and_not1_saveexec_b32 s13, s13
; %bb.7716:                             ;   in Loop: Header=BB6_5830 Depth=4
	v_mov_b64_e32 v[0:1], v[112:113]
	v_bfe_u32 v2, v112, 23, 1
; %bb.7717:                             ;   in Loop: Header=BB6_5830 Depth=4
	s_or_b32 exec_lo, exec_lo, s13
	s_delay_alu instid0(VALU_DEP_2) | instskip(NEXT) | instid1(VALU_DEP_2)
	v_lshrrev_b64 v[0:1], 21, v[0:1]
	v_cmp_gt_i32_e32 vcc_lo, 32, v2
	v_min_i32_e32 v3, 31, v2
	v_cmp_eq_u32_e64 s13, 0, v2
	s_delay_alu instid0(VALU_DEP_2) | instskip(SKIP_1) | instid1(VALU_DEP_2)
	v_dual_cndmask_b32 v1, 0, v1, vcc_lo :: v_dual_lshlrev_b32 v3, 2, v3
	v_cndmask_b32_e32 v0, 3, v0, vcc_lo
	v_and_b32_e32 v3, 0xfc, v3
	s_delay_alu instid0(VALU_DEP_2) | instskip(NEXT) | instid1(VALU_DEP_2)
	v_cmp_eq_u64_e32 vcc_lo, 0, v[0:1]
	v_and_or_b32 v0, v0, 3, v3
	s_and_b32 s13, s13, vcc_lo
	s_delay_alu instid0(VALU_DEP_1) | instid1(SALU_CYCLE_1)
	v_cndmask_b32_e64 v0, v0, 0, s13
	s_delay_alu instid0(VALU_DEP_1)
	v_or_b32_e32 v29, v0, v8
.LBB6_7718:                             ;   in Loop: Header=BB6_5830 Depth=4
	s_or_b32 exec_lo, exec_lo, s77
                                        ; implicit-def: $vgpr8
.LBB6_7719:                             ;   in Loop: Header=BB6_5830 Depth=4
	s_and_not1_saveexec_b32 s13, s76
; %bb.7720:                             ;   in Loop: Header=BB6_5830 Depth=4
	v_or_b32_e32 v29, 0x7b, v8
; %bb.7721:                             ;   in Loop: Header=BB6_5830 Depth=4
	s_or_b32 exec_lo, exec_lo, s13
                                        ; implicit-def: $vgpr0
                                        ; implicit-def: $vgpr1
.LBB6_7722:                             ;   in Loop: Header=BB6_5830 Depth=4
	s_and_not1_saveexec_b32 s13, s75
	s_cbranch_execz .LBB6_7728
; %bb.7723:                             ;   in Loop: Header=BB6_5830 Depth=4
	s_mov_b32 s75, exec_lo
                                        ; implicit-def: $vgpr29
	v_cmpx_ne_u64_e32 0, v[112:113]
	s_xor_b32 s75, exec_lo, s75
; %bb.7724:                             ;   in Loop: Header=BB6_5830 Depth=4
	v_or_b32_e32 v29, 0x7f, v1
                                        ; implicit-def: $vgpr0
; %bb.7725:                             ;   in Loop: Header=BB6_5830 Depth=4
	s_and_not1_saveexec_b32 s75, s75
; %bb.7726:                             ;   in Loop: Header=BB6_5830 Depth=4
	v_cmp_lt_i32_e32 vcc_lo, -1, v0
	v_mov_b32_e32 v0, 0x7c
	s_delay_alu instid0(VALU_DEP_1)
	v_cndmask_b32_e32 v29, 0xfc, v0, vcc_lo
; %bb.7727:                             ;   in Loop: Header=BB6_5830 Depth=4
	s_or_b32 exec_lo, exec_lo, s75
.LBB6_7728:                             ;   in Loop: Header=BB6_5830 Depth=4
	s_delay_alu instid0(SALU_CYCLE_1)
	s_or_b32 exec_lo, exec_lo, s13
	v_mov_b32_e32 v1, 0
	s_mov_b32 s75, exec_lo
	v_cmpx_lt_u64_e64 s[22:23], v[10:11]
	s_cbranch_execz .LBB6_7738
; %bb.7729:                             ;   in Loop: Header=BB6_5830 Depth=4
	v_lshrrev_b32_e32 v0, 24, v11
	v_bfrev_b32_e32 v1, 1
	s_mov_b32 s76, exec_lo
	s_delay_alu instid0(VALU_DEP_2)
	v_cmpx_ne_u32_e32 0x80, v0
	s_cbranch_execz .LBB6_7737
; %bb.7730:                             ;   in Loop: Header=BB6_5830 Depth=4
	v_and_b32_e32 v1, 0x7c000000, v11
	v_bfe_u32 v2, v11, 24, 2
	s_delay_alu instid0(VALU_DEP_2) | instskip(SKIP_1) | instid1(SALU_CYCLE_1)
	v_cmp_ne_u32_e32 vcc_lo, 0x7c000000, v1
                                        ; implicit-def: $vgpr1
	s_and_saveexec_b32 s13, vcc_lo
	s_xor_b32 s13, exec_lo, s13
	s_cbranch_execz .LBB6_7734
; %bb.7731:                             ;   in Loop: Header=BB6_5830 Depth=4
	v_bfe_u32 v1, v11, 26, 5
	s_mov_b32 s77, exec_lo
	s_delay_alu instid0(VALU_DEP_1)
	v_cmpx_eq_u32_e32 0, v1
; %bb.7732:                             ;   in Loop: Header=BB6_5830 Depth=4
	v_clz_i32_u32_e32 v1, v2
	s_delay_alu instid0(VALU_DEP_1) | instskip(NEXT) | instid1(VALU_DEP_1)
	v_min_u32_e32 v2, 32, v1
	v_subrev_nc_u32_e32 v1, 29, v2
	s_delay_alu instid0(VALU_DEP_1) | instskip(NEXT) | instid1(VALU_DEP_1)
	v_lshlrev_b64_e32 v[0:1], v1, v[0:1]
	v_dual_sub_nc_u32 v1, 30, v2 :: v_dual_bitop2_b32 v2, 3, v0 bitop3:0x40
; %bb.7733:                             ;   in Loop: Header=BB6_5830 Depth=4
	s_or_b32 exec_lo, exec_lo, s77
	v_and_b32_e32 v0, 0x80000000, v11
                                        ; implicit-def: $vgpr10_vgpr11
	s_delay_alu instid0(VALU_DEP_1) | instskip(NEXT) | instid1(VALU_DEP_1)
	v_lshl_add_u32 v0, v1, 23, v0
	v_lshl_or_b32 v0, v2, 21, v0
                                        ; implicit-def: $vgpr2
	s_delay_alu instid0(VALU_DEP_1)
	v_add_nc_u32_e32 v1, 0x38000000, v0
.LBB6_7734:                             ;   in Loop: Header=BB6_5830 Depth=4
	s_and_not1_saveexec_b32 s77, s13
; %bb.7735:                             ;   in Loop: Header=BB6_5830 Depth=4
	v_cmp_lt_i64_e64 s13, -1, v[10:11]
	v_mov_b32_e32 v0, 0x7f800000
	v_cmp_eq_u32_e32 vcc_lo, 0, v2
	s_delay_alu instid0(VALU_DEP_2) | instskip(NEXT) | instid1(VALU_DEP_1)
	v_cndmask_b32_e64 v0, 0xff800000, v0, s13
	v_cndmask_b32_e32 v1, 0x7f800001, v0, vcc_lo
; %bb.7736:                             ;   in Loop: Header=BB6_5830 Depth=4
	s_or_b32 exec_lo, exec_lo, s77
.LBB6_7737:                             ;   in Loop: Header=BB6_5830 Depth=4
	s_delay_alu instid0(SALU_CYCLE_1)
	s_or_b32 exec_lo, exec_lo, s76
.LBB6_7738:                             ;   in Loop: Header=BB6_5830 Depth=4
	s_delay_alu instid0(SALU_CYCLE_1) | instskip(NEXT) | instid1(VALU_DEP_1)
	s_or_b32 exec_lo, exec_lo, s75
	v_dual_mul_f32 v0, s74, v1 :: v_dual_mov_b32 v3, v113
                                        ; implicit-def: $vgpr33
	s_mov_b32 s13, exec_lo
	s_delay_alu instid0(VALU_DEP_1) | instskip(SKIP_2) | instid1(VALU_DEP_3)
	v_and_b32_e32 v2, 0x7f800000, v0
	v_and_b32_e32 v112, 0x7fffff, v0
	v_lshrrev_b32_e32 v1, 24, v0
	v_cmpx_ne_u64_e32 0x7f800000, v[2:3]
	s_xor_b32 s74, exec_lo, s13
	s_cbranch_execz .LBB6_7752
; %bb.7739:                             ;   in Loop: Header=BB6_5830 Depth=4
	v_and_b32_e32 v2, 0x7fffffff, v0
	v_mov_b32_e32 v3, v113
	v_and_b32_e32 v8, 0x80, v1
                                        ; implicit-def: $vgpr33
	s_mov_b32 s13, exec_lo
	s_delay_alu instid0(VALU_DEP_2)
	v_cmpx_gt_u64_e32 0x47600001, v[2:3]
	s_xor_b32 s75, exec_lo, s13
	s_cbranch_execz .LBB6_7749
; %bb.7740:                             ;   in Loop: Header=BB6_5830 Depth=4
	v_mov_b32_e32 v33, 0
	s_mov_b32 s76, exec_lo
	v_cmpx_ne_u32_e32 0, v0
	s_cbranch_execz .LBB6_7748
; %bb.7741:                             ;   in Loop: Header=BB6_5830 Depth=4
	v_bfe_u32 v9, v0, 23, 8
	v_or_b32_e32 v1, 0x800000, v112
	s_delay_alu instid0(VALU_DEP_2) | instskip(SKIP_2) | instid1(VALU_DEP_2)
	v_cmp_gt_u32_e64 s13, 0x72, v9
	v_sub_nc_u32_e32 v0, 0x71, v9
	v_cmp_eq_u32_e32 vcc_lo, 0, v9
	v_cndmask_b32_e64 v0, 0, v0, s13
	s_delay_alu instid0(VALU_DEP_1) | instskip(SKIP_1) | instid1(VALU_DEP_2)
	v_cndmask_b32_e64 v10, v0, 0x70, vcc_lo
	v_cndmask_b32_e32 v0, v1, v112, vcc_lo
	v_dual_mov_b32 v1, v113 :: v_dual_add_nc_u32 v2, 21, v10
	v_add_nc_u32_e32 v11, 20, v10
	s_delay_alu instid0(VALU_DEP_2) | instskip(NEXT) | instid1(VALU_DEP_2)
	v_lshlrev_b64_e64 v[2:3], v2, -1
	v_lshlrev_b64_e64 v[12:13], v11, 1
	s_delay_alu instid0(VALU_DEP_2) | instskip(SKIP_1) | instid1(VALU_DEP_4)
	v_bfi_b32 v2, v2, 0, v0
	v_lshrrev_b64 v[0:1], v10, v[0:1]
	v_bfi_b32 v3, v3, 0, 0
	s_delay_alu instid0(VALU_DEP_1) | instskip(NEXT) | instid1(VALU_DEP_3)
	v_cmp_eq_u64_e64 s13, v[2:3], v[12:13]
	v_mov_b64_e32 v[2:3], v[0:1]
	s_and_saveexec_b32 s77, s13
; %bb.7742:                             ;   in Loop: Header=BB6_5830 Depth=4
	v_bfe_u32 v2, v0, 21, 1
	v_mov_b32_e32 v3, v113
	s_delay_alu instid0(VALU_DEP_1) | instskip(NEXT) | instid1(VALU_DEP_1)
	v_add_nc_u64_e32 v[2:3], v[0:1], v[2:3]
	v_add_nc_u64_e32 v[2:3], -1, v[2:3]
; %bb.7743:                             ;   in Loop: Header=BB6_5830 Depth=4
	s_or_b32 exec_lo, exec_lo, s77
	v_add_nc_u32_e32 v1, 0xffffff81, v9
	v_lshrrev_b32_e32 v3, 23, v0
	s_mov_b32 s13, exec_lo
	s_delay_alu instid0(VALU_DEP_2) | instskip(NEXT) | instid1(VALU_DEP_1)
	v_cndmask_b32_e64 v1, v1, 0xffffff82, vcc_lo
	v_add3_u32 v9, v10, v1, v3
	v_and_b32_e32 v1, 0x1fffff, v2
                                        ; implicit-def: $vgpr2
	s_delay_alu instid0(VALU_DEP_1) | instskip(NEXT) | instid1(VALU_DEP_1)
	v_dual_add_nc_u32 v3, 14, v9 :: v_dual_add_nc_u32 v112, v1, v0
                                        ; implicit-def: $vgpr0_vgpr1
	v_cmpx_ne_u32_e32 0, v3
	s_xor_b32 s13, exec_lo, s13
; %bb.7744:                             ;   in Loop: Header=BB6_5830 Depth=4
	s_delay_alu instid0(VALU_DEP_2) | instskip(SKIP_1) | instid1(VALU_DEP_1)
	v_cmp_lt_u64_e32 vcc_lo, 0xffffff, v[112:113]
	v_add_nc_u32_e32 v0, 15, v9
	v_cndmask_b32_e32 v2, v3, v0, vcc_lo
	v_cndmask_b32_e64 v0, 0, 1, vcc_lo
	s_delay_alu instid0(VALU_DEP_1)
	v_lshrrev_b64 v[0:1], v0, v[112:113]
; %bb.7745:                             ;   in Loop: Header=BB6_5830 Depth=4
	s_and_not1_saveexec_b32 s13, s13
; %bb.7746:                             ;   in Loop: Header=BB6_5830 Depth=4
	v_mov_b64_e32 v[0:1], v[112:113]
	v_bfe_u32 v2, v112, 23, 1
; %bb.7747:                             ;   in Loop: Header=BB6_5830 Depth=4
	s_or_b32 exec_lo, exec_lo, s13
	s_delay_alu instid0(VALU_DEP_2) | instskip(NEXT) | instid1(VALU_DEP_2)
	v_lshrrev_b64 v[0:1], 21, v[0:1]
	v_cmp_gt_i32_e32 vcc_lo, 32, v2
	v_min_i32_e32 v3, 31, v2
	v_cmp_eq_u32_e64 s13, 0, v2
	s_delay_alu instid0(VALU_DEP_2) | instskip(SKIP_1) | instid1(VALU_DEP_2)
	v_dual_cndmask_b32 v1, 0, v1, vcc_lo :: v_dual_lshlrev_b32 v3, 2, v3
	v_cndmask_b32_e32 v0, 3, v0, vcc_lo
	v_and_b32_e32 v3, 0xfc, v3
	s_delay_alu instid0(VALU_DEP_2) | instskip(NEXT) | instid1(VALU_DEP_2)
	v_cmp_eq_u64_e32 vcc_lo, 0, v[0:1]
	v_and_or_b32 v0, v0, 3, v3
	s_and_b32 s13, s13, vcc_lo
	s_delay_alu instid0(VALU_DEP_1) | instid1(SALU_CYCLE_1)
	v_cndmask_b32_e64 v0, v0, 0, s13
	s_delay_alu instid0(VALU_DEP_1)
	v_or_b32_e32 v33, v0, v8
.LBB6_7748:                             ;   in Loop: Header=BB6_5830 Depth=4
	s_or_b32 exec_lo, exec_lo, s76
                                        ; implicit-def: $vgpr8
.LBB6_7749:                             ;   in Loop: Header=BB6_5830 Depth=4
	s_and_not1_saveexec_b32 s13, s75
; %bb.7750:                             ;   in Loop: Header=BB6_5830 Depth=4
	v_or_b32_e32 v33, 0x7b, v8
; %bb.7751:                             ;   in Loop: Header=BB6_5830 Depth=4
	s_or_b32 exec_lo, exec_lo, s13
                                        ; implicit-def: $vgpr0
                                        ; implicit-def: $vgpr1
.LBB6_7752:                             ;   in Loop: Header=BB6_5830 Depth=4
	s_and_not1_saveexec_b32 s13, s74
	s_cbranch_execz .LBB6_7758
; %bb.7753:                             ;   in Loop: Header=BB6_5830 Depth=4
	s_mov_b32 s74, exec_lo
                                        ; implicit-def: $vgpr33
	v_cmpx_ne_u64_e32 0, v[112:113]
	s_xor_b32 s74, exec_lo, s74
; %bb.7754:                             ;   in Loop: Header=BB6_5830 Depth=4
	v_or_b32_e32 v33, 0x7f, v1
                                        ; implicit-def: $vgpr0
; %bb.7755:                             ;   in Loop: Header=BB6_5830 Depth=4
	s_and_not1_saveexec_b32 s74, s74
; %bb.7756:                             ;   in Loop: Header=BB6_5830 Depth=4
	v_cmp_lt_i32_e32 vcc_lo, -1, v0
	v_mov_b32_e32 v0, 0x7c
	s_delay_alu instid0(VALU_DEP_1)
	v_cndmask_b32_e32 v33, 0xfc, v0, vcc_lo
; %bb.7757:                             ;   in Loop: Header=BB6_5830 Depth=4
	s_or_b32 exec_lo, exec_lo, s74
.LBB6_7758:                             ;   in Loop: Header=BB6_5830 Depth=4
	s_delay_alu instid0(SALU_CYCLE_1)
	s_or_b32 exec_lo, exec_lo, s13
	s_clause 0x3
	global_load_b128 v[20:23], v[72:73], off th:TH_LOAD_NT
	global_load_b128 v[16:19], v[72:73], off offset:512 th:TH_LOAD_NT
	global_load_b128 v[12:15], v[72:73], off offset:1024 th:TH_LOAD_NT
	;; [unrolled: 1-line block ×3, first 2 shown]
	v_lshl_or_b32 v24, v24, 8, v6
	v_dual_lshlrev_b32 v0, 16, v27 :: v_dual_lshlrev_b32 v1, 24, v32
	s_mov_b32 s74, exec_lo
	s_delay_alu instid0(VALU_DEP_1)
	v_or3_b32 v112, v0, v1, v24
	v_dual_mov_b32 v0, 0 :: v_dual_mov_b32 v1, 0
	s_wait_xcnt 0x0
	v_cmpx_ne_u32_e32 0, v6
	s_cbranch_execz .LBB6_7768
; %bb.7759:                             ;   in Loop: Header=BB6_5830 Depth=4
	v_bfrev_b32_e32 v1, 1
	s_mov_b32 s75, exec_lo
	v_cmpx_ne_u32_e32 0x80, v6
	s_cbranch_execz .LBB6_7767
; %bb.7760:                             ;   in Loop: Header=BB6_5830 Depth=4
	v_and_b32_e32 v1, 0x7c, v6
	v_and_b32_e32 v2, 3, v6
	s_delay_alu instid0(VALU_DEP_2) | instskip(SKIP_1) | instid1(SALU_CYCLE_1)
	v_cmp_ne_u32_e32 vcc_lo, 0x7c, v1
                                        ; implicit-def: $vgpr1
	s_and_saveexec_b32 s13, vcc_lo
	s_xor_b32 s13, exec_lo, s13
	s_cbranch_execz .LBB6_7764
; %bb.7761:                             ;   in Loop: Header=BB6_5830 Depth=4
	v_bfe_u32 v1, v6, 2, 5
	s_mov_b32 s76, exec_lo
	s_delay_alu instid0(VALU_DEP_1)
	v_cmpx_eq_u32_e32 0, v1
; %bb.7762:                             ;   in Loop: Header=BB6_5830 Depth=4
	v_clz_i32_u32_e32 v1, v2
	s_delay_alu instid0(VALU_DEP_1) | instskip(NEXT) | instid1(VALU_DEP_1)
	v_min_u32_e32 v1, 32, v1
	v_subrev_nc_u32_e32 v2, 29, v1
	s_delay_alu instid0(VALU_DEP_1) | instskip(NEXT) | instid1(VALU_DEP_1)
	v_lshlrev_b64_e32 v[2:3], v2, v[112:113]
	v_dual_sub_nc_u32 v1, 30, v1 :: v_dual_bitop2_b32 v2, 3, v2 bitop3:0x40
; %bb.7763:                             ;   in Loop: Header=BB6_5830 Depth=4
	s_or_b32 exec_lo, exec_lo, s76
	v_lshlrev_b32_e32 v3, 24, v6
                                        ; implicit-def: $vgpr6
	s_delay_alu instid0(VALU_DEP_1) | instskip(NEXT) | instid1(VALU_DEP_1)
	v_and_b32_e32 v3, 0x80000000, v3
	v_lshl_add_u32 v1, v1, 23, v3
	s_delay_alu instid0(VALU_DEP_1) | instskip(NEXT) | instid1(VALU_DEP_1)
	v_lshl_or_b32 v1, v2, 21, v1
                                        ; implicit-def: $vgpr2
	v_add_nc_u32_e32 v1, 0x38000000, v1
.LBB6_7764:                             ;   in Loop: Header=BB6_5830 Depth=4
	s_and_not1_saveexec_b32 s76, s13
; %bb.7765:                             ;   in Loop: Header=BB6_5830 Depth=4
	v_and_b32_e32 v1, 0x80, v6
	v_cmp_eq_u32_e32 vcc_lo, 0, v2
	s_delay_alu instid0(VALU_DEP_2) | instskip(SKIP_1) | instid1(VALU_DEP_1)
	v_cmp_eq_u32_e64 s13, 0, v1
	v_mov_b32_e32 v1, 0x7f800000
	v_cndmask_b32_e64 v1, 0xff800000, v1, s13
	s_delay_alu instid0(VALU_DEP_1)
	v_cndmask_b32_e32 v1, 0x7f800001, v1, vcc_lo
; %bb.7766:                             ;   in Loop: Header=BB6_5830 Depth=4
	s_or_b32 exec_lo, exec_lo, s76
.LBB6_7767:                             ;   in Loop: Header=BB6_5830 Depth=4
	s_delay_alu instid0(SALU_CYCLE_1)
	s_or_b32 exec_lo, exec_lo, s75
.LBB6_7768:                             ;   in Loop: Header=BB6_5830 Depth=4
	s_delay_alu instid0(SALU_CYCLE_1) | instskip(SKIP_3) | instid1(VALU_DEP_1)
	s_or_b32 exec_lo, exec_lo, s74
	s_wait_loadcnt 0x3
	v_and_b32_e32 v2, 0xff, v20
	s_mov_b32 s74, exec_lo
	v_cmpx_ne_u16_e32 0, v2
	s_cbranch_execz .LBB6_7778
; %bb.7769:                             ;   in Loop: Header=BB6_5830 Depth=4
	v_bfe_i32 v3, v20, 0, 8
	v_bfrev_b32_e32 v0, 1
	s_mov_b32 s75, exec_lo
	s_delay_alu instid0(VALU_DEP_2)
	v_cmpx_ne_u16_e32 0xff80, v3
	s_cbranch_execz .LBB6_7777
; %bb.7770:                             ;   in Loop: Header=BB6_5830 Depth=4
	v_and_b32_e32 v0, 0x7c, v20
	v_and_b32_e32 v2, 3, v20
	s_delay_alu instid0(VALU_DEP_2) | instskip(SKIP_1) | instid1(SALU_CYCLE_1)
	v_cmp_ne_u32_e32 vcc_lo, 0x7c, v0
                                        ; implicit-def: $vgpr0
	s_and_saveexec_b32 s13, vcc_lo
	s_xor_b32 s13, exec_lo, s13
	s_cbranch_execz .LBB6_7774
; %bb.7771:                             ;   in Loop: Header=BB6_5830 Depth=4
	v_bfe_u32 v0, v20, 2, 5
	s_mov_b32 s76, exec_lo
	s_delay_alu instid0(VALU_DEP_1)
	v_cmpx_eq_u32_e32 0, v0
; %bb.7772:                             ;   in Loop: Header=BB6_5830 Depth=4
	v_clz_i32_u32_e32 v0, v2
	s_delay_alu instid0(VALU_DEP_1) | instskip(NEXT) | instid1(VALU_DEP_1)
	v_min_u32_e32 v0, 32, v0
	v_subrev_nc_u32_e32 v2, 29, v0
	s_delay_alu instid0(VALU_DEP_1) | instskip(NEXT) | instid1(VALU_DEP_1)
	v_lshlrev_b64_e32 v[2:3], v2, v[20:21]
	v_dual_sub_nc_u32 v0, 30, v0 :: v_dual_bitop2_b32 v2, 3, v2 bitop3:0x40
; %bb.7773:                             ;   in Loop: Header=BB6_5830 Depth=4
	s_or_b32 exec_lo, exec_lo, s76
	v_lshlrev_b32_e32 v3, 24, v20
	s_delay_alu instid0(VALU_DEP_1) | instskip(NEXT) | instid1(VALU_DEP_1)
	v_and_b32_e32 v3, 0x80000000, v3
	v_lshl_add_u32 v0, v0, 23, v3
                                        ; implicit-def: $vgpr3
	s_delay_alu instid0(VALU_DEP_1) | instskip(NEXT) | instid1(VALU_DEP_1)
	v_lshl_or_b32 v0, v2, 21, v0
                                        ; implicit-def: $vgpr2
	v_add_nc_u32_e32 v0, 0x38000000, v0
.LBB6_7774:                             ;   in Loop: Header=BB6_5830 Depth=4
	s_and_not1_saveexec_b32 s76, s13
; %bb.7775:                             ;   in Loop: Header=BB6_5830 Depth=4
	v_cmp_lt_i16_e64 s13, -1, v3
	v_mov_b32_e32 v0, 0x7f800000
	v_cmp_eq_u32_e32 vcc_lo, 0, v2
	s_delay_alu instid0(VALU_DEP_2) | instskip(NEXT) | instid1(VALU_DEP_1)
	v_cndmask_b32_e64 v0, 0xff800000, v0, s13
	v_cndmask_b32_e32 v0, 0x7f800001, v0, vcc_lo
; %bb.7776:                             ;   in Loop: Header=BB6_5830 Depth=4
	s_or_b32 exec_lo, exec_lo, s76
.LBB6_7777:                             ;   in Loop: Header=BB6_5830 Depth=4
	s_delay_alu instid0(SALU_CYCLE_1)
	s_or_b32 exec_lo, exec_lo, s75
.LBB6_7778:                             ;   in Loop: Header=BB6_5830 Depth=4
	s_delay_alu instid0(SALU_CYCLE_1) | instskip(NEXT) | instid1(VALU_DEP_1)
	s_or_b32 exec_lo, exec_lo, s74
	v_add_f32_e32 v2, v1, v0
	v_dual_mov_b32 v75, v113 :: v_dual_mov_b32 v1, v113
                                        ; implicit-def: $vgpr6
	s_mov_b32 s13, exec_lo
	s_delay_alu instid0(VALU_DEP_2) | instskip(SKIP_2) | instid1(VALU_DEP_3)
	v_and_b32_e32 v74, 0x7f800000, v2
	v_and_b32_e32 v0, 0x7fffff, v2
	v_lshrrev_b32_e32 v3, 24, v2
	v_cmpx_ne_u64_e32 0x7f800000, v[74:75]
	s_xor_b32 s74, exec_lo, s13
	s_cbranch_execz .LBB6_7792
; %bb.7779:                             ;   in Loop: Header=BB6_5830 Depth=4
	v_and_b32_e32 v74, 0x7fffffff, v2
	v_mov_b32_e32 v75, v113
	v_and_b32_e32 v27, 0x80, v3
                                        ; implicit-def: $vgpr6
	s_mov_b32 s13, exec_lo
	s_delay_alu instid0(VALU_DEP_2)
	v_cmpx_gt_u64_e32 0x47600001, v[74:75]
	s_xor_b32 s75, exec_lo, s13
	s_cbranch_execz .LBB6_7789
; %bb.7780:                             ;   in Loop: Header=BB6_5830 Depth=4
	v_mov_b32_e32 v6, 0
	s_mov_b32 s76, exec_lo
	v_cmpx_ne_u32_e32 0, v2
	s_cbranch_execz .LBB6_7788
; %bb.7781:                             ;   in Loop: Header=BB6_5830 Depth=4
	v_bfe_u32 v6, v2, 23, 8
	v_or_b32_e32 v3, 0x800000, v0
	s_delay_alu instid0(VALU_DEP_2) | instskip(SKIP_2) | instid1(VALU_DEP_2)
	v_cmp_gt_u32_e64 s13, 0x72, v6
	v_sub_nc_u32_e32 v2, 0x71, v6
	v_cmp_eq_u32_e32 vcc_lo, 0, v6
	v_dual_cndmask_b32 v2, 0, v2, s13 :: v_dual_cndmask_b32 v0, v3, v0, vcc_lo
	s_delay_alu instid0(VALU_DEP_1) | instskip(NEXT) | instid1(VALU_DEP_1)
	v_cndmask_b32_e64 v32, v2, 0x70, vcc_lo
	v_dual_add_nc_u32 v2, 21, v32 :: v_dual_add_nc_u32 v74, 20, v32
	s_delay_alu instid0(VALU_DEP_1) | instskip(NEXT) | instid1(VALU_DEP_2)
	v_lshlrev_b64_e64 v[2:3], v2, -1
	v_lshlrev_b64_e64 v[74:75], v74, 1
	s_delay_alu instid0(VALU_DEP_2) | instskip(SKIP_1) | instid1(VALU_DEP_4)
	v_bfi_b32 v2, v2, 0, v0
	v_lshrrev_b64 v[0:1], v32, v[0:1]
	v_bfi_b32 v3, v3, 0, 0
	s_delay_alu instid0(VALU_DEP_1) | instskip(NEXT) | instid1(VALU_DEP_3)
	v_cmp_eq_u64_e64 s13, v[2:3], v[74:75]
	v_mov_b64_e32 v[2:3], v[0:1]
	s_and_saveexec_b32 s77, s13
; %bb.7782:                             ;   in Loop: Header=BB6_5830 Depth=4
	v_bfe_u32 v2, v0, 21, 1
	v_mov_b32_e32 v3, v113
	s_delay_alu instid0(VALU_DEP_1) | instskip(NEXT) | instid1(VALU_DEP_1)
	v_add_nc_u64_e32 v[2:3], v[0:1], v[2:3]
	v_add_nc_u64_e32 v[2:3], -1, v[2:3]
; %bb.7783:                             ;   in Loop: Header=BB6_5830 Depth=4
	s_or_b32 exec_lo, exec_lo, s77
	v_add_nc_u32_e32 v1, 0xffffff81, v6
	v_lshrrev_b32_e32 v3, 23, v0
	s_mov_b32 s13, exec_lo
	s_delay_alu instid0(VALU_DEP_2) | instskip(NEXT) | instid1(VALU_DEP_1)
	v_cndmask_b32_e64 v1, v1, 0xffffff82, vcc_lo
	v_add3_u32 v6, v32, v1, v3
	v_and_b32_e32 v1, 0x1fffff, v2
                                        ; implicit-def: $vgpr2
	s_delay_alu instid0(VALU_DEP_1) | instskip(SKIP_1) | instid1(VALU_DEP_2)
	v_dual_add_nc_u32 v3, 14, v6 :: v_dual_add_nc_u32 v0, v1, v0
	v_mov_b32_e32 v1, v113
	v_cmpx_ne_u32_e32 0, v3
	s_xor_b32 s13, exec_lo, s13
; %bb.7784:                             ;   in Loop: Header=BB6_5830 Depth=4
	s_delay_alu instid0(VALU_DEP_2) | instskip(SKIP_1) | instid1(VALU_DEP_1)
	v_cmp_lt_u64_e32 vcc_lo, 0xffffff, v[0:1]
	v_add_nc_u32_e32 v2, 15, v6
	v_cndmask_b32_e32 v2, v3, v2, vcc_lo
	v_cndmask_b32_e64 v3, 0, 1, vcc_lo
	s_delay_alu instid0(VALU_DEP_1)
	v_lshrrev_b64 v[0:1], v3, v[0:1]
; %bb.7785:                             ;   in Loop: Header=BB6_5830 Depth=4
	s_and_not1_saveexec_b32 s13, s13
; %bb.7786:                             ;   in Loop: Header=BB6_5830 Depth=4
	s_delay_alu instid0(VALU_DEP_1)
	v_bfe_u32 v2, v0, 23, 1
; %bb.7787:                             ;   in Loop: Header=BB6_5830 Depth=4
	s_or_b32 exec_lo, exec_lo, s13
	s_delay_alu instid0(VALU_DEP_2) | instskip(NEXT) | instid1(VALU_DEP_2)
	v_lshrrev_b64 v[0:1], 21, v[0:1]
	v_cmp_gt_i32_e32 vcc_lo, 32, v2
	v_min_i32_e32 v3, 31, v2
	v_cmp_eq_u32_e64 s13, 0, v2
	s_delay_alu instid0(VALU_DEP_2) | instskip(SKIP_1) | instid1(VALU_DEP_2)
	v_dual_cndmask_b32 v1, 0, v1, vcc_lo :: v_dual_lshlrev_b32 v3, 2, v3
	v_cndmask_b32_e32 v0, 3, v0, vcc_lo
	v_and_b32_e32 v3, 0xfc, v3
	s_delay_alu instid0(VALU_DEP_2) | instskip(NEXT) | instid1(VALU_DEP_2)
	v_cmp_eq_u64_e32 vcc_lo, 0, v[0:1]
	v_and_or_b32 v0, v0, 3, v3
	s_and_b32 s13, s13, vcc_lo
	s_delay_alu instid0(VALU_DEP_1) | instid1(SALU_CYCLE_1)
	v_cndmask_b32_e64 v0, v0, 0, s13
	s_delay_alu instid0(VALU_DEP_1)
	v_or_b32_e32 v6, v0, v27
.LBB6_7788:                             ;   in Loop: Header=BB6_5830 Depth=4
	s_or_b32 exec_lo, exec_lo, s76
                                        ; implicit-def: $vgpr27
.LBB6_7789:                             ;   in Loop: Header=BB6_5830 Depth=4
	s_and_not1_saveexec_b32 s13, s75
; %bb.7790:                             ;   in Loop: Header=BB6_5830 Depth=4
	v_or_b32_e32 v6, 0x7b, v27
; %bb.7791:                             ;   in Loop: Header=BB6_5830 Depth=4
	s_or_b32 exec_lo, exec_lo, s13
                                        ; implicit-def: $vgpr2
                                        ; implicit-def: $vgpr0_vgpr1
                                        ; implicit-def: $vgpr3
.LBB6_7792:                             ;   in Loop: Header=BB6_5830 Depth=4
	s_and_not1_saveexec_b32 s13, s74
	s_cbranch_execz .LBB6_7798
; %bb.7793:                             ;   in Loop: Header=BB6_5830 Depth=4
	s_mov_b32 s74, exec_lo
                                        ; implicit-def: $vgpr6
	v_cmpx_ne_u64_e32 0, v[0:1]
	s_xor_b32 s74, exec_lo, s74
; %bb.7794:                             ;   in Loop: Header=BB6_5830 Depth=4
	v_or_b32_e32 v6, 0x7f, v3
                                        ; implicit-def: $vgpr2
; %bb.7795:                             ;   in Loop: Header=BB6_5830 Depth=4
	s_and_not1_saveexec_b32 s74, s74
; %bb.7796:                             ;   in Loop: Header=BB6_5830 Depth=4
	v_cmp_lt_i32_e32 vcc_lo, -1, v2
	v_mov_b32_e32 v0, 0x7c
	s_delay_alu instid0(VALU_DEP_1)
	v_cndmask_b32_e32 v6, 0xfc, v0, vcc_lo
; %bb.7797:                             ;   in Loop: Header=BB6_5830 Depth=4
	s_or_b32 exec_lo, exec_lo, s74
.LBB6_7798:                             ;   in Loop: Header=BB6_5830 Depth=4
	s_delay_alu instid0(SALU_CYCLE_1) | instskip(SKIP_3) | instid1(VALU_DEP_2)
	s_or_b32 exec_lo, exec_lo, s13
	v_lshrrev_b16 v0, 8, v24
	v_dual_mov_b32 v2, 0 :: v_dual_mov_b32 v3, 0
	s_mov_b32 s74, exec_lo
	v_cmpx_ne_u16_e32 0, v0
	s_cbranch_execz .LBB6_7808
; %bb.7799:                             ;   in Loop: Header=BB6_5830 Depth=4
	v_bfrev_b32_e32 v3, 1
	s_mov_b32 s75, exec_lo
	v_cmpx_ne_u16_e32 0x80, v0
	s_cbranch_execz .LBB6_7807
; %bb.7800:                             ;   in Loop: Header=BB6_5830 Depth=4
	v_and_b32_e32 v27, 0xffff, v0
	s_delay_alu instid0(VALU_DEP_1) | instskip(SKIP_1) | instid1(VALU_DEP_2)
	v_and_b32_e32 v3, 0x7c, v27
	v_and_b32_e32 v1, 3, v27
	v_cmp_ne_u32_e32 vcc_lo, 0x7c, v3
                                        ; implicit-def: $vgpr3
	s_and_saveexec_b32 s13, vcc_lo
	s_delay_alu instid0(SALU_CYCLE_1)
	s_xor_b32 s13, exec_lo, s13
	s_cbranch_execz .LBB6_7804
; %bb.7801:                             ;   in Loop: Header=BB6_5830 Depth=4
	v_bfe_u32 v3, v27, 2, 5
	s_mov_b32 s76, exec_lo
	s_delay_alu instid0(VALU_DEP_1)
	v_cmpx_eq_u32_e32 0, v3
	s_cbranch_execz .LBB6_7803
; %bb.7802:                             ;   in Loop: Header=BB6_5830 Depth=4
	v_clz_i32_u32_e32 v1, v1
	s_delay_alu instid0(VALU_DEP_1) | instskip(SKIP_1) | instid1(VALU_DEP_2)
	v_min_u32_e32 v3, 32, v1
	v_mov_b32_e32 v1, v113
	v_subrev_nc_u32_e32 v27, 29, v3
	v_sub_nc_u32_e32 v3, 30, v3
	s_delay_alu instid0(VALU_DEP_2) | instskip(NEXT) | instid1(VALU_DEP_1)
	v_lshlrev_b64_e32 v[0:1], v27, v[0:1]
	v_and_b32_e32 v1, 3, v0
.LBB6_7803:                             ;   in Loop: Header=BB6_5830 Depth=4
	s_or_b32 exec_lo, exec_lo, s76
	v_lshlrev_b32_e32 v0, 16, v24
                                        ; implicit-def: $vgpr24
	s_delay_alu instid0(VALU_DEP_1) | instskip(NEXT) | instid1(VALU_DEP_1)
	v_and_b32_e32 v0, 0x80000000, v0
	v_lshl_add_u32 v0, v3, 23, v0
	s_delay_alu instid0(VALU_DEP_1) | instskip(NEXT) | instid1(VALU_DEP_1)
	v_lshl_or_b32 v0, v1, 21, v0
                                        ; implicit-def: $vgpr1
	v_add_nc_u32_e32 v3, 0x38000000, v0
.LBB6_7804:                             ;   in Loop: Header=BB6_5830 Depth=4
	s_and_not1_saveexec_b32 s76, s13
; %bb.7805:                             ;   in Loop: Header=BB6_5830 Depth=4
	v_cmp_lt_i16_e64 s13, -1, v24
	v_mov_b32_e32 v0, 0x7f800000
	v_cmp_eq_u32_e32 vcc_lo, 0, v1
	s_delay_alu instid0(VALU_DEP_2) | instskip(NEXT) | instid1(VALU_DEP_1)
	v_cndmask_b32_e64 v0, 0xff800000, v0, s13
	v_cndmask_b32_e32 v3, 0x7f800001, v0, vcc_lo
; %bb.7806:                             ;   in Loop: Header=BB6_5830 Depth=4
	s_or_b32 exec_lo, exec_lo, s76
.LBB6_7807:                             ;   in Loop: Header=BB6_5830 Depth=4
	s_delay_alu instid0(SALU_CYCLE_1)
	s_or_b32 exec_lo, exec_lo, s75
.LBB6_7808:                             ;   in Loop: Header=BB6_5830 Depth=4
	s_delay_alu instid0(SALU_CYCLE_1) | instskip(SKIP_2) | instid1(VALU_DEP_1)
	s_or_b32 exec_lo, exec_lo, s74
	v_lshrrev_b16 v0, 8, v20
	s_mov_b32 s74, exec_lo
	v_cmpx_ne_u16_e32 0, v0
	s_cbranch_execz .LBB6_7818
; %bb.7809:                             ;   in Loop: Header=BB6_5830 Depth=4
	v_bfrev_b32_e32 v2, 1
	s_mov_b32 s75, exec_lo
	v_cmpx_ne_u16_e32 0x80, v0
	s_cbranch_execz .LBB6_7817
; %bb.7810:                             ;   in Loop: Header=BB6_5830 Depth=4
	v_and_b32_e32 v24, 0xffff, v0
	s_delay_alu instid0(VALU_DEP_1) | instskip(SKIP_1) | instid1(VALU_DEP_2)
	v_and_b32_e32 v2, 0x7c, v24
	v_and_b32_e32 v1, 3, v24
	v_cmp_ne_u32_e32 vcc_lo, 0x7c, v2
                                        ; implicit-def: $vgpr2
	s_and_saveexec_b32 s13, vcc_lo
	s_delay_alu instid0(SALU_CYCLE_1)
	s_xor_b32 s13, exec_lo, s13
	s_cbranch_execz .LBB6_7814
; %bb.7811:                             ;   in Loop: Header=BB6_5830 Depth=4
	v_bfe_u32 v2, v24, 2, 5
	s_mov_b32 s76, exec_lo
	s_delay_alu instid0(VALU_DEP_1)
	v_cmpx_eq_u32_e32 0, v2
	s_cbranch_execz .LBB6_7813
; %bb.7812:                             ;   in Loop: Header=BB6_5830 Depth=4
	v_clz_i32_u32_e32 v1, v1
	s_delay_alu instid0(VALU_DEP_1) | instskip(SKIP_1) | instid1(VALU_DEP_2)
	v_min_u32_e32 v2, 32, v1
	v_mov_b32_e32 v1, v113
	v_subrev_nc_u32_e32 v24, 29, v2
	v_sub_nc_u32_e32 v2, 30, v2
	s_delay_alu instid0(VALU_DEP_2) | instskip(NEXT) | instid1(VALU_DEP_1)
	v_lshlrev_b64_e32 v[0:1], v24, v[0:1]
	v_and_b32_e32 v1, 3, v0
.LBB6_7813:                             ;   in Loop: Header=BB6_5830 Depth=4
	s_or_b32 exec_lo, exec_lo, s76
	v_lshlrev_b32_e32 v0, 16, v20
	s_delay_alu instid0(VALU_DEP_1) | instskip(NEXT) | instid1(VALU_DEP_1)
	v_and_b32_e32 v0, 0x80000000, v0
	v_lshl_add_u32 v0, v2, 23, v0
	s_delay_alu instid0(VALU_DEP_1) | instskip(NEXT) | instid1(VALU_DEP_1)
	v_lshl_or_b32 v0, v1, 21, v0
                                        ; implicit-def: $vgpr1
	v_add_nc_u32_e32 v2, 0x38000000, v0
.LBB6_7814:                             ;   in Loop: Header=BB6_5830 Depth=4
	s_and_not1_saveexec_b32 s76, s13
; %bb.7815:                             ;   in Loop: Header=BB6_5830 Depth=4
	v_cmp_lt_i16_e64 s13, -1, v20
	v_mov_b32_e32 v0, 0x7f800000
	v_cmp_eq_u32_e32 vcc_lo, 0, v1
	s_delay_alu instid0(VALU_DEP_2) | instskip(NEXT) | instid1(VALU_DEP_1)
	v_cndmask_b32_e64 v0, 0xff800000, v0, s13
	v_cndmask_b32_e32 v2, 0x7f800001, v0, vcc_lo
; %bb.7816:                             ;   in Loop: Header=BB6_5830 Depth=4
	s_or_b32 exec_lo, exec_lo, s76
.LBB6_7817:                             ;   in Loop: Header=BB6_5830 Depth=4
	s_delay_alu instid0(SALU_CYCLE_1)
	s_or_b32 exec_lo, exec_lo, s75
.LBB6_7818:                             ;   in Loop: Header=BB6_5830 Depth=4
	s_delay_alu instid0(SALU_CYCLE_1) | instskip(NEXT) | instid1(VALU_DEP_1)
	s_or_b32 exec_lo, exec_lo, s74
	v_dual_add_f32 v2, v3, v2 :: v_dual_mov_b32 v75, v113
	v_mov_b32_e32 v1, v113
                                        ; implicit-def: $vgpr24
	s_mov_b32 s13, exec_lo
	s_delay_alu instid0(VALU_DEP_2) | instskip(SKIP_2) | instid1(VALU_DEP_3)
	v_and_b32_e32 v74, 0x7f800000, v2
	v_and_b32_e32 v0, 0x7fffff, v2
	v_lshrrev_b32_e32 v3, 24, v2
	v_cmpx_ne_u64_e32 0x7f800000, v[74:75]
	s_xor_b32 s74, exec_lo, s13
	s_cbranch_execz .LBB6_7832
; %bb.7819:                             ;   in Loop: Header=BB6_5830 Depth=4
	v_and_b32_e32 v74, 0x7fffffff, v2
	v_mov_b32_e32 v75, v113
	v_and_b32_e32 v27, 0x80, v3
                                        ; implicit-def: $vgpr24
	s_mov_b32 s13, exec_lo
	s_delay_alu instid0(VALU_DEP_2)
	v_cmpx_gt_u64_e32 0x47600001, v[74:75]
	s_xor_b32 s75, exec_lo, s13
	s_cbranch_execz .LBB6_7829
; %bb.7820:                             ;   in Loop: Header=BB6_5830 Depth=4
	v_mov_b32_e32 v24, 0
	s_mov_b32 s76, exec_lo
	v_cmpx_ne_u32_e32 0, v2
	s_cbranch_execz .LBB6_7828
; %bb.7821:                             ;   in Loop: Header=BB6_5830 Depth=4
	v_bfe_u32 v24, v2, 23, 8
	v_or_b32_e32 v3, 0x800000, v0
	s_delay_alu instid0(VALU_DEP_2) | instskip(SKIP_2) | instid1(VALU_DEP_2)
	v_cmp_gt_u32_e64 s13, 0x72, v24
	v_sub_nc_u32_e32 v2, 0x71, v24
	v_cmp_eq_u32_e32 vcc_lo, 0, v24
	v_dual_cndmask_b32 v2, 0, v2, s13 :: v_dual_cndmask_b32 v0, v3, v0, vcc_lo
	s_delay_alu instid0(VALU_DEP_1) | instskip(NEXT) | instid1(VALU_DEP_1)
	v_cndmask_b32_e64 v32, v2, 0x70, vcc_lo
	v_dual_add_nc_u32 v2, 21, v32 :: v_dual_add_nc_u32 v74, 20, v32
	s_delay_alu instid0(VALU_DEP_1) | instskip(NEXT) | instid1(VALU_DEP_2)
	v_lshlrev_b64_e64 v[2:3], v2, -1
	v_lshlrev_b64_e64 v[74:75], v74, 1
	s_delay_alu instid0(VALU_DEP_2) | instskip(SKIP_1) | instid1(VALU_DEP_4)
	v_bfi_b32 v2, v2, 0, v0
	v_lshrrev_b64 v[0:1], v32, v[0:1]
	v_bfi_b32 v3, v3, 0, 0
	s_delay_alu instid0(VALU_DEP_1) | instskip(NEXT) | instid1(VALU_DEP_3)
	v_cmp_eq_u64_e64 s13, v[2:3], v[74:75]
	v_mov_b64_e32 v[2:3], v[0:1]
	s_and_saveexec_b32 s77, s13
; %bb.7822:                             ;   in Loop: Header=BB6_5830 Depth=4
	v_bfe_u32 v2, v0, 21, 1
	v_mov_b32_e32 v3, v113
	s_delay_alu instid0(VALU_DEP_1) | instskip(NEXT) | instid1(VALU_DEP_1)
	v_add_nc_u64_e32 v[2:3], v[0:1], v[2:3]
	v_add_nc_u64_e32 v[2:3], -1, v[2:3]
; %bb.7823:                             ;   in Loop: Header=BB6_5830 Depth=4
	s_or_b32 exec_lo, exec_lo, s77
	v_add_nc_u32_e32 v1, 0xffffff81, v24
	v_lshrrev_b32_e32 v3, 23, v0
	s_mov_b32 s13, exec_lo
	s_delay_alu instid0(VALU_DEP_2) | instskip(NEXT) | instid1(VALU_DEP_1)
	v_cndmask_b32_e64 v1, v1, 0xffffff82, vcc_lo
	v_add3_u32 v24, v32, v1, v3
	v_and_b32_e32 v1, 0x1fffff, v2
                                        ; implicit-def: $vgpr2
	s_delay_alu instid0(VALU_DEP_2) | instskip(NEXT) | instid1(VALU_DEP_2)
	v_add_nc_u32_e32 v3, 14, v24
	v_add_nc_u32_e32 v0, v1, v0
	v_mov_b32_e32 v1, v113
	s_delay_alu instid0(VALU_DEP_3)
	v_cmpx_ne_u32_e32 0, v3
	s_xor_b32 s13, exec_lo, s13
; %bb.7824:                             ;   in Loop: Header=BB6_5830 Depth=4
	s_delay_alu instid0(VALU_DEP_2) | instskip(SKIP_1) | instid1(VALU_DEP_1)
	v_cmp_lt_u64_e32 vcc_lo, 0xffffff, v[0:1]
	v_add_nc_u32_e32 v2, 15, v24
	v_cndmask_b32_e32 v2, v3, v2, vcc_lo
	v_cndmask_b32_e64 v3, 0, 1, vcc_lo
	s_delay_alu instid0(VALU_DEP_1)
	v_lshrrev_b64 v[0:1], v3, v[0:1]
; %bb.7825:                             ;   in Loop: Header=BB6_5830 Depth=4
	s_and_not1_saveexec_b32 s13, s13
; %bb.7826:                             ;   in Loop: Header=BB6_5830 Depth=4
	s_delay_alu instid0(VALU_DEP_1)
	v_bfe_u32 v2, v0, 23, 1
; %bb.7827:                             ;   in Loop: Header=BB6_5830 Depth=4
	s_or_b32 exec_lo, exec_lo, s13
	s_delay_alu instid0(VALU_DEP_2) | instskip(NEXT) | instid1(VALU_DEP_2)
	v_lshrrev_b64 v[0:1], 21, v[0:1]
	v_cmp_gt_i32_e32 vcc_lo, 32, v2
	v_min_i32_e32 v3, 31, v2
	v_cmp_eq_u32_e64 s13, 0, v2
	s_delay_alu instid0(VALU_DEP_2) | instskip(SKIP_1) | instid1(VALU_DEP_2)
	v_dual_cndmask_b32 v1, 0, v1, vcc_lo :: v_dual_lshlrev_b32 v3, 2, v3
	v_cndmask_b32_e32 v0, 3, v0, vcc_lo
	v_and_b32_e32 v3, 0xfc, v3
	s_delay_alu instid0(VALU_DEP_2) | instskip(NEXT) | instid1(VALU_DEP_2)
	v_cmp_eq_u64_e32 vcc_lo, 0, v[0:1]
	v_and_or_b32 v0, v0, 3, v3
	s_and_b32 s13, s13, vcc_lo
	s_delay_alu instid0(VALU_DEP_1) | instid1(SALU_CYCLE_1)
	v_cndmask_b32_e64 v0, v0, 0, s13
	s_delay_alu instid0(VALU_DEP_1)
	v_or_b32_e32 v24, v0, v27
.LBB6_7828:                             ;   in Loop: Header=BB6_5830 Depth=4
	s_or_b32 exec_lo, exec_lo, s76
                                        ; implicit-def: $vgpr27
.LBB6_7829:                             ;   in Loop: Header=BB6_5830 Depth=4
	s_and_not1_saveexec_b32 s13, s75
; %bb.7830:                             ;   in Loop: Header=BB6_5830 Depth=4
	v_or_b32_e32 v24, 0x7b, v27
; %bb.7831:                             ;   in Loop: Header=BB6_5830 Depth=4
	s_or_b32 exec_lo, exec_lo, s13
                                        ; implicit-def: $vgpr2
                                        ; implicit-def: $vgpr0_vgpr1
                                        ; implicit-def: $vgpr3
.LBB6_7832:                             ;   in Loop: Header=BB6_5830 Depth=4
	s_and_not1_saveexec_b32 s13, s74
	s_cbranch_execz .LBB6_7838
; %bb.7833:                             ;   in Loop: Header=BB6_5830 Depth=4
	s_mov_b32 s74, exec_lo
                                        ; implicit-def: $vgpr24
	v_cmpx_ne_u64_e32 0, v[0:1]
	s_xor_b32 s74, exec_lo, s74
; %bb.7834:                             ;   in Loop: Header=BB6_5830 Depth=4
	v_or_b32_e32 v24, 0x7f, v3
                                        ; implicit-def: $vgpr2
; %bb.7835:                             ;   in Loop: Header=BB6_5830 Depth=4
	s_and_not1_saveexec_b32 s74, s74
; %bb.7836:                             ;   in Loop: Header=BB6_5830 Depth=4
	v_cmp_lt_i32_e32 vcc_lo, -1, v2
	v_mov_b32_e32 v0, 0x7c
	s_delay_alu instid0(VALU_DEP_1)
	v_cndmask_b32_e32 v24, 0xfc, v0, vcc_lo
; %bb.7837:                             ;   in Loop: Header=BB6_5830 Depth=4
	s_or_b32 exec_lo, exec_lo, s74
.LBB6_7838:                             ;   in Loop: Header=BB6_5830 Depth=4
	s_delay_alu instid0(SALU_CYCLE_1) | instskip(SKIP_3) | instid1(VALU_DEP_2)
	s_or_b32 exec_lo, exec_lo, s13
	v_dual_mov_b32 v1, 0 :: v_dual_lshrrev_b32 v0, 16, v112
	v_mov_b32_e32 v2, 0
	s_mov_b32 s74, exec_lo
	v_and_b32_e32 v3, 0xff, v0
	s_delay_alu instid0(VALU_DEP_1)
	v_cmpx_ne_u16_e32 0, v3
	s_cbranch_execz .LBB6_7848
; %bb.7839:                             ;   in Loop: Header=BB6_5830 Depth=4
	v_bfrev_b32_e32 v2, 1
	s_mov_b32 s75, exec_lo
	v_cmpx_ne_u16_e32 0x80, v3
	s_cbranch_execz .LBB6_7847
; %bb.7840:                             ;   in Loop: Header=BB6_5830 Depth=4
	v_and_b32_e32 v2, 0x7c0000, v112
	v_bfe_u32 v3, v112, 16, 2
	s_delay_alu instid0(VALU_DEP_2) | instskip(SKIP_1) | instid1(SALU_CYCLE_1)
	v_cmp_ne_u32_e32 vcc_lo, 0x7c0000, v2
                                        ; implicit-def: $vgpr2
	s_and_saveexec_b32 s13, vcc_lo
	s_xor_b32 s13, exec_lo, s13
	s_cbranch_execz .LBB6_7844
; %bb.7841:                             ;   in Loop: Header=BB6_5830 Depth=4
	v_bfe_u32 v2, v112, 18, 5
	s_mov_b32 s76, exec_lo
	s_delay_alu instid0(VALU_DEP_1)
	v_cmpx_eq_u32_e32 0, v2
; %bb.7842:                             ;   in Loop: Header=BB6_5830 Depth=4
	v_clz_i32_u32_e32 v2, v3
	s_delay_alu instid0(VALU_DEP_1) | instskip(NEXT) | instid1(VALU_DEP_1)
	v_min_u32_e32 v2, 32, v2
	v_subrev_nc_u32_e32 v3, 29, v2
	v_sub_nc_u32_e32 v2, 30, v2
	s_delay_alu instid0(VALU_DEP_2) | instskip(NEXT) | instid1(VALU_DEP_1)
	v_lshlrev_b64_e32 v[74:75], v3, v[0:1]
	v_and_b32_e32 v3, 3, v74
; %bb.7843:                             ;   in Loop: Header=BB6_5830 Depth=4
	s_or_b32 exec_lo, exec_lo, s76
	v_lshlrev_b32_e32 v0, 24, v0
	s_delay_alu instid0(VALU_DEP_1) | instskip(NEXT) | instid1(VALU_DEP_1)
	v_and_b32_e32 v0, 0x80000000, v0
	v_lshl_add_u32 v0, v2, 23, v0
	s_delay_alu instid0(VALU_DEP_1) | instskip(NEXT) | instid1(VALU_DEP_1)
	v_lshl_or_b32 v0, v3, 21, v0
                                        ; implicit-def: $vgpr3
	v_add_nc_u32_e32 v2, 0x38000000, v0
                                        ; implicit-def: $vgpr0
.LBB6_7844:                             ;   in Loop: Header=BB6_5830 Depth=4
	s_and_not1_saveexec_b32 s76, s13
; %bb.7845:                             ;   in Loop: Header=BB6_5830 Depth=4
	v_bfe_i32 v0, v0, 0, 8
	v_cmp_eq_u32_e32 vcc_lo, 0, v3
	s_delay_alu instid0(VALU_DEP_2) | instskip(SKIP_1) | instid1(VALU_DEP_1)
	v_cmp_lt_i16_e64 s13, -1, v0
	v_mov_b32_e32 v0, 0x7f800000
	v_cndmask_b32_e64 v0, 0xff800000, v0, s13
	s_delay_alu instid0(VALU_DEP_1)
	v_cndmask_b32_e32 v2, 0x7f800001, v0, vcc_lo
; %bb.7846:                             ;   in Loop: Header=BB6_5830 Depth=4
	s_or_b32 exec_lo, exec_lo, s76
.LBB6_7847:                             ;   in Loop: Header=BB6_5830 Depth=4
	s_delay_alu instid0(SALU_CYCLE_1)
	s_or_b32 exec_lo, exec_lo, s75
.LBB6_7848:                             ;   in Loop: Header=BB6_5830 Depth=4
	s_delay_alu instid0(SALU_CYCLE_1) | instskip(SKIP_2) | instid1(VALU_DEP_1)
	s_or_b32 exec_lo, exec_lo, s74
	v_lshrrev_b32_e32 v0, 16, v20
	s_mov_b32 s74, exec_lo
	v_and_b32_e32 v3, 0xff, v0
	s_delay_alu instid0(VALU_DEP_1)
	v_cmpx_ne_u16_e32 0, v3
	s_cbranch_execz .LBB6_7858
; %bb.7849:                             ;   in Loop: Header=BB6_5830 Depth=4
	v_bfrev_b32_e32 v1, 1
	s_mov_b32 s75, exec_lo
	v_cmpx_ne_u16_e32 0x80, v3
	s_cbranch_execz .LBB6_7857
; %bb.7850:                             ;   in Loop: Header=BB6_5830 Depth=4
	v_and_b32_e32 v1, 0x7c0000, v20
	v_bfe_u32 v3, v20, 16, 2
	s_delay_alu instid0(VALU_DEP_2) | instskip(SKIP_1) | instid1(SALU_CYCLE_1)
	v_cmp_ne_u32_e32 vcc_lo, 0x7c0000, v1
                                        ; implicit-def: $vgpr1
	s_and_saveexec_b32 s13, vcc_lo
	s_xor_b32 s13, exec_lo, s13
	s_cbranch_execz .LBB6_7854
; %bb.7851:                             ;   in Loop: Header=BB6_5830 Depth=4
	v_bfe_u32 v1, v20, 18, 5
	s_mov_b32 s76, exec_lo
	s_delay_alu instid0(VALU_DEP_1)
	v_cmpx_eq_u32_e32 0, v1
; %bb.7852:                             ;   in Loop: Header=BB6_5830 Depth=4
	v_clz_i32_u32_e32 v1, v3
	s_delay_alu instid0(VALU_DEP_1) | instskip(NEXT) | instid1(VALU_DEP_1)
	v_min_u32_e32 v1, 32, v1
	v_subrev_nc_u32_e32 v3, 29, v1
	s_delay_alu instid0(VALU_DEP_1) | instskip(NEXT) | instid1(VALU_DEP_1)
	v_lshlrev_b64_e32 v[74:75], v3, v[0:1]
	v_dual_sub_nc_u32 v1, 30, v1 :: v_dual_bitop2_b32 v3, 3, v74 bitop3:0x40
; %bb.7853:                             ;   in Loop: Header=BB6_5830 Depth=4
	s_or_b32 exec_lo, exec_lo, s76
	v_lshlrev_b32_e32 v0, 24, v0
	s_delay_alu instid0(VALU_DEP_1) | instskip(NEXT) | instid1(VALU_DEP_1)
	v_and_b32_e32 v0, 0x80000000, v0
	v_lshl_add_u32 v0, v1, 23, v0
	s_delay_alu instid0(VALU_DEP_1) | instskip(NEXT) | instid1(VALU_DEP_1)
	v_lshl_or_b32 v0, v3, 21, v0
                                        ; implicit-def: $vgpr3
	v_add_nc_u32_e32 v1, 0x38000000, v0
                                        ; implicit-def: $vgpr0
.LBB6_7854:                             ;   in Loop: Header=BB6_5830 Depth=4
	s_and_not1_saveexec_b32 s76, s13
; %bb.7855:                             ;   in Loop: Header=BB6_5830 Depth=4
	v_bfe_i32 v0, v0, 0, 8
	v_cmp_eq_u32_e32 vcc_lo, 0, v3
	s_delay_alu instid0(VALU_DEP_2) | instskip(SKIP_1) | instid1(VALU_DEP_1)
	v_cmp_lt_i16_e64 s13, -1, v0
	v_mov_b32_e32 v0, 0x7f800000
	v_cndmask_b32_e64 v0, 0xff800000, v0, s13
	s_delay_alu instid0(VALU_DEP_1)
	v_cndmask_b32_e32 v1, 0x7f800001, v0, vcc_lo
; %bb.7856:                             ;   in Loop: Header=BB6_5830 Depth=4
	s_or_b32 exec_lo, exec_lo, s76
.LBB6_7857:                             ;   in Loop: Header=BB6_5830 Depth=4
	s_delay_alu instid0(SALU_CYCLE_1)
	s_or_b32 exec_lo, exec_lo, s75
.LBB6_7858:                             ;   in Loop: Header=BB6_5830 Depth=4
	s_delay_alu instid0(SALU_CYCLE_1) | instskip(NEXT) | instid1(VALU_DEP_1)
	s_or_b32 exec_lo, exec_lo, s74
	v_dual_add_f32 v2, v2, v1 :: v_dual_mov_b32 v75, v113
	v_mov_b32_e32 v1, v113
                                        ; implicit-def: $vgpr27
	s_mov_b32 s13, exec_lo
	s_delay_alu instid0(VALU_DEP_2) | instskip(SKIP_2) | instid1(VALU_DEP_3)
	v_and_b32_e32 v74, 0x7f800000, v2
	v_and_b32_e32 v0, 0x7fffff, v2
	v_lshrrev_b32_e32 v3, 24, v2
	v_cmpx_ne_u64_e32 0x7f800000, v[74:75]
	s_xor_b32 s74, exec_lo, s13
	s_cbranch_execz .LBB6_7872
; %bb.7859:                             ;   in Loop: Header=BB6_5830 Depth=4
	v_and_b32_e32 v74, 0x7fffffff, v2
	v_mov_b32_e32 v75, v113
	v_and_b32_e32 v32, 0x80, v3
                                        ; implicit-def: $vgpr27
	s_mov_b32 s13, exec_lo
	s_delay_alu instid0(VALU_DEP_2)
	v_cmpx_gt_u64_e32 0x47600001, v[74:75]
	s_xor_b32 s75, exec_lo, s13
	s_cbranch_execz .LBB6_7869
; %bb.7860:                             ;   in Loop: Header=BB6_5830 Depth=4
	v_mov_b32_e32 v27, 0
	s_mov_b32 s76, exec_lo
	v_cmpx_ne_u32_e32 0, v2
	s_cbranch_execz .LBB6_7868
; %bb.7861:                             ;   in Loop: Header=BB6_5830 Depth=4
	v_bfe_u32 v27, v2, 23, 8
	v_or_b32_e32 v3, 0x800000, v0
	s_delay_alu instid0(VALU_DEP_2) | instskip(SKIP_2) | instid1(VALU_DEP_2)
	v_cmp_gt_u32_e64 s13, 0x72, v27
	v_sub_nc_u32_e32 v2, 0x71, v27
	v_cmp_eq_u32_e32 vcc_lo, 0, v27
	v_dual_cndmask_b32 v2, 0, v2, s13 :: v_dual_cndmask_b32 v0, v3, v0, vcc_lo
	s_delay_alu instid0(VALU_DEP_1) | instskip(NEXT) | instid1(VALU_DEP_1)
	v_cndmask_b32_e64 v74, v2, 0x70, vcc_lo
	v_dual_add_nc_u32 v2, 21, v74 :: v_dual_add_nc_u32 v75, 20, v74
	s_delay_alu instid0(VALU_DEP_1) | instskip(NEXT) | instid1(VALU_DEP_2)
	v_lshlrev_b64_e64 v[2:3], v2, -1
	v_lshlrev_b64_e64 v[76:77], v75, 1
	s_delay_alu instid0(VALU_DEP_2) | instskip(SKIP_1) | instid1(VALU_DEP_4)
	v_bfi_b32 v2, v2, 0, v0
	v_lshrrev_b64 v[0:1], v74, v[0:1]
	v_bfi_b32 v3, v3, 0, 0
	s_delay_alu instid0(VALU_DEP_1) | instskip(NEXT) | instid1(VALU_DEP_3)
	v_cmp_eq_u64_e64 s13, v[2:3], v[76:77]
	v_mov_b64_e32 v[2:3], v[0:1]
	s_and_saveexec_b32 s77, s13
; %bb.7862:                             ;   in Loop: Header=BB6_5830 Depth=4
	v_bfe_u32 v2, v0, 21, 1
	v_mov_b32_e32 v3, v113
	s_delay_alu instid0(VALU_DEP_1) | instskip(NEXT) | instid1(VALU_DEP_1)
	v_add_nc_u64_e32 v[2:3], v[0:1], v[2:3]
	v_add_nc_u64_e32 v[2:3], -1, v[2:3]
; %bb.7863:                             ;   in Loop: Header=BB6_5830 Depth=4
	s_or_b32 exec_lo, exec_lo, s77
	v_add_nc_u32_e32 v1, 0xffffff81, v27
	v_lshrrev_b32_e32 v3, 23, v0
	s_mov_b32 s13, exec_lo
	s_delay_alu instid0(VALU_DEP_2) | instskip(NEXT) | instid1(VALU_DEP_1)
	v_cndmask_b32_e64 v1, v1, 0xffffff82, vcc_lo
	v_add3_u32 v27, v74, v1, v3
	v_and_b32_e32 v1, 0x1fffff, v2
                                        ; implicit-def: $vgpr2
	s_delay_alu instid0(VALU_DEP_1) | instskip(SKIP_1) | instid1(VALU_DEP_2)
	v_dual_add_nc_u32 v3, 14, v27 :: v_dual_add_nc_u32 v0, v1, v0
	v_mov_b32_e32 v1, v113
	v_cmpx_ne_u32_e32 0, v3
	s_xor_b32 s13, exec_lo, s13
; %bb.7864:                             ;   in Loop: Header=BB6_5830 Depth=4
	s_delay_alu instid0(VALU_DEP_2) | instskip(SKIP_1) | instid1(VALU_DEP_1)
	v_cmp_lt_u64_e32 vcc_lo, 0xffffff, v[0:1]
	v_add_nc_u32_e32 v2, 15, v27
	v_cndmask_b32_e32 v2, v3, v2, vcc_lo
	v_cndmask_b32_e64 v3, 0, 1, vcc_lo
	s_delay_alu instid0(VALU_DEP_1)
	v_lshrrev_b64 v[0:1], v3, v[0:1]
; %bb.7865:                             ;   in Loop: Header=BB6_5830 Depth=4
	s_and_not1_saveexec_b32 s13, s13
; %bb.7866:                             ;   in Loop: Header=BB6_5830 Depth=4
	s_delay_alu instid0(VALU_DEP_1)
	v_bfe_u32 v2, v0, 23, 1
; %bb.7867:                             ;   in Loop: Header=BB6_5830 Depth=4
	s_or_b32 exec_lo, exec_lo, s13
	s_delay_alu instid0(VALU_DEP_2) | instskip(NEXT) | instid1(VALU_DEP_2)
	v_lshrrev_b64 v[0:1], 21, v[0:1]
	v_cmp_gt_i32_e32 vcc_lo, 32, v2
	v_min_i32_e32 v3, 31, v2
	v_cmp_eq_u32_e64 s13, 0, v2
	s_delay_alu instid0(VALU_DEP_2) | instskip(SKIP_1) | instid1(VALU_DEP_2)
	v_dual_cndmask_b32 v1, 0, v1, vcc_lo :: v_dual_lshlrev_b32 v3, 2, v3
	v_cndmask_b32_e32 v0, 3, v0, vcc_lo
	v_and_b32_e32 v3, 0xfc, v3
	s_delay_alu instid0(VALU_DEP_2) | instskip(NEXT) | instid1(VALU_DEP_2)
	v_cmp_eq_u64_e32 vcc_lo, 0, v[0:1]
	v_and_or_b32 v0, v0, 3, v3
	s_and_b32 s13, s13, vcc_lo
	s_delay_alu instid0(VALU_DEP_1) | instid1(SALU_CYCLE_1)
	v_cndmask_b32_e64 v0, v0, 0, s13
	s_delay_alu instid0(VALU_DEP_1)
	v_or_b32_e32 v27, v0, v32
.LBB6_7868:                             ;   in Loop: Header=BB6_5830 Depth=4
	s_or_b32 exec_lo, exec_lo, s76
                                        ; implicit-def: $vgpr32
.LBB6_7869:                             ;   in Loop: Header=BB6_5830 Depth=4
	s_and_not1_saveexec_b32 s13, s75
; %bb.7870:                             ;   in Loop: Header=BB6_5830 Depth=4
	v_or_b32_e32 v27, 0x7b, v32
; %bb.7871:                             ;   in Loop: Header=BB6_5830 Depth=4
	s_or_b32 exec_lo, exec_lo, s13
                                        ; implicit-def: $vgpr2
                                        ; implicit-def: $vgpr0_vgpr1
                                        ; implicit-def: $vgpr3
.LBB6_7872:                             ;   in Loop: Header=BB6_5830 Depth=4
	s_and_not1_saveexec_b32 s13, s74
	s_cbranch_execz .LBB6_7878
; %bb.7873:                             ;   in Loop: Header=BB6_5830 Depth=4
	s_mov_b32 s74, exec_lo
                                        ; implicit-def: $vgpr27
	v_cmpx_ne_u64_e32 0, v[0:1]
	s_xor_b32 s74, exec_lo, s74
; %bb.7874:                             ;   in Loop: Header=BB6_5830 Depth=4
	v_or_b32_e32 v27, 0x7f, v3
                                        ; implicit-def: $vgpr2
; %bb.7875:                             ;   in Loop: Header=BB6_5830 Depth=4
	s_and_not1_saveexec_b32 s74, s74
; %bb.7876:                             ;   in Loop: Header=BB6_5830 Depth=4
	v_cmp_lt_i32_e32 vcc_lo, -1, v2
	v_mov_b32_e32 v0, 0x7c
	s_delay_alu instid0(VALU_DEP_1)
	v_cndmask_b32_e32 v27, 0xfc, v0, vcc_lo
; %bb.7877:                             ;   in Loop: Header=BB6_5830 Depth=4
	s_or_b32 exec_lo, exec_lo, s74
.LBB6_7878:                             ;   in Loop: Header=BB6_5830 Depth=4
	s_delay_alu instid0(SALU_CYCLE_1)
	s_or_b32 exec_lo, exec_lo, s13
	v_dual_mov_b32 v1, 0 :: v_dual_mov_b32 v2, 0
	s_mov_b32 s74, exec_lo
	v_cmpx_lt_u32_e32 0xffffff, v112
	s_cbranch_execz .LBB6_7888
; %bb.7879:                             ;   in Loop: Header=BB6_5830 Depth=4
	v_lshrrev_b32_e32 v0, 24, v112
	v_bfrev_b32_e32 v2, 1
	s_mov_b32 s75, exec_lo
	s_delay_alu instid0(VALU_DEP_2)
	v_cmpx_ne_u32_e32 0x80, v0
	s_cbranch_execz .LBB6_7887
; %bb.7880:                             ;   in Loop: Header=BB6_5830 Depth=4
	v_and_b32_e32 v2, 0x7c000000, v112
	v_bfe_u32 v3, v112, 24, 2
	s_delay_alu instid0(VALU_DEP_2) | instskip(SKIP_1) | instid1(SALU_CYCLE_1)
	v_cmp_ne_u32_e32 vcc_lo, 0x7c000000, v2
                                        ; implicit-def: $vgpr2
	s_and_saveexec_b32 s13, vcc_lo
	s_xor_b32 s13, exec_lo, s13
	s_cbranch_execz .LBB6_7884
; %bb.7881:                             ;   in Loop: Header=BB6_5830 Depth=4
	v_bfe_u32 v2, v112, 26, 5
	s_mov_b32 s76, exec_lo
	s_delay_alu instid0(VALU_DEP_1)
	v_cmpx_eq_u32_e32 0, v2
; %bb.7882:                             ;   in Loop: Header=BB6_5830 Depth=4
	v_clz_i32_u32_e32 v2, v3
	s_delay_alu instid0(VALU_DEP_1) | instskip(NEXT) | instid1(VALU_DEP_1)
	v_min_u32_e32 v2, 32, v2
	v_subrev_nc_u32_e32 v3, 29, v2
	v_sub_nc_u32_e32 v2, 30, v2
	s_delay_alu instid0(VALU_DEP_2) | instskip(NEXT) | instid1(VALU_DEP_1)
	v_lshlrev_b64_e32 v[74:75], v3, v[0:1]
	v_and_b32_e32 v3, 3, v74
; %bb.7883:                             ;   in Loop: Header=BB6_5830 Depth=4
	s_or_b32 exec_lo, exec_lo, s76
	v_and_b32_e32 v0, 0x80000000, v112
	s_delay_alu instid0(VALU_DEP_1) | instskip(NEXT) | instid1(VALU_DEP_1)
	v_lshl_add_u32 v0, v2, 23, v0
	v_lshl_or_b32 v0, v3, 21, v0
                                        ; implicit-def: $vgpr3
	s_delay_alu instid0(VALU_DEP_1)
	v_add_nc_u32_e32 v2, 0x38000000, v0
.LBB6_7884:                             ;   in Loop: Header=BB6_5830 Depth=4
	s_and_not1_saveexec_b32 s76, s13
; %bb.7885:                             ;   in Loop: Header=BB6_5830 Depth=4
	v_cmp_lt_i32_e64 s13, -1, v112
	v_mov_b32_e32 v0, 0x7f800000
	v_cmp_eq_u32_e32 vcc_lo, 0, v3
	s_delay_alu instid0(VALU_DEP_2) | instskip(NEXT) | instid1(VALU_DEP_1)
	v_cndmask_b32_e64 v0, 0xff800000, v0, s13
	v_cndmask_b32_e32 v2, 0x7f800001, v0, vcc_lo
; %bb.7886:                             ;   in Loop: Header=BB6_5830 Depth=4
	s_or_b32 exec_lo, exec_lo, s76
.LBB6_7887:                             ;   in Loop: Header=BB6_5830 Depth=4
	s_delay_alu instid0(SALU_CYCLE_1)
	s_or_b32 exec_lo, exec_lo, s75
.LBB6_7888:                             ;   in Loop: Header=BB6_5830 Depth=4
	s_delay_alu instid0(SALU_CYCLE_1) | instskip(NEXT) | instid1(SALU_CYCLE_1)
	s_or_b32 exec_lo, exec_lo, s74
	s_mov_b32 s74, exec_lo
	v_cmpx_lt_u32_e32 0xffffff, v20
	s_cbranch_execz .LBB6_7898
; %bb.7889:                             ;   in Loop: Header=BB6_5830 Depth=4
	v_lshrrev_b32_e32 v0, 24, v20
	v_bfrev_b32_e32 v1, 1
	s_mov_b32 s75, exec_lo
	s_delay_alu instid0(VALU_DEP_2)
	v_cmpx_ne_u32_e32 0x80, v0
	s_cbranch_execz .LBB6_7897
; %bb.7890:                             ;   in Loop: Header=BB6_5830 Depth=4
	v_and_b32_e32 v1, 0x7c000000, v20
	v_bfe_u32 v3, v20, 24, 2
	s_delay_alu instid0(VALU_DEP_2) | instskip(SKIP_1) | instid1(SALU_CYCLE_1)
	v_cmp_ne_u32_e32 vcc_lo, 0x7c000000, v1
                                        ; implicit-def: $vgpr1
	s_and_saveexec_b32 s13, vcc_lo
	s_xor_b32 s13, exec_lo, s13
	s_cbranch_execz .LBB6_7894
; %bb.7891:                             ;   in Loop: Header=BB6_5830 Depth=4
	v_bfe_u32 v1, v20, 26, 5
	s_mov_b32 s76, exec_lo
	s_delay_alu instid0(VALU_DEP_1)
	v_cmpx_eq_u32_e32 0, v1
; %bb.7892:                             ;   in Loop: Header=BB6_5830 Depth=4
	v_clz_i32_u32_e32 v1, v3
	s_delay_alu instid0(VALU_DEP_1) | instskip(NEXT) | instid1(VALU_DEP_1)
	v_min_u32_e32 v3, 32, v1
	v_subrev_nc_u32_e32 v1, 29, v3
	s_delay_alu instid0(VALU_DEP_1) | instskip(NEXT) | instid1(VALU_DEP_1)
	v_lshlrev_b64_e32 v[0:1], v1, v[0:1]
	v_dual_sub_nc_u32 v1, 30, v3 :: v_dual_bitop2_b32 v3, 3, v0 bitop3:0x40
; %bb.7893:                             ;   in Loop: Header=BB6_5830 Depth=4
	s_or_b32 exec_lo, exec_lo, s76
	v_and_b32_e32 v0, 0x80000000, v20
	s_delay_alu instid0(VALU_DEP_1) | instskip(NEXT) | instid1(VALU_DEP_1)
	v_lshl_add_u32 v0, v1, 23, v0
	v_lshl_or_b32 v0, v3, 21, v0
                                        ; implicit-def: $vgpr3
	s_delay_alu instid0(VALU_DEP_1)
	v_add_nc_u32_e32 v1, 0x38000000, v0
.LBB6_7894:                             ;   in Loop: Header=BB6_5830 Depth=4
	s_and_not1_saveexec_b32 s76, s13
; %bb.7895:                             ;   in Loop: Header=BB6_5830 Depth=4
	v_cmp_lt_i32_e64 s13, -1, v20
	v_mov_b32_e32 v0, 0x7f800000
	v_cmp_eq_u32_e32 vcc_lo, 0, v3
	s_delay_alu instid0(VALU_DEP_2) | instskip(NEXT) | instid1(VALU_DEP_1)
	v_cndmask_b32_e64 v0, 0xff800000, v0, s13
	v_cndmask_b32_e32 v1, 0x7f800001, v0, vcc_lo
; %bb.7896:                             ;   in Loop: Header=BB6_5830 Depth=4
	s_or_b32 exec_lo, exec_lo, s76
.LBB6_7897:                             ;   in Loop: Header=BB6_5830 Depth=4
	s_delay_alu instid0(SALU_CYCLE_1)
	s_or_b32 exec_lo, exec_lo, s75
.LBB6_7898:                             ;   in Loop: Header=BB6_5830 Depth=4
	s_delay_alu instid0(SALU_CYCLE_1) | instskip(NEXT) | instid1(VALU_DEP_1)
	s_or_b32 exec_lo, exec_lo, s74
	v_dual_add_f32 v0, v2, v1 :: v_dual_mov_b32 v3, v113
                                        ; implicit-def: $vgpr32
	s_mov_b32 s13, exec_lo
	s_delay_alu instid0(VALU_DEP_1) | instskip(SKIP_2) | instid1(VALU_DEP_3)
	v_and_b32_e32 v2, 0x7f800000, v0
	v_and_b32_e32 v112, 0x7fffff, v0
	v_lshrrev_b32_e32 v1, 24, v0
	v_cmpx_ne_u64_e32 0x7f800000, v[2:3]
	s_xor_b32 s74, exec_lo, s13
	s_cbranch_execz .LBB6_7912
; %bb.7899:                             ;   in Loop: Header=BB6_5830 Depth=4
	v_and_b32_e32 v2, 0x7fffffff, v0
	v_mov_b32_e32 v3, v113
	v_and_b32_e32 v74, 0x80, v1
                                        ; implicit-def: $vgpr32
	s_mov_b32 s13, exec_lo
	s_delay_alu instid0(VALU_DEP_2)
	v_cmpx_gt_u64_e32 0x47600001, v[2:3]
	s_xor_b32 s75, exec_lo, s13
	s_cbranch_execz .LBB6_7909
; %bb.7900:                             ;   in Loop: Header=BB6_5830 Depth=4
	v_mov_b32_e32 v32, 0
	s_mov_b32 s76, exec_lo
	v_cmpx_ne_u32_e32 0, v0
	s_cbranch_execz .LBB6_7908
; %bb.7901:                             ;   in Loop: Header=BB6_5830 Depth=4
	v_bfe_u32 v32, v0, 23, 8
	v_or_b32_e32 v1, 0x800000, v112
	s_delay_alu instid0(VALU_DEP_2) | instskip(SKIP_2) | instid1(VALU_DEP_2)
	v_cmp_gt_u32_e64 s13, 0x72, v32
	v_sub_nc_u32_e32 v0, 0x71, v32
	v_cmp_eq_u32_e32 vcc_lo, 0, v32
	v_cndmask_b32_e64 v0, 0, v0, s13
	s_delay_alu instid0(VALU_DEP_1) | instskip(SKIP_1) | instid1(VALU_DEP_2)
	v_cndmask_b32_e64 v75, v0, 0x70, vcc_lo
	v_cndmask_b32_e32 v0, v1, v112, vcc_lo
	v_dual_mov_b32 v1, v113 :: v_dual_add_nc_u32 v2, 21, v75
	v_add_nc_u32_e32 v112, 20, v75
	s_delay_alu instid0(VALU_DEP_2) | instskip(NEXT) | instid1(VALU_DEP_2)
	v_lshlrev_b64_e64 v[2:3], v2, -1
	v_lshlrev_b64_e64 v[76:77], v112, 1
	s_delay_alu instid0(VALU_DEP_2) | instskip(SKIP_1) | instid1(VALU_DEP_4)
	v_bfi_b32 v2, v2, 0, v0
	v_lshrrev_b64 v[0:1], v75, v[0:1]
	v_bfi_b32 v3, v3, 0, 0
	s_delay_alu instid0(VALU_DEP_1) | instskip(NEXT) | instid1(VALU_DEP_3)
	v_cmp_eq_u64_e64 s13, v[2:3], v[76:77]
	v_mov_b64_e32 v[2:3], v[0:1]
	s_and_saveexec_b32 s77, s13
; %bb.7902:                             ;   in Loop: Header=BB6_5830 Depth=4
	v_bfe_u32 v2, v0, 21, 1
	v_mov_b32_e32 v3, v113
	s_delay_alu instid0(VALU_DEP_1) | instskip(NEXT) | instid1(VALU_DEP_1)
	v_add_nc_u64_e32 v[2:3], v[0:1], v[2:3]
	v_add_nc_u64_e32 v[2:3], -1, v[2:3]
; %bb.7903:                             ;   in Loop: Header=BB6_5830 Depth=4
	s_or_b32 exec_lo, exec_lo, s77
	v_add_nc_u32_e32 v1, 0xffffff81, v32
	v_lshrrev_b32_e32 v3, 23, v0
	s_mov_b32 s13, exec_lo
	s_delay_alu instid0(VALU_DEP_2) | instskip(NEXT) | instid1(VALU_DEP_1)
	v_cndmask_b32_e64 v1, v1, 0xffffff82, vcc_lo
	v_add3_u32 v32, v75, v1, v3
	v_and_b32_e32 v1, 0x1fffff, v2
                                        ; implicit-def: $vgpr2
	s_delay_alu instid0(VALU_DEP_2) | instskip(NEXT) | instid1(VALU_DEP_2)
	v_add_nc_u32_e32 v3, 14, v32
	v_add_nc_u32_e32 v112, v1, v0
                                        ; implicit-def: $vgpr0_vgpr1
	s_delay_alu instid0(VALU_DEP_2)
	v_cmpx_ne_u32_e32 0, v3
	s_xor_b32 s13, exec_lo, s13
; %bb.7904:                             ;   in Loop: Header=BB6_5830 Depth=4
	s_delay_alu instid0(VALU_DEP_2) | instskip(SKIP_1) | instid1(VALU_DEP_1)
	v_cmp_lt_u64_e32 vcc_lo, 0xffffff, v[112:113]
	v_add_nc_u32_e32 v0, 15, v32
	v_cndmask_b32_e32 v2, v3, v0, vcc_lo
	v_cndmask_b32_e64 v0, 0, 1, vcc_lo
	s_delay_alu instid0(VALU_DEP_1)
	v_lshrrev_b64 v[0:1], v0, v[112:113]
; %bb.7905:                             ;   in Loop: Header=BB6_5830 Depth=4
	s_and_not1_saveexec_b32 s13, s13
; %bb.7906:                             ;   in Loop: Header=BB6_5830 Depth=4
	v_mov_b64_e32 v[0:1], v[112:113]
	v_bfe_u32 v2, v112, 23, 1
; %bb.7907:                             ;   in Loop: Header=BB6_5830 Depth=4
	s_or_b32 exec_lo, exec_lo, s13
	s_delay_alu instid0(VALU_DEP_2) | instskip(NEXT) | instid1(VALU_DEP_2)
	v_lshrrev_b64 v[0:1], 21, v[0:1]
	v_cmp_gt_i32_e32 vcc_lo, 32, v2
	v_min_i32_e32 v3, 31, v2
	v_cmp_eq_u32_e64 s13, 0, v2
	s_delay_alu instid0(VALU_DEP_2) | instskip(SKIP_1) | instid1(VALU_DEP_2)
	v_dual_cndmask_b32 v1, 0, v1, vcc_lo :: v_dual_lshlrev_b32 v3, 2, v3
	v_cndmask_b32_e32 v0, 3, v0, vcc_lo
	v_and_b32_e32 v3, 0xfc, v3
	s_delay_alu instid0(VALU_DEP_2) | instskip(NEXT) | instid1(VALU_DEP_2)
	v_cmp_eq_u64_e32 vcc_lo, 0, v[0:1]
	v_and_or_b32 v0, v0, 3, v3
	s_and_b32 s13, s13, vcc_lo
	s_delay_alu instid0(VALU_DEP_1) | instid1(SALU_CYCLE_1)
	v_cndmask_b32_e64 v0, v0, 0, s13
	s_delay_alu instid0(VALU_DEP_1)
	v_or_b32_e32 v32, v0, v74
.LBB6_7908:                             ;   in Loop: Header=BB6_5830 Depth=4
	s_or_b32 exec_lo, exec_lo, s76
                                        ; implicit-def: $vgpr74
.LBB6_7909:                             ;   in Loop: Header=BB6_5830 Depth=4
	s_and_not1_saveexec_b32 s13, s75
; %bb.7910:                             ;   in Loop: Header=BB6_5830 Depth=4
	v_or_b32_e32 v32, 0x7b, v74
; %bb.7911:                             ;   in Loop: Header=BB6_5830 Depth=4
	s_or_b32 exec_lo, exec_lo, s13
                                        ; implicit-def: $vgpr0
                                        ; implicit-def: $vgpr1
.LBB6_7912:                             ;   in Loop: Header=BB6_5830 Depth=4
	s_and_not1_saveexec_b32 s13, s74
	s_cbranch_execz .LBB6_7918
; %bb.7913:                             ;   in Loop: Header=BB6_5830 Depth=4
	s_mov_b32 s74, exec_lo
                                        ; implicit-def: $vgpr32
	v_cmpx_ne_u64_e32 0, v[112:113]
	s_xor_b32 s74, exec_lo, s74
; %bb.7914:                             ;   in Loop: Header=BB6_5830 Depth=4
	v_or_b32_e32 v32, 0x7f, v1
                                        ; implicit-def: $vgpr0
; %bb.7915:                             ;   in Loop: Header=BB6_5830 Depth=4
	s_and_not1_saveexec_b32 s74, s74
; %bb.7916:                             ;   in Loop: Header=BB6_5830 Depth=4
	v_cmp_lt_i32_e32 vcc_lo, -1, v0
	v_mov_b32_e32 v0, 0x7c
	s_delay_alu instid0(VALU_DEP_1)
	v_cndmask_b32_e32 v32, 0xfc, v0, vcc_lo
; %bb.7917:                             ;   in Loop: Header=BB6_5830 Depth=4
	s_or_b32 exec_lo, exec_lo, s74
.LBB6_7918:                             ;   in Loop: Header=BB6_5830 Depth=4
	s_delay_alu instid0(SALU_CYCLE_1) | instskip(SKIP_3) | instid1(VALU_DEP_1)
	s_or_b32 exec_lo, exec_lo, s13
	v_lshl_or_b32 v53, v53, 8, v48
	v_dual_lshlrev_b32 v0, 16, v66 :: v_dual_lshlrev_b32 v1, 24, v47
	s_mov_b32 s74, exec_lo
	v_or3_b32 v112, v0, v1, v53
	v_dual_mov_b32 v1, 0 :: v_dual_mov_b32 v0, 0
	v_cmpx_ne_u32_e32 0, v48
	s_cbranch_execz .LBB6_7928
; %bb.7919:                             ;   in Loop: Header=BB6_5830 Depth=4
	v_bfrev_b32_e32 v0, 1
	s_mov_b32 s75, exec_lo
	v_cmpx_ne_u32_e32 0x80, v48
	s_cbranch_execz .LBB6_7927
; %bb.7920:                             ;   in Loop: Header=BB6_5830 Depth=4
	v_and_b32_e32 v0, 0x7c, v48
	v_and_b32_e32 v2, 3, v48
	s_delay_alu instid0(VALU_DEP_2) | instskip(SKIP_1) | instid1(SALU_CYCLE_1)
	v_cmp_ne_u32_e32 vcc_lo, 0x7c, v0
                                        ; implicit-def: $vgpr0
	s_and_saveexec_b32 s13, vcc_lo
	s_xor_b32 s13, exec_lo, s13
	s_cbranch_execz .LBB6_7924
; %bb.7921:                             ;   in Loop: Header=BB6_5830 Depth=4
	v_bfe_u32 v0, v48, 2, 5
	s_mov_b32 s76, exec_lo
	s_delay_alu instid0(VALU_DEP_1)
	v_cmpx_eq_u32_e32 0, v0
; %bb.7922:                             ;   in Loop: Header=BB6_5830 Depth=4
	v_clz_i32_u32_e32 v0, v2
	s_delay_alu instid0(VALU_DEP_1) | instskip(NEXT) | instid1(VALU_DEP_1)
	v_min_u32_e32 v0, 32, v0
	v_subrev_nc_u32_e32 v2, 29, v0
	s_delay_alu instid0(VALU_DEP_1) | instskip(NEXT) | instid1(VALU_DEP_1)
	v_lshlrev_b64_e32 v[2:3], v2, v[112:113]
	v_dual_sub_nc_u32 v0, 30, v0 :: v_dual_bitop2_b32 v2, 3, v2 bitop3:0x40
; %bb.7923:                             ;   in Loop: Header=BB6_5830 Depth=4
	s_or_b32 exec_lo, exec_lo, s76
	v_lshlrev_b32_e32 v3, 24, v48
                                        ; implicit-def: $vgpr48
	s_delay_alu instid0(VALU_DEP_1) | instskip(NEXT) | instid1(VALU_DEP_1)
	v_and_b32_e32 v3, 0x80000000, v3
	v_lshl_add_u32 v0, v0, 23, v3
	s_delay_alu instid0(VALU_DEP_1) | instskip(NEXT) | instid1(VALU_DEP_1)
	v_lshl_or_b32 v0, v2, 21, v0
                                        ; implicit-def: $vgpr2
	v_add_nc_u32_e32 v0, 0x38000000, v0
.LBB6_7924:                             ;   in Loop: Header=BB6_5830 Depth=4
	s_and_not1_saveexec_b32 s76, s13
; %bb.7925:                             ;   in Loop: Header=BB6_5830 Depth=4
	v_and_b32_e32 v0, 0x80, v48
	v_cmp_eq_u32_e32 vcc_lo, 0, v2
	s_delay_alu instid0(VALU_DEP_2) | instskip(SKIP_1) | instid1(VALU_DEP_1)
	v_cmp_eq_u32_e64 s13, 0, v0
	v_mov_b32_e32 v0, 0x7f800000
	v_cndmask_b32_e64 v0, 0xff800000, v0, s13
	s_delay_alu instid0(VALU_DEP_1)
	v_cndmask_b32_e32 v0, 0x7f800001, v0, vcc_lo
; %bb.7926:                             ;   in Loop: Header=BB6_5830 Depth=4
	s_or_b32 exec_lo, exec_lo, s76
.LBB6_7927:                             ;   in Loop: Header=BB6_5830 Depth=4
	s_delay_alu instid0(SALU_CYCLE_1)
	s_or_b32 exec_lo, exec_lo, s75
.LBB6_7928:                             ;   in Loop: Header=BB6_5830 Depth=4
	s_delay_alu instid0(SALU_CYCLE_1) | instskip(SKIP_2) | instid1(VALU_DEP_1)
	s_or_b32 exec_lo, exec_lo, s74
	v_and_b32_e32 v2, 0xff, v21
	s_mov_b32 s74, exec_lo
	v_cmpx_ne_u16_e32 0, v2
	s_cbranch_execz .LBB6_7938
; %bb.7929:                             ;   in Loop: Header=BB6_5830 Depth=4
	v_bfrev_b32_e32 v1, 1
	s_mov_b32 s75, exec_lo
	v_cmpx_ne_u16_e32 0x80, v2
	s_cbranch_execz .LBB6_7937
; %bb.7930:                             ;   in Loop: Header=BB6_5830 Depth=4
	v_and_b32_e32 v1, 0x7c, v21
	v_and_b32_e32 v2, 3, v21
	s_delay_alu instid0(VALU_DEP_2) | instskip(SKIP_1) | instid1(SALU_CYCLE_1)
	v_cmp_ne_u32_e32 vcc_lo, 0x7c, v1
                                        ; implicit-def: $vgpr1
	s_and_saveexec_b32 s13, vcc_lo
	s_xor_b32 s13, exec_lo, s13
	s_cbranch_execz .LBB6_7934
; %bb.7931:                             ;   in Loop: Header=BB6_5830 Depth=4
	v_bfe_u32 v1, v21, 2, 5
	s_mov_b32 s76, exec_lo
	s_delay_alu instid0(VALU_DEP_1)
	v_cmpx_eq_u32_e32 0, v1
; %bb.7932:                             ;   in Loop: Header=BB6_5830 Depth=4
	v_clz_i32_u32_e32 v1, v2
	v_dual_mov_b32 v2, v21 :: v_dual_mov_b32 v3, v113
	s_delay_alu instid0(VALU_DEP_2) | instskip(NEXT) | instid1(VALU_DEP_1)
	v_min_u32_e32 v1, 32, v1
	v_subrev_nc_u32_e32 v48, 29, v1
	s_delay_alu instid0(VALU_DEP_1) | instskip(NEXT) | instid1(VALU_DEP_1)
	v_lshlrev_b64_e32 v[2:3], v48, v[2:3]
	v_dual_sub_nc_u32 v1, 30, v1 :: v_dual_bitop2_b32 v2, 3, v2 bitop3:0x40
; %bb.7933:                             ;   in Loop: Header=BB6_5830 Depth=4
	s_or_b32 exec_lo, exec_lo, s76
	v_lshlrev_b32_e32 v3, 24, v21
	s_delay_alu instid0(VALU_DEP_1) | instskip(NEXT) | instid1(VALU_DEP_1)
	v_and_b32_e32 v3, 0x80000000, v3
	v_lshl_add_u32 v1, v1, 23, v3
	s_delay_alu instid0(VALU_DEP_1) | instskip(NEXT) | instid1(VALU_DEP_1)
	v_lshl_or_b32 v1, v2, 21, v1
                                        ; implicit-def: $vgpr2
	v_add_nc_u32_e32 v1, 0x38000000, v1
.LBB6_7934:                             ;   in Loop: Header=BB6_5830 Depth=4
	s_and_not1_saveexec_b32 s76, s13
; %bb.7935:                             ;   in Loop: Header=BB6_5830 Depth=4
	v_bfe_i32 v1, v21, 0, 8
	v_cmp_eq_u32_e32 vcc_lo, 0, v2
	s_delay_alu instid0(VALU_DEP_2) | instskip(SKIP_1) | instid1(VALU_DEP_1)
	v_cmp_lt_i16_e64 s13, -1, v1
	v_mov_b32_e32 v1, 0x7f800000
	v_cndmask_b32_e64 v1, 0xff800000, v1, s13
	s_delay_alu instid0(VALU_DEP_1)
	v_cndmask_b32_e32 v1, 0x7f800001, v1, vcc_lo
; %bb.7936:                             ;   in Loop: Header=BB6_5830 Depth=4
	s_or_b32 exec_lo, exec_lo, s76
.LBB6_7937:                             ;   in Loop: Header=BB6_5830 Depth=4
	s_delay_alu instid0(SALU_CYCLE_1)
	s_or_b32 exec_lo, exec_lo, s75
.LBB6_7938:                             ;   in Loop: Header=BB6_5830 Depth=4
	s_delay_alu instid0(SALU_CYCLE_1) | instskip(NEXT) | instid1(VALU_DEP_1)
	s_or_b32 exec_lo, exec_lo, s74
	v_dual_add_f32 v2, v0, v1 :: v_dual_mov_b32 v75, v113
	v_mov_b32_e32 v1, v113
                                        ; implicit-def: $vgpr48
	s_mov_b32 s13, exec_lo
	s_delay_alu instid0(VALU_DEP_2) | instskip(SKIP_2) | instid1(VALU_DEP_3)
	v_and_b32_e32 v74, 0x7f800000, v2
	v_and_b32_e32 v0, 0x7fffff, v2
	v_lshrrev_b32_e32 v3, 24, v2
	v_cmpx_ne_u64_e32 0x7f800000, v[74:75]
	s_xor_b32 s74, exec_lo, s13
	s_cbranch_execz .LBB6_7952
; %bb.7939:                             ;   in Loop: Header=BB6_5830 Depth=4
	v_and_b32_e32 v74, 0x7fffffff, v2
	v_mov_b32_e32 v75, v113
	v_and_b32_e32 v66, 0x80, v3
                                        ; implicit-def: $vgpr48
	s_mov_b32 s13, exec_lo
	s_delay_alu instid0(VALU_DEP_2)
	v_cmpx_gt_u64_e32 0x47600001, v[74:75]
	s_xor_b32 s75, exec_lo, s13
	s_cbranch_execz .LBB6_7949
; %bb.7940:                             ;   in Loop: Header=BB6_5830 Depth=4
	v_mov_b32_e32 v48, 0
	s_mov_b32 s76, exec_lo
	v_cmpx_ne_u32_e32 0, v2
	s_cbranch_execz .LBB6_7948
; %bb.7941:                             ;   in Loop: Header=BB6_5830 Depth=4
	v_bfe_u32 v48, v2, 23, 8
	v_or_b32_e32 v3, 0x800000, v0
	s_delay_alu instid0(VALU_DEP_2) | instskip(SKIP_2) | instid1(VALU_DEP_2)
	v_cmp_gt_u32_e64 s13, 0x72, v48
	v_sub_nc_u32_e32 v2, 0x71, v48
	v_cmp_eq_u32_e32 vcc_lo, 0, v48
	v_dual_cndmask_b32 v2, 0, v2, s13 :: v_dual_cndmask_b32 v0, v3, v0, vcc_lo
	s_delay_alu instid0(VALU_DEP_1) | instskip(NEXT) | instid1(VALU_DEP_1)
	v_cndmask_b32_e64 v47, v2, 0x70, vcc_lo
	v_dual_add_nc_u32 v2, 21, v47 :: v_dual_add_nc_u32 v74, 20, v47
	s_delay_alu instid0(VALU_DEP_1) | instskip(NEXT) | instid1(VALU_DEP_2)
	v_lshlrev_b64_e64 v[2:3], v2, -1
	v_lshlrev_b64_e64 v[74:75], v74, 1
	s_delay_alu instid0(VALU_DEP_2) | instskip(SKIP_1) | instid1(VALU_DEP_4)
	v_bfi_b32 v2, v2, 0, v0
	v_lshrrev_b64 v[0:1], v47, v[0:1]
	v_bfi_b32 v3, v3, 0, 0
	s_delay_alu instid0(VALU_DEP_1) | instskip(NEXT) | instid1(VALU_DEP_3)
	v_cmp_eq_u64_e64 s13, v[2:3], v[74:75]
	v_mov_b64_e32 v[2:3], v[0:1]
	s_and_saveexec_b32 s77, s13
; %bb.7942:                             ;   in Loop: Header=BB6_5830 Depth=4
	v_bfe_u32 v2, v0, 21, 1
	v_mov_b32_e32 v3, v113
	s_delay_alu instid0(VALU_DEP_1) | instskip(NEXT) | instid1(VALU_DEP_1)
	v_add_nc_u64_e32 v[2:3], v[0:1], v[2:3]
	v_add_nc_u64_e32 v[2:3], -1, v[2:3]
; %bb.7943:                             ;   in Loop: Header=BB6_5830 Depth=4
	s_or_b32 exec_lo, exec_lo, s77
	v_add_nc_u32_e32 v1, 0xffffff81, v48
	v_lshrrev_b32_e32 v3, 23, v0
	s_mov_b32 s13, exec_lo
	s_delay_alu instid0(VALU_DEP_2) | instskip(NEXT) | instid1(VALU_DEP_1)
	v_cndmask_b32_e64 v1, v1, 0xffffff82, vcc_lo
	v_add3_u32 v48, v47, v1, v3
	v_and_b32_e32 v1, 0x1fffff, v2
                                        ; implicit-def: $vgpr2
	s_delay_alu instid0(VALU_DEP_2) | instskip(NEXT) | instid1(VALU_DEP_2)
	v_add_nc_u32_e32 v3, 14, v48
	v_add_nc_u32_e32 v0, v1, v0
	v_mov_b32_e32 v1, v113
	s_delay_alu instid0(VALU_DEP_3)
	v_cmpx_ne_u32_e32 0, v3
	s_xor_b32 s13, exec_lo, s13
; %bb.7944:                             ;   in Loop: Header=BB6_5830 Depth=4
	s_delay_alu instid0(VALU_DEP_2) | instskip(SKIP_1) | instid1(VALU_DEP_1)
	v_cmp_lt_u64_e32 vcc_lo, 0xffffff, v[0:1]
	v_add_nc_u32_e32 v2, 15, v48
	v_cndmask_b32_e32 v2, v3, v2, vcc_lo
	v_cndmask_b32_e64 v3, 0, 1, vcc_lo
	s_delay_alu instid0(VALU_DEP_1)
	v_lshrrev_b64 v[0:1], v3, v[0:1]
; %bb.7945:                             ;   in Loop: Header=BB6_5830 Depth=4
	s_and_not1_saveexec_b32 s13, s13
; %bb.7946:                             ;   in Loop: Header=BB6_5830 Depth=4
	s_delay_alu instid0(VALU_DEP_1)
	v_bfe_u32 v2, v0, 23, 1
; %bb.7947:                             ;   in Loop: Header=BB6_5830 Depth=4
	s_or_b32 exec_lo, exec_lo, s13
	s_delay_alu instid0(VALU_DEP_2) | instskip(NEXT) | instid1(VALU_DEP_2)
	v_lshrrev_b64 v[0:1], 21, v[0:1]
	v_cmp_gt_i32_e32 vcc_lo, 32, v2
	v_min_i32_e32 v3, 31, v2
	v_cmp_eq_u32_e64 s13, 0, v2
	s_delay_alu instid0(VALU_DEP_2) | instskip(SKIP_1) | instid1(VALU_DEP_2)
	v_dual_cndmask_b32 v1, 0, v1, vcc_lo :: v_dual_lshlrev_b32 v3, 2, v3
	v_cndmask_b32_e32 v0, 3, v0, vcc_lo
	v_and_b32_e32 v3, 0xfc, v3
	s_delay_alu instid0(VALU_DEP_2) | instskip(NEXT) | instid1(VALU_DEP_2)
	v_cmp_eq_u64_e32 vcc_lo, 0, v[0:1]
	v_and_or_b32 v0, v0, 3, v3
	s_and_b32 s13, s13, vcc_lo
	s_delay_alu instid0(VALU_DEP_1) | instid1(SALU_CYCLE_1)
	v_cndmask_b32_e64 v0, v0, 0, s13
	s_delay_alu instid0(VALU_DEP_1)
	v_or_b32_e32 v48, v0, v66
.LBB6_7948:                             ;   in Loop: Header=BB6_5830 Depth=4
	s_or_b32 exec_lo, exec_lo, s76
                                        ; implicit-def: $vgpr66
.LBB6_7949:                             ;   in Loop: Header=BB6_5830 Depth=4
	s_and_not1_saveexec_b32 s13, s75
; %bb.7950:                             ;   in Loop: Header=BB6_5830 Depth=4
	v_or_b32_e32 v48, 0x7b, v66
; %bb.7951:                             ;   in Loop: Header=BB6_5830 Depth=4
	s_or_b32 exec_lo, exec_lo, s13
                                        ; implicit-def: $vgpr2
                                        ; implicit-def: $vgpr0_vgpr1
                                        ; implicit-def: $vgpr3
.LBB6_7952:                             ;   in Loop: Header=BB6_5830 Depth=4
	s_and_not1_saveexec_b32 s13, s74
	s_cbranch_execz .LBB6_7958
; %bb.7953:                             ;   in Loop: Header=BB6_5830 Depth=4
	s_mov_b32 s74, exec_lo
                                        ; implicit-def: $vgpr48
	v_cmpx_ne_u64_e32 0, v[0:1]
	s_xor_b32 s74, exec_lo, s74
; %bb.7954:                             ;   in Loop: Header=BB6_5830 Depth=4
	v_or_b32_e32 v48, 0x7f, v3
                                        ; implicit-def: $vgpr2
; %bb.7955:                             ;   in Loop: Header=BB6_5830 Depth=4
	s_and_not1_saveexec_b32 s74, s74
; %bb.7956:                             ;   in Loop: Header=BB6_5830 Depth=4
	v_cmp_lt_i32_e32 vcc_lo, -1, v2
	v_mov_b32_e32 v0, 0x7c
	s_delay_alu instid0(VALU_DEP_1)
	v_cndmask_b32_e32 v48, 0xfc, v0, vcc_lo
; %bb.7957:                             ;   in Loop: Header=BB6_5830 Depth=4
	s_or_b32 exec_lo, exec_lo, s74
.LBB6_7958:                             ;   in Loop: Header=BB6_5830 Depth=4
	s_delay_alu instid0(SALU_CYCLE_1) | instskip(SKIP_3) | instid1(VALU_DEP_2)
	s_or_b32 exec_lo, exec_lo, s13
	v_lshrrev_b16 v0, 8, v53
	v_dual_mov_b32 v2, 0 :: v_dual_mov_b32 v3, 0
	s_mov_b32 s74, exec_lo
	v_cmpx_ne_u16_e32 0, v0
	s_cbranch_execz .LBB6_7968
; %bb.7959:                             ;   in Loop: Header=BB6_5830 Depth=4
	v_bfrev_b32_e32 v3, 1
	s_mov_b32 s75, exec_lo
	v_cmpx_ne_u16_e32 0x80, v0
	s_cbranch_execz .LBB6_7967
; %bb.7960:                             ;   in Loop: Header=BB6_5830 Depth=4
	v_and_b32_e32 v66, 0xffff, v0
	s_delay_alu instid0(VALU_DEP_1) | instskip(SKIP_1) | instid1(VALU_DEP_2)
	v_and_b32_e32 v3, 0x7c, v66
	v_and_b32_e32 v1, 3, v66
	v_cmp_ne_u32_e32 vcc_lo, 0x7c, v3
                                        ; implicit-def: $vgpr3
	s_and_saveexec_b32 s13, vcc_lo
	s_delay_alu instid0(SALU_CYCLE_1)
	s_xor_b32 s13, exec_lo, s13
	s_cbranch_execz .LBB6_7964
; %bb.7961:                             ;   in Loop: Header=BB6_5830 Depth=4
	v_bfe_u32 v3, v66, 2, 5
	s_mov_b32 s76, exec_lo
	s_delay_alu instid0(VALU_DEP_1)
	v_cmpx_eq_u32_e32 0, v3
	s_cbranch_execz .LBB6_7963
; %bb.7962:                             ;   in Loop: Header=BB6_5830 Depth=4
	v_clz_i32_u32_e32 v1, v1
	s_delay_alu instid0(VALU_DEP_1) | instskip(SKIP_1) | instid1(VALU_DEP_2)
	v_min_u32_e32 v3, 32, v1
	v_mov_b32_e32 v1, v113
	v_subrev_nc_u32_e32 v66, 29, v3
	v_sub_nc_u32_e32 v3, 30, v3
	s_delay_alu instid0(VALU_DEP_2) | instskip(NEXT) | instid1(VALU_DEP_1)
	v_lshlrev_b64_e32 v[0:1], v66, v[0:1]
	v_and_b32_e32 v1, 3, v0
.LBB6_7963:                             ;   in Loop: Header=BB6_5830 Depth=4
	s_or_b32 exec_lo, exec_lo, s76
	v_lshlrev_b32_e32 v0, 16, v53
                                        ; implicit-def: $vgpr53
	s_delay_alu instid0(VALU_DEP_1) | instskip(NEXT) | instid1(VALU_DEP_1)
	v_and_b32_e32 v0, 0x80000000, v0
	v_lshl_add_u32 v0, v3, 23, v0
	s_delay_alu instid0(VALU_DEP_1) | instskip(NEXT) | instid1(VALU_DEP_1)
	v_lshl_or_b32 v0, v1, 21, v0
                                        ; implicit-def: $vgpr1
	v_add_nc_u32_e32 v3, 0x38000000, v0
.LBB6_7964:                             ;   in Loop: Header=BB6_5830 Depth=4
	s_and_not1_saveexec_b32 s76, s13
; %bb.7965:                             ;   in Loop: Header=BB6_5830 Depth=4
	v_cmp_lt_i16_e64 s13, -1, v53
	v_mov_b32_e32 v0, 0x7f800000
	v_cmp_eq_u32_e32 vcc_lo, 0, v1
	s_delay_alu instid0(VALU_DEP_2) | instskip(NEXT) | instid1(VALU_DEP_1)
	v_cndmask_b32_e64 v0, 0xff800000, v0, s13
	v_cndmask_b32_e32 v3, 0x7f800001, v0, vcc_lo
; %bb.7966:                             ;   in Loop: Header=BB6_5830 Depth=4
	s_or_b32 exec_lo, exec_lo, s76
.LBB6_7967:                             ;   in Loop: Header=BB6_5830 Depth=4
	s_delay_alu instid0(SALU_CYCLE_1)
	s_or_b32 exec_lo, exec_lo, s75
.LBB6_7968:                             ;   in Loop: Header=BB6_5830 Depth=4
	s_delay_alu instid0(SALU_CYCLE_1) | instskip(SKIP_2) | instid1(VALU_DEP_1)
	s_or_b32 exec_lo, exec_lo, s74
	v_lshrrev_b16 v0, 8, v21
	s_mov_b32 s74, exec_lo
	v_cmpx_ne_u16_e32 0, v0
	s_cbranch_execz .LBB6_7978
; %bb.7969:                             ;   in Loop: Header=BB6_5830 Depth=4
	v_bfrev_b32_e32 v2, 1
	s_mov_b32 s75, exec_lo
	v_cmpx_ne_u16_e32 0x80, v0
	s_cbranch_execz .LBB6_7977
; %bb.7970:                             ;   in Loop: Header=BB6_5830 Depth=4
	v_and_b32_e32 v53, 0xffff, v0
	s_delay_alu instid0(VALU_DEP_1) | instskip(SKIP_1) | instid1(VALU_DEP_2)
	v_and_b32_e32 v2, 0x7c, v53
	v_and_b32_e32 v1, 3, v53
	v_cmp_ne_u32_e32 vcc_lo, 0x7c, v2
                                        ; implicit-def: $vgpr2
	s_and_saveexec_b32 s13, vcc_lo
	s_delay_alu instid0(SALU_CYCLE_1)
	s_xor_b32 s13, exec_lo, s13
	s_cbranch_execz .LBB6_7974
; %bb.7971:                             ;   in Loop: Header=BB6_5830 Depth=4
	v_bfe_u32 v2, v53, 2, 5
	s_mov_b32 s76, exec_lo
	s_delay_alu instid0(VALU_DEP_1)
	v_cmpx_eq_u32_e32 0, v2
	s_cbranch_execz .LBB6_7973
; %bb.7972:                             ;   in Loop: Header=BB6_5830 Depth=4
	v_clz_i32_u32_e32 v1, v1
	s_delay_alu instid0(VALU_DEP_1) | instskip(SKIP_1) | instid1(VALU_DEP_2)
	v_min_u32_e32 v2, 32, v1
	v_mov_b32_e32 v1, v113
	v_subrev_nc_u32_e32 v53, 29, v2
	v_sub_nc_u32_e32 v2, 30, v2
	s_delay_alu instid0(VALU_DEP_2) | instskip(NEXT) | instid1(VALU_DEP_1)
	v_lshlrev_b64_e32 v[0:1], v53, v[0:1]
	v_and_b32_e32 v1, 3, v0
.LBB6_7973:                             ;   in Loop: Header=BB6_5830 Depth=4
	s_or_b32 exec_lo, exec_lo, s76
	v_lshlrev_b32_e32 v0, 16, v21
	s_delay_alu instid0(VALU_DEP_1) | instskip(NEXT) | instid1(VALU_DEP_1)
	v_and_b32_e32 v0, 0x80000000, v0
	v_lshl_add_u32 v0, v2, 23, v0
	s_delay_alu instid0(VALU_DEP_1) | instskip(NEXT) | instid1(VALU_DEP_1)
	v_lshl_or_b32 v0, v1, 21, v0
                                        ; implicit-def: $vgpr1
	v_add_nc_u32_e32 v2, 0x38000000, v0
.LBB6_7974:                             ;   in Loop: Header=BB6_5830 Depth=4
	s_and_not1_saveexec_b32 s76, s13
; %bb.7975:                             ;   in Loop: Header=BB6_5830 Depth=4
	v_cmp_lt_i16_e64 s13, -1, v21
	v_mov_b32_e32 v0, 0x7f800000
	v_cmp_eq_u32_e32 vcc_lo, 0, v1
	s_delay_alu instid0(VALU_DEP_2) | instskip(NEXT) | instid1(VALU_DEP_1)
	v_cndmask_b32_e64 v0, 0xff800000, v0, s13
	v_cndmask_b32_e32 v2, 0x7f800001, v0, vcc_lo
; %bb.7976:                             ;   in Loop: Header=BB6_5830 Depth=4
	s_or_b32 exec_lo, exec_lo, s76
.LBB6_7977:                             ;   in Loop: Header=BB6_5830 Depth=4
	s_delay_alu instid0(SALU_CYCLE_1)
	s_or_b32 exec_lo, exec_lo, s75
.LBB6_7978:                             ;   in Loop: Header=BB6_5830 Depth=4
	s_delay_alu instid0(SALU_CYCLE_1) | instskip(NEXT) | instid1(VALU_DEP_1)
	s_or_b32 exec_lo, exec_lo, s74
	v_dual_add_f32 v2, v3, v2 :: v_dual_mov_b32 v75, v113
	v_mov_b32_e32 v1, v113
                                        ; implicit-def: $vgpr53
	s_mov_b32 s13, exec_lo
	s_delay_alu instid0(VALU_DEP_2) | instskip(SKIP_2) | instid1(VALU_DEP_3)
	v_and_b32_e32 v74, 0x7f800000, v2
	v_and_b32_e32 v0, 0x7fffff, v2
	v_lshrrev_b32_e32 v3, 24, v2
	v_cmpx_ne_u64_e32 0x7f800000, v[74:75]
	s_xor_b32 s74, exec_lo, s13
	s_cbranch_execz .LBB6_7992
; %bb.7979:                             ;   in Loop: Header=BB6_5830 Depth=4
	v_and_b32_e32 v74, 0x7fffffff, v2
	v_mov_b32_e32 v75, v113
	v_and_b32_e32 v66, 0x80, v3
                                        ; implicit-def: $vgpr53
	s_mov_b32 s13, exec_lo
	s_delay_alu instid0(VALU_DEP_2)
	v_cmpx_gt_u64_e32 0x47600001, v[74:75]
	s_xor_b32 s75, exec_lo, s13
	s_cbranch_execz .LBB6_7989
; %bb.7980:                             ;   in Loop: Header=BB6_5830 Depth=4
	v_mov_b32_e32 v53, 0
	s_mov_b32 s76, exec_lo
	v_cmpx_ne_u32_e32 0, v2
	s_cbranch_execz .LBB6_7988
; %bb.7981:                             ;   in Loop: Header=BB6_5830 Depth=4
	v_bfe_u32 v53, v2, 23, 8
	v_or_b32_e32 v3, 0x800000, v0
	s_delay_alu instid0(VALU_DEP_2) | instskip(SKIP_2) | instid1(VALU_DEP_2)
	v_cmp_gt_u32_e64 s13, 0x72, v53
	v_sub_nc_u32_e32 v2, 0x71, v53
	v_cmp_eq_u32_e32 vcc_lo, 0, v53
	v_dual_cndmask_b32 v2, 0, v2, s13 :: v_dual_cndmask_b32 v0, v3, v0, vcc_lo
	s_delay_alu instid0(VALU_DEP_1) | instskip(NEXT) | instid1(VALU_DEP_1)
	v_cndmask_b32_e64 v47, v2, 0x70, vcc_lo
	v_dual_add_nc_u32 v2, 21, v47 :: v_dual_add_nc_u32 v74, 20, v47
	s_delay_alu instid0(VALU_DEP_1) | instskip(NEXT) | instid1(VALU_DEP_2)
	v_lshlrev_b64_e64 v[2:3], v2, -1
	v_lshlrev_b64_e64 v[74:75], v74, 1
	s_delay_alu instid0(VALU_DEP_2) | instskip(SKIP_1) | instid1(VALU_DEP_4)
	v_bfi_b32 v2, v2, 0, v0
	v_lshrrev_b64 v[0:1], v47, v[0:1]
	v_bfi_b32 v3, v3, 0, 0
	s_delay_alu instid0(VALU_DEP_1) | instskip(NEXT) | instid1(VALU_DEP_3)
	v_cmp_eq_u64_e64 s13, v[2:3], v[74:75]
	v_mov_b64_e32 v[2:3], v[0:1]
	s_and_saveexec_b32 s77, s13
; %bb.7982:                             ;   in Loop: Header=BB6_5830 Depth=4
	v_bfe_u32 v2, v0, 21, 1
	v_mov_b32_e32 v3, v113
	s_delay_alu instid0(VALU_DEP_1) | instskip(NEXT) | instid1(VALU_DEP_1)
	v_add_nc_u64_e32 v[2:3], v[0:1], v[2:3]
	v_add_nc_u64_e32 v[2:3], -1, v[2:3]
; %bb.7983:                             ;   in Loop: Header=BB6_5830 Depth=4
	s_or_b32 exec_lo, exec_lo, s77
	v_add_nc_u32_e32 v1, 0xffffff81, v53
	v_lshrrev_b32_e32 v3, 23, v0
	s_mov_b32 s13, exec_lo
	s_delay_alu instid0(VALU_DEP_2) | instskip(NEXT) | instid1(VALU_DEP_1)
	v_cndmask_b32_e64 v1, v1, 0xffffff82, vcc_lo
	v_add3_u32 v53, v47, v1, v3
	v_and_b32_e32 v1, 0x1fffff, v2
                                        ; implicit-def: $vgpr2
	s_delay_alu instid0(VALU_DEP_1) | instskip(SKIP_1) | instid1(VALU_DEP_2)
	v_dual_add_nc_u32 v3, 14, v53 :: v_dual_add_nc_u32 v0, v1, v0
	v_mov_b32_e32 v1, v113
	v_cmpx_ne_u32_e32 0, v3
	s_xor_b32 s13, exec_lo, s13
; %bb.7984:                             ;   in Loop: Header=BB6_5830 Depth=4
	s_delay_alu instid0(VALU_DEP_2) | instskip(SKIP_1) | instid1(VALU_DEP_1)
	v_cmp_lt_u64_e32 vcc_lo, 0xffffff, v[0:1]
	v_add_nc_u32_e32 v2, 15, v53
	v_cndmask_b32_e32 v2, v3, v2, vcc_lo
	v_cndmask_b32_e64 v3, 0, 1, vcc_lo
	s_delay_alu instid0(VALU_DEP_1)
	v_lshrrev_b64 v[0:1], v3, v[0:1]
; %bb.7985:                             ;   in Loop: Header=BB6_5830 Depth=4
	s_and_not1_saveexec_b32 s13, s13
; %bb.7986:                             ;   in Loop: Header=BB6_5830 Depth=4
	s_delay_alu instid0(VALU_DEP_1)
	v_bfe_u32 v2, v0, 23, 1
; %bb.7987:                             ;   in Loop: Header=BB6_5830 Depth=4
	s_or_b32 exec_lo, exec_lo, s13
	s_delay_alu instid0(VALU_DEP_2) | instskip(NEXT) | instid1(VALU_DEP_2)
	v_lshrrev_b64 v[0:1], 21, v[0:1]
	v_cmp_gt_i32_e32 vcc_lo, 32, v2
	v_min_i32_e32 v3, 31, v2
	v_cmp_eq_u32_e64 s13, 0, v2
	s_delay_alu instid0(VALU_DEP_2) | instskip(SKIP_1) | instid1(VALU_DEP_2)
	v_dual_cndmask_b32 v1, 0, v1, vcc_lo :: v_dual_lshlrev_b32 v3, 2, v3
	v_cndmask_b32_e32 v0, 3, v0, vcc_lo
	v_and_b32_e32 v3, 0xfc, v3
	s_delay_alu instid0(VALU_DEP_2) | instskip(NEXT) | instid1(VALU_DEP_2)
	v_cmp_eq_u64_e32 vcc_lo, 0, v[0:1]
	v_and_or_b32 v0, v0, 3, v3
	s_and_b32 s13, s13, vcc_lo
	s_delay_alu instid0(VALU_DEP_1) | instid1(SALU_CYCLE_1)
	v_cndmask_b32_e64 v0, v0, 0, s13
	s_delay_alu instid0(VALU_DEP_1)
	v_or_b32_e32 v53, v0, v66
.LBB6_7988:                             ;   in Loop: Header=BB6_5830 Depth=4
	s_or_b32 exec_lo, exec_lo, s76
                                        ; implicit-def: $vgpr66
.LBB6_7989:                             ;   in Loop: Header=BB6_5830 Depth=4
	s_and_not1_saveexec_b32 s13, s75
; %bb.7990:                             ;   in Loop: Header=BB6_5830 Depth=4
	v_or_b32_e32 v53, 0x7b, v66
; %bb.7991:                             ;   in Loop: Header=BB6_5830 Depth=4
	s_or_b32 exec_lo, exec_lo, s13
                                        ; implicit-def: $vgpr2
                                        ; implicit-def: $vgpr0_vgpr1
                                        ; implicit-def: $vgpr3
.LBB6_7992:                             ;   in Loop: Header=BB6_5830 Depth=4
	s_and_not1_saveexec_b32 s13, s74
	s_cbranch_execz .LBB6_7998
; %bb.7993:                             ;   in Loop: Header=BB6_5830 Depth=4
	s_mov_b32 s74, exec_lo
                                        ; implicit-def: $vgpr53
	v_cmpx_ne_u64_e32 0, v[0:1]
	s_xor_b32 s74, exec_lo, s74
; %bb.7994:                             ;   in Loop: Header=BB6_5830 Depth=4
	v_or_b32_e32 v53, 0x7f, v3
                                        ; implicit-def: $vgpr2
; %bb.7995:                             ;   in Loop: Header=BB6_5830 Depth=4
	s_and_not1_saveexec_b32 s74, s74
; %bb.7996:                             ;   in Loop: Header=BB6_5830 Depth=4
	v_cmp_lt_i32_e32 vcc_lo, -1, v2
	v_mov_b32_e32 v0, 0x7c
	s_delay_alu instid0(VALU_DEP_1)
	v_cndmask_b32_e32 v53, 0xfc, v0, vcc_lo
; %bb.7997:                             ;   in Loop: Header=BB6_5830 Depth=4
	s_or_b32 exec_lo, exec_lo, s74
.LBB6_7998:                             ;   in Loop: Header=BB6_5830 Depth=4
	s_delay_alu instid0(SALU_CYCLE_1) | instskip(SKIP_3) | instid1(VALU_DEP_2)
	s_or_b32 exec_lo, exec_lo, s13
	v_dual_mov_b32 v1, 0 :: v_dual_lshrrev_b32 v0, 16, v112
	v_mov_b32_e32 v2, 0
	s_mov_b32 s74, exec_lo
	v_and_b32_e32 v3, 0xff, v0
	s_delay_alu instid0(VALU_DEP_1)
	v_cmpx_ne_u16_e32 0, v3
	s_cbranch_execz .LBB6_8008
; %bb.7999:                             ;   in Loop: Header=BB6_5830 Depth=4
	v_bfrev_b32_e32 v2, 1
	s_mov_b32 s75, exec_lo
	v_cmpx_ne_u16_e32 0x80, v3
	s_cbranch_execz .LBB6_8007
; %bb.8000:                             ;   in Loop: Header=BB6_5830 Depth=4
	v_and_b32_e32 v2, 0x7c0000, v112
	v_bfe_u32 v3, v112, 16, 2
	s_delay_alu instid0(VALU_DEP_2) | instskip(SKIP_1) | instid1(SALU_CYCLE_1)
	v_cmp_ne_u32_e32 vcc_lo, 0x7c0000, v2
                                        ; implicit-def: $vgpr2
	s_and_saveexec_b32 s13, vcc_lo
	s_xor_b32 s13, exec_lo, s13
	s_cbranch_execz .LBB6_8004
; %bb.8001:                             ;   in Loop: Header=BB6_5830 Depth=4
	v_bfe_u32 v2, v112, 18, 5
	s_mov_b32 s76, exec_lo
	s_delay_alu instid0(VALU_DEP_1)
	v_cmpx_eq_u32_e32 0, v2
; %bb.8002:                             ;   in Loop: Header=BB6_5830 Depth=4
	v_clz_i32_u32_e32 v2, v3
	s_delay_alu instid0(VALU_DEP_1) | instskip(NEXT) | instid1(VALU_DEP_1)
	v_min_u32_e32 v2, 32, v2
	v_subrev_nc_u32_e32 v3, 29, v2
	v_sub_nc_u32_e32 v2, 30, v2
	s_delay_alu instid0(VALU_DEP_2) | instskip(NEXT) | instid1(VALU_DEP_1)
	v_lshlrev_b64_e32 v[74:75], v3, v[0:1]
	v_and_b32_e32 v3, 3, v74
; %bb.8003:                             ;   in Loop: Header=BB6_5830 Depth=4
	s_or_b32 exec_lo, exec_lo, s76
	v_lshlrev_b32_e32 v0, 24, v0
	s_delay_alu instid0(VALU_DEP_1) | instskip(NEXT) | instid1(VALU_DEP_1)
	v_and_b32_e32 v0, 0x80000000, v0
	v_lshl_add_u32 v0, v2, 23, v0
	s_delay_alu instid0(VALU_DEP_1) | instskip(NEXT) | instid1(VALU_DEP_1)
	v_lshl_or_b32 v0, v3, 21, v0
                                        ; implicit-def: $vgpr3
	v_add_nc_u32_e32 v2, 0x38000000, v0
                                        ; implicit-def: $vgpr0
.LBB6_8004:                             ;   in Loop: Header=BB6_5830 Depth=4
	s_and_not1_saveexec_b32 s76, s13
; %bb.8005:                             ;   in Loop: Header=BB6_5830 Depth=4
	v_bfe_i32 v0, v0, 0, 8
	v_cmp_eq_u32_e32 vcc_lo, 0, v3
	s_delay_alu instid0(VALU_DEP_2) | instskip(SKIP_1) | instid1(VALU_DEP_1)
	v_cmp_lt_i16_e64 s13, -1, v0
	v_mov_b32_e32 v0, 0x7f800000
	v_cndmask_b32_e64 v0, 0xff800000, v0, s13
	s_delay_alu instid0(VALU_DEP_1)
	v_cndmask_b32_e32 v2, 0x7f800001, v0, vcc_lo
; %bb.8006:                             ;   in Loop: Header=BB6_5830 Depth=4
	s_or_b32 exec_lo, exec_lo, s76
.LBB6_8007:                             ;   in Loop: Header=BB6_5830 Depth=4
	s_delay_alu instid0(SALU_CYCLE_1)
	s_or_b32 exec_lo, exec_lo, s75
.LBB6_8008:                             ;   in Loop: Header=BB6_5830 Depth=4
	s_delay_alu instid0(SALU_CYCLE_1) | instskip(SKIP_2) | instid1(VALU_DEP_1)
	s_or_b32 exec_lo, exec_lo, s74
	v_lshrrev_b32_e32 v0, 16, v21
	s_mov_b32 s74, exec_lo
	v_and_b32_e32 v3, 0xff, v0
	s_delay_alu instid0(VALU_DEP_1)
	v_cmpx_ne_u16_e32 0, v3
	s_cbranch_execz .LBB6_8018
; %bb.8009:                             ;   in Loop: Header=BB6_5830 Depth=4
	v_bfrev_b32_e32 v1, 1
	s_mov_b32 s75, exec_lo
	v_cmpx_ne_u16_e32 0x80, v3
	s_cbranch_execz .LBB6_8017
; %bb.8010:                             ;   in Loop: Header=BB6_5830 Depth=4
	v_and_b32_e32 v1, 0x7c0000, v21
	v_bfe_u32 v3, v21, 16, 2
	s_delay_alu instid0(VALU_DEP_2) | instskip(SKIP_1) | instid1(SALU_CYCLE_1)
	v_cmp_ne_u32_e32 vcc_lo, 0x7c0000, v1
                                        ; implicit-def: $vgpr1
	s_and_saveexec_b32 s13, vcc_lo
	s_xor_b32 s13, exec_lo, s13
	s_cbranch_execz .LBB6_8014
; %bb.8011:                             ;   in Loop: Header=BB6_5830 Depth=4
	v_bfe_u32 v1, v21, 18, 5
	s_mov_b32 s76, exec_lo
	s_delay_alu instid0(VALU_DEP_1)
	v_cmpx_eq_u32_e32 0, v1
; %bb.8012:                             ;   in Loop: Header=BB6_5830 Depth=4
	v_clz_i32_u32_e32 v1, v3
	s_delay_alu instid0(VALU_DEP_1) | instskip(NEXT) | instid1(VALU_DEP_1)
	v_min_u32_e32 v1, 32, v1
	v_subrev_nc_u32_e32 v3, 29, v1
	s_delay_alu instid0(VALU_DEP_1) | instskip(NEXT) | instid1(VALU_DEP_1)
	v_lshlrev_b64_e32 v[74:75], v3, v[0:1]
	v_dual_sub_nc_u32 v1, 30, v1 :: v_dual_bitop2_b32 v3, 3, v74 bitop3:0x40
; %bb.8013:                             ;   in Loop: Header=BB6_5830 Depth=4
	s_or_b32 exec_lo, exec_lo, s76
	v_lshlrev_b32_e32 v0, 24, v0
	s_delay_alu instid0(VALU_DEP_1) | instskip(NEXT) | instid1(VALU_DEP_1)
	v_and_b32_e32 v0, 0x80000000, v0
	v_lshl_add_u32 v0, v1, 23, v0
	s_delay_alu instid0(VALU_DEP_1) | instskip(NEXT) | instid1(VALU_DEP_1)
	v_lshl_or_b32 v0, v3, 21, v0
                                        ; implicit-def: $vgpr3
	v_add_nc_u32_e32 v1, 0x38000000, v0
                                        ; implicit-def: $vgpr0
.LBB6_8014:                             ;   in Loop: Header=BB6_5830 Depth=4
	s_and_not1_saveexec_b32 s76, s13
; %bb.8015:                             ;   in Loop: Header=BB6_5830 Depth=4
	v_bfe_i32 v0, v0, 0, 8
	v_cmp_eq_u32_e32 vcc_lo, 0, v3
	s_delay_alu instid0(VALU_DEP_2) | instskip(SKIP_1) | instid1(VALU_DEP_1)
	v_cmp_lt_i16_e64 s13, -1, v0
	v_mov_b32_e32 v0, 0x7f800000
	v_cndmask_b32_e64 v0, 0xff800000, v0, s13
	s_delay_alu instid0(VALU_DEP_1)
	v_cndmask_b32_e32 v1, 0x7f800001, v0, vcc_lo
; %bb.8016:                             ;   in Loop: Header=BB6_5830 Depth=4
	s_or_b32 exec_lo, exec_lo, s76
.LBB6_8017:                             ;   in Loop: Header=BB6_5830 Depth=4
	s_delay_alu instid0(SALU_CYCLE_1)
	s_or_b32 exec_lo, exec_lo, s75
.LBB6_8018:                             ;   in Loop: Header=BB6_5830 Depth=4
	s_delay_alu instid0(SALU_CYCLE_1) | instskip(NEXT) | instid1(VALU_DEP_1)
	s_or_b32 exec_lo, exec_lo, s74
	v_dual_add_f32 v2, v2, v1 :: v_dual_mov_b32 v75, v113
	v_mov_b32_e32 v1, v113
                                        ; implicit-def: $vgpr66
	s_mov_b32 s13, exec_lo
	s_delay_alu instid0(VALU_DEP_2) | instskip(SKIP_2) | instid1(VALU_DEP_3)
	v_and_b32_e32 v74, 0x7f800000, v2
	v_and_b32_e32 v0, 0x7fffff, v2
	v_lshrrev_b32_e32 v3, 24, v2
	v_cmpx_ne_u64_e32 0x7f800000, v[74:75]
	s_xor_b32 s74, exec_lo, s13
	s_cbranch_execz .LBB6_8032
; %bb.8019:                             ;   in Loop: Header=BB6_5830 Depth=4
	v_and_b32_e32 v74, 0x7fffffff, v2
	v_mov_b32_e32 v75, v113
	v_and_b32_e32 v47, 0x80, v3
                                        ; implicit-def: $vgpr66
	s_mov_b32 s13, exec_lo
	s_delay_alu instid0(VALU_DEP_2)
	v_cmpx_gt_u64_e32 0x47600001, v[74:75]
	s_xor_b32 s75, exec_lo, s13
	s_cbranch_execz .LBB6_8029
; %bb.8020:                             ;   in Loop: Header=BB6_5830 Depth=4
	v_mov_b32_e32 v66, 0
	s_mov_b32 s76, exec_lo
	v_cmpx_ne_u32_e32 0, v2
	s_cbranch_execz .LBB6_8028
; %bb.8021:                             ;   in Loop: Header=BB6_5830 Depth=4
	v_bfe_u32 v66, v2, 23, 8
	v_or_b32_e32 v3, 0x800000, v0
	s_delay_alu instid0(VALU_DEP_2) | instskip(SKIP_2) | instid1(VALU_DEP_2)
	v_cmp_gt_u32_e64 s13, 0x72, v66
	v_sub_nc_u32_e32 v2, 0x71, v66
	v_cmp_eq_u32_e32 vcc_lo, 0, v66
	v_dual_cndmask_b32 v2, 0, v2, s13 :: v_dual_cndmask_b32 v0, v3, v0, vcc_lo
	s_delay_alu instid0(VALU_DEP_1) | instskip(NEXT) | instid1(VALU_DEP_1)
	v_cndmask_b32_e64 v74, v2, 0x70, vcc_lo
	v_dual_add_nc_u32 v2, 21, v74 :: v_dual_add_nc_u32 v75, 20, v74
	s_delay_alu instid0(VALU_DEP_1) | instskip(NEXT) | instid1(VALU_DEP_2)
	v_lshlrev_b64_e64 v[2:3], v2, -1
	v_lshlrev_b64_e64 v[76:77], v75, 1
	s_delay_alu instid0(VALU_DEP_2) | instskip(SKIP_1) | instid1(VALU_DEP_4)
	v_bfi_b32 v2, v2, 0, v0
	v_lshrrev_b64 v[0:1], v74, v[0:1]
	v_bfi_b32 v3, v3, 0, 0
	s_delay_alu instid0(VALU_DEP_1) | instskip(NEXT) | instid1(VALU_DEP_3)
	v_cmp_eq_u64_e64 s13, v[2:3], v[76:77]
	v_mov_b64_e32 v[2:3], v[0:1]
	s_and_saveexec_b32 s77, s13
; %bb.8022:                             ;   in Loop: Header=BB6_5830 Depth=4
	v_bfe_u32 v2, v0, 21, 1
	v_mov_b32_e32 v3, v113
	s_delay_alu instid0(VALU_DEP_1) | instskip(NEXT) | instid1(VALU_DEP_1)
	v_add_nc_u64_e32 v[2:3], v[0:1], v[2:3]
	v_add_nc_u64_e32 v[2:3], -1, v[2:3]
; %bb.8023:                             ;   in Loop: Header=BB6_5830 Depth=4
	s_or_b32 exec_lo, exec_lo, s77
	v_add_nc_u32_e32 v1, 0xffffff81, v66
	v_lshrrev_b32_e32 v3, 23, v0
	s_mov_b32 s13, exec_lo
	s_delay_alu instid0(VALU_DEP_2) | instskip(NEXT) | instid1(VALU_DEP_1)
	v_cndmask_b32_e64 v1, v1, 0xffffff82, vcc_lo
	v_add3_u32 v66, v74, v1, v3
	v_and_b32_e32 v1, 0x1fffff, v2
                                        ; implicit-def: $vgpr2
	s_delay_alu instid0(VALU_DEP_1) | instskip(SKIP_1) | instid1(VALU_DEP_2)
	v_dual_add_nc_u32 v3, 14, v66 :: v_dual_add_nc_u32 v0, v1, v0
	v_mov_b32_e32 v1, v113
	v_cmpx_ne_u32_e32 0, v3
	s_xor_b32 s13, exec_lo, s13
; %bb.8024:                             ;   in Loop: Header=BB6_5830 Depth=4
	s_delay_alu instid0(VALU_DEP_2) | instskip(SKIP_1) | instid1(VALU_DEP_1)
	v_cmp_lt_u64_e32 vcc_lo, 0xffffff, v[0:1]
	v_add_nc_u32_e32 v2, 15, v66
	v_cndmask_b32_e32 v2, v3, v2, vcc_lo
	v_cndmask_b32_e64 v3, 0, 1, vcc_lo
	s_delay_alu instid0(VALU_DEP_1)
	v_lshrrev_b64 v[0:1], v3, v[0:1]
; %bb.8025:                             ;   in Loop: Header=BB6_5830 Depth=4
	s_and_not1_saveexec_b32 s13, s13
; %bb.8026:                             ;   in Loop: Header=BB6_5830 Depth=4
	s_delay_alu instid0(VALU_DEP_1)
	v_bfe_u32 v2, v0, 23, 1
; %bb.8027:                             ;   in Loop: Header=BB6_5830 Depth=4
	s_or_b32 exec_lo, exec_lo, s13
	s_delay_alu instid0(VALU_DEP_2) | instskip(NEXT) | instid1(VALU_DEP_2)
	v_lshrrev_b64 v[0:1], 21, v[0:1]
	v_cmp_gt_i32_e32 vcc_lo, 32, v2
	v_min_i32_e32 v3, 31, v2
	v_cmp_eq_u32_e64 s13, 0, v2
	s_delay_alu instid0(VALU_DEP_2) | instskip(SKIP_1) | instid1(VALU_DEP_2)
	v_dual_cndmask_b32 v1, 0, v1, vcc_lo :: v_dual_lshlrev_b32 v3, 2, v3
	v_cndmask_b32_e32 v0, 3, v0, vcc_lo
	v_and_b32_e32 v3, 0xfc, v3
	s_delay_alu instid0(VALU_DEP_2) | instskip(NEXT) | instid1(VALU_DEP_2)
	v_cmp_eq_u64_e32 vcc_lo, 0, v[0:1]
	v_and_or_b32 v0, v0, 3, v3
	s_and_b32 s13, s13, vcc_lo
	s_delay_alu instid0(VALU_DEP_1) | instid1(SALU_CYCLE_1)
	v_cndmask_b32_e64 v0, v0, 0, s13
	s_delay_alu instid0(VALU_DEP_1)
	v_or_b32_e32 v66, v0, v47
.LBB6_8028:                             ;   in Loop: Header=BB6_5830 Depth=4
	s_or_b32 exec_lo, exec_lo, s76
                                        ; implicit-def: $vgpr47
.LBB6_8029:                             ;   in Loop: Header=BB6_5830 Depth=4
	s_and_not1_saveexec_b32 s13, s75
; %bb.8030:                             ;   in Loop: Header=BB6_5830 Depth=4
	v_or_b32_e32 v66, 0x7b, v47
; %bb.8031:                             ;   in Loop: Header=BB6_5830 Depth=4
	s_or_b32 exec_lo, exec_lo, s13
                                        ; implicit-def: $vgpr2
                                        ; implicit-def: $vgpr0_vgpr1
                                        ; implicit-def: $vgpr3
.LBB6_8032:                             ;   in Loop: Header=BB6_5830 Depth=4
	s_and_not1_saveexec_b32 s13, s74
	s_cbranch_execz .LBB6_8038
; %bb.8033:                             ;   in Loop: Header=BB6_5830 Depth=4
	s_mov_b32 s74, exec_lo
                                        ; implicit-def: $vgpr66
	v_cmpx_ne_u64_e32 0, v[0:1]
	s_xor_b32 s74, exec_lo, s74
; %bb.8034:                             ;   in Loop: Header=BB6_5830 Depth=4
	v_or_b32_e32 v66, 0x7f, v3
                                        ; implicit-def: $vgpr2
; %bb.8035:                             ;   in Loop: Header=BB6_5830 Depth=4
	s_and_not1_saveexec_b32 s74, s74
; %bb.8036:                             ;   in Loop: Header=BB6_5830 Depth=4
	v_cmp_lt_i32_e32 vcc_lo, -1, v2
	v_mov_b32_e32 v0, 0x7c
	s_delay_alu instid0(VALU_DEP_1)
	v_cndmask_b32_e32 v66, 0xfc, v0, vcc_lo
; %bb.8037:                             ;   in Loop: Header=BB6_5830 Depth=4
	s_or_b32 exec_lo, exec_lo, s74
.LBB6_8038:                             ;   in Loop: Header=BB6_5830 Depth=4
	s_delay_alu instid0(SALU_CYCLE_1)
	s_or_b32 exec_lo, exec_lo, s13
	v_dual_mov_b32 v1, 0 :: v_dual_mov_b32 v2, 0
	s_mov_b32 s74, exec_lo
	v_cmpx_lt_u32_e32 0xffffff, v112
	s_cbranch_execz .LBB6_8048
; %bb.8039:                             ;   in Loop: Header=BB6_5830 Depth=4
	v_lshrrev_b32_e32 v0, 24, v112
	v_bfrev_b32_e32 v2, 1
	s_mov_b32 s75, exec_lo
	s_delay_alu instid0(VALU_DEP_2)
	v_cmpx_ne_u32_e32 0x80, v0
	s_cbranch_execz .LBB6_8047
; %bb.8040:                             ;   in Loop: Header=BB6_5830 Depth=4
	v_and_b32_e32 v2, 0x7c000000, v112
	v_bfe_u32 v3, v112, 24, 2
	s_delay_alu instid0(VALU_DEP_2) | instskip(SKIP_1) | instid1(SALU_CYCLE_1)
	v_cmp_ne_u32_e32 vcc_lo, 0x7c000000, v2
                                        ; implicit-def: $vgpr2
	s_and_saveexec_b32 s13, vcc_lo
	s_xor_b32 s13, exec_lo, s13
	s_cbranch_execz .LBB6_8044
; %bb.8041:                             ;   in Loop: Header=BB6_5830 Depth=4
	v_bfe_u32 v2, v112, 26, 5
	s_mov_b32 s76, exec_lo
	s_delay_alu instid0(VALU_DEP_1)
	v_cmpx_eq_u32_e32 0, v2
; %bb.8042:                             ;   in Loop: Header=BB6_5830 Depth=4
	v_clz_i32_u32_e32 v2, v3
	s_delay_alu instid0(VALU_DEP_1) | instskip(NEXT) | instid1(VALU_DEP_1)
	v_min_u32_e32 v2, 32, v2
	v_subrev_nc_u32_e32 v3, 29, v2
	v_sub_nc_u32_e32 v2, 30, v2
	s_delay_alu instid0(VALU_DEP_2) | instskip(NEXT) | instid1(VALU_DEP_1)
	v_lshlrev_b64_e32 v[74:75], v3, v[0:1]
	v_and_b32_e32 v3, 3, v74
; %bb.8043:                             ;   in Loop: Header=BB6_5830 Depth=4
	s_or_b32 exec_lo, exec_lo, s76
	v_and_b32_e32 v0, 0x80000000, v112
	s_delay_alu instid0(VALU_DEP_1) | instskip(NEXT) | instid1(VALU_DEP_1)
	v_lshl_add_u32 v0, v2, 23, v0
	v_lshl_or_b32 v0, v3, 21, v0
                                        ; implicit-def: $vgpr3
	s_delay_alu instid0(VALU_DEP_1)
	v_add_nc_u32_e32 v2, 0x38000000, v0
.LBB6_8044:                             ;   in Loop: Header=BB6_5830 Depth=4
	s_and_not1_saveexec_b32 s76, s13
; %bb.8045:                             ;   in Loop: Header=BB6_5830 Depth=4
	v_cmp_lt_i32_e64 s13, -1, v112
	v_mov_b32_e32 v0, 0x7f800000
	v_cmp_eq_u32_e32 vcc_lo, 0, v3
	s_delay_alu instid0(VALU_DEP_2) | instskip(NEXT) | instid1(VALU_DEP_1)
	v_cndmask_b32_e64 v0, 0xff800000, v0, s13
	v_cndmask_b32_e32 v2, 0x7f800001, v0, vcc_lo
; %bb.8046:                             ;   in Loop: Header=BB6_5830 Depth=4
	s_or_b32 exec_lo, exec_lo, s76
.LBB6_8047:                             ;   in Loop: Header=BB6_5830 Depth=4
	s_delay_alu instid0(SALU_CYCLE_1)
	s_or_b32 exec_lo, exec_lo, s75
.LBB6_8048:                             ;   in Loop: Header=BB6_5830 Depth=4
	s_delay_alu instid0(SALU_CYCLE_1) | instskip(NEXT) | instid1(SALU_CYCLE_1)
	s_or_b32 exec_lo, exec_lo, s74
	s_mov_b32 s74, exec_lo
	v_cmpx_lt_u64_e64 s[22:23], v[20:21]
	s_cbranch_execz .LBB6_8058
; %bb.8049:                             ;   in Loop: Header=BB6_5830 Depth=4
	v_lshrrev_b32_e32 v0, 24, v21
	v_bfrev_b32_e32 v1, 1
	s_mov_b32 s75, exec_lo
	s_delay_alu instid0(VALU_DEP_2)
	v_cmpx_ne_u32_e32 0x80, v0
	s_cbranch_execz .LBB6_8057
; %bb.8050:                             ;   in Loop: Header=BB6_5830 Depth=4
	v_and_b32_e32 v1, 0x7c000000, v21
	v_bfe_u32 v3, v21, 24, 2
	s_delay_alu instid0(VALU_DEP_2) | instskip(SKIP_1) | instid1(SALU_CYCLE_1)
	v_cmp_ne_u32_e32 vcc_lo, 0x7c000000, v1
                                        ; implicit-def: $vgpr1
	s_and_saveexec_b32 s13, vcc_lo
	s_xor_b32 s13, exec_lo, s13
	s_cbranch_execz .LBB6_8054
; %bb.8051:                             ;   in Loop: Header=BB6_5830 Depth=4
	v_bfe_u32 v1, v21, 26, 5
	s_mov_b32 s76, exec_lo
	s_delay_alu instid0(VALU_DEP_1)
	v_cmpx_eq_u32_e32 0, v1
; %bb.8052:                             ;   in Loop: Header=BB6_5830 Depth=4
	v_clz_i32_u32_e32 v1, v3
	s_delay_alu instid0(VALU_DEP_1) | instskip(NEXT) | instid1(VALU_DEP_1)
	v_min_u32_e32 v3, 32, v1
	v_subrev_nc_u32_e32 v1, 29, v3
	s_delay_alu instid0(VALU_DEP_1) | instskip(NEXT) | instid1(VALU_DEP_1)
	v_lshlrev_b64_e32 v[0:1], v1, v[0:1]
	v_dual_sub_nc_u32 v1, 30, v3 :: v_dual_bitop2_b32 v3, 3, v0 bitop3:0x40
; %bb.8053:                             ;   in Loop: Header=BB6_5830 Depth=4
	s_or_b32 exec_lo, exec_lo, s76
	v_and_b32_e32 v0, 0x80000000, v21
	s_delay_alu instid0(VALU_DEP_1) | instskip(NEXT) | instid1(VALU_DEP_1)
	v_lshl_add_u32 v0, v1, 23, v0
	v_lshl_or_b32 v0, v3, 21, v0
                                        ; implicit-def: $vgpr3
	s_delay_alu instid0(VALU_DEP_1)
	v_add_nc_u32_e32 v1, 0x38000000, v0
.LBB6_8054:                             ;   in Loop: Header=BB6_5830 Depth=4
	s_and_not1_saveexec_b32 s76, s13
; %bb.8055:                             ;   in Loop: Header=BB6_5830 Depth=4
	v_cmp_lt_i64_e64 s13, -1, v[20:21]
	v_mov_b32_e32 v0, 0x7f800000
	v_cmp_eq_u32_e32 vcc_lo, 0, v3
	s_delay_alu instid0(VALU_DEP_2) | instskip(NEXT) | instid1(VALU_DEP_1)
	v_cndmask_b32_e64 v0, 0xff800000, v0, s13
	v_cndmask_b32_e32 v1, 0x7f800001, v0, vcc_lo
; %bb.8056:                             ;   in Loop: Header=BB6_5830 Depth=4
	s_or_b32 exec_lo, exec_lo, s76
.LBB6_8057:                             ;   in Loop: Header=BB6_5830 Depth=4
	s_delay_alu instid0(SALU_CYCLE_1)
	s_or_b32 exec_lo, exec_lo, s75
.LBB6_8058:                             ;   in Loop: Header=BB6_5830 Depth=4
	s_delay_alu instid0(SALU_CYCLE_1) | instskip(NEXT) | instid1(VALU_DEP_1)
	s_or_b32 exec_lo, exec_lo, s74
	v_dual_add_f32 v0, v2, v1 :: v_dual_mov_b32 v3, v113
                                        ; implicit-def: $vgpr20
	s_mov_b32 s13, exec_lo
	s_delay_alu instid0(VALU_DEP_1) | instskip(SKIP_2) | instid1(VALU_DEP_3)
	v_and_b32_e32 v2, 0x7f800000, v0
	v_and_b32_e32 v112, 0x7fffff, v0
	v_lshrrev_b32_e32 v1, 24, v0
	v_cmpx_ne_u64_e32 0x7f800000, v[2:3]
	s_xor_b32 s74, exec_lo, s13
	s_cbranch_execz .LBB6_8072
; %bb.8059:                             ;   in Loop: Header=BB6_5830 Depth=4
	v_and_b32_e32 v2, 0x7fffffff, v0
	v_mov_b32_e32 v3, v113
	v_and_b32_e32 v21, 0x80, v1
                                        ; implicit-def: $vgpr20
	s_mov_b32 s13, exec_lo
	s_delay_alu instid0(VALU_DEP_2)
	v_cmpx_gt_u64_e32 0x47600001, v[2:3]
	s_xor_b32 s75, exec_lo, s13
	s_cbranch_execz .LBB6_8069
; %bb.8060:                             ;   in Loop: Header=BB6_5830 Depth=4
	v_mov_b32_e32 v20, 0
	s_mov_b32 s76, exec_lo
	v_cmpx_ne_u32_e32 0, v0
	s_cbranch_execz .LBB6_8068
; %bb.8061:                             ;   in Loop: Header=BB6_5830 Depth=4
	v_bfe_u32 v20, v0, 23, 8
	v_or_b32_e32 v1, 0x800000, v112
	s_delay_alu instid0(VALU_DEP_2) | instskip(SKIP_2) | instid1(VALU_DEP_2)
	v_cmp_gt_u32_e64 s13, 0x72, v20
	v_sub_nc_u32_e32 v0, 0x71, v20
	v_cmp_eq_u32_e32 vcc_lo, 0, v20
	v_cndmask_b32_e64 v0, 0, v0, s13
	s_delay_alu instid0(VALU_DEP_1) | instskip(SKIP_1) | instid1(VALU_DEP_2)
	v_cndmask_b32_e64 v47, v0, 0x70, vcc_lo
	v_cndmask_b32_e32 v0, v1, v112, vcc_lo
	v_dual_mov_b32 v1, v113 :: v_dual_add_nc_u32 v2, 21, v47
	v_add_nc_u32_e32 v112, 20, v47
	s_delay_alu instid0(VALU_DEP_2) | instskip(NEXT) | instid1(VALU_DEP_2)
	v_lshlrev_b64_e64 v[2:3], v2, -1
	v_lshlrev_b64_e64 v[74:75], v112, 1
	s_delay_alu instid0(VALU_DEP_2) | instskip(SKIP_1) | instid1(VALU_DEP_4)
	v_bfi_b32 v2, v2, 0, v0
	v_lshrrev_b64 v[0:1], v47, v[0:1]
	v_bfi_b32 v3, v3, 0, 0
	s_delay_alu instid0(VALU_DEP_1) | instskip(NEXT) | instid1(VALU_DEP_3)
	v_cmp_eq_u64_e64 s13, v[2:3], v[74:75]
	v_mov_b64_e32 v[2:3], v[0:1]
	s_and_saveexec_b32 s77, s13
; %bb.8062:                             ;   in Loop: Header=BB6_5830 Depth=4
	v_bfe_u32 v2, v0, 21, 1
	v_mov_b32_e32 v3, v113
	s_delay_alu instid0(VALU_DEP_1) | instskip(NEXT) | instid1(VALU_DEP_1)
	v_add_nc_u64_e32 v[2:3], v[0:1], v[2:3]
	v_add_nc_u64_e32 v[2:3], -1, v[2:3]
; %bb.8063:                             ;   in Loop: Header=BB6_5830 Depth=4
	s_or_b32 exec_lo, exec_lo, s77
	v_add_nc_u32_e32 v1, 0xffffff81, v20
	v_lshrrev_b32_e32 v3, 23, v0
	s_mov_b32 s13, exec_lo
	s_delay_alu instid0(VALU_DEP_2) | instskip(NEXT) | instid1(VALU_DEP_1)
	v_cndmask_b32_e64 v1, v1, 0xffffff82, vcc_lo
	v_add3_u32 v20, v47, v1, v3
	v_and_b32_e32 v1, 0x1fffff, v2
                                        ; implicit-def: $vgpr2
	s_delay_alu instid0(VALU_DEP_2) | instskip(NEXT) | instid1(VALU_DEP_2)
	v_add_nc_u32_e32 v3, 14, v20
	v_add_nc_u32_e32 v112, v1, v0
                                        ; implicit-def: $vgpr0_vgpr1
	s_delay_alu instid0(VALU_DEP_2)
	v_cmpx_ne_u32_e32 0, v3
	s_xor_b32 s13, exec_lo, s13
; %bb.8064:                             ;   in Loop: Header=BB6_5830 Depth=4
	s_delay_alu instid0(VALU_DEP_2) | instskip(SKIP_1) | instid1(VALU_DEP_1)
	v_cmp_lt_u64_e32 vcc_lo, 0xffffff, v[112:113]
	v_add_nc_u32_e32 v0, 15, v20
	v_cndmask_b32_e32 v2, v3, v0, vcc_lo
	v_cndmask_b32_e64 v0, 0, 1, vcc_lo
	s_delay_alu instid0(VALU_DEP_1)
	v_lshrrev_b64 v[0:1], v0, v[112:113]
; %bb.8065:                             ;   in Loop: Header=BB6_5830 Depth=4
	s_and_not1_saveexec_b32 s13, s13
; %bb.8066:                             ;   in Loop: Header=BB6_5830 Depth=4
	v_mov_b64_e32 v[0:1], v[112:113]
	v_bfe_u32 v2, v112, 23, 1
; %bb.8067:                             ;   in Loop: Header=BB6_5830 Depth=4
	s_or_b32 exec_lo, exec_lo, s13
	s_delay_alu instid0(VALU_DEP_2) | instskip(NEXT) | instid1(VALU_DEP_2)
	v_lshrrev_b64 v[0:1], 21, v[0:1]
	v_cmp_gt_i32_e32 vcc_lo, 32, v2
	v_min_i32_e32 v3, 31, v2
	v_cmp_eq_u32_e64 s13, 0, v2
	s_delay_alu instid0(VALU_DEP_2) | instskip(SKIP_1) | instid1(VALU_DEP_2)
	v_dual_cndmask_b32 v1, 0, v1, vcc_lo :: v_dual_lshlrev_b32 v3, 2, v3
	v_cndmask_b32_e32 v0, 3, v0, vcc_lo
	v_and_b32_e32 v3, 0xfc, v3
	s_delay_alu instid0(VALU_DEP_2) | instskip(NEXT) | instid1(VALU_DEP_2)
	v_cmp_eq_u64_e32 vcc_lo, 0, v[0:1]
	v_and_or_b32 v0, v0, 3, v3
	s_and_b32 s13, s13, vcc_lo
	s_delay_alu instid0(VALU_DEP_1) | instid1(SALU_CYCLE_1)
	v_cndmask_b32_e64 v0, v0, 0, s13
	s_delay_alu instid0(VALU_DEP_1)
	v_or_b32_e32 v20, v0, v21
.LBB6_8068:                             ;   in Loop: Header=BB6_5830 Depth=4
	s_or_b32 exec_lo, exec_lo, s76
                                        ; implicit-def: $vgpr21
.LBB6_8069:                             ;   in Loop: Header=BB6_5830 Depth=4
	s_and_not1_saveexec_b32 s13, s75
; %bb.8070:                             ;   in Loop: Header=BB6_5830 Depth=4
	v_or_b32_e32 v20, 0x7b, v21
; %bb.8071:                             ;   in Loop: Header=BB6_5830 Depth=4
	s_or_b32 exec_lo, exec_lo, s13
                                        ; implicit-def: $vgpr0
                                        ; implicit-def: $vgpr1
.LBB6_8072:                             ;   in Loop: Header=BB6_5830 Depth=4
	s_and_not1_saveexec_b32 s13, s74
	s_cbranch_execz .LBB6_8078
; %bb.8073:                             ;   in Loop: Header=BB6_5830 Depth=4
	s_mov_b32 s74, exec_lo
                                        ; implicit-def: $vgpr20
	v_cmpx_ne_u64_e32 0, v[112:113]
	s_xor_b32 s74, exec_lo, s74
; %bb.8074:                             ;   in Loop: Header=BB6_5830 Depth=4
	v_or_b32_e32 v20, 0x7f, v1
                                        ; implicit-def: $vgpr0
; %bb.8075:                             ;   in Loop: Header=BB6_5830 Depth=4
	s_and_not1_saveexec_b32 s74, s74
; %bb.8076:                             ;   in Loop: Header=BB6_5830 Depth=4
	v_cmp_lt_i32_e32 vcc_lo, -1, v0
	v_mov_b32_e32 v0, 0x7c
	s_delay_alu instid0(VALU_DEP_1)
	v_cndmask_b32_e32 v20, 0xfc, v0, vcc_lo
; %bb.8077:                             ;   in Loop: Header=BB6_5830 Depth=4
	s_or_b32 exec_lo, exec_lo, s74
.LBB6_8078:                             ;   in Loop: Header=BB6_5830 Depth=4
	s_delay_alu instid0(SALU_CYCLE_1) | instskip(SKIP_3) | instid1(VALU_DEP_1)
	s_or_b32 exec_lo, exec_lo, s13
	v_lshl_or_b32 v103, v103, 8, v98
	v_dual_lshlrev_b32 v0, 16, v117 :: v_dual_lshlrev_b32 v1, 24, v46
	s_mov_b32 s74, exec_lo
	v_or3_b32 v112, v0, v1, v103
	v_dual_mov_b32 v0, 0 :: v_dual_mov_b32 v1, 0
	v_cmpx_ne_u32_e32 0, v98
	s_cbranch_execz .LBB6_8088
; %bb.8079:                             ;   in Loop: Header=BB6_5830 Depth=4
	v_bfrev_b32_e32 v1, 1
	s_mov_b32 s75, exec_lo
	v_cmpx_ne_u32_e32 0x80, v98
	s_cbranch_execz .LBB6_8087
; %bb.8080:                             ;   in Loop: Header=BB6_5830 Depth=4
	v_and_b32_e32 v1, 0x7c, v98
	v_and_b32_e32 v2, 3, v98
	s_delay_alu instid0(VALU_DEP_2) | instskip(SKIP_1) | instid1(SALU_CYCLE_1)
	v_cmp_ne_u32_e32 vcc_lo, 0x7c, v1
                                        ; implicit-def: $vgpr1
	s_and_saveexec_b32 s13, vcc_lo
	s_xor_b32 s13, exec_lo, s13
	s_cbranch_execz .LBB6_8084
; %bb.8081:                             ;   in Loop: Header=BB6_5830 Depth=4
	v_bfe_u32 v1, v98, 2, 5
	s_mov_b32 s76, exec_lo
	s_delay_alu instid0(VALU_DEP_1)
	v_cmpx_eq_u32_e32 0, v1
; %bb.8082:                             ;   in Loop: Header=BB6_5830 Depth=4
	v_clz_i32_u32_e32 v1, v2
	s_delay_alu instid0(VALU_DEP_1) | instskip(NEXT) | instid1(VALU_DEP_1)
	v_min_u32_e32 v1, 32, v1
	v_subrev_nc_u32_e32 v2, 29, v1
	s_delay_alu instid0(VALU_DEP_1) | instskip(NEXT) | instid1(VALU_DEP_1)
	v_lshlrev_b64_e32 v[2:3], v2, v[112:113]
	v_dual_sub_nc_u32 v1, 30, v1 :: v_dual_bitop2_b32 v2, 3, v2 bitop3:0x40
; %bb.8083:                             ;   in Loop: Header=BB6_5830 Depth=4
	s_or_b32 exec_lo, exec_lo, s76
	v_lshlrev_b32_e32 v3, 24, v98
                                        ; implicit-def: $vgpr98
	s_delay_alu instid0(VALU_DEP_1) | instskip(NEXT) | instid1(VALU_DEP_1)
	v_and_b32_e32 v3, 0x80000000, v3
	v_lshl_add_u32 v1, v1, 23, v3
	s_delay_alu instid0(VALU_DEP_1) | instskip(NEXT) | instid1(VALU_DEP_1)
	v_lshl_or_b32 v1, v2, 21, v1
                                        ; implicit-def: $vgpr2
	v_add_nc_u32_e32 v1, 0x38000000, v1
.LBB6_8084:                             ;   in Loop: Header=BB6_5830 Depth=4
	s_and_not1_saveexec_b32 s76, s13
; %bb.8085:                             ;   in Loop: Header=BB6_5830 Depth=4
	v_and_b32_e32 v1, 0x80, v98
	v_cmp_eq_u32_e32 vcc_lo, 0, v2
	s_delay_alu instid0(VALU_DEP_2) | instskip(SKIP_1) | instid1(VALU_DEP_1)
	v_cmp_eq_u32_e64 s13, 0, v1
	v_mov_b32_e32 v1, 0x7f800000
	v_cndmask_b32_e64 v1, 0xff800000, v1, s13
	s_delay_alu instid0(VALU_DEP_1)
	v_cndmask_b32_e32 v1, 0x7f800001, v1, vcc_lo
; %bb.8086:                             ;   in Loop: Header=BB6_5830 Depth=4
	s_or_b32 exec_lo, exec_lo, s76
.LBB6_8087:                             ;   in Loop: Header=BB6_5830 Depth=4
	s_delay_alu instid0(SALU_CYCLE_1)
	s_or_b32 exec_lo, exec_lo, s75
.LBB6_8088:                             ;   in Loop: Header=BB6_5830 Depth=4
	s_delay_alu instid0(SALU_CYCLE_1) | instskip(SKIP_2) | instid1(VALU_DEP_1)
	s_or_b32 exec_lo, exec_lo, s74
	v_and_b32_e32 v2, 0xff, v22
	s_mov_b32 s74, exec_lo
	v_cmpx_ne_u16_e32 0, v2
	s_cbranch_execz .LBB6_8098
; %bb.8089:                             ;   in Loop: Header=BB6_5830 Depth=4
	v_bfe_i32 v3, v22, 0, 8
	v_bfrev_b32_e32 v0, 1
	s_mov_b32 s75, exec_lo
	s_delay_alu instid0(VALU_DEP_2)
	v_cmpx_ne_u16_e32 0xff80, v3
	s_cbranch_execz .LBB6_8097
; %bb.8090:                             ;   in Loop: Header=BB6_5830 Depth=4
	v_and_b32_e32 v0, 0x7c, v22
	v_and_b32_e32 v2, 3, v22
	s_delay_alu instid0(VALU_DEP_2) | instskip(SKIP_1) | instid1(SALU_CYCLE_1)
	v_cmp_ne_u32_e32 vcc_lo, 0x7c, v0
                                        ; implicit-def: $vgpr0
	s_and_saveexec_b32 s13, vcc_lo
	s_xor_b32 s13, exec_lo, s13
	s_cbranch_execz .LBB6_8094
; %bb.8091:                             ;   in Loop: Header=BB6_5830 Depth=4
	v_bfe_u32 v0, v22, 2, 5
	s_mov_b32 s76, exec_lo
	s_delay_alu instid0(VALU_DEP_1)
	v_cmpx_eq_u32_e32 0, v0
; %bb.8092:                             ;   in Loop: Header=BB6_5830 Depth=4
	v_clz_i32_u32_e32 v0, v2
	s_delay_alu instid0(VALU_DEP_1) | instskip(NEXT) | instid1(VALU_DEP_1)
	v_min_u32_e32 v0, 32, v0
	v_subrev_nc_u32_e32 v2, 29, v0
	s_delay_alu instid0(VALU_DEP_1) | instskip(NEXT) | instid1(VALU_DEP_1)
	v_lshlrev_b64_e32 v[2:3], v2, v[22:23]
	v_dual_sub_nc_u32 v0, 30, v0 :: v_dual_bitop2_b32 v2, 3, v2 bitop3:0x40
; %bb.8093:                             ;   in Loop: Header=BB6_5830 Depth=4
	s_or_b32 exec_lo, exec_lo, s76
	v_lshlrev_b32_e32 v3, 24, v22
	s_delay_alu instid0(VALU_DEP_1) | instskip(NEXT) | instid1(VALU_DEP_1)
	v_and_b32_e32 v3, 0x80000000, v3
	v_lshl_add_u32 v0, v0, 23, v3
                                        ; implicit-def: $vgpr3
	s_delay_alu instid0(VALU_DEP_1) | instskip(NEXT) | instid1(VALU_DEP_1)
	v_lshl_or_b32 v0, v2, 21, v0
                                        ; implicit-def: $vgpr2
	v_add_nc_u32_e32 v0, 0x38000000, v0
.LBB6_8094:                             ;   in Loop: Header=BB6_5830 Depth=4
	s_and_not1_saveexec_b32 s76, s13
; %bb.8095:                             ;   in Loop: Header=BB6_5830 Depth=4
	v_cmp_lt_i16_e64 s13, -1, v3
	v_mov_b32_e32 v0, 0x7f800000
	v_cmp_eq_u32_e32 vcc_lo, 0, v2
	s_delay_alu instid0(VALU_DEP_2) | instskip(NEXT) | instid1(VALU_DEP_1)
	v_cndmask_b32_e64 v0, 0xff800000, v0, s13
	v_cndmask_b32_e32 v0, 0x7f800001, v0, vcc_lo
; %bb.8096:                             ;   in Loop: Header=BB6_5830 Depth=4
	s_or_b32 exec_lo, exec_lo, s76
.LBB6_8097:                             ;   in Loop: Header=BB6_5830 Depth=4
	s_delay_alu instid0(SALU_CYCLE_1)
	s_or_b32 exec_lo, exec_lo, s75
.LBB6_8098:                             ;   in Loop: Header=BB6_5830 Depth=4
	s_delay_alu instid0(SALU_CYCLE_1) | instskip(NEXT) | instid1(VALU_DEP_1)
	s_or_b32 exec_lo, exec_lo, s74
	v_add_f32_e32 v2, v1, v0
	v_dual_mov_b32 v47, v113 :: v_dual_mov_b32 v1, v113
                                        ; implicit-def: $vgpr21
	s_mov_b32 s13, exec_lo
	s_delay_alu instid0(VALU_DEP_2) | instskip(SKIP_2) | instid1(VALU_DEP_3)
	v_and_b32_e32 v46, 0x7f800000, v2
	v_and_b32_e32 v0, 0x7fffff, v2
	v_lshrrev_b32_e32 v3, 24, v2
	v_cmpx_ne_u64_e32 0x7f800000, v[46:47]
	s_xor_b32 s74, exec_lo, s13
	s_cbranch_execz .LBB6_8112
; %bb.8099:                             ;   in Loop: Header=BB6_5830 Depth=4
	v_and_b32_e32 v46, 0x7fffffff, v2
	v_mov_b32_e32 v47, v113
	v_and_b32_e32 v98, 0x80, v3
                                        ; implicit-def: $vgpr21
	s_mov_b32 s13, exec_lo
	s_delay_alu instid0(VALU_DEP_2)
	v_cmpx_gt_u64_e32 0x47600001, v[46:47]
	s_xor_b32 s75, exec_lo, s13
	s_cbranch_execz .LBB6_8109
; %bb.8100:                             ;   in Loop: Header=BB6_5830 Depth=4
	v_mov_b32_e32 v21, 0
	s_mov_b32 s76, exec_lo
	v_cmpx_ne_u32_e32 0, v2
	s_cbranch_execz .LBB6_8108
; %bb.8101:                             ;   in Loop: Header=BB6_5830 Depth=4
	v_bfe_u32 v21, v2, 23, 8
	v_or_b32_e32 v3, 0x800000, v0
	s_delay_alu instid0(VALU_DEP_2) | instskip(SKIP_2) | instid1(VALU_DEP_2)
	v_cmp_gt_u32_e64 s13, 0x72, v21
	v_sub_nc_u32_e32 v2, 0x71, v21
	v_cmp_eq_u32_e32 vcc_lo, 0, v21
	v_dual_cndmask_b32 v2, 0, v2, s13 :: v_dual_cndmask_b32 v0, v3, v0, vcc_lo
	s_delay_alu instid0(VALU_DEP_1) | instskip(NEXT) | instid1(VALU_DEP_1)
	v_cndmask_b32_e64 v117, v2, 0x70, vcc_lo
	v_dual_add_nc_u32 v2, 21, v117 :: v_dual_add_nc_u32 v46, 20, v117
	s_delay_alu instid0(VALU_DEP_1) | instskip(NEXT) | instid1(VALU_DEP_2)
	v_lshlrev_b64_e64 v[2:3], v2, -1
	v_lshlrev_b64_e64 v[46:47], v46, 1
	s_delay_alu instid0(VALU_DEP_2) | instskip(SKIP_1) | instid1(VALU_DEP_4)
	v_bfi_b32 v2, v2, 0, v0
	v_lshrrev_b64 v[0:1], v117, v[0:1]
	v_bfi_b32 v3, v3, 0, 0
	s_delay_alu instid0(VALU_DEP_1) | instskip(NEXT) | instid1(VALU_DEP_3)
	v_cmp_eq_u64_e64 s13, v[2:3], v[46:47]
	v_mov_b64_e32 v[2:3], v[0:1]
	s_and_saveexec_b32 s77, s13
; %bb.8102:                             ;   in Loop: Header=BB6_5830 Depth=4
	v_bfe_u32 v2, v0, 21, 1
	v_mov_b32_e32 v3, v113
	s_delay_alu instid0(VALU_DEP_1) | instskip(NEXT) | instid1(VALU_DEP_1)
	v_add_nc_u64_e32 v[2:3], v[0:1], v[2:3]
	v_add_nc_u64_e32 v[2:3], -1, v[2:3]
; %bb.8103:                             ;   in Loop: Header=BB6_5830 Depth=4
	s_or_b32 exec_lo, exec_lo, s77
	v_add_nc_u32_e32 v1, 0xffffff81, v21
	v_lshrrev_b32_e32 v3, 23, v0
	s_mov_b32 s13, exec_lo
	s_delay_alu instid0(VALU_DEP_2) | instskip(NEXT) | instid1(VALU_DEP_1)
	v_cndmask_b32_e64 v1, v1, 0xffffff82, vcc_lo
	v_add3_u32 v21, v117, v1, v3
	v_and_b32_e32 v1, 0x1fffff, v2
                                        ; implicit-def: $vgpr2
	s_delay_alu instid0(VALU_DEP_1) | instskip(SKIP_1) | instid1(VALU_DEP_2)
	v_dual_add_nc_u32 v3, 14, v21 :: v_dual_add_nc_u32 v0, v1, v0
	v_mov_b32_e32 v1, v113
	v_cmpx_ne_u32_e32 0, v3
	s_xor_b32 s13, exec_lo, s13
; %bb.8104:                             ;   in Loop: Header=BB6_5830 Depth=4
	s_delay_alu instid0(VALU_DEP_2) | instskip(SKIP_1) | instid1(VALU_DEP_1)
	v_cmp_lt_u64_e32 vcc_lo, 0xffffff, v[0:1]
	v_add_nc_u32_e32 v2, 15, v21
	v_cndmask_b32_e32 v2, v3, v2, vcc_lo
	v_cndmask_b32_e64 v3, 0, 1, vcc_lo
	s_delay_alu instid0(VALU_DEP_1)
	v_lshrrev_b64 v[0:1], v3, v[0:1]
; %bb.8105:                             ;   in Loop: Header=BB6_5830 Depth=4
	s_and_not1_saveexec_b32 s13, s13
; %bb.8106:                             ;   in Loop: Header=BB6_5830 Depth=4
	s_delay_alu instid0(VALU_DEP_1)
	v_bfe_u32 v2, v0, 23, 1
; %bb.8107:                             ;   in Loop: Header=BB6_5830 Depth=4
	s_or_b32 exec_lo, exec_lo, s13
	s_delay_alu instid0(VALU_DEP_2) | instskip(NEXT) | instid1(VALU_DEP_2)
	v_lshrrev_b64 v[0:1], 21, v[0:1]
	v_cmp_gt_i32_e32 vcc_lo, 32, v2
	v_min_i32_e32 v3, 31, v2
	v_cmp_eq_u32_e64 s13, 0, v2
	s_delay_alu instid0(VALU_DEP_2) | instskip(SKIP_1) | instid1(VALU_DEP_2)
	v_dual_cndmask_b32 v1, 0, v1, vcc_lo :: v_dual_lshlrev_b32 v3, 2, v3
	v_cndmask_b32_e32 v0, 3, v0, vcc_lo
	v_and_b32_e32 v3, 0xfc, v3
	s_delay_alu instid0(VALU_DEP_2) | instskip(NEXT) | instid1(VALU_DEP_2)
	v_cmp_eq_u64_e32 vcc_lo, 0, v[0:1]
	v_and_or_b32 v0, v0, 3, v3
	s_and_b32 s13, s13, vcc_lo
	s_delay_alu instid0(VALU_DEP_1) | instid1(SALU_CYCLE_1)
	v_cndmask_b32_e64 v0, v0, 0, s13
	s_delay_alu instid0(VALU_DEP_1)
	v_or_b32_e32 v21, v0, v98
.LBB6_8108:                             ;   in Loop: Header=BB6_5830 Depth=4
	s_or_b32 exec_lo, exec_lo, s76
                                        ; implicit-def: $vgpr98
.LBB6_8109:                             ;   in Loop: Header=BB6_5830 Depth=4
	s_and_not1_saveexec_b32 s13, s75
; %bb.8110:                             ;   in Loop: Header=BB6_5830 Depth=4
	v_or_b32_e32 v21, 0x7b, v98
; %bb.8111:                             ;   in Loop: Header=BB6_5830 Depth=4
	s_or_b32 exec_lo, exec_lo, s13
                                        ; implicit-def: $vgpr2
                                        ; implicit-def: $vgpr0_vgpr1
                                        ; implicit-def: $vgpr3
.LBB6_8112:                             ;   in Loop: Header=BB6_5830 Depth=4
	s_and_not1_saveexec_b32 s13, s74
	s_cbranch_execz .LBB6_8118
; %bb.8113:                             ;   in Loop: Header=BB6_5830 Depth=4
	s_mov_b32 s74, exec_lo
                                        ; implicit-def: $vgpr21
	v_cmpx_ne_u64_e32 0, v[0:1]
	s_xor_b32 s74, exec_lo, s74
; %bb.8114:                             ;   in Loop: Header=BB6_5830 Depth=4
	v_or_b32_e32 v21, 0x7f, v3
                                        ; implicit-def: $vgpr2
; %bb.8115:                             ;   in Loop: Header=BB6_5830 Depth=4
	s_and_not1_saveexec_b32 s74, s74
; %bb.8116:                             ;   in Loop: Header=BB6_5830 Depth=4
	v_cmp_lt_i32_e32 vcc_lo, -1, v2
	v_mov_b32_e32 v0, 0x7c
	s_delay_alu instid0(VALU_DEP_1)
	v_cndmask_b32_e32 v21, 0xfc, v0, vcc_lo
; %bb.8117:                             ;   in Loop: Header=BB6_5830 Depth=4
	s_or_b32 exec_lo, exec_lo, s74
.LBB6_8118:                             ;   in Loop: Header=BB6_5830 Depth=4
	s_delay_alu instid0(SALU_CYCLE_1) | instskip(SKIP_3) | instid1(VALU_DEP_2)
	s_or_b32 exec_lo, exec_lo, s13
	v_lshrrev_b16 v0, 8, v103
	v_dual_mov_b32 v2, 0 :: v_dual_mov_b32 v3, 0
	s_mov_b32 s74, exec_lo
	v_cmpx_ne_u16_e32 0, v0
	s_cbranch_execz .LBB6_8128
; %bb.8119:                             ;   in Loop: Header=BB6_5830 Depth=4
	v_bfrev_b32_e32 v3, 1
	s_mov_b32 s75, exec_lo
	v_cmpx_ne_u16_e32 0x80, v0
	s_cbranch_execz .LBB6_8127
; %bb.8120:                             ;   in Loop: Header=BB6_5830 Depth=4
	v_and_b32_e32 v98, 0xffff, v0
	s_delay_alu instid0(VALU_DEP_1) | instskip(SKIP_1) | instid1(VALU_DEP_2)
	v_and_b32_e32 v3, 0x7c, v98
	v_and_b32_e32 v1, 3, v98
	v_cmp_ne_u32_e32 vcc_lo, 0x7c, v3
                                        ; implicit-def: $vgpr3
	s_and_saveexec_b32 s13, vcc_lo
	s_delay_alu instid0(SALU_CYCLE_1)
	s_xor_b32 s13, exec_lo, s13
	s_cbranch_execz .LBB6_8124
; %bb.8121:                             ;   in Loop: Header=BB6_5830 Depth=4
	v_bfe_u32 v3, v98, 2, 5
	s_mov_b32 s76, exec_lo
	s_delay_alu instid0(VALU_DEP_1)
	v_cmpx_eq_u32_e32 0, v3
	s_cbranch_execz .LBB6_8123
; %bb.8122:                             ;   in Loop: Header=BB6_5830 Depth=4
	v_clz_i32_u32_e32 v1, v1
	s_delay_alu instid0(VALU_DEP_1) | instskip(SKIP_1) | instid1(VALU_DEP_2)
	v_min_u32_e32 v3, 32, v1
	v_mov_b32_e32 v1, v113
	v_subrev_nc_u32_e32 v98, 29, v3
	v_sub_nc_u32_e32 v3, 30, v3
	s_delay_alu instid0(VALU_DEP_2) | instskip(NEXT) | instid1(VALU_DEP_1)
	v_lshlrev_b64_e32 v[0:1], v98, v[0:1]
	v_and_b32_e32 v1, 3, v0
.LBB6_8123:                             ;   in Loop: Header=BB6_5830 Depth=4
	s_or_b32 exec_lo, exec_lo, s76
	v_lshlrev_b32_e32 v0, 16, v103
                                        ; implicit-def: $vgpr103
	s_delay_alu instid0(VALU_DEP_1) | instskip(NEXT) | instid1(VALU_DEP_1)
	v_and_b32_e32 v0, 0x80000000, v0
	v_lshl_add_u32 v0, v3, 23, v0
	s_delay_alu instid0(VALU_DEP_1) | instskip(NEXT) | instid1(VALU_DEP_1)
	v_lshl_or_b32 v0, v1, 21, v0
                                        ; implicit-def: $vgpr1
	v_add_nc_u32_e32 v3, 0x38000000, v0
.LBB6_8124:                             ;   in Loop: Header=BB6_5830 Depth=4
	s_and_not1_saveexec_b32 s76, s13
; %bb.8125:                             ;   in Loop: Header=BB6_5830 Depth=4
	v_cmp_lt_i16_e64 s13, -1, v103
	v_mov_b32_e32 v0, 0x7f800000
	v_cmp_eq_u32_e32 vcc_lo, 0, v1
	s_delay_alu instid0(VALU_DEP_2) | instskip(NEXT) | instid1(VALU_DEP_1)
	v_cndmask_b32_e64 v0, 0xff800000, v0, s13
	v_cndmask_b32_e32 v3, 0x7f800001, v0, vcc_lo
; %bb.8126:                             ;   in Loop: Header=BB6_5830 Depth=4
	s_or_b32 exec_lo, exec_lo, s76
.LBB6_8127:                             ;   in Loop: Header=BB6_5830 Depth=4
	s_delay_alu instid0(SALU_CYCLE_1)
	s_or_b32 exec_lo, exec_lo, s75
.LBB6_8128:                             ;   in Loop: Header=BB6_5830 Depth=4
	s_delay_alu instid0(SALU_CYCLE_1) | instskip(SKIP_2) | instid1(VALU_DEP_1)
	s_or_b32 exec_lo, exec_lo, s74
	v_lshrrev_b16 v0, 8, v22
	s_mov_b32 s74, exec_lo
	v_cmpx_ne_u16_e32 0, v0
	s_cbranch_execz .LBB6_8138
; %bb.8129:                             ;   in Loop: Header=BB6_5830 Depth=4
	v_bfrev_b32_e32 v2, 1
	s_mov_b32 s75, exec_lo
	v_cmpx_ne_u16_e32 0x80, v0
	s_cbranch_execz .LBB6_8137
; %bb.8130:                             ;   in Loop: Header=BB6_5830 Depth=4
	v_and_b32_e32 v98, 0xffff, v0
	s_delay_alu instid0(VALU_DEP_1) | instskip(SKIP_1) | instid1(VALU_DEP_2)
	v_and_b32_e32 v2, 0x7c, v98
	v_and_b32_e32 v1, 3, v98
	v_cmp_ne_u32_e32 vcc_lo, 0x7c, v2
                                        ; implicit-def: $vgpr2
	s_and_saveexec_b32 s13, vcc_lo
	s_delay_alu instid0(SALU_CYCLE_1)
	s_xor_b32 s13, exec_lo, s13
	s_cbranch_execz .LBB6_8134
; %bb.8131:                             ;   in Loop: Header=BB6_5830 Depth=4
	v_bfe_u32 v2, v98, 2, 5
	s_mov_b32 s76, exec_lo
	s_delay_alu instid0(VALU_DEP_1)
	v_cmpx_eq_u32_e32 0, v2
	s_cbranch_execz .LBB6_8133
; %bb.8132:                             ;   in Loop: Header=BB6_5830 Depth=4
	v_clz_i32_u32_e32 v1, v1
	s_delay_alu instid0(VALU_DEP_1) | instskip(SKIP_1) | instid1(VALU_DEP_2)
	v_min_u32_e32 v2, 32, v1
	v_mov_b32_e32 v1, v113
	v_subrev_nc_u32_e32 v98, 29, v2
	v_sub_nc_u32_e32 v2, 30, v2
	s_delay_alu instid0(VALU_DEP_2) | instskip(NEXT) | instid1(VALU_DEP_1)
	v_lshlrev_b64_e32 v[0:1], v98, v[0:1]
	v_and_b32_e32 v1, 3, v0
.LBB6_8133:                             ;   in Loop: Header=BB6_5830 Depth=4
	s_or_b32 exec_lo, exec_lo, s76
	v_lshlrev_b32_e32 v0, 16, v22
	s_delay_alu instid0(VALU_DEP_1) | instskip(NEXT) | instid1(VALU_DEP_1)
	v_and_b32_e32 v0, 0x80000000, v0
	v_lshl_add_u32 v0, v2, 23, v0
	s_delay_alu instid0(VALU_DEP_1) | instskip(NEXT) | instid1(VALU_DEP_1)
	v_lshl_or_b32 v0, v1, 21, v0
                                        ; implicit-def: $vgpr1
	v_add_nc_u32_e32 v2, 0x38000000, v0
.LBB6_8134:                             ;   in Loop: Header=BB6_5830 Depth=4
	s_and_not1_saveexec_b32 s76, s13
; %bb.8135:                             ;   in Loop: Header=BB6_5830 Depth=4
	v_cmp_lt_i16_e64 s13, -1, v22
	v_mov_b32_e32 v0, 0x7f800000
	v_cmp_eq_u32_e32 vcc_lo, 0, v1
	s_delay_alu instid0(VALU_DEP_2) | instskip(NEXT) | instid1(VALU_DEP_1)
	v_cndmask_b32_e64 v0, 0xff800000, v0, s13
	v_cndmask_b32_e32 v2, 0x7f800001, v0, vcc_lo
; %bb.8136:                             ;   in Loop: Header=BB6_5830 Depth=4
	s_or_b32 exec_lo, exec_lo, s76
.LBB6_8137:                             ;   in Loop: Header=BB6_5830 Depth=4
	s_delay_alu instid0(SALU_CYCLE_1)
	s_or_b32 exec_lo, exec_lo, s75
.LBB6_8138:                             ;   in Loop: Header=BB6_5830 Depth=4
	s_delay_alu instid0(SALU_CYCLE_1) | instskip(NEXT) | instid1(VALU_DEP_1)
	s_or_b32 exec_lo, exec_lo, s74
	v_dual_add_f32 v2, v3, v2 :: v_dual_mov_b32 v47, v113
	v_mov_b32_e32 v1, v113
                                        ; implicit-def: $vgpr98
	s_mov_b32 s13, exec_lo
	s_delay_alu instid0(VALU_DEP_2) | instskip(SKIP_2) | instid1(VALU_DEP_3)
	v_and_b32_e32 v46, 0x7f800000, v2
	v_and_b32_e32 v0, 0x7fffff, v2
	v_lshrrev_b32_e32 v3, 24, v2
	v_cmpx_ne_u64_e32 0x7f800000, v[46:47]
	s_xor_b32 s74, exec_lo, s13
	s_cbranch_execz .LBB6_8152
; %bb.8139:                             ;   in Loop: Header=BB6_5830 Depth=4
	v_and_b32_e32 v46, 0x7fffffff, v2
	v_mov_b32_e32 v47, v113
	v_and_b32_e32 v103, 0x80, v3
                                        ; implicit-def: $vgpr98
	s_mov_b32 s13, exec_lo
	s_delay_alu instid0(VALU_DEP_2)
	v_cmpx_gt_u64_e32 0x47600001, v[46:47]
	s_xor_b32 s75, exec_lo, s13
	s_cbranch_execz .LBB6_8149
; %bb.8140:                             ;   in Loop: Header=BB6_5830 Depth=4
	v_mov_b32_e32 v98, 0
	s_mov_b32 s76, exec_lo
	v_cmpx_ne_u32_e32 0, v2
	s_cbranch_execz .LBB6_8148
; %bb.8141:                             ;   in Loop: Header=BB6_5830 Depth=4
	v_bfe_u32 v98, v2, 23, 8
	v_or_b32_e32 v3, 0x800000, v0
	s_delay_alu instid0(VALU_DEP_2) | instskip(SKIP_2) | instid1(VALU_DEP_2)
	v_cmp_gt_u32_e64 s13, 0x72, v98
	v_sub_nc_u32_e32 v2, 0x71, v98
	v_cmp_eq_u32_e32 vcc_lo, 0, v98
	v_dual_cndmask_b32 v2, 0, v2, s13 :: v_dual_cndmask_b32 v0, v3, v0, vcc_lo
	s_delay_alu instid0(VALU_DEP_1) | instskip(NEXT) | instid1(VALU_DEP_1)
	v_cndmask_b32_e64 v117, v2, 0x70, vcc_lo
	v_dual_add_nc_u32 v2, 21, v117 :: v_dual_add_nc_u32 v46, 20, v117
	s_delay_alu instid0(VALU_DEP_1) | instskip(NEXT) | instid1(VALU_DEP_2)
	v_lshlrev_b64_e64 v[2:3], v2, -1
	v_lshlrev_b64_e64 v[46:47], v46, 1
	s_delay_alu instid0(VALU_DEP_2) | instskip(SKIP_1) | instid1(VALU_DEP_4)
	v_bfi_b32 v2, v2, 0, v0
	v_lshrrev_b64 v[0:1], v117, v[0:1]
	v_bfi_b32 v3, v3, 0, 0
	s_delay_alu instid0(VALU_DEP_1) | instskip(NEXT) | instid1(VALU_DEP_3)
	v_cmp_eq_u64_e64 s13, v[2:3], v[46:47]
	v_mov_b64_e32 v[2:3], v[0:1]
	s_and_saveexec_b32 s77, s13
; %bb.8142:                             ;   in Loop: Header=BB6_5830 Depth=4
	v_bfe_u32 v2, v0, 21, 1
	v_mov_b32_e32 v3, v113
	s_delay_alu instid0(VALU_DEP_1) | instskip(NEXT) | instid1(VALU_DEP_1)
	v_add_nc_u64_e32 v[2:3], v[0:1], v[2:3]
	v_add_nc_u64_e32 v[2:3], -1, v[2:3]
; %bb.8143:                             ;   in Loop: Header=BB6_5830 Depth=4
	s_or_b32 exec_lo, exec_lo, s77
	v_add_nc_u32_e32 v1, 0xffffff81, v98
	v_lshrrev_b32_e32 v3, 23, v0
	s_mov_b32 s13, exec_lo
	s_delay_alu instid0(VALU_DEP_2) | instskip(NEXT) | instid1(VALU_DEP_1)
	v_cndmask_b32_e64 v1, v1, 0xffffff82, vcc_lo
	v_add3_u32 v98, v117, v1, v3
	v_and_b32_e32 v1, 0x1fffff, v2
                                        ; implicit-def: $vgpr2
	s_delay_alu instid0(VALU_DEP_1) | instskip(SKIP_1) | instid1(VALU_DEP_2)
	v_dual_add_nc_u32 v3, 14, v98 :: v_dual_add_nc_u32 v0, v1, v0
	v_mov_b32_e32 v1, v113
	v_cmpx_ne_u32_e32 0, v3
	s_xor_b32 s13, exec_lo, s13
; %bb.8144:                             ;   in Loop: Header=BB6_5830 Depth=4
	s_delay_alu instid0(VALU_DEP_2) | instskip(SKIP_1) | instid1(VALU_DEP_1)
	v_cmp_lt_u64_e32 vcc_lo, 0xffffff, v[0:1]
	v_add_nc_u32_e32 v2, 15, v98
	v_cndmask_b32_e32 v2, v3, v2, vcc_lo
	v_cndmask_b32_e64 v3, 0, 1, vcc_lo
	s_delay_alu instid0(VALU_DEP_1)
	v_lshrrev_b64 v[0:1], v3, v[0:1]
; %bb.8145:                             ;   in Loop: Header=BB6_5830 Depth=4
	s_and_not1_saveexec_b32 s13, s13
; %bb.8146:                             ;   in Loop: Header=BB6_5830 Depth=4
	s_delay_alu instid0(VALU_DEP_1)
	v_bfe_u32 v2, v0, 23, 1
; %bb.8147:                             ;   in Loop: Header=BB6_5830 Depth=4
	s_or_b32 exec_lo, exec_lo, s13
	s_delay_alu instid0(VALU_DEP_2) | instskip(NEXT) | instid1(VALU_DEP_2)
	v_lshrrev_b64 v[0:1], 21, v[0:1]
	v_cmp_gt_i32_e32 vcc_lo, 32, v2
	v_min_i32_e32 v3, 31, v2
	v_cmp_eq_u32_e64 s13, 0, v2
	s_delay_alu instid0(VALU_DEP_2) | instskip(SKIP_1) | instid1(VALU_DEP_2)
	v_dual_cndmask_b32 v1, 0, v1, vcc_lo :: v_dual_lshlrev_b32 v3, 2, v3
	v_cndmask_b32_e32 v0, 3, v0, vcc_lo
	v_and_b32_e32 v3, 0xfc, v3
	s_delay_alu instid0(VALU_DEP_2) | instskip(NEXT) | instid1(VALU_DEP_2)
	v_cmp_eq_u64_e32 vcc_lo, 0, v[0:1]
	v_and_or_b32 v0, v0, 3, v3
	s_and_b32 s13, s13, vcc_lo
	s_delay_alu instid0(VALU_DEP_1) | instid1(SALU_CYCLE_1)
	v_cndmask_b32_e64 v0, v0, 0, s13
	s_delay_alu instid0(VALU_DEP_1)
	v_or_b32_e32 v98, v0, v103
.LBB6_8148:                             ;   in Loop: Header=BB6_5830 Depth=4
	s_or_b32 exec_lo, exec_lo, s76
                                        ; implicit-def: $vgpr103
.LBB6_8149:                             ;   in Loop: Header=BB6_5830 Depth=4
	s_and_not1_saveexec_b32 s13, s75
; %bb.8150:                             ;   in Loop: Header=BB6_5830 Depth=4
	v_or_b32_e32 v98, 0x7b, v103
; %bb.8151:                             ;   in Loop: Header=BB6_5830 Depth=4
	s_or_b32 exec_lo, exec_lo, s13
                                        ; implicit-def: $vgpr2
                                        ; implicit-def: $vgpr0_vgpr1
                                        ; implicit-def: $vgpr3
.LBB6_8152:                             ;   in Loop: Header=BB6_5830 Depth=4
	s_and_not1_saveexec_b32 s13, s74
	s_cbranch_execz .LBB6_8158
; %bb.8153:                             ;   in Loop: Header=BB6_5830 Depth=4
	s_mov_b32 s74, exec_lo
                                        ; implicit-def: $vgpr98
	v_cmpx_ne_u64_e32 0, v[0:1]
	s_xor_b32 s74, exec_lo, s74
; %bb.8154:                             ;   in Loop: Header=BB6_5830 Depth=4
	v_or_b32_e32 v98, 0x7f, v3
                                        ; implicit-def: $vgpr2
; %bb.8155:                             ;   in Loop: Header=BB6_5830 Depth=4
	s_and_not1_saveexec_b32 s74, s74
; %bb.8156:                             ;   in Loop: Header=BB6_5830 Depth=4
	v_cmp_lt_i32_e32 vcc_lo, -1, v2
	v_mov_b32_e32 v0, 0x7c
	s_delay_alu instid0(VALU_DEP_1)
	v_cndmask_b32_e32 v98, 0xfc, v0, vcc_lo
; %bb.8157:                             ;   in Loop: Header=BB6_5830 Depth=4
	s_or_b32 exec_lo, exec_lo, s74
.LBB6_8158:                             ;   in Loop: Header=BB6_5830 Depth=4
	s_delay_alu instid0(SALU_CYCLE_1) | instskip(SKIP_3) | instid1(VALU_DEP_2)
	s_or_b32 exec_lo, exec_lo, s13
	v_dual_mov_b32 v1, 0 :: v_dual_lshrrev_b32 v0, 16, v112
	v_mov_b32_e32 v2, 0
	s_mov_b32 s74, exec_lo
	v_and_b32_e32 v3, 0xff, v0
	s_delay_alu instid0(VALU_DEP_1)
	v_cmpx_ne_u16_e32 0, v3
	s_cbranch_execz .LBB6_8168
; %bb.8159:                             ;   in Loop: Header=BB6_5830 Depth=4
	v_bfrev_b32_e32 v2, 1
	s_mov_b32 s75, exec_lo
	v_cmpx_ne_u16_e32 0x80, v3
	s_cbranch_execz .LBB6_8167
; %bb.8160:                             ;   in Loop: Header=BB6_5830 Depth=4
	v_and_b32_e32 v2, 0x7c0000, v112
	v_bfe_u32 v3, v112, 16, 2
	s_delay_alu instid0(VALU_DEP_2) | instskip(SKIP_1) | instid1(SALU_CYCLE_1)
	v_cmp_ne_u32_e32 vcc_lo, 0x7c0000, v2
                                        ; implicit-def: $vgpr2
	s_and_saveexec_b32 s13, vcc_lo
	s_xor_b32 s13, exec_lo, s13
	s_cbranch_execz .LBB6_8164
; %bb.8161:                             ;   in Loop: Header=BB6_5830 Depth=4
	v_bfe_u32 v2, v112, 18, 5
	s_mov_b32 s76, exec_lo
	s_delay_alu instid0(VALU_DEP_1)
	v_cmpx_eq_u32_e32 0, v2
; %bb.8162:                             ;   in Loop: Header=BB6_5830 Depth=4
	v_clz_i32_u32_e32 v2, v3
	s_delay_alu instid0(VALU_DEP_1) | instskip(NEXT) | instid1(VALU_DEP_1)
	v_min_u32_e32 v2, 32, v2
	v_subrev_nc_u32_e32 v3, 29, v2
	v_sub_nc_u32_e32 v2, 30, v2
	s_delay_alu instid0(VALU_DEP_2) | instskip(NEXT) | instid1(VALU_DEP_1)
	v_lshlrev_b64_e32 v[46:47], v3, v[0:1]
	v_and_b32_e32 v3, 3, v46
; %bb.8163:                             ;   in Loop: Header=BB6_5830 Depth=4
	s_or_b32 exec_lo, exec_lo, s76
	v_lshlrev_b32_e32 v0, 24, v0
	s_delay_alu instid0(VALU_DEP_1) | instskip(NEXT) | instid1(VALU_DEP_1)
	v_and_b32_e32 v0, 0x80000000, v0
	v_lshl_add_u32 v0, v2, 23, v0
	s_delay_alu instid0(VALU_DEP_1) | instskip(NEXT) | instid1(VALU_DEP_1)
	v_lshl_or_b32 v0, v3, 21, v0
                                        ; implicit-def: $vgpr3
	v_add_nc_u32_e32 v2, 0x38000000, v0
                                        ; implicit-def: $vgpr0
.LBB6_8164:                             ;   in Loop: Header=BB6_5830 Depth=4
	s_and_not1_saveexec_b32 s76, s13
; %bb.8165:                             ;   in Loop: Header=BB6_5830 Depth=4
	v_bfe_i32 v0, v0, 0, 8
	v_cmp_eq_u32_e32 vcc_lo, 0, v3
	s_delay_alu instid0(VALU_DEP_2) | instskip(SKIP_1) | instid1(VALU_DEP_1)
	v_cmp_lt_i16_e64 s13, -1, v0
	v_mov_b32_e32 v0, 0x7f800000
	v_cndmask_b32_e64 v0, 0xff800000, v0, s13
	s_delay_alu instid0(VALU_DEP_1)
	v_cndmask_b32_e32 v2, 0x7f800001, v0, vcc_lo
; %bb.8166:                             ;   in Loop: Header=BB6_5830 Depth=4
	s_or_b32 exec_lo, exec_lo, s76
.LBB6_8167:                             ;   in Loop: Header=BB6_5830 Depth=4
	s_delay_alu instid0(SALU_CYCLE_1)
	s_or_b32 exec_lo, exec_lo, s75
.LBB6_8168:                             ;   in Loop: Header=BB6_5830 Depth=4
	s_delay_alu instid0(SALU_CYCLE_1) | instskip(SKIP_2) | instid1(VALU_DEP_1)
	s_or_b32 exec_lo, exec_lo, s74
	v_lshrrev_b32_e32 v0, 16, v22
	s_mov_b32 s74, exec_lo
	v_and_b32_e32 v3, 0xff, v0
	s_delay_alu instid0(VALU_DEP_1)
	v_cmpx_ne_u16_e32 0, v3
	s_cbranch_execz .LBB6_8178
; %bb.8169:                             ;   in Loop: Header=BB6_5830 Depth=4
	v_bfrev_b32_e32 v1, 1
	s_mov_b32 s75, exec_lo
	v_cmpx_ne_u16_e32 0x80, v3
	s_cbranch_execz .LBB6_8177
; %bb.8170:                             ;   in Loop: Header=BB6_5830 Depth=4
	v_and_b32_e32 v1, 0x7c0000, v22
	v_bfe_u32 v3, v22, 16, 2
	s_delay_alu instid0(VALU_DEP_2) | instskip(SKIP_1) | instid1(SALU_CYCLE_1)
	v_cmp_ne_u32_e32 vcc_lo, 0x7c0000, v1
                                        ; implicit-def: $vgpr1
	s_and_saveexec_b32 s13, vcc_lo
	s_xor_b32 s13, exec_lo, s13
	s_cbranch_execz .LBB6_8174
; %bb.8171:                             ;   in Loop: Header=BB6_5830 Depth=4
	v_bfe_u32 v1, v22, 18, 5
	s_mov_b32 s76, exec_lo
	s_delay_alu instid0(VALU_DEP_1)
	v_cmpx_eq_u32_e32 0, v1
; %bb.8172:                             ;   in Loop: Header=BB6_5830 Depth=4
	v_clz_i32_u32_e32 v1, v3
	s_delay_alu instid0(VALU_DEP_1) | instskip(NEXT) | instid1(VALU_DEP_1)
	v_min_u32_e32 v1, 32, v1
	v_subrev_nc_u32_e32 v3, 29, v1
	s_delay_alu instid0(VALU_DEP_1) | instskip(NEXT) | instid1(VALU_DEP_1)
	v_lshlrev_b64_e32 v[46:47], v3, v[0:1]
	v_dual_sub_nc_u32 v1, 30, v1 :: v_dual_bitop2_b32 v3, 3, v46 bitop3:0x40
; %bb.8173:                             ;   in Loop: Header=BB6_5830 Depth=4
	s_or_b32 exec_lo, exec_lo, s76
	v_lshlrev_b32_e32 v0, 24, v0
	s_delay_alu instid0(VALU_DEP_1) | instskip(NEXT) | instid1(VALU_DEP_1)
	v_and_b32_e32 v0, 0x80000000, v0
	v_lshl_add_u32 v0, v1, 23, v0
	s_delay_alu instid0(VALU_DEP_1) | instskip(NEXT) | instid1(VALU_DEP_1)
	v_lshl_or_b32 v0, v3, 21, v0
                                        ; implicit-def: $vgpr3
	v_add_nc_u32_e32 v1, 0x38000000, v0
                                        ; implicit-def: $vgpr0
.LBB6_8174:                             ;   in Loop: Header=BB6_5830 Depth=4
	s_and_not1_saveexec_b32 s76, s13
; %bb.8175:                             ;   in Loop: Header=BB6_5830 Depth=4
	v_bfe_i32 v0, v0, 0, 8
	v_cmp_eq_u32_e32 vcc_lo, 0, v3
	s_delay_alu instid0(VALU_DEP_2) | instskip(SKIP_1) | instid1(VALU_DEP_1)
	v_cmp_lt_i16_e64 s13, -1, v0
	v_mov_b32_e32 v0, 0x7f800000
	v_cndmask_b32_e64 v0, 0xff800000, v0, s13
	s_delay_alu instid0(VALU_DEP_1)
	v_cndmask_b32_e32 v1, 0x7f800001, v0, vcc_lo
; %bb.8176:                             ;   in Loop: Header=BB6_5830 Depth=4
	s_or_b32 exec_lo, exec_lo, s76
.LBB6_8177:                             ;   in Loop: Header=BB6_5830 Depth=4
	s_delay_alu instid0(SALU_CYCLE_1)
	s_or_b32 exec_lo, exec_lo, s75
.LBB6_8178:                             ;   in Loop: Header=BB6_5830 Depth=4
	s_delay_alu instid0(SALU_CYCLE_1) | instskip(NEXT) | instid1(VALU_DEP_1)
	s_or_b32 exec_lo, exec_lo, s74
	v_dual_add_f32 v2, v2, v1 :: v_dual_mov_b32 v47, v113
	v_mov_b32_e32 v1, v113
                                        ; implicit-def: $vgpr103
	s_mov_b32 s13, exec_lo
	s_delay_alu instid0(VALU_DEP_2) | instskip(SKIP_2) | instid1(VALU_DEP_3)
	v_and_b32_e32 v46, 0x7f800000, v2
	v_and_b32_e32 v0, 0x7fffff, v2
	v_lshrrev_b32_e32 v3, 24, v2
	v_cmpx_ne_u64_e32 0x7f800000, v[46:47]
	s_xor_b32 s74, exec_lo, s13
	s_cbranch_execz .LBB6_8192
; %bb.8179:                             ;   in Loop: Header=BB6_5830 Depth=4
	v_and_b32_e32 v46, 0x7fffffff, v2
	v_mov_b32_e32 v47, v113
	v_and_b32_e32 v117, 0x80, v3
                                        ; implicit-def: $vgpr103
	s_mov_b32 s13, exec_lo
	s_delay_alu instid0(VALU_DEP_2)
	v_cmpx_gt_u64_e32 0x47600001, v[46:47]
	s_xor_b32 s75, exec_lo, s13
	s_cbranch_execz .LBB6_8189
; %bb.8180:                             ;   in Loop: Header=BB6_5830 Depth=4
	v_mov_b32_e32 v103, 0
	s_mov_b32 s76, exec_lo
	v_cmpx_ne_u32_e32 0, v2
	s_cbranch_execz .LBB6_8188
; %bb.8181:                             ;   in Loop: Header=BB6_5830 Depth=4
	v_bfe_u32 v103, v2, 23, 8
	v_or_b32_e32 v3, 0x800000, v0
	s_delay_alu instid0(VALU_DEP_2) | instskip(SKIP_2) | instid1(VALU_DEP_2)
	v_cmp_gt_u32_e64 s13, 0x72, v103
	v_sub_nc_u32_e32 v2, 0x71, v103
	v_cmp_eq_u32_e32 vcc_lo, 0, v103
	v_dual_cndmask_b32 v2, 0, v2, s13 :: v_dual_cndmask_b32 v0, v3, v0, vcc_lo
	s_delay_alu instid0(VALU_DEP_1) | instskip(NEXT) | instid1(VALU_DEP_1)
	v_cndmask_b32_e64 v46, v2, 0x70, vcc_lo
	v_dual_add_nc_u32 v2, 21, v46 :: v_dual_add_nc_u32 v47, 20, v46
	s_delay_alu instid0(VALU_DEP_1) | instskip(NEXT) | instid1(VALU_DEP_2)
	v_lshlrev_b64_e64 v[2:3], v2, -1
	v_lshlrev_b64_e64 v[74:75], v47, 1
	s_delay_alu instid0(VALU_DEP_2) | instskip(SKIP_1) | instid1(VALU_DEP_4)
	v_bfi_b32 v2, v2, 0, v0
	v_lshrrev_b64 v[0:1], v46, v[0:1]
	v_bfi_b32 v3, v3, 0, 0
	s_delay_alu instid0(VALU_DEP_1) | instskip(NEXT) | instid1(VALU_DEP_3)
	v_cmp_eq_u64_e64 s13, v[2:3], v[74:75]
	v_mov_b64_e32 v[2:3], v[0:1]
	s_and_saveexec_b32 s77, s13
; %bb.8182:                             ;   in Loop: Header=BB6_5830 Depth=4
	v_bfe_u32 v2, v0, 21, 1
	v_mov_b32_e32 v3, v113
	s_delay_alu instid0(VALU_DEP_1) | instskip(NEXT) | instid1(VALU_DEP_1)
	v_add_nc_u64_e32 v[2:3], v[0:1], v[2:3]
	v_add_nc_u64_e32 v[2:3], -1, v[2:3]
; %bb.8183:                             ;   in Loop: Header=BB6_5830 Depth=4
	s_or_b32 exec_lo, exec_lo, s77
	v_add_nc_u32_e32 v1, 0xffffff81, v103
	v_lshrrev_b32_e32 v3, 23, v0
	s_mov_b32 s13, exec_lo
	s_delay_alu instid0(VALU_DEP_2) | instskip(NEXT) | instid1(VALU_DEP_1)
	v_cndmask_b32_e64 v1, v1, 0xffffff82, vcc_lo
	v_add3_u32 v103, v46, v1, v3
	v_and_b32_e32 v1, 0x1fffff, v2
                                        ; implicit-def: $vgpr2
	s_delay_alu instid0(VALU_DEP_1) | instskip(SKIP_1) | instid1(VALU_DEP_2)
	v_dual_add_nc_u32 v3, 14, v103 :: v_dual_add_nc_u32 v0, v1, v0
	v_mov_b32_e32 v1, v113
	v_cmpx_ne_u32_e32 0, v3
	s_xor_b32 s13, exec_lo, s13
; %bb.8184:                             ;   in Loop: Header=BB6_5830 Depth=4
	s_delay_alu instid0(VALU_DEP_2) | instskip(SKIP_1) | instid1(VALU_DEP_1)
	v_cmp_lt_u64_e32 vcc_lo, 0xffffff, v[0:1]
	v_add_nc_u32_e32 v2, 15, v103
	v_cndmask_b32_e32 v2, v3, v2, vcc_lo
	v_cndmask_b32_e64 v3, 0, 1, vcc_lo
	s_delay_alu instid0(VALU_DEP_1)
	v_lshrrev_b64 v[0:1], v3, v[0:1]
; %bb.8185:                             ;   in Loop: Header=BB6_5830 Depth=4
	s_and_not1_saveexec_b32 s13, s13
; %bb.8186:                             ;   in Loop: Header=BB6_5830 Depth=4
	s_delay_alu instid0(VALU_DEP_1)
	v_bfe_u32 v2, v0, 23, 1
; %bb.8187:                             ;   in Loop: Header=BB6_5830 Depth=4
	s_or_b32 exec_lo, exec_lo, s13
	s_delay_alu instid0(VALU_DEP_2) | instskip(NEXT) | instid1(VALU_DEP_2)
	v_lshrrev_b64 v[0:1], 21, v[0:1]
	v_cmp_gt_i32_e32 vcc_lo, 32, v2
	v_min_i32_e32 v3, 31, v2
	v_cmp_eq_u32_e64 s13, 0, v2
	s_delay_alu instid0(VALU_DEP_2) | instskip(SKIP_1) | instid1(VALU_DEP_2)
	v_dual_cndmask_b32 v1, 0, v1, vcc_lo :: v_dual_lshlrev_b32 v3, 2, v3
	v_cndmask_b32_e32 v0, 3, v0, vcc_lo
	v_and_b32_e32 v3, 0xfc, v3
	s_delay_alu instid0(VALU_DEP_2) | instskip(NEXT) | instid1(VALU_DEP_2)
	v_cmp_eq_u64_e32 vcc_lo, 0, v[0:1]
	v_and_or_b32 v0, v0, 3, v3
	s_and_b32 s13, s13, vcc_lo
	s_delay_alu instid0(VALU_DEP_1) | instid1(SALU_CYCLE_1)
	v_cndmask_b32_e64 v0, v0, 0, s13
	s_delay_alu instid0(VALU_DEP_1)
	v_or_b32_e32 v103, v0, v117
.LBB6_8188:                             ;   in Loop: Header=BB6_5830 Depth=4
	s_or_b32 exec_lo, exec_lo, s76
                                        ; implicit-def: $vgpr117
.LBB6_8189:                             ;   in Loop: Header=BB6_5830 Depth=4
	s_and_not1_saveexec_b32 s13, s75
; %bb.8190:                             ;   in Loop: Header=BB6_5830 Depth=4
	v_or_b32_e32 v103, 0x7b, v117
; %bb.8191:                             ;   in Loop: Header=BB6_5830 Depth=4
	s_or_b32 exec_lo, exec_lo, s13
                                        ; implicit-def: $vgpr2
                                        ; implicit-def: $vgpr0_vgpr1
                                        ; implicit-def: $vgpr3
.LBB6_8192:                             ;   in Loop: Header=BB6_5830 Depth=4
	s_and_not1_saveexec_b32 s13, s74
	s_cbranch_execz .LBB6_8198
; %bb.8193:                             ;   in Loop: Header=BB6_5830 Depth=4
	s_mov_b32 s74, exec_lo
                                        ; implicit-def: $vgpr103
	v_cmpx_ne_u64_e32 0, v[0:1]
	s_xor_b32 s74, exec_lo, s74
; %bb.8194:                             ;   in Loop: Header=BB6_5830 Depth=4
	v_or_b32_e32 v103, 0x7f, v3
                                        ; implicit-def: $vgpr2
; %bb.8195:                             ;   in Loop: Header=BB6_5830 Depth=4
	s_and_not1_saveexec_b32 s74, s74
; %bb.8196:                             ;   in Loop: Header=BB6_5830 Depth=4
	v_cmp_lt_i32_e32 vcc_lo, -1, v2
	v_mov_b32_e32 v0, 0x7c
	s_delay_alu instid0(VALU_DEP_1)
	v_cndmask_b32_e32 v103, 0xfc, v0, vcc_lo
; %bb.8197:                             ;   in Loop: Header=BB6_5830 Depth=4
	s_or_b32 exec_lo, exec_lo, s74
.LBB6_8198:                             ;   in Loop: Header=BB6_5830 Depth=4
	s_delay_alu instid0(SALU_CYCLE_1)
	s_or_b32 exec_lo, exec_lo, s13
	v_dual_mov_b32 v1, 0 :: v_dual_mov_b32 v2, 0
	s_mov_b32 s74, exec_lo
	v_cmpx_lt_u32_e32 0xffffff, v112
	s_cbranch_execz .LBB6_8208
; %bb.8199:                             ;   in Loop: Header=BB6_5830 Depth=4
	v_lshrrev_b32_e32 v0, 24, v112
	v_bfrev_b32_e32 v2, 1
	s_mov_b32 s75, exec_lo
	s_delay_alu instid0(VALU_DEP_2)
	v_cmpx_ne_u32_e32 0x80, v0
	s_cbranch_execz .LBB6_8207
; %bb.8200:                             ;   in Loop: Header=BB6_5830 Depth=4
	v_and_b32_e32 v2, 0x7c000000, v112
	v_bfe_u32 v3, v112, 24, 2
	s_delay_alu instid0(VALU_DEP_2) | instskip(SKIP_1) | instid1(SALU_CYCLE_1)
	v_cmp_ne_u32_e32 vcc_lo, 0x7c000000, v2
                                        ; implicit-def: $vgpr2
	s_and_saveexec_b32 s13, vcc_lo
	s_xor_b32 s13, exec_lo, s13
	s_cbranch_execz .LBB6_8204
; %bb.8201:                             ;   in Loop: Header=BB6_5830 Depth=4
	v_bfe_u32 v2, v112, 26, 5
	s_mov_b32 s76, exec_lo
	s_delay_alu instid0(VALU_DEP_1)
	v_cmpx_eq_u32_e32 0, v2
; %bb.8202:                             ;   in Loop: Header=BB6_5830 Depth=4
	v_clz_i32_u32_e32 v2, v3
	s_delay_alu instid0(VALU_DEP_1) | instskip(NEXT) | instid1(VALU_DEP_1)
	v_min_u32_e32 v2, 32, v2
	v_subrev_nc_u32_e32 v3, 29, v2
	v_sub_nc_u32_e32 v2, 30, v2
	s_delay_alu instid0(VALU_DEP_2) | instskip(NEXT) | instid1(VALU_DEP_1)
	v_lshlrev_b64_e32 v[46:47], v3, v[0:1]
	v_and_b32_e32 v3, 3, v46
; %bb.8203:                             ;   in Loop: Header=BB6_5830 Depth=4
	s_or_b32 exec_lo, exec_lo, s76
	v_and_b32_e32 v0, 0x80000000, v112
	s_delay_alu instid0(VALU_DEP_1) | instskip(NEXT) | instid1(VALU_DEP_1)
	v_lshl_add_u32 v0, v2, 23, v0
	v_lshl_or_b32 v0, v3, 21, v0
                                        ; implicit-def: $vgpr3
	s_delay_alu instid0(VALU_DEP_1)
	v_add_nc_u32_e32 v2, 0x38000000, v0
.LBB6_8204:                             ;   in Loop: Header=BB6_5830 Depth=4
	s_and_not1_saveexec_b32 s76, s13
; %bb.8205:                             ;   in Loop: Header=BB6_5830 Depth=4
	v_cmp_lt_i32_e64 s13, -1, v112
	v_mov_b32_e32 v0, 0x7f800000
	v_cmp_eq_u32_e32 vcc_lo, 0, v3
	s_delay_alu instid0(VALU_DEP_2) | instskip(NEXT) | instid1(VALU_DEP_1)
	v_cndmask_b32_e64 v0, 0xff800000, v0, s13
	v_cndmask_b32_e32 v2, 0x7f800001, v0, vcc_lo
; %bb.8206:                             ;   in Loop: Header=BB6_5830 Depth=4
	s_or_b32 exec_lo, exec_lo, s76
.LBB6_8207:                             ;   in Loop: Header=BB6_5830 Depth=4
	s_delay_alu instid0(SALU_CYCLE_1)
	s_or_b32 exec_lo, exec_lo, s75
.LBB6_8208:                             ;   in Loop: Header=BB6_5830 Depth=4
	s_delay_alu instid0(SALU_CYCLE_1) | instskip(NEXT) | instid1(SALU_CYCLE_1)
	s_or_b32 exec_lo, exec_lo, s74
	s_mov_b32 s74, exec_lo
	v_cmpx_lt_u32_e32 0xffffff, v22
	s_cbranch_execz .LBB6_8218
; %bb.8209:                             ;   in Loop: Header=BB6_5830 Depth=4
	v_lshrrev_b32_e32 v0, 24, v22
	v_bfrev_b32_e32 v1, 1
	s_mov_b32 s75, exec_lo
	s_delay_alu instid0(VALU_DEP_2)
	v_cmpx_ne_u32_e32 0x80, v0
	s_cbranch_execz .LBB6_8217
; %bb.8210:                             ;   in Loop: Header=BB6_5830 Depth=4
	v_and_b32_e32 v1, 0x7c000000, v22
	v_bfe_u32 v3, v22, 24, 2
	s_delay_alu instid0(VALU_DEP_2) | instskip(SKIP_1) | instid1(SALU_CYCLE_1)
	v_cmp_ne_u32_e32 vcc_lo, 0x7c000000, v1
                                        ; implicit-def: $vgpr1
	s_and_saveexec_b32 s13, vcc_lo
	s_xor_b32 s13, exec_lo, s13
	s_cbranch_execz .LBB6_8214
; %bb.8211:                             ;   in Loop: Header=BB6_5830 Depth=4
	v_bfe_u32 v1, v22, 26, 5
	s_mov_b32 s76, exec_lo
	s_delay_alu instid0(VALU_DEP_1)
	v_cmpx_eq_u32_e32 0, v1
; %bb.8212:                             ;   in Loop: Header=BB6_5830 Depth=4
	v_clz_i32_u32_e32 v1, v3
	s_delay_alu instid0(VALU_DEP_1) | instskip(NEXT) | instid1(VALU_DEP_1)
	v_min_u32_e32 v3, 32, v1
	v_subrev_nc_u32_e32 v1, 29, v3
	s_delay_alu instid0(VALU_DEP_1) | instskip(NEXT) | instid1(VALU_DEP_1)
	v_lshlrev_b64_e32 v[0:1], v1, v[0:1]
	v_dual_sub_nc_u32 v1, 30, v3 :: v_dual_bitop2_b32 v3, 3, v0 bitop3:0x40
; %bb.8213:                             ;   in Loop: Header=BB6_5830 Depth=4
	s_or_b32 exec_lo, exec_lo, s76
	v_and_b32_e32 v0, 0x80000000, v22
	s_delay_alu instid0(VALU_DEP_1) | instskip(NEXT) | instid1(VALU_DEP_1)
	v_lshl_add_u32 v0, v1, 23, v0
	v_lshl_or_b32 v0, v3, 21, v0
                                        ; implicit-def: $vgpr3
	s_delay_alu instid0(VALU_DEP_1)
	v_add_nc_u32_e32 v1, 0x38000000, v0
.LBB6_8214:                             ;   in Loop: Header=BB6_5830 Depth=4
	s_and_not1_saveexec_b32 s76, s13
; %bb.8215:                             ;   in Loop: Header=BB6_5830 Depth=4
	v_cmp_lt_i32_e64 s13, -1, v22
	v_mov_b32_e32 v0, 0x7f800000
	v_cmp_eq_u32_e32 vcc_lo, 0, v3
	s_delay_alu instid0(VALU_DEP_2) | instskip(NEXT) | instid1(VALU_DEP_1)
	v_cndmask_b32_e64 v0, 0xff800000, v0, s13
	v_cndmask_b32_e32 v1, 0x7f800001, v0, vcc_lo
; %bb.8216:                             ;   in Loop: Header=BB6_5830 Depth=4
	s_or_b32 exec_lo, exec_lo, s76
.LBB6_8217:                             ;   in Loop: Header=BB6_5830 Depth=4
	s_delay_alu instid0(SALU_CYCLE_1)
	s_or_b32 exec_lo, exec_lo, s75
.LBB6_8218:                             ;   in Loop: Header=BB6_5830 Depth=4
	s_delay_alu instid0(SALU_CYCLE_1) | instskip(NEXT) | instid1(VALU_DEP_1)
	s_or_b32 exec_lo, exec_lo, s74
	v_dual_add_f32 v0, v2, v1 :: v_dual_mov_b32 v3, v113
                                        ; implicit-def: $vgpr117
	s_mov_b32 s13, exec_lo
	s_delay_alu instid0(VALU_DEP_1) | instskip(SKIP_2) | instid1(VALU_DEP_3)
	v_and_b32_e32 v2, 0x7f800000, v0
	v_and_b32_e32 v112, 0x7fffff, v0
	v_lshrrev_b32_e32 v1, 24, v0
	v_cmpx_ne_u64_e32 0x7f800000, v[2:3]
	s_xor_b32 s74, exec_lo, s13
	s_cbranch_execz .LBB6_8232
; %bb.8219:                             ;   in Loop: Header=BB6_5830 Depth=4
	v_and_b32_e32 v2, 0x7fffffff, v0
	v_mov_b32_e32 v3, v113
	v_and_b32_e32 v46, 0x80, v1
                                        ; implicit-def: $vgpr117
	s_mov_b32 s13, exec_lo
	s_delay_alu instid0(VALU_DEP_2)
	v_cmpx_gt_u64_e32 0x47600001, v[2:3]
	s_xor_b32 s75, exec_lo, s13
	s_cbranch_execz .LBB6_8229
; %bb.8220:                             ;   in Loop: Header=BB6_5830 Depth=4
	v_mov_b32_e32 v117, 0
	s_mov_b32 s76, exec_lo
	v_cmpx_ne_u32_e32 0, v0
	s_cbranch_execz .LBB6_8228
; %bb.8221:                             ;   in Loop: Header=BB6_5830 Depth=4
	v_bfe_u32 v117, v0, 23, 8
	v_or_b32_e32 v1, 0x800000, v112
	s_delay_alu instid0(VALU_DEP_2) | instskip(SKIP_2) | instid1(VALU_DEP_2)
	v_cmp_gt_u32_e64 s13, 0x72, v117
	v_sub_nc_u32_e32 v0, 0x71, v117
	v_cmp_eq_u32_e32 vcc_lo, 0, v117
	v_cndmask_b32_e64 v0, 0, v0, s13
	s_delay_alu instid0(VALU_DEP_1) | instskip(SKIP_1) | instid1(VALU_DEP_2)
	v_cndmask_b32_e64 v47, v0, 0x70, vcc_lo
	v_cndmask_b32_e32 v0, v1, v112, vcc_lo
	v_dual_mov_b32 v1, v113 :: v_dual_add_nc_u32 v2, 21, v47
	v_add_nc_u32_e32 v112, 20, v47
	s_delay_alu instid0(VALU_DEP_2) | instskip(NEXT) | instid1(VALU_DEP_2)
	v_lshlrev_b64_e64 v[2:3], v2, -1
	v_lshlrev_b64_e64 v[74:75], v112, 1
	s_delay_alu instid0(VALU_DEP_2) | instskip(SKIP_1) | instid1(VALU_DEP_4)
	v_bfi_b32 v2, v2, 0, v0
	v_lshrrev_b64 v[0:1], v47, v[0:1]
	v_bfi_b32 v3, v3, 0, 0
	s_delay_alu instid0(VALU_DEP_1) | instskip(NEXT) | instid1(VALU_DEP_3)
	v_cmp_eq_u64_e64 s13, v[2:3], v[74:75]
	v_mov_b64_e32 v[2:3], v[0:1]
	s_and_saveexec_b32 s77, s13
; %bb.8222:                             ;   in Loop: Header=BB6_5830 Depth=4
	v_bfe_u32 v2, v0, 21, 1
	v_mov_b32_e32 v3, v113
	s_delay_alu instid0(VALU_DEP_1) | instskip(NEXT) | instid1(VALU_DEP_1)
	v_add_nc_u64_e32 v[2:3], v[0:1], v[2:3]
	v_add_nc_u64_e32 v[2:3], -1, v[2:3]
; %bb.8223:                             ;   in Loop: Header=BB6_5830 Depth=4
	s_or_b32 exec_lo, exec_lo, s77
	v_add_nc_u32_e32 v1, 0xffffff81, v117
	v_lshrrev_b32_e32 v3, 23, v0
	s_mov_b32 s13, exec_lo
	s_delay_alu instid0(VALU_DEP_2) | instskip(NEXT) | instid1(VALU_DEP_1)
	v_cndmask_b32_e64 v1, v1, 0xffffff82, vcc_lo
	v_add3_u32 v117, v47, v1, v3
	v_and_b32_e32 v1, 0x1fffff, v2
                                        ; implicit-def: $vgpr2
	s_delay_alu instid0(VALU_DEP_1) | instskip(NEXT) | instid1(VALU_DEP_1)
	v_dual_add_nc_u32 v3, 14, v117 :: v_dual_add_nc_u32 v112, v1, v0
                                        ; implicit-def: $vgpr0_vgpr1
	v_cmpx_ne_u32_e32 0, v3
	s_xor_b32 s13, exec_lo, s13
; %bb.8224:                             ;   in Loop: Header=BB6_5830 Depth=4
	s_delay_alu instid0(VALU_DEP_2) | instskip(SKIP_1) | instid1(VALU_DEP_1)
	v_cmp_lt_u64_e32 vcc_lo, 0xffffff, v[112:113]
	v_add_nc_u32_e32 v0, 15, v117
	v_cndmask_b32_e32 v2, v3, v0, vcc_lo
	v_cndmask_b32_e64 v0, 0, 1, vcc_lo
	s_delay_alu instid0(VALU_DEP_1)
	v_lshrrev_b64 v[0:1], v0, v[112:113]
; %bb.8225:                             ;   in Loop: Header=BB6_5830 Depth=4
	s_and_not1_saveexec_b32 s13, s13
; %bb.8226:                             ;   in Loop: Header=BB6_5830 Depth=4
	v_mov_b64_e32 v[0:1], v[112:113]
	v_bfe_u32 v2, v112, 23, 1
; %bb.8227:                             ;   in Loop: Header=BB6_5830 Depth=4
	s_or_b32 exec_lo, exec_lo, s13
	s_delay_alu instid0(VALU_DEP_2) | instskip(NEXT) | instid1(VALU_DEP_2)
	v_lshrrev_b64 v[0:1], 21, v[0:1]
	v_cmp_gt_i32_e32 vcc_lo, 32, v2
	v_min_i32_e32 v3, 31, v2
	v_cmp_eq_u32_e64 s13, 0, v2
	s_delay_alu instid0(VALU_DEP_2) | instskip(SKIP_1) | instid1(VALU_DEP_2)
	v_dual_cndmask_b32 v1, 0, v1, vcc_lo :: v_dual_lshlrev_b32 v3, 2, v3
	v_cndmask_b32_e32 v0, 3, v0, vcc_lo
	v_and_b32_e32 v3, 0xfc, v3
	s_delay_alu instid0(VALU_DEP_2) | instskip(NEXT) | instid1(VALU_DEP_2)
	v_cmp_eq_u64_e32 vcc_lo, 0, v[0:1]
	v_and_or_b32 v0, v0, 3, v3
	s_and_b32 s13, s13, vcc_lo
	s_delay_alu instid0(VALU_DEP_1) | instid1(SALU_CYCLE_1)
	v_cndmask_b32_e64 v0, v0, 0, s13
	s_delay_alu instid0(VALU_DEP_1)
	v_or_b32_e32 v117, v0, v46
.LBB6_8228:                             ;   in Loop: Header=BB6_5830 Depth=4
	s_or_b32 exec_lo, exec_lo, s76
                                        ; implicit-def: $vgpr46
.LBB6_8229:                             ;   in Loop: Header=BB6_5830 Depth=4
	s_and_not1_saveexec_b32 s13, s75
; %bb.8230:                             ;   in Loop: Header=BB6_5830 Depth=4
	v_or_b32_e32 v117, 0x7b, v46
; %bb.8231:                             ;   in Loop: Header=BB6_5830 Depth=4
	s_or_b32 exec_lo, exec_lo, s13
                                        ; implicit-def: $vgpr0
                                        ; implicit-def: $vgpr1
.LBB6_8232:                             ;   in Loop: Header=BB6_5830 Depth=4
	s_and_not1_saveexec_b32 s13, s74
	s_cbranch_execz .LBB6_8238
; %bb.8233:                             ;   in Loop: Header=BB6_5830 Depth=4
	s_mov_b32 s74, exec_lo
                                        ; implicit-def: $vgpr117
	v_cmpx_ne_u64_e32 0, v[112:113]
	s_xor_b32 s74, exec_lo, s74
; %bb.8234:                             ;   in Loop: Header=BB6_5830 Depth=4
	v_or_b32_e32 v117, 0x7f, v1
                                        ; implicit-def: $vgpr0
; %bb.8235:                             ;   in Loop: Header=BB6_5830 Depth=4
	s_and_not1_saveexec_b32 s74, s74
; %bb.8236:                             ;   in Loop: Header=BB6_5830 Depth=4
	v_cmp_lt_i32_e32 vcc_lo, -1, v0
	v_mov_b32_e32 v0, 0x7c
	s_delay_alu instid0(VALU_DEP_1)
	v_cndmask_b32_e32 v117, 0xfc, v0, vcc_lo
; %bb.8237:                             ;   in Loop: Header=BB6_5830 Depth=4
	s_or_b32 exec_lo, exec_lo, s74
.LBB6_8238:                             ;   in Loop: Header=BB6_5830 Depth=4
	s_delay_alu instid0(SALU_CYCLE_1) | instskip(SKIP_3) | instid1(VALU_DEP_1)
	s_or_b32 exec_lo, exec_lo, s13
	v_dual_lshlrev_b32 v0, 24, v45 :: v_dual_lshlrev_b32 v1, 16, v44
	v_lshl_or_b32 v42, v42, 8, v40
	s_mov_b32 s74, exec_lo
	v_or3_b32 v112, v1, v0, v42
	v_dual_mov_b32 v1, 0 :: v_dual_mov_b32 v0, 0
	v_cmpx_ne_u32_e32 0, v40
	s_cbranch_execz .LBB6_8248
; %bb.8239:                             ;   in Loop: Header=BB6_5830 Depth=4
	v_bfrev_b32_e32 v0, 1
	s_mov_b32 s75, exec_lo
	v_cmpx_ne_u32_e32 0x80, v40
	s_cbranch_execz .LBB6_8247
; %bb.8240:                             ;   in Loop: Header=BB6_5830 Depth=4
	v_and_b32_e32 v0, 0x7c, v40
	v_and_b32_e32 v2, 3, v40
	s_delay_alu instid0(VALU_DEP_2) | instskip(SKIP_1) | instid1(SALU_CYCLE_1)
	v_cmp_ne_u32_e32 vcc_lo, 0x7c, v0
                                        ; implicit-def: $vgpr0
	s_and_saveexec_b32 s13, vcc_lo
	s_xor_b32 s13, exec_lo, s13
	s_cbranch_execz .LBB6_8244
; %bb.8241:                             ;   in Loop: Header=BB6_5830 Depth=4
	v_bfe_u32 v0, v40, 2, 5
	s_mov_b32 s76, exec_lo
	s_delay_alu instid0(VALU_DEP_1)
	v_cmpx_eq_u32_e32 0, v0
; %bb.8242:                             ;   in Loop: Header=BB6_5830 Depth=4
	v_clz_i32_u32_e32 v0, v2
	s_delay_alu instid0(VALU_DEP_1) | instskip(NEXT) | instid1(VALU_DEP_1)
	v_min_u32_e32 v0, 32, v0
	v_subrev_nc_u32_e32 v2, 29, v0
	s_delay_alu instid0(VALU_DEP_1) | instskip(NEXT) | instid1(VALU_DEP_1)
	v_lshlrev_b64_e32 v[2:3], v2, v[112:113]
	v_dual_sub_nc_u32 v0, 30, v0 :: v_dual_bitop2_b32 v2, 3, v2 bitop3:0x40
; %bb.8243:                             ;   in Loop: Header=BB6_5830 Depth=4
	s_or_b32 exec_lo, exec_lo, s76
	v_lshlrev_b32_e32 v3, 24, v40
                                        ; implicit-def: $vgpr40
	s_delay_alu instid0(VALU_DEP_1) | instskip(NEXT) | instid1(VALU_DEP_1)
	v_and_b32_e32 v3, 0x80000000, v3
	v_lshl_add_u32 v0, v0, 23, v3
	s_delay_alu instid0(VALU_DEP_1) | instskip(NEXT) | instid1(VALU_DEP_1)
	v_lshl_or_b32 v0, v2, 21, v0
                                        ; implicit-def: $vgpr2
	v_add_nc_u32_e32 v0, 0x38000000, v0
.LBB6_8244:                             ;   in Loop: Header=BB6_5830 Depth=4
	s_and_not1_saveexec_b32 s76, s13
; %bb.8245:                             ;   in Loop: Header=BB6_5830 Depth=4
	v_and_b32_e32 v0, 0x80, v40
	v_cmp_eq_u32_e32 vcc_lo, 0, v2
	s_delay_alu instid0(VALU_DEP_2) | instskip(SKIP_1) | instid1(VALU_DEP_1)
	v_cmp_eq_u32_e64 s13, 0, v0
	v_mov_b32_e32 v0, 0x7f800000
	v_cndmask_b32_e64 v0, 0xff800000, v0, s13
	s_delay_alu instid0(VALU_DEP_1)
	v_cndmask_b32_e32 v0, 0x7f800001, v0, vcc_lo
; %bb.8246:                             ;   in Loop: Header=BB6_5830 Depth=4
	s_or_b32 exec_lo, exec_lo, s76
.LBB6_8247:                             ;   in Loop: Header=BB6_5830 Depth=4
	s_delay_alu instid0(SALU_CYCLE_1)
	s_or_b32 exec_lo, exec_lo, s75
.LBB6_8248:                             ;   in Loop: Header=BB6_5830 Depth=4
	s_delay_alu instid0(SALU_CYCLE_1) | instskip(SKIP_2) | instid1(VALU_DEP_1)
	s_or_b32 exec_lo, exec_lo, s74
	v_and_b32_e32 v2, 0xff, v23
	s_mov_b32 s74, exec_lo
	v_cmpx_ne_u16_e32 0, v2
	s_cbranch_execz .LBB6_8258
; %bb.8249:                             ;   in Loop: Header=BB6_5830 Depth=4
	v_bfrev_b32_e32 v1, 1
	s_mov_b32 s75, exec_lo
	v_cmpx_ne_u16_e32 0x80, v2
	s_cbranch_execz .LBB6_8257
; %bb.8250:                             ;   in Loop: Header=BB6_5830 Depth=4
	v_and_b32_e32 v1, 0x7c, v23
	v_and_b32_e32 v2, 3, v23
	s_delay_alu instid0(VALU_DEP_2) | instskip(SKIP_1) | instid1(SALU_CYCLE_1)
	v_cmp_ne_u32_e32 vcc_lo, 0x7c, v1
                                        ; implicit-def: $vgpr1
	s_and_saveexec_b32 s13, vcc_lo
	s_xor_b32 s13, exec_lo, s13
	s_cbranch_execz .LBB6_8254
; %bb.8251:                             ;   in Loop: Header=BB6_5830 Depth=4
	v_bfe_u32 v1, v23, 2, 5
	s_mov_b32 s76, exec_lo
	s_delay_alu instid0(VALU_DEP_1)
	v_cmpx_eq_u32_e32 0, v1
; %bb.8252:                             ;   in Loop: Header=BB6_5830 Depth=4
	v_clz_i32_u32_e32 v1, v2
	v_dual_mov_b32 v2, v23 :: v_dual_mov_b32 v3, v113
	s_delay_alu instid0(VALU_DEP_2) | instskip(NEXT) | instid1(VALU_DEP_1)
	v_min_u32_e32 v1, 32, v1
	v_subrev_nc_u32_e32 v40, 29, v1
	s_delay_alu instid0(VALU_DEP_1) | instskip(NEXT) | instid1(VALU_DEP_1)
	v_lshlrev_b64_e32 v[2:3], v40, v[2:3]
	v_dual_sub_nc_u32 v1, 30, v1 :: v_dual_bitop2_b32 v2, 3, v2 bitop3:0x40
; %bb.8253:                             ;   in Loop: Header=BB6_5830 Depth=4
	s_or_b32 exec_lo, exec_lo, s76
	v_lshlrev_b32_e32 v3, 24, v23
	s_delay_alu instid0(VALU_DEP_1) | instskip(NEXT) | instid1(VALU_DEP_1)
	v_and_b32_e32 v3, 0x80000000, v3
	v_lshl_add_u32 v1, v1, 23, v3
	s_delay_alu instid0(VALU_DEP_1) | instskip(NEXT) | instid1(VALU_DEP_1)
	v_lshl_or_b32 v1, v2, 21, v1
                                        ; implicit-def: $vgpr2
	v_add_nc_u32_e32 v1, 0x38000000, v1
.LBB6_8254:                             ;   in Loop: Header=BB6_5830 Depth=4
	s_and_not1_saveexec_b32 s76, s13
; %bb.8255:                             ;   in Loop: Header=BB6_5830 Depth=4
	v_bfe_i32 v1, v23, 0, 8
	v_cmp_eq_u32_e32 vcc_lo, 0, v2
	s_delay_alu instid0(VALU_DEP_2) | instskip(SKIP_1) | instid1(VALU_DEP_1)
	v_cmp_lt_i16_e64 s13, -1, v1
	v_mov_b32_e32 v1, 0x7f800000
	v_cndmask_b32_e64 v1, 0xff800000, v1, s13
	s_delay_alu instid0(VALU_DEP_1)
	v_cndmask_b32_e32 v1, 0x7f800001, v1, vcc_lo
; %bb.8256:                             ;   in Loop: Header=BB6_5830 Depth=4
	s_or_b32 exec_lo, exec_lo, s76
.LBB6_8257:                             ;   in Loop: Header=BB6_5830 Depth=4
	s_delay_alu instid0(SALU_CYCLE_1)
	s_or_b32 exec_lo, exec_lo, s75
.LBB6_8258:                             ;   in Loop: Header=BB6_5830 Depth=4
	s_delay_alu instid0(SALU_CYCLE_1) | instskip(NEXT) | instid1(VALU_DEP_1)
	s_or_b32 exec_lo, exec_lo, s74
	v_dual_add_f32 v2, v0, v1 :: v_dual_mov_b32 v45, v113
	v_mov_b32_e32 v1, v113
                                        ; implicit-def: $vgpr40
	s_mov_b32 s13, exec_lo
	s_delay_alu instid0(VALU_DEP_2) | instskip(SKIP_2) | instid1(VALU_DEP_3)
	v_and_b32_e32 v44, 0x7f800000, v2
	v_and_b32_e32 v0, 0x7fffff, v2
	v_lshrrev_b32_e32 v3, 24, v2
	v_cmpx_ne_u64_e32 0x7f800000, v[44:45]
	s_xor_b32 s74, exec_lo, s13
	s_cbranch_execz .LBB6_8272
; %bb.8259:                             ;   in Loop: Header=BB6_5830 Depth=4
	v_and_b32_e32 v44, 0x7fffffff, v2
	v_mov_b32_e32 v45, v113
                                        ; implicit-def: $vgpr40
	s_delay_alu instid0(VALU_DEP_1) | instskip(SKIP_2) | instid1(SALU_CYCLE_1)
	v_cmp_gt_u64_e32 vcc_lo, 0x47600001, v[44:45]
	v_and_b32_e32 v44, 0x80, v3
	s_and_saveexec_b32 s13, vcc_lo
	s_xor_b32 s75, exec_lo, s13
	s_cbranch_execz .LBB6_8269
; %bb.8260:                             ;   in Loop: Header=BB6_5830 Depth=4
	v_mov_b32_e32 v40, 0
	s_mov_b32 s76, exec_lo
	v_cmpx_ne_u32_e32 0, v2
	s_cbranch_execz .LBB6_8268
; %bb.8261:                             ;   in Loop: Header=BB6_5830 Depth=4
	v_bfe_u32 v40, v2, 23, 8
	v_or_b32_e32 v3, 0x800000, v0
	s_delay_alu instid0(VALU_DEP_2) | instskip(SKIP_2) | instid1(VALU_DEP_2)
	v_cmp_gt_u32_e64 s13, 0x72, v40
	v_sub_nc_u32_e32 v2, 0x71, v40
	v_cmp_eq_u32_e32 vcc_lo, 0, v40
	v_dual_cndmask_b32 v2, 0, v2, s13 :: v_dual_cndmask_b32 v0, v3, v0, vcc_lo
	s_delay_alu instid0(VALU_DEP_1) | instskip(NEXT) | instid1(VALU_DEP_1)
	v_cndmask_b32_e64 v45, v2, 0x70, vcc_lo
	v_dual_add_nc_u32 v2, 21, v45 :: v_dual_add_nc_u32 v46, 20, v45
	s_delay_alu instid0(VALU_DEP_1) | instskip(NEXT) | instid1(VALU_DEP_2)
	v_lshlrev_b64_e64 v[2:3], v2, -1
	v_lshlrev_b64_e64 v[46:47], v46, 1
	s_delay_alu instid0(VALU_DEP_2) | instskip(SKIP_1) | instid1(VALU_DEP_4)
	v_bfi_b32 v2, v2, 0, v0
	v_lshrrev_b64 v[0:1], v45, v[0:1]
	v_bfi_b32 v3, v3, 0, 0
	s_delay_alu instid0(VALU_DEP_1) | instskip(NEXT) | instid1(VALU_DEP_3)
	v_cmp_eq_u64_e64 s13, v[2:3], v[46:47]
	v_mov_b64_e32 v[2:3], v[0:1]
	s_and_saveexec_b32 s77, s13
; %bb.8262:                             ;   in Loop: Header=BB6_5830 Depth=4
	v_bfe_u32 v2, v0, 21, 1
	v_mov_b32_e32 v3, v113
	s_delay_alu instid0(VALU_DEP_1) | instskip(NEXT) | instid1(VALU_DEP_1)
	v_add_nc_u64_e32 v[2:3], v[0:1], v[2:3]
	v_add_nc_u64_e32 v[2:3], -1, v[2:3]
; %bb.8263:                             ;   in Loop: Header=BB6_5830 Depth=4
	s_or_b32 exec_lo, exec_lo, s77
	v_add_nc_u32_e32 v1, 0xffffff81, v40
	v_lshrrev_b32_e32 v3, 23, v0
	s_mov_b32 s13, exec_lo
	s_delay_alu instid0(VALU_DEP_2) | instskip(NEXT) | instid1(VALU_DEP_1)
	v_cndmask_b32_e64 v1, v1, 0xffffff82, vcc_lo
	v_add3_u32 v40, v45, v1, v3
	v_and_b32_e32 v1, 0x1fffff, v2
                                        ; implicit-def: $vgpr2
	s_delay_alu instid0(VALU_DEP_2) | instskip(NEXT) | instid1(VALU_DEP_2)
	v_add_nc_u32_e32 v3, 14, v40
	v_add_nc_u32_e32 v0, v1, v0
	v_mov_b32_e32 v1, v113
	s_delay_alu instid0(VALU_DEP_3)
	v_cmpx_ne_u32_e32 0, v3
	s_xor_b32 s13, exec_lo, s13
; %bb.8264:                             ;   in Loop: Header=BB6_5830 Depth=4
	s_delay_alu instid0(VALU_DEP_2) | instskip(SKIP_1) | instid1(VALU_DEP_1)
	v_cmp_lt_u64_e32 vcc_lo, 0xffffff, v[0:1]
	v_add_nc_u32_e32 v2, 15, v40
	v_cndmask_b32_e32 v2, v3, v2, vcc_lo
	v_cndmask_b32_e64 v3, 0, 1, vcc_lo
	s_delay_alu instid0(VALU_DEP_1)
	v_lshrrev_b64 v[0:1], v3, v[0:1]
; %bb.8265:                             ;   in Loop: Header=BB6_5830 Depth=4
	s_and_not1_saveexec_b32 s13, s13
; %bb.8266:                             ;   in Loop: Header=BB6_5830 Depth=4
	s_delay_alu instid0(VALU_DEP_1)
	v_bfe_u32 v2, v0, 23, 1
; %bb.8267:                             ;   in Loop: Header=BB6_5830 Depth=4
	s_or_b32 exec_lo, exec_lo, s13
	s_delay_alu instid0(VALU_DEP_2) | instskip(NEXT) | instid1(VALU_DEP_2)
	v_lshrrev_b64 v[0:1], 21, v[0:1]
	v_cmp_gt_i32_e32 vcc_lo, 32, v2
	v_min_i32_e32 v3, 31, v2
	v_cmp_eq_u32_e64 s13, 0, v2
	s_delay_alu instid0(VALU_DEP_2) | instskip(SKIP_1) | instid1(VALU_DEP_2)
	v_dual_cndmask_b32 v1, 0, v1, vcc_lo :: v_dual_lshlrev_b32 v3, 2, v3
	v_cndmask_b32_e32 v0, 3, v0, vcc_lo
	v_and_b32_e32 v3, 0xfc, v3
	s_delay_alu instid0(VALU_DEP_2) | instskip(NEXT) | instid1(VALU_DEP_2)
	v_cmp_eq_u64_e32 vcc_lo, 0, v[0:1]
	v_and_or_b32 v0, v0, 3, v3
	s_and_b32 s13, s13, vcc_lo
	s_delay_alu instid0(VALU_DEP_1) | instid1(SALU_CYCLE_1)
	v_cndmask_b32_e64 v0, v0, 0, s13
	s_delay_alu instid0(VALU_DEP_1)
	v_or_b32_e32 v40, v0, v44
.LBB6_8268:                             ;   in Loop: Header=BB6_5830 Depth=4
	s_or_b32 exec_lo, exec_lo, s76
                                        ; implicit-def: $vgpr44
.LBB6_8269:                             ;   in Loop: Header=BB6_5830 Depth=4
	s_and_not1_saveexec_b32 s13, s75
; %bb.8270:                             ;   in Loop: Header=BB6_5830 Depth=4
	v_or_b32_e32 v40, 0x7b, v44
; %bb.8271:                             ;   in Loop: Header=BB6_5830 Depth=4
	s_or_b32 exec_lo, exec_lo, s13
                                        ; implicit-def: $vgpr2
                                        ; implicit-def: $vgpr0_vgpr1
                                        ; implicit-def: $vgpr3
.LBB6_8272:                             ;   in Loop: Header=BB6_5830 Depth=4
	s_and_not1_saveexec_b32 s13, s74
	s_cbranch_execz .LBB6_8278
; %bb.8273:                             ;   in Loop: Header=BB6_5830 Depth=4
	s_mov_b32 s74, exec_lo
                                        ; implicit-def: $vgpr40
	v_cmpx_ne_u64_e32 0, v[0:1]
	s_xor_b32 s74, exec_lo, s74
; %bb.8274:                             ;   in Loop: Header=BB6_5830 Depth=4
	v_or_b32_e32 v40, 0x7f, v3
                                        ; implicit-def: $vgpr2
; %bb.8275:                             ;   in Loop: Header=BB6_5830 Depth=4
	s_and_not1_saveexec_b32 s74, s74
; %bb.8276:                             ;   in Loop: Header=BB6_5830 Depth=4
	v_cmp_lt_i32_e32 vcc_lo, -1, v2
	v_mov_b32_e32 v0, 0x7c
	s_delay_alu instid0(VALU_DEP_1)
	v_cndmask_b32_e32 v40, 0xfc, v0, vcc_lo
; %bb.8277:                             ;   in Loop: Header=BB6_5830 Depth=4
	s_or_b32 exec_lo, exec_lo, s74
.LBB6_8278:                             ;   in Loop: Header=BB6_5830 Depth=4
	s_delay_alu instid0(SALU_CYCLE_1) | instskip(SKIP_3) | instid1(VALU_DEP_2)
	s_or_b32 exec_lo, exec_lo, s13
	v_lshrrev_b16 v0, 8, v42
	v_dual_mov_b32 v2, 0 :: v_dual_mov_b32 v3, 0
	s_mov_b32 s74, exec_lo
	v_cmpx_ne_u16_e32 0, v0
	s_cbranch_execz .LBB6_8288
; %bb.8279:                             ;   in Loop: Header=BB6_5830 Depth=4
	v_bfrev_b32_e32 v3, 1
	s_mov_b32 s75, exec_lo
	v_cmpx_ne_u16_e32 0x80, v0
	s_cbranch_execz .LBB6_8287
; %bb.8280:                             ;   in Loop: Header=BB6_5830 Depth=4
	v_and_b32_e32 v44, 0xffff, v0
	s_delay_alu instid0(VALU_DEP_1) | instskip(SKIP_1) | instid1(VALU_DEP_2)
	v_and_b32_e32 v3, 0x7c, v44
	v_and_b32_e32 v1, 3, v44
	v_cmp_ne_u32_e32 vcc_lo, 0x7c, v3
                                        ; implicit-def: $vgpr3
	s_and_saveexec_b32 s13, vcc_lo
	s_delay_alu instid0(SALU_CYCLE_1)
	s_xor_b32 s13, exec_lo, s13
	s_cbranch_execz .LBB6_8284
; %bb.8281:                             ;   in Loop: Header=BB6_5830 Depth=4
	v_bfe_u32 v3, v44, 2, 5
	s_mov_b32 s76, exec_lo
	s_delay_alu instid0(VALU_DEP_1)
	v_cmpx_eq_u32_e32 0, v3
	s_cbranch_execz .LBB6_8283
; %bb.8282:                             ;   in Loop: Header=BB6_5830 Depth=4
	v_clz_i32_u32_e32 v1, v1
	s_delay_alu instid0(VALU_DEP_1) | instskip(SKIP_1) | instid1(VALU_DEP_2)
	v_min_u32_e32 v3, 32, v1
	v_mov_b32_e32 v1, v113
	v_subrev_nc_u32_e32 v44, 29, v3
	v_sub_nc_u32_e32 v3, 30, v3
	s_delay_alu instid0(VALU_DEP_2) | instskip(NEXT) | instid1(VALU_DEP_1)
	v_lshlrev_b64_e32 v[0:1], v44, v[0:1]
	v_and_b32_e32 v1, 3, v0
.LBB6_8283:                             ;   in Loop: Header=BB6_5830 Depth=4
	s_or_b32 exec_lo, exec_lo, s76
	v_lshlrev_b32_e32 v0, 16, v42
                                        ; implicit-def: $vgpr42
	s_delay_alu instid0(VALU_DEP_1) | instskip(NEXT) | instid1(VALU_DEP_1)
	v_and_b32_e32 v0, 0x80000000, v0
	v_lshl_add_u32 v0, v3, 23, v0
	s_delay_alu instid0(VALU_DEP_1) | instskip(NEXT) | instid1(VALU_DEP_1)
	v_lshl_or_b32 v0, v1, 21, v0
                                        ; implicit-def: $vgpr1
	v_add_nc_u32_e32 v3, 0x38000000, v0
.LBB6_8284:                             ;   in Loop: Header=BB6_5830 Depth=4
	s_and_not1_saveexec_b32 s76, s13
; %bb.8285:                             ;   in Loop: Header=BB6_5830 Depth=4
	v_cmp_lt_i16_e64 s13, -1, v42
	v_mov_b32_e32 v0, 0x7f800000
	v_cmp_eq_u32_e32 vcc_lo, 0, v1
	s_delay_alu instid0(VALU_DEP_2) | instskip(NEXT) | instid1(VALU_DEP_1)
	v_cndmask_b32_e64 v0, 0xff800000, v0, s13
	v_cndmask_b32_e32 v3, 0x7f800001, v0, vcc_lo
; %bb.8286:                             ;   in Loop: Header=BB6_5830 Depth=4
	s_or_b32 exec_lo, exec_lo, s76
.LBB6_8287:                             ;   in Loop: Header=BB6_5830 Depth=4
	s_delay_alu instid0(SALU_CYCLE_1)
	s_or_b32 exec_lo, exec_lo, s75
.LBB6_8288:                             ;   in Loop: Header=BB6_5830 Depth=4
	s_delay_alu instid0(SALU_CYCLE_1) | instskip(SKIP_2) | instid1(VALU_DEP_1)
	s_or_b32 exec_lo, exec_lo, s74
	v_lshrrev_b16 v0, 8, v23
	s_mov_b32 s74, exec_lo
	v_cmpx_ne_u16_e32 0, v0
	s_cbranch_execz .LBB6_8298
; %bb.8289:                             ;   in Loop: Header=BB6_5830 Depth=4
	v_bfrev_b32_e32 v2, 1
	s_mov_b32 s75, exec_lo
	v_cmpx_ne_u16_e32 0x80, v0
	s_cbranch_execz .LBB6_8297
; %bb.8290:                             ;   in Loop: Header=BB6_5830 Depth=4
	v_and_b32_e32 v42, 0xffff, v0
	s_delay_alu instid0(VALU_DEP_1) | instskip(SKIP_1) | instid1(VALU_DEP_2)
	v_and_b32_e32 v2, 0x7c, v42
	v_and_b32_e32 v1, 3, v42
	v_cmp_ne_u32_e32 vcc_lo, 0x7c, v2
                                        ; implicit-def: $vgpr2
	s_and_saveexec_b32 s13, vcc_lo
	s_delay_alu instid0(SALU_CYCLE_1)
	s_xor_b32 s13, exec_lo, s13
	s_cbranch_execz .LBB6_8294
; %bb.8291:                             ;   in Loop: Header=BB6_5830 Depth=4
	v_bfe_u32 v2, v42, 2, 5
	s_mov_b32 s76, exec_lo
	s_delay_alu instid0(VALU_DEP_1)
	v_cmpx_eq_u32_e32 0, v2
	s_cbranch_execz .LBB6_8293
; %bb.8292:                             ;   in Loop: Header=BB6_5830 Depth=4
	v_clz_i32_u32_e32 v1, v1
	s_delay_alu instid0(VALU_DEP_1) | instskip(SKIP_1) | instid1(VALU_DEP_2)
	v_min_u32_e32 v2, 32, v1
	v_mov_b32_e32 v1, v113
	v_subrev_nc_u32_e32 v42, 29, v2
	v_sub_nc_u32_e32 v2, 30, v2
	s_delay_alu instid0(VALU_DEP_2) | instskip(NEXT) | instid1(VALU_DEP_1)
	v_lshlrev_b64_e32 v[0:1], v42, v[0:1]
	v_and_b32_e32 v1, 3, v0
.LBB6_8293:                             ;   in Loop: Header=BB6_5830 Depth=4
	s_or_b32 exec_lo, exec_lo, s76
	v_lshlrev_b32_e32 v0, 16, v23
	s_delay_alu instid0(VALU_DEP_1) | instskip(NEXT) | instid1(VALU_DEP_1)
	v_and_b32_e32 v0, 0x80000000, v0
	v_lshl_add_u32 v0, v2, 23, v0
	s_delay_alu instid0(VALU_DEP_1) | instskip(NEXT) | instid1(VALU_DEP_1)
	v_lshl_or_b32 v0, v1, 21, v0
                                        ; implicit-def: $vgpr1
	v_add_nc_u32_e32 v2, 0x38000000, v0
.LBB6_8294:                             ;   in Loop: Header=BB6_5830 Depth=4
	s_and_not1_saveexec_b32 s76, s13
; %bb.8295:                             ;   in Loop: Header=BB6_5830 Depth=4
	v_cmp_lt_i16_e64 s13, -1, v23
	v_mov_b32_e32 v0, 0x7f800000
	v_cmp_eq_u32_e32 vcc_lo, 0, v1
	s_delay_alu instid0(VALU_DEP_2) | instskip(NEXT) | instid1(VALU_DEP_1)
	v_cndmask_b32_e64 v0, 0xff800000, v0, s13
	v_cndmask_b32_e32 v2, 0x7f800001, v0, vcc_lo
; %bb.8296:                             ;   in Loop: Header=BB6_5830 Depth=4
	s_or_b32 exec_lo, exec_lo, s76
.LBB6_8297:                             ;   in Loop: Header=BB6_5830 Depth=4
	s_delay_alu instid0(SALU_CYCLE_1)
	s_or_b32 exec_lo, exec_lo, s75
.LBB6_8298:                             ;   in Loop: Header=BB6_5830 Depth=4
	s_delay_alu instid0(SALU_CYCLE_1) | instskip(NEXT) | instid1(VALU_DEP_1)
	s_or_b32 exec_lo, exec_lo, s74
	v_dual_add_f32 v2, v3, v2 :: v_dual_mov_b32 v45, v113
	v_mov_b32_e32 v1, v113
                                        ; implicit-def: $vgpr42
	s_mov_b32 s13, exec_lo
	s_delay_alu instid0(VALU_DEP_2) | instskip(SKIP_2) | instid1(VALU_DEP_3)
	v_and_b32_e32 v44, 0x7f800000, v2
	v_and_b32_e32 v0, 0x7fffff, v2
	v_lshrrev_b32_e32 v3, 24, v2
	v_cmpx_ne_u64_e32 0x7f800000, v[44:45]
	s_xor_b32 s74, exec_lo, s13
	s_cbranch_execz .LBB6_8312
; %bb.8299:                             ;   in Loop: Header=BB6_5830 Depth=4
	v_and_b32_e32 v44, 0x7fffffff, v2
	v_mov_b32_e32 v45, v113
                                        ; implicit-def: $vgpr42
	s_delay_alu instid0(VALU_DEP_1) | instskip(SKIP_2) | instid1(SALU_CYCLE_1)
	v_cmp_gt_u64_e32 vcc_lo, 0x47600001, v[44:45]
	v_and_b32_e32 v44, 0x80, v3
	s_and_saveexec_b32 s13, vcc_lo
	s_xor_b32 s75, exec_lo, s13
	s_cbranch_execz .LBB6_8309
; %bb.8300:                             ;   in Loop: Header=BB6_5830 Depth=4
	v_mov_b32_e32 v42, 0
	s_mov_b32 s76, exec_lo
	v_cmpx_ne_u32_e32 0, v2
	s_cbranch_execz .LBB6_8308
; %bb.8301:                             ;   in Loop: Header=BB6_5830 Depth=4
	v_bfe_u32 v42, v2, 23, 8
	v_or_b32_e32 v3, 0x800000, v0
	s_delay_alu instid0(VALU_DEP_2) | instskip(SKIP_2) | instid1(VALU_DEP_2)
	v_cmp_gt_u32_e64 s13, 0x72, v42
	v_sub_nc_u32_e32 v2, 0x71, v42
	v_cmp_eq_u32_e32 vcc_lo, 0, v42
	v_dual_cndmask_b32 v2, 0, v2, s13 :: v_dual_cndmask_b32 v0, v3, v0, vcc_lo
	s_delay_alu instid0(VALU_DEP_1) | instskip(NEXT) | instid1(VALU_DEP_1)
	v_cndmask_b32_e64 v45, v2, 0x70, vcc_lo
	v_dual_add_nc_u32 v2, 21, v45 :: v_dual_add_nc_u32 v46, 20, v45
	s_delay_alu instid0(VALU_DEP_1) | instskip(NEXT) | instid1(VALU_DEP_2)
	v_lshlrev_b64_e64 v[2:3], v2, -1
	v_lshlrev_b64_e64 v[46:47], v46, 1
	s_delay_alu instid0(VALU_DEP_2) | instskip(SKIP_1) | instid1(VALU_DEP_4)
	v_bfi_b32 v2, v2, 0, v0
	v_lshrrev_b64 v[0:1], v45, v[0:1]
	v_bfi_b32 v3, v3, 0, 0
	s_delay_alu instid0(VALU_DEP_1) | instskip(NEXT) | instid1(VALU_DEP_3)
	v_cmp_eq_u64_e64 s13, v[2:3], v[46:47]
	v_mov_b64_e32 v[2:3], v[0:1]
	s_and_saveexec_b32 s77, s13
; %bb.8302:                             ;   in Loop: Header=BB6_5830 Depth=4
	v_bfe_u32 v2, v0, 21, 1
	v_mov_b32_e32 v3, v113
	s_delay_alu instid0(VALU_DEP_1) | instskip(NEXT) | instid1(VALU_DEP_1)
	v_add_nc_u64_e32 v[2:3], v[0:1], v[2:3]
	v_add_nc_u64_e32 v[2:3], -1, v[2:3]
; %bb.8303:                             ;   in Loop: Header=BB6_5830 Depth=4
	s_or_b32 exec_lo, exec_lo, s77
	v_add_nc_u32_e32 v1, 0xffffff81, v42
	v_lshrrev_b32_e32 v3, 23, v0
	s_mov_b32 s13, exec_lo
	s_delay_alu instid0(VALU_DEP_2) | instskip(NEXT) | instid1(VALU_DEP_1)
	v_cndmask_b32_e64 v1, v1, 0xffffff82, vcc_lo
	v_add3_u32 v42, v45, v1, v3
	v_and_b32_e32 v1, 0x1fffff, v2
                                        ; implicit-def: $vgpr2
	s_delay_alu instid0(VALU_DEP_1) | instskip(SKIP_1) | instid1(VALU_DEP_2)
	v_dual_add_nc_u32 v3, 14, v42 :: v_dual_add_nc_u32 v0, v1, v0
	v_mov_b32_e32 v1, v113
	v_cmpx_ne_u32_e32 0, v3
	s_xor_b32 s13, exec_lo, s13
; %bb.8304:                             ;   in Loop: Header=BB6_5830 Depth=4
	s_delay_alu instid0(VALU_DEP_2) | instskip(SKIP_1) | instid1(VALU_DEP_1)
	v_cmp_lt_u64_e32 vcc_lo, 0xffffff, v[0:1]
	v_add_nc_u32_e32 v2, 15, v42
	v_cndmask_b32_e32 v2, v3, v2, vcc_lo
	v_cndmask_b32_e64 v3, 0, 1, vcc_lo
	s_delay_alu instid0(VALU_DEP_1)
	v_lshrrev_b64 v[0:1], v3, v[0:1]
; %bb.8305:                             ;   in Loop: Header=BB6_5830 Depth=4
	s_and_not1_saveexec_b32 s13, s13
; %bb.8306:                             ;   in Loop: Header=BB6_5830 Depth=4
	s_delay_alu instid0(VALU_DEP_1)
	v_bfe_u32 v2, v0, 23, 1
; %bb.8307:                             ;   in Loop: Header=BB6_5830 Depth=4
	s_or_b32 exec_lo, exec_lo, s13
	s_delay_alu instid0(VALU_DEP_2) | instskip(NEXT) | instid1(VALU_DEP_2)
	v_lshrrev_b64 v[0:1], 21, v[0:1]
	v_cmp_gt_i32_e32 vcc_lo, 32, v2
	v_min_i32_e32 v3, 31, v2
	v_cmp_eq_u32_e64 s13, 0, v2
	s_delay_alu instid0(VALU_DEP_2) | instskip(SKIP_1) | instid1(VALU_DEP_2)
	v_dual_cndmask_b32 v1, 0, v1, vcc_lo :: v_dual_lshlrev_b32 v3, 2, v3
	v_cndmask_b32_e32 v0, 3, v0, vcc_lo
	v_and_b32_e32 v3, 0xfc, v3
	s_delay_alu instid0(VALU_DEP_2) | instskip(NEXT) | instid1(VALU_DEP_2)
	v_cmp_eq_u64_e32 vcc_lo, 0, v[0:1]
	v_and_or_b32 v0, v0, 3, v3
	s_and_b32 s13, s13, vcc_lo
	s_delay_alu instid0(VALU_DEP_1) | instid1(SALU_CYCLE_1)
	v_cndmask_b32_e64 v0, v0, 0, s13
	s_delay_alu instid0(VALU_DEP_1)
	v_or_b32_e32 v42, v0, v44
.LBB6_8308:                             ;   in Loop: Header=BB6_5830 Depth=4
	s_or_b32 exec_lo, exec_lo, s76
                                        ; implicit-def: $vgpr44
.LBB6_8309:                             ;   in Loop: Header=BB6_5830 Depth=4
	s_and_not1_saveexec_b32 s13, s75
; %bb.8310:                             ;   in Loop: Header=BB6_5830 Depth=4
	v_or_b32_e32 v42, 0x7b, v44
; %bb.8311:                             ;   in Loop: Header=BB6_5830 Depth=4
	s_or_b32 exec_lo, exec_lo, s13
                                        ; implicit-def: $vgpr2
                                        ; implicit-def: $vgpr0_vgpr1
                                        ; implicit-def: $vgpr3
.LBB6_8312:                             ;   in Loop: Header=BB6_5830 Depth=4
	s_and_not1_saveexec_b32 s13, s74
	s_cbranch_execz .LBB6_8318
; %bb.8313:                             ;   in Loop: Header=BB6_5830 Depth=4
	s_mov_b32 s74, exec_lo
                                        ; implicit-def: $vgpr42
	v_cmpx_ne_u64_e32 0, v[0:1]
	s_xor_b32 s74, exec_lo, s74
; %bb.8314:                             ;   in Loop: Header=BB6_5830 Depth=4
	v_or_b32_e32 v42, 0x7f, v3
                                        ; implicit-def: $vgpr2
; %bb.8315:                             ;   in Loop: Header=BB6_5830 Depth=4
	s_and_not1_saveexec_b32 s74, s74
; %bb.8316:                             ;   in Loop: Header=BB6_5830 Depth=4
	v_cmp_lt_i32_e32 vcc_lo, -1, v2
	v_mov_b32_e32 v0, 0x7c
	s_delay_alu instid0(VALU_DEP_1)
	v_cndmask_b32_e32 v42, 0xfc, v0, vcc_lo
; %bb.8317:                             ;   in Loop: Header=BB6_5830 Depth=4
	s_or_b32 exec_lo, exec_lo, s74
.LBB6_8318:                             ;   in Loop: Header=BB6_5830 Depth=4
	s_delay_alu instid0(SALU_CYCLE_1) | instskip(SKIP_3) | instid1(VALU_DEP_2)
	s_or_b32 exec_lo, exec_lo, s13
	v_dual_mov_b32 v1, 0 :: v_dual_lshrrev_b32 v0, 16, v112
	v_mov_b32_e32 v2, 0
	s_mov_b32 s74, exec_lo
	v_and_b32_e32 v3, 0xff, v0
	s_delay_alu instid0(VALU_DEP_1)
	v_cmpx_ne_u16_e32 0, v3
	s_cbranch_execz .LBB6_8328
; %bb.8319:                             ;   in Loop: Header=BB6_5830 Depth=4
	v_bfrev_b32_e32 v2, 1
	s_mov_b32 s75, exec_lo
	v_cmpx_ne_u16_e32 0x80, v3
	s_cbranch_execz .LBB6_8327
; %bb.8320:                             ;   in Loop: Header=BB6_5830 Depth=4
	v_and_b32_e32 v2, 0x7c0000, v112
	v_bfe_u32 v3, v112, 16, 2
	s_delay_alu instid0(VALU_DEP_2) | instskip(SKIP_1) | instid1(SALU_CYCLE_1)
	v_cmp_ne_u32_e32 vcc_lo, 0x7c0000, v2
                                        ; implicit-def: $vgpr2
	s_and_saveexec_b32 s13, vcc_lo
	s_xor_b32 s13, exec_lo, s13
	s_cbranch_execz .LBB6_8324
; %bb.8321:                             ;   in Loop: Header=BB6_5830 Depth=4
	v_bfe_u32 v2, v112, 18, 5
	s_mov_b32 s76, exec_lo
	s_delay_alu instid0(VALU_DEP_1)
	v_cmpx_eq_u32_e32 0, v2
; %bb.8322:                             ;   in Loop: Header=BB6_5830 Depth=4
	v_clz_i32_u32_e32 v2, v3
	s_delay_alu instid0(VALU_DEP_1) | instskip(NEXT) | instid1(VALU_DEP_1)
	v_min_u32_e32 v2, 32, v2
	v_subrev_nc_u32_e32 v3, 29, v2
	s_delay_alu instid0(VALU_DEP_1) | instskip(NEXT) | instid1(VALU_DEP_1)
	v_lshlrev_b64_e32 v[44:45], v3, v[0:1]
	v_dual_sub_nc_u32 v2, 30, v2 :: v_dual_bitop2_b32 v3, 3, v44 bitop3:0x40
; %bb.8323:                             ;   in Loop: Header=BB6_5830 Depth=4
	s_or_b32 exec_lo, exec_lo, s76
	v_lshlrev_b32_e32 v0, 24, v0
	s_delay_alu instid0(VALU_DEP_1) | instskip(NEXT) | instid1(VALU_DEP_1)
	v_and_b32_e32 v0, 0x80000000, v0
	v_lshl_add_u32 v0, v2, 23, v0
	s_delay_alu instid0(VALU_DEP_1) | instskip(NEXT) | instid1(VALU_DEP_1)
	v_lshl_or_b32 v0, v3, 21, v0
                                        ; implicit-def: $vgpr3
	v_add_nc_u32_e32 v2, 0x38000000, v0
                                        ; implicit-def: $vgpr0
.LBB6_8324:                             ;   in Loop: Header=BB6_5830 Depth=4
	s_and_not1_saveexec_b32 s76, s13
; %bb.8325:                             ;   in Loop: Header=BB6_5830 Depth=4
	v_bfe_i32 v0, v0, 0, 8
	v_cmp_eq_u32_e32 vcc_lo, 0, v3
	s_delay_alu instid0(VALU_DEP_2) | instskip(SKIP_1) | instid1(VALU_DEP_1)
	v_cmp_lt_i16_e64 s13, -1, v0
	v_mov_b32_e32 v0, 0x7f800000
	v_cndmask_b32_e64 v0, 0xff800000, v0, s13
	s_delay_alu instid0(VALU_DEP_1)
	v_cndmask_b32_e32 v2, 0x7f800001, v0, vcc_lo
; %bb.8326:                             ;   in Loop: Header=BB6_5830 Depth=4
	s_or_b32 exec_lo, exec_lo, s76
.LBB6_8327:                             ;   in Loop: Header=BB6_5830 Depth=4
	s_delay_alu instid0(SALU_CYCLE_1)
	s_or_b32 exec_lo, exec_lo, s75
.LBB6_8328:                             ;   in Loop: Header=BB6_5830 Depth=4
	s_delay_alu instid0(SALU_CYCLE_1) | instskip(SKIP_2) | instid1(VALU_DEP_1)
	s_or_b32 exec_lo, exec_lo, s74
	v_lshrrev_b32_e32 v0, 16, v23
	s_mov_b32 s74, exec_lo
	v_and_b32_e32 v3, 0xff, v0
	s_delay_alu instid0(VALU_DEP_1)
	v_cmpx_ne_u16_e32 0, v3
	s_cbranch_execz .LBB6_8338
; %bb.8329:                             ;   in Loop: Header=BB6_5830 Depth=4
	v_bfrev_b32_e32 v1, 1
	s_mov_b32 s75, exec_lo
	v_cmpx_ne_u16_e32 0x80, v3
	s_cbranch_execz .LBB6_8337
; %bb.8330:                             ;   in Loop: Header=BB6_5830 Depth=4
	v_and_b32_e32 v1, 0x7c0000, v23
	v_bfe_u32 v3, v23, 16, 2
	s_delay_alu instid0(VALU_DEP_2) | instskip(SKIP_1) | instid1(SALU_CYCLE_1)
	v_cmp_ne_u32_e32 vcc_lo, 0x7c0000, v1
                                        ; implicit-def: $vgpr1
	s_and_saveexec_b32 s13, vcc_lo
	s_xor_b32 s13, exec_lo, s13
	s_cbranch_execz .LBB6_8334
; %bb.8331:                             ;   in Loop: Header=BB6_5830 Depth=4
	v_bfe_u32 v1, v23, 18, 5
	s_mov_b32 s76, exec_lo
	s_delay_alu instid0(VALU_DEP_1)
	v_cmpx_eq_u32_e32 0, v1
; %bb.8332:                             ;   in Loop: Header=BB6_5830 Depth=4
	v_clz_i32_u32_e32 v1, v3
	s_delay_alu instid0(VALU_DEP_1) | instskip(NEXT) | instid1(VALU_DEP_1)
	v_min_u32_e32 v1, 32, v1
	v_subrev_nc_u32_e32 v3, 29, v1
	s_delay_alu instid0(VALU_DEP_1) | instskip(NEXT) | instid1(VALU_DEP_1)
	v_lshlrev_b64_e32 v[44:45], v3, v[0:1]
	v_dual_sub_nc_u32 v1, 30, v1 :: v_dual_bitop2_b32 v3, 3, v44 bitop3:0x40
; %bb.8333:                             ;   in Loop: Header=BB6_5830 Depth=4
	s_or_b32 exec_lo, exec_lo, s76
	v_lshlrev_b32_e32 v0, 24, v0
	s_delay_alu instid0(VALU_DEP_1) | instskip(NEXT) | instid1(VALU_DEP_1)
	v_and_b32_e32 v0, 0x80000000, v0
	v_lshl_add_u32 v0, v1, 23, v0
	s_delay_alu instid0(VALU_DEP_1) | instskip(NEXT) | instid1(VALU_DEP_1)
	v_lshl_or_b32 v0, v3, 21, v0
                                        ; implicit-def: $vgpr3
	v_add_nc_u32_e32 v1, 0x38000000, v0
                                        ; implicit-def: $vgpr0
.LBB6_8334:                             ;   in Loop: Header=BB6_5830 Depth=4
	s_and_not1_saveexec_b32 s76, s13
; %bb.8335:                             ;   in Loop: Header=BB6_5830 Depth=4
	v_bfe_i32 v0, v0, 0, 8
	v_cmp_eq_u32_e32 vcc_lo, 0, v3
	s_delay_alu instid0(VALU_DEP_2) | instskip(SKIP_1) | instid1(VALU_DEP_1)
	v_cmp_lt_i16_e64 s13, -1, v0
	v_mov_b32_e32 v0, 0x7f800000
	v_cndmask_b32_e64 v0, 0xff800000, v0, s13
	s_delay_alu instid0(VALU_DEP_1)
	v_cndmask_b32_e32 v1, 0x7f800001, v0, vcc_lo
; %bb.8336:                             ;   in Loop: Header=BB6_5830 Depth=4
	s_or_b32 exec_lo, exec_lo, s76
.LBB6_8337:                             ;   in Loop: Header=BB6_5830 Depth=4
	s_delay_alu instid0(SALU_CYCLE_1)
	s_or_b32 exec_lo, exec_lo, s75
.LBB6_8338:                             ;   in Loop: Header=BB6_5830 Depth=4
	s_delay_alu instid0(SALU_CYCLE_1) | instskip(NEXT) | instid1(VALU_DEP_1)
	s_or_b32 exec_lo, exec_lo, s74
	v_dual_add_f32 v2, v2, v1 :: v_dual_mov_b32 v45, v113
	s_delay_alu instid0(VALU_DEP_1) | instskip(SKIP_2) | instid1(VALU_DEP_2)
	v_dual_mov_b32 v1, v113 :: v_dual_lshrrev_b32 v3, 24, v2
	v_and_b32_e32 v44, 0x7f800000, v2
	v_and_b32_e32 v0, 0x7fffff, v2
	v_cmp_ne_u64_e32 vcc_lo, 0x7f800000, v[44:45]
                                        ; implicit-def: $vgpr44
	s_and_saveexec_b32 s13, vcc_lo
	s_delay_alu instid0(SALU_CYCLE_1)
	s_xor_b32 s74, exec_lo, s13
	s_cbranch_execz .LBB6_8352
; %bb.8339:                             ;   in Loop: Header=BB6_5830 Depth=4
	v_and_b32_e32 v44, 0x7fffffff, v2
	v_mov_b32_e32 v45, v113
	s_delay_alu instid0(VALU_DEP_1) | instskip(SKIP_2) | instid1(SALU_CYCLE_1)
	v_cmp_gt_u64_e32 vcc_lo, 0x47600001, v[44:45]
	v_and_b32_e32 v45, 0x80, v3
                                        ; implicit-def: $vgpr44
	s_and_saveexec_b32 s13, vcc_lo
	s_xor_b32 s75, exec_lo, s13
	s_cbranch_execz .LBB6_8349
; %bb.8340:                             ;   in Loop: Header=BB6_5830 Depth=4
	v_mov_b32_e32 v44, 0
	s_mov_b32 s76, exec_lo
	v_cmpx_ne_u32_e32 0, v2
	s_cbranch_execz .LBB6_8348
; %bb.8341:                             ;   in Loop: Header=BB6_5830 Depth=4
	v_bfe_u32 v44, v2, 23, 8
	v_or_b32_e32 v3, 0x800000, v0
	s_delay_alu instid0(VALU_DEP_2) | instskip(SKIP_2) | instid1(VALU_DEP_2)
	v_cmp_gt_u32_e64 s13, 0x72, v44
	v_sub_nc_u32_e32 v2, 0x71, v44
	v_cmp_eq_u32_e32 vcc_lo, 0, v44
	v_dual_cndmask_b32 v2, 0, v2, s13 :: v_dual_cndmask_b32 v0, v3, v0, vcc_lo
	s_delay_alu instid0(VALU_DEP_1) | instskip(NEXT) | instid1(VALU_DEP_1)
	v_cndmask_b32_e64 v46, v2, 0x70, vcc_lo
	v_dual_add_nc_u32 v2, 21, v46 :: v_dual_add_nc_u32 v47, 20, v46
	s_delay_alu instid0(VALU_DEP_1) | instskip(NEXT) | instid1(VALU_DEP_2)
	v_lshlrev_b64_e64 v[2:3], v2, -1
	v_lshlrev_b64_e64 v[74:75], v47, 1
	s_delay_alu instid0(VALU_DEP_2) | instskip(SKIP_1) | instid1(VALU_DEP_4)
	v_bfi_b32 v2, v2, 0, v0
	v_lshrrev_b64 v[0:1], v46, v[0:1]
	v_bfi_b32 v3, v3, 0, 0
	s_delay_alu instid0(VALU_DEP_1) | instskip(NEXT) | instid1(VALU_DEP_3)
	v_cmp_eq_u64_e64 s13, v[2:3], v[74:75]
	v_mov_b64_e32 v[2:3], v[0:1]
	s_and_saveexec_b32 s77, s13
; %bb.8342:                             ;   in Loop: Header=BB6_5830 Depth=4
	v_bfe_u32 v2, v0, 21, 1
	v_mov_b32_e32 v3, v113
	s_delay_alu instid0(VALU_DEP_1) | instskip(NEXT) | instid1(VALU_DEP_1)
	v_add_nc_u64_e32 v[2:3], v[0:1], v[2:3]
	v_add_nc_u64_e32 v[2:3], -1, v[2:3]
; %bb.8343:                             ;   in Loop: Header=BB6_5830 Depth=4
	s_or_b32 exec_lo, exec_lo, s77
	v_add_nc_u32_e32 v1, 0xffffff81, v44
	v_lshrrev_b32_e32 v3, 23, v0
	s_mov_b32 s13, exec_lo
	s_delay_alu instid0(VALU_DEP_2) | instskip(NEXT) | instid1(VALU_DEP_1)
	v_cndmask_b32_e64 v1, v1, 0xffffff82, vcc_lo
	v_add3_u32 v44, v46, v1, v3
	v_and_b32_e32 v1, 0x1fffff, v2
                                        ; implicit-def: $vgpr2
	s_delay_alu instid0(VALU_DEP_2) | instskip(NEXT) | instid1(VALU_DEP_2)
	v_add_nc_u32_e32 v3, 14, v44
	v_add_nc_u32_e32 v0, v1, v0
	v_mov_b32_e32 v1, v113
	s_delay_alu instid0(VALU_DEP_3)
	v_cmpx_ne_u32_e32 0, v3
	s_xor_b32 s13, exec_lo, s13
; %bb.8344:                             ;   in Loop: Header=BB6_5830 Depth=4
	s_delay_alu instid0(VALU_DEP_2) | instskip(SKIP_1) | instid1(VALU_DEP_1)
	v_cmp_lt_u64_e32 vcc_lo, 0xffffff, v[0:1]
	v_add_nc_u32_e32 v2, 15, v44
	v_cndmask_b32_e32 v2, v3, v2, vcc_lo
	v_cndmask_b32_e64 v3, 0, 1, vcc_lo
	s_delay_alu instid0(VALU_DEP_1)
	v_lshrrev_b64 v[0:1], v3, v[0:1]
; %bb.8345:                             ;   in Loop: Header=BB6_5830 Depth=4
	s_and_not1_saveexec_b32 s13, s13
; %bb.8346:                             ;   in Loop: Header=BB6_5830 Depth=4
	s_delay_alu instid0(VALU_DEP_1)
	v_bfe_u32 v2, v0, 23, 1
; %bb.8347:                             ;   in Loop: Header=BB6_5830 Depth=4
	s_or_b32 exec_lo, exec_lo, s13
	s_delay_alu instid0(VALU_DEP_2) | instskip(NEXT) | instid1(VALU_DEP_2)
	v_lshrrev_b64 v[0:1], 21, v[0:1]
	v_cmp_gt_i32_e32 vcc_lo, 32, v2
	v_min_i32_e32 v3, 31, v2
	v_cmp_eq_u32_e64 s13, 0, v2
	s_delay_alu instid0(VALU_DEP_2) | instskip(SKIP_1) | instid1(VALU_DEP_2)
	v_dual_cndmask_b32 v1, 0, v1, vcc_lo :: v_dual_lshlrev_b32 v3, 2, v3
	v_cndmask_b32_e32 v0, 3, v0, vcc_lo
	v_and_b32_e32 v3, 0xfc, v3
	s_delay_alu instid0(VALU_DEP_2) | instskip(NEXT) | instid1(VALU_DEP_2)
	v_cmp_eq_u64_e32 vcc_lo, 0, v[0:1]
	v_and_or_b32 v0, v0, 3, v3
	s_and_b32 s13, s13, vcc_lo
	s_delay_alu instid0(VALU_DEP_1) | instid1(SALU_CYCLE_1)
	v_cndmask_b32_e64 v0, v0, 0, s13
	s_delay_alu instid0(VALU_DEP_1)
	v_or_b32_e32 v44, v0, v45
.LBB6_8348:                             ;   in Loop: Header=BB6_5830 Depth=4
	s_or_b32 exec_lo, exec_lo, s76
                                        ; implicit-def: $vgpr45
.LBB6_8349:                             ;   in Loop: Header=BB6_5830 Depth=4
	s_and_not1_saveexec_b32 s13, s75
; %bb.8350:                             ;   in Loop: Header=BB6_5830 Depth=4
	v_or_b32_e32 v44, 0x7b, v45
; %bb.8351:                             ;   in Loop: Header=BB6_5830 Depth=4
	s_or_b32 exec_lo, exec_lo, s13
                                        ; implicit-def: $vgpr2
                                        ; implicit-def: $vgpr0_vgpr1
                                        ; implicit-def: $vgpr3
.LBB6_8352:                             ;   in Loop: Header=BB6_5830 Depth=4
	s_and_not1_saveexec_b32 s13, s74
	s_cbranch_execz .LBB6_8358
; %bb.8353:                             ;   in Loop: Header=BB6_5830 Depth=4
	s_mov_b32 s74, exec_lo
                                        ; implicit-def: $vgpr44
	v_cmpx_ne_u64_e32 0, v[0:1]
	s_xor_b32 s74, exec_lo, s74
; %bb.8354:                             ;   in Loop: Header=BB6_5830 Depth=4
	v_or_b32_e32 v44, 0x7f, v3
                                        ; implicit-def: $vgpr2
; %bb.8355:                             ;   in Loop: Header=BB6_5830 Depth=4
	s_and_not1_saveexec_b32 s74, s74
; %bb.8356:                             ;   in Loop: Header=BB6_5830 Depth=4
	v_cmp_lt_i32_e32 vcc_lo, -1, v2
	v_mov_b32_e32 v0, 0x7c
	s_delay_alu instid0(VALU_DEP_1)
	v_cndmask_b32_e32 v44, 0xfc, v0, vcc_lo
; %bb.8357:                             ;   in Loop: Header=BB6_5830 Depth=4
	s_or_b32 exec_lo, exec_lo, s74
.LBB6_8358:                             ;   in Loop: Header=BB6_5830 Depth=4
	s_delay_alu instid0(SALU_CYCLE_1)
	s_or_b32 exec_lo, exec_lo, s13
	v_dual_mov_b32 v1, 0 :: v_dual_mov_b32 v2, 0
	s_mov_b32 s74, exec_lo
	v_cmpx_lt_u32_e32 0xffffff, v112
	s_cbranch_execz .LBB6_8368
; %bb.8359:                             ;   in Loop: Header=BB6_5830 Depth=4
	v_lshrrev_b32_e32 v0, 24, v112
	v_bfrev_b32_e32 v2, 1
	s_mov_b32 s75, exec_lo
	s_delay_alu instid0(VALU_DEP_2)
	v_cmpx_ne_u32_e32 0x80, v0
	s_cbranch_execz .LBB6_8367
; %bb.8360:                             ;   in Loop: Header=BB6_5830 Depth=4
	v_and_b32_e32 v2, 0x7c000000, v112
	v_bfe_u32 v3, v112, 24, 2
	s_delay_alu instid0(VALU_DEP_2) | instskip(SKIP_1) | instid1(SALU_CYCLE_1)
	v_cmp_ne_u32_e32 vcc_lo, 0x7c000000, v2
                                        ; implicit-def: $vgpr2
	s_and_saveexec_b32 s13, vcc_lo
	s_xor_b32 s13, exec_lo, s13
	s_cbranch_execz .LBB6_8364
; %bb.8361:                             ;   in Loop: Header=BB6_5830 Depth=4
	v_bfe_u32 v2, v112, 26, 5
	s_mov_b32 s76, exec_lo
	s_delay_alu instid0(VALU_DEP_1)
	v_cmpx_eq_u32_e32 0, v2
; %bb.8362:                             ;   in Loop: Header=BB6_5830 Depth=4
	v_clz_i32_u32_e32 v2, v3
	s_delay_alu instid0(VALU_DEP_1) | instskip(NEXT) | instid1(VALU_DEP_1)
	v_min_u32_e32 v2, 32, v2
	v_subrev_nc_u32_e32 v3, 29, v2
	v_sub_nc_u32_e32 v2, 30, v2
	s_delay_alu instid0(VALU_DEP_2) | instskip(NEXT) | instid1(VALU_DEP_1)
	v_lshlrev_b64_e32 v[46:47], v3, v[0:1]
	v_and_b32_e32 v3, 3, v46
; %bb.8363:                             ;   in Loop: Header=BB6_5830 Depth=4
	s_or_b32 exec_lo, exec_lo, s76
	v_and_b32_e32 v0, 0x80000000, v112
	s_delay_alu instid0(VALU_DEP_1) | instskip(NEXT) | instid1(VALU_DEP_1)
	v_lshl_add_u32 v0, v2, 23, v0
	v_lshl_or_b32 v0, v3, 21, v0
                                        ; implicit-def: $vgpr3
	s_delay_alu instid0(VALU_DEP_1)
	v_add_nc_u32_e32 v2, 0x38000000, v0
.LBB6_8364:                             ;   in Loop: Header=BB6_5830 Depth=4
	s_and_not1_saveexec_b32 s76, s13
; %bb.8365:                             ;   in Loop: Header=BB6_5830 Depth=4
	v_cmp_lt_i32_e64 s13, -1, v112
	v_mov_b32_e32 v0, 0x7f800000
	v_cmp_eq_u32_e32 vcc_lo, 0, v3
	s_delay_alu instid0(VALU_DEP_2) | instskip(NEXT) | instid1(VALU_DEP_1)
	v_cndmask_b32_e64 v0, 0xff800000, v0, s13
	v_cndmask_b32_e32 v2, 0x7f800001, v0, vcc_lo
; %bb.8366:                             ;   in Loop: Header=BB6_5830 Depth=4
	s_or_b32 exec_lo, exec_lo, s76
.LBB6_8367:                             ;   in Loop: Header=BB6_5830 Depth=4
	s_delay_alu instid0(SALU_CYCLE_1)
	s_or_b32 exec_lo, exec_lo, s75
.LBB6_8368:                             ;   in Loop: Header=BB6_5830 Depth=4
	s_delay_alu instid0(SALU_CYCLE_1) | instskip(NEXT) | instid1(SALU_CYCLE_1)
	s_or_b32 exec_lo, exec_lo, s74
	s_mov_b32 s74, exec_lo
	v_cmpx_lt_u64_e64 s[22:23], v[22:23]
	s_cbranch_execz .LBB6_8378
; %bb.8369:                             ;   in Loop: Header=BB6_5830 Depth=4
	v_lshrrev_b32_e32 v0, 24, v23
	v_bfrev_b32_e32 v1, 1
	s_mov_b32 s75, exec_lo
	s_delay_alu instid0(VALU_DEP_2)
	v_cmpx_ne_u32_e32 0x80, v0
	s_cbranch_execz .LBB6_8377
; %bb.8370:                             ;   in Loop: Header=BB6_5830 Depth=4
	v_and_b32_e32 v1, 0x7c000000, v23
	v_bfe_u32 v3, v23, 24, 2
	s_delay_alu instid0(VALU_DEP_2) | instskip(SKIP_1) | instid1(SALU_CYCLE_1)
	v_cmp_ne_u32_e32 vcc_lo, 0x7c000000, v1
                                        ; implicit-def: $vgpr1
	s_and_saveexec_b32 s13, vcc_lo
	s_xor_b32 s13, exec_lo, s13
	s_cbranch_execz .LBB6_8374
; %bb.8371:                             ;   in Loop: Header=BB6_5830 Depth=4
	v_bfe_u32 v1, v23, 26, 5
	s_mov_b32 s76, exec_lo
	s_delay_alu instid0(VALU_DEP_1)
	v_cmpx_eq_u32_e32 0, v1
; %bb.8372:                             ;   in Loop: Header=BB6_5830 Depth=4
	v_clz_i32_u32_e32 v1, v3
	s_delay_alu instid0(VALU_DEP_1) | instskip(NEXT) | instid1(VALU_DEP_1)
	v_min_u32_e32 v3, 32, v1
	v_subrev_nc_u32_e32 v1, 29, v3
	s_delay_alu instid0(VALU_DEP_1) | instskip(NEXT) | instid1(VALU_DEP_1)
	v_lshlrev_b64_e32 v[0:1], v1, v[0:1]
	v_dual_sub_nc_u32 v1, 30, v3 :: v_dual_bitop2_b32 v3, 3, v0 bitop3:0x40
; %bb.8373:                             ;   in Loop: Header=BB6_5830 Depth=4
	s_or_b32 exec_lo, exec_lo, s76
	v_and_b32_e32 v0, 0x80000000, v23
                                        ; implicit-def: $vgpr22_vgpr23
	s_delay_alu instid0(VALU_DEP_1) | instskip(NEXT) | instid1(VALU_DEP_1)
	v_lshl_add_u32 v0, v1, 23, v0
	v_lshl_or_b32 v0, v3, 21, v0
                                        ; implicit-def: $vgpr3
	s_delay_alu instid0(VALU_DEP_1)
	v_add_nc_u32_e32 v1, 0x38000000, v0
.LBB6_8374:                             ;   in Loop: Header=BB6_5830 Depth=4
	s_and_not1_saveexec_b32 s76, s13
; %bb.8375:                             ;   in Loop: Header=BB6_5830 Depth=4
	v_cmp_lt_i64_e64 s13, -1, v[22:23]
	v_mov_b32_e32 v0, 0x7f800000
	v_cmp_eq_u32_e32 vcc_lo, 0, v3
	s_delay_alu instid0(VALU_DEP_2) | instskip(NEXT) | instid1(VALU_DEP_1)
	v_cndmask_b32_e64 v0, 0xff800000, v0, s13
	v_cndmask_b32_e32 v1, 0x7f800001, v0, vcc_lo
; %bb.8376:                             ;   in Loop: Header=BB6_5830 Depth=4
	s_or_b32 exec_lo, exec_lo, s76
.LBB6_8377:                             ;   in Loop: Header=BB6_5830 Depth=4
	s_delay_alu instid0(SALU_CYCLE_1)
	s_or_b32 exec_lo, exec_lo, s75
.LBB6_8378:                             ;   in Loop: Header=BB6_5830 Depth=4
	s_delay_alu instid0(SALU_CYCLE_1) | instskip(NEXT) | instid1(VALU_DEP_1)
	s_or_b32 exec_lo, exec_lo, s74
	v_dual_add_f32 v0, v2, v1 :: v_dual_mov_b32 v3, v113
                                        ; implicit-def: $vgpr22
	s_mov_b32 s13, exec_lo
	s_delay_alu instid0(VALU_DEP_1) | instskip(SKIP_2) | instid1(VALU_DEP_3)
	v_and_b32_e32 v2, 0x7f800000, v0
	v_and_b32_e32 v112, 0x7fffff, v0
	v_lshrrev_b32_e32 v1, 24, v0
	v_cmpx_ne_u64_e32 0x7f800000, v[2:3]
	s_xor_b32 s74, exec_lo, s13
	s_cbranch_execz .LBB6_8392
; %bb.8379:                             ;   in Loop: Header=BB6_5830 Depth=4
	v_and_b32_e32 v2, 0x7fffffff, v0
	v_mov_b32_e32 v3, v113
	v_and_b32_e32 v23, 0x80, v1
                                        ; implicit-def: $vgpr22
	s_mov_b32 s13, exec_lo
	s_delay_alu instid0(VALU_DEP_2)
	v_cmpx_gt_u64_e32 0x47600001, v[2:3]
	s_xor_b32 s75, exec_lo, s13
	s_cbranch_execz .LBB6_8389
; %bb.8380:                             ;   in Loop: Header=BB6_5830 Depth=4
	v_mov_b32_e32 v22, 0
	s_mov_b32 s76, exec_lo
	v_cmpx_ne_u32_e32 0, v0
	s_cbranch_execz .LBB6_8388
; %bb.8381:                             ;   in Loop: Header=BB6_5830 Depth=4
	v_bfe_u32 v22, v0, 23, 8
	v_or_b32_e32 v1, 0x800000, v112
	s_delay_alu instid0(VALU_DEP_2) | instskip(SKIP_2) | instid1(VALU_DEP_2)
	v_cmp_gt_u32_e64 s13, 0x72, v22
	v_sub_nc_u32_e32 v0, 0x71, v22
	v_cmp_eq_u32_e32 vcc_lo, 0, v22
	v_cndmask_b32_e64 v0, 0, v0, s13
	s_delay_alu instid0(VALU_DEP_1) | instskip(SKIP_1) | instid1(VALU_DEP_2)
	v_cndmask_b32_e64 v45, v0, 0x70, vcc_lo
	v_cndmask_b32_e32 v0, v1, v112, vcc_lo
	v_dual_mov_b32 v1, v113 :: v_dual_add_nc_u32 v2, 21, v45
	v_add_nc_u32_e32 v112, 20, v45
	s_delay_alu instid0(VALU_DEP_2) | instskip(NEXT) | instid1(VALU_DEP_2)
	v_lshlrev_b64_e64 v[2:3], v2, -1
	v_lshlrev_b64_e64 v[46:47], v112, 1
	s_delay_alu instid0(VALU_DEP_2) | instskip(SKIP_1) | instid1(VALU_DEP_4)
	v_bfi_b32 v2, v2, 0, v0
	v_lshrrev_b64 v[0:1], v45, v[0:1]
	v_bfi_b32 v3, v3, 0, 0
	s_delay_alu instid0(VALU_DEP_1) | instskip(NEXT) | instid1(VALU_DEP_3)
	v_cmp_eq_u64_e64 s13, v[2:3], v[46:47]
	v_mov_b64_e32 v[2:3], v[0:1]
	s_and_saveexec_b32 s77, s13
; %bb.8382:                             ;   in Loop: Header=BB6_5830 Depth=4
	v_bfe_u32 v2, v0, 21, 1
	v_mov_b32_e32 v3, v113
	s_delay_alu instid0(VALU_DEP_1) | instskip(NEXT) | instid1(VALU_DEP_1)
	v_add_nc_u64_e32 v[2:3], v[0:1], v[2:3]
	v_add_nc_u64_e32 v[2:3], -1, v[2:3]
; %bb.8383:                             ;   in Loop: Header=BB6_5830 Depth=4
	s_or_b32 exec_lo, exec_lo, s77
	v_add_nc_u32_e32 v1, 0xffffff81, v22
	v_lshrrev_b32_e32 v3, 23, v0
	s_mov_b32 s13, exec_lo
	s_delay_alu instid0(VALU_DEP_2) | instskip(NEXT) | instid1(VALU_DEP_1)
	v_cndmask_b32_e64 v1, v1, 0xffffff82, vcc_lo
	v_add3_u32 v22, v45, v1, v3
	v_and_b32_e32 v1, 0x1fffff, v2
                                        ; implicit-def: $vgpr2
	s_delay_alu instid0(VALU_DEP_1) | instskip(NEXT) | instid1(VALU_DEP_1)
	v_dual_add_nc_u32 v3, 14, v22 :: v_dual_add_nc_u32 v112, v1, v0
                                        ; implicit-def: $vgpr0_vgpr1
	v_cmpx_ne_u32_e32 0, v3
	s_xor_b32 s13, exec_lo, s13
; %bb.8384:                             ;   in Loop: Header=BB6_5830 Depth=4
	s_delay_alu instid0(VALU_DEP_2) | instskip(SKIP_1) | instid1(VALU_DEP_1)
	v_cmp_lt_u64_e32 vcc_lo, 0xffffff, v[112:113]
	v_add_nc_u32_e32 v0, 15, v22
	v_cndmask_b32_e32 v2, v3, v0, vcc_lo
	v_cndmask_b32_e64 v0, 0, 1, vcc_lo
	s_delay_alu instid0(VALU_DEP_1)
	v_lshrrev_b64 v[0:1], v0, v[112:113]
; %bb.8385:                             ;   in Loop: Header=BB6_5830 Depth=4
	s_and_not1_saveexec_b32 s13, s13
; %bb.8386:                             ;   in Loop: Header=BB6_5830 Depth=4
	v_mov_b64_e32 v[0:1], v[112:113]
	v_bfe_u32 v2, v112, 23, 1
; %bb.8387:                             ;   in Loop: Header=BB6_5830 Depth=4
	s_or_b32 exec_lo, exec_lo, s13
	s_delay_alu instid0(VALU_DEP_2) | instskip(NEXT) | instid1(VALU_DEP_2)
	v_lshrrev_b64 v[0:1], 21, v[0:1]
	v_cmp_gt_i32_e32 vcc_lo, 32, v2
	v_min_i32_e32 v3, 31, v2
	v_cmp_eq_u32_e64 s13, 0, v2
	s_delay_alu instid0(VALU_DEP_2) | instskip(SKIP_1) | instid1(VALU_DEP_2)
	v_dual_cndmask_b32 v1, 0, v1, vcc_lo :: v_dual_lshlrev_b32 v3, 2, v3
	v_cndmask_b32_e32 v0, 3, v0, vcc_lo
	v_and_b32_e32 v3, 0xfc, v3
	s_delay_alu instid0(VALU_DEP_2) | instskip(NEXT) | instid1(VALU_DEP_2)
	v_cmp_eq_u64_e32 vcc_lo, 0, v[0:1]
	v_and_or_b32 v0, v0, 3, v3
	s_and_b32 s13, s13, vcc_lo
	s_delay_alu instid0(VALU_DEP_1) | instid1(SALU_CYCLE_1)
	v_cndmask_b32_e64 v0, v0, 0, s13
	s_delay_alu instid0(VALU_DEP_1)
	v_or_b32_e32 v22, v0, v23
.LBB6_8388:                             ;   in Loop: Header=BB6_5830 Depth=4
	s_or_b32 exec_lo, exec_lo, s76
                                        ; implicit-def: $vgpr23
.LBB6_8389:                             ;   in Loop: Header=BB6_5830 Depth=4
	s_and_not1_saveexec_b32 s13, s75
; %bb.8390:                             ;   in Loop: Header=BB6_5830 Depth=4
	v_or_b32_e32 v22, 0x7b, v23
; %bb.8391:                             ;   in Loop: Header=BB6_5830 Depth=4
	s_or_b32 exec_lo, exec_lo, s13
                                        ; implicit-def: $vgpr0
                                        ; implicit-def: $vgpr1
.LBB6_8392:                             ;   in Loop: Header=BB6_5830 Depth=4
	s_and_not1_saveexec_b32 s13, s74
	s_cbranch_execz .LBB6_8398
; %bb.8393:                             ;   in Loop: Header=BB6_5830 Depth=4
	s_mov_b32 s74, exec_lo
                                        ; implicit-def: $vgpr22
	v_cmpx_ne_u64_e32 0, v[112:113]
	s_xor_b32 s74, exec_lo, s74
; %bb.8394:                             ;   in Loop: Header=BB6_5830 Depth=4
	v_or_b32_e32 v22, 0x7f, v1
                                        ; implicit-def: $vgpr0
; %bb.8395:                             ;   in Loop: Header=BB6_5830 Depth=4
	s_and_not1_saveexec_b32 s74, s74
; %bb.8396:                             ;   in Loop: Header=BB6_5830 Depth=4
	v_cmp_lt_i32_e32 vcc_lo, -1, v0
	v_mov_b32_e32 v0, 0x7c
	s_delay_alu instid0(VALU_DEP_1)
	v_cndmask_b32_e32 v22, 0xfc, v0, vcc_lo
; %bb.8397:                             ;   in Loop: Header=BB6_5830 Depth=4
	s_or_b32 exec_lo, exec_lo, s74
.LBB6_8398:                             ;   in Loop: Header=BB6_5830 Depth=4
	s_delay_alu instid0(SALU_CYCLE_1) | instskip(SKIP_3) | instid1(VALU_DEP_1)
	s_or_b32 exec_lo, exec_lo, s13
	v_lshl_or_b32 v118, v118, 8, v114
	v_dual_lshlrev_b32 v0, 16, v41 :: v_dual_lshlrev_b32 v1, 24, v43
	s_mov_b32 s74, exec_lo
	v_or3_b32 v112, v0, v1, v118
	v_dual_mov_b32 v0, 0 :: v_dual_mov_b32 v1, 0
	v_cmpx_ne_u32_e32 0, v114
	s_cbranch_execz .LBB6_8408
; %bb.8399:                             ;   in Loop: Header=BB6_5830 Depth=4
	v_bfrev_b32_e32 v1, 1
	s_mov_b32 s75, exec_lo
	v_cmpx_ne_u32_e32 0x80, v114
	s_cbranch_execz .LBB6_8407
; %bb.8400:                             ;   in Loop: Header=BB6_5830 Depth=4
	v_and_b32_e32 v1, 0x7c, v114
	v_and_b32_e32 v2, 3, v114
	s_delay_alu instid0(VALU_DEP_2) | instskip(SKIP_1) | instid1(SALU_CYCLE_1)
	v_cmp_ne_u32_e32 vcc_lo, 0x7c, v1
                                        ; implicit-def: $vgpr1
	s_and_saveexec_b32 s13, vcc_lo
	s_xor_b32 s13, exec_lo, s13
	s_cbranch_execz .LBB6_8404
; %bb.8401:                             ;   in Loop: Header=BB6_5830 Depth=4
	v_bfe_u32 v1, v114, 2, 5
	s_mov_b32 s76, exec_lo
	s_delay_alu instid0(VALU_DEP_1)
	v_cmpx_eq_u32_e32 0, v1
; %bb.8402:                             ;   in Loop: Header=BB6_5830 Depth=4
	v_clz_i32_u32_e32 v1, v2
	s_delay_alu instid0(VALU_DEP_1) | instskip(NEXT) | instid1(VALU_DEP_1)
	v_min_u32_e32 v1, 32, v1
	v_subrev_nc_u32_e32 v2, 29, v1
	s_delay_alu instid0(VALU_DEP_1) | instskip(NEXT) | instid1(VALU_DEP_1)
	v_lshlrev_b64_e32 v[2:3], v2, v[112:113]
	v_dual_sub_nc_u32 v1, 30, v1 :: v_dual_bitop2_b32 v2, 3, v2 bitop3:0x40
; %bb.8403:                             ;   in Loop: Header=BB6_5830 Depth=4
	s_or_b32 exec_lo, exec_lo, s76
	v_lshlrev_b32_e32 v3, 24, v114
                                        ; implicit-def: $vgpr114
	s_delay_alu instid0(VALU_DEP_1) | instskip(NEXT) | instid1(VALU_DEP_1)
	v_and_b32_e32 v3, 0x80000000, v3
	v_lshl_add_u32 v1, v1, 23, v3
	s_delay_alu instid0(VALU_DEP_1) | instskip(NEXT) | instid1(VALU_DEP_1)
	v_lshl_or_b32 v1, v2, 21, v1
                                        ; implicit-def: $vgpr2
	v_add_nc_u32_e32 v1, 0x38000000, v1
.LBB6_8404:                             ;   in Loop: Header=BB6_5830 Depth=4
	s_and_not1_saveexec_b32 s76, s13
; %bb.8405:                             ;   in Loop: Header=BB6_5830 Depth=4
	v_and_b32_e32 v1, 0x80, v114
	v_cmp_eq_u32_e32 vcc_lo, 0, v2
	s_delay_alu instid0(VALU_DEP_2) | instskip(SKIP_1) | instid1(VALU_DEP_1)
	v_cmp_eq_u32_e64 s13, 0, v1
	v_mov_b32_e32 v1, 0x7f800000
	v_cndmask_b32_e64 v1, 0xff800000, v1, s13
	s_delay_alu instid0(VALU_DEP_1)
	v_cndmask_b32_e32 v1, 0x7f800001, v1, vcc_lo
; %bb.8406:                             ;   in Loop: Header=BB6_5830 Depth=4
	s_or_b32 exec_lo, exec_lo, s76
.LBB6_8407:                             ;   in Loop: Header=BB6_5830 Depth=4
	s_delay_alu instid0(SALU_CYCLE_1)
	s_or_b32 exec_lo, exec_lo, s75
.LBB6_8408:                             ;   in Loop: Header=BB6_5830 Depth=4
	s_delay_alu instid0(SALU_CYCLE_1) | instskip(SKIP_3) | instid1(VALU_DEP_1)
	s_or_b32 exec_lo, exec_lo, s74
	s_wait_loadcnt 0x2
	v_and_b32_e32 v2, 0xff, v16
	s_mov_b32 s74, exec_lo
	v_cmpx_ne_u16_e32 0, v2
	s_cbranch_execz .LBB6_8418
; %bb.8409:                             ;   in Loop: Header=BB6_5830 Depth=4
	v_bfe_i32 v3, v16, 0, 8
	v_bfrev_b32_e32 v0, 1
	s_mov_b32 s75, exec_lo
	s_delay_alu instid0(VALU_DEP_2)
	v_cmpx_ne_u16_e32 0xff80, v3
	s_cbranch_execz .LBB6_8417
; %bb.8410:                             ;   in Loop: Header=BB6_5830 Depth=4
	v_and_b32_e32 v0, 0x7c, v16
	v_and_b32_e32 v2, 3, v16
	s_delay_alu instid0(VALU_DEP_2) | instskip(SKIP_1) | instid1(SALU_CYCLE_1)
	v_cmp_ne_u32_e32 vcc_lo, 0x7c, v0
                                        ; implicit-def: $vgpr0
	s_and_saveexec_b32 s13, vcc_lo
	s_xor_b32 s13, exec_lo, s13
	s_cbranch_execz .LBB6_8414
; %bb.8411:                             ;   in Loop: Header=BB6_5830 Depth=4
	v_bfe_u32 v0, v16, 2, 5
	s_mov_b32 s76, exec_lo
	s_delay_alu instid0(VALU_DEP_1)
	v_cmpx_eq_u32_e32 0, v0
; %bb.8412:                             ;   in Loop: Header=BB6_5830 Depth=4
	v_clz_i32_u32_e32 v0, v2
	s_delay_alu instid0(VALU_DEP_1) | instskip(NEXT) | instid1(VALU_DEP_1)
	v_min_u32_e32 v0, 32, v0
	v_subrev_nc_u32_e32 v2, 29, v0
	s_delay_alu instid0(VALU_DEP_1) | instskip(NEXT) | instid1(VALU_DEP_1)
	v_lshlrev_b64_e32 v[2:3], v2, v[16:17]
	v_dual_sub_nc_u32 v0, 30, v0 :: v_dual_bitop2_b32 v2, 3, v2 bitop3:0x40
; %bb.8413:                             ;   in Loop: Header=BB6_5830 Depth=4
	s_or_b32 exec_lo, exec_lo, s76
	v_lshlrev_b32_e32 v3, 24, v16
	s_delay_alu instid0(VALU_DEP_1) | instskip(NEXT) | instid1(VALU_DEP_1)
	v_and_b32_e32 v3, 0x80000000, v3
	v_lshl_add_u32 v0, v0, 23, v3
                                        ; implicit-def: $vgpr3
	s_delay_alu instid0(VALU_DEP_1) | instskip(NEXT) | instid1(VALU_DEP_1)
	v_lshl_or_b32 v0, v2, 21, v0
                                        ; implicit-def: $vgpr2
	v_add_nc_u32_e32 v0, 0x38000000, v0
.LBB6_8414:                             ;   in Loop: Header=BB6_5830 Depth=4
	s_and_not1_saveexec_b32 s76, s13
; %bb.8415:                             ;   in Loop: Header=BB6_5830 Depth=4
	v_cmp_lt_i16_e64 s13, -1, v3
	v_mov_b32_e32 v0, 0x7f800000
	v_cmp_eq_u32_e32 vcc_lo, 0, v2
	s_delay_alu instid0(VALU_DEP_2) | instskip(NEXT) | instid1(VALU_DEP_1)
	v_cndmask_b32_e64 v0, 0xff800000, v0, s13
	v_cndmask_b32_e32 v0, 0x7f800001, v0, vcc_lo
; %bb.8416:                             ;   in Loop: Header=BB6_5830 Depth=4
	s_or_b32 exec_lo, exec_lo, s76
.LBB6_8417:                             ;   in Loop: Header=BB6_5830 Depth=4
	s_delay_alu instid0(SALU_CYCLE_1)
	s_or_b32 exec_lo, exec_lo, s75
.LBB6_8418:                             ;   in Loop: Header=BB6_5830 Depth=4
	s_delay_alu instid0(SALU_CYCLE_1) | instskip(NEXT) | instid1(VALU_DEP_1)
	s_or_b32 exec_lo, exec_lo, s74
	v_add_f32_e32 v2, v1, v0
	v_dual_mov_b32 v47, v113 :: v_dual_mov_b32 v1, v113
                                        ; implicit-def: $vgpr23
	s_mov_b32 s13, exec_lo
	s_delay_alu instid0(VALU_DEP_2) | instskip(SKIP_2) | instid1(VALU_DEP_3)
	v_and_b32_e32 v46, 0x7f800000, v2
	v_and_b32_e32 v0, 0x7fffff, v2
	v_lshrrev_b32_e32 v3, 24, v2
	v_cmpx_ne_u64_e32 0x7f800000, v[46:47]
	s_xor_b32 s74, exec_lo, s13
	s_cbranch_execz .LBB6_8432
; %bb.8419:                             ;   in Loop: Header=BB6_5830 Depth=4
	v_and_b32_e32 v46, 0x7fffffff, v2
	v_mov_b32_e32 v47, v113
	v_and_b32_e32 v114, 0x80, v3
                                        ; implicit-def: $vgpr23
	s_mov_b32 s13, exec_lo
	s_delay_alu instid0(VALU_DEP_2)
	v_cmpx_gt_u64_e32 0x47600001, v[46:47]
	s_xor_b32 s75, exec_lo, s13
	s_cbranch_execz .LBB6_8429
; %bb.8420:                             ;   in Loop: Header=BB6_5830 Depth=4
	v_mov_b32_e32 v23, 0
	s_mov_b32 s76, exec_lo
	v_cmpx_ne_u32_e32 0, v2
	s_cbranch_execz .LBB6_8428
; %bb.8421:                             ;   in Loop: Header=BB6_5830 Depth=4
	v_bfe_u32 v23, v2, 23, 8
	v_or_b32_e32 v3, 0x800000, v0
	s_delay_alu instid0(VALU_DEP_2) | instskip(SKIP_2) | instid1(VALU_DEP_2)
	v_cmp_gt_u32_e64 s13, 0x72, v23
	v_sub_nc_u32_e32 v2, 0x71, v23
	v_cmp_eq_u32_e32 vcc_lo, 0, v23
	v_dual_cndmask_b32 v2, 0, v2, s13 :: v_dual_cndmask_b32 v0, v3, v0, vcc_lo
	s_delay_alu instid0(VALU_DEP_1) | instskip(NEXT) | instid1(VALU_DEP_1)
	v_cndmask_b32_e64 v41, v2, 0x70, vcc_lo
	v_dual_add_nc_u32 v2, 21, v41 :: v_dual_add_nc_u32 v43, 20, v41
	s_delay_alu instid0(VALU_DEP_1) | instskip(NEXT) | instid1(VALU_DEP_2)
	v_lshlrev_b64_e64 v[2:3], v2, -1
	v_lshlrev_b64_e64 v[46:47], v43, 1
	s_delay_alu instid0(VALU_DEP_2) | instskip(SKIP_1) | instid1(VALU_DEP_4)
	v_bfi_b32 v2, v2, 0, v0
	v_lshrrev_b64 v[0:1], v41, v[0:1]
	v_bfi_b32 v3, v3, 0, 0
	s_delay_alu instid0(VALU_DEP_1) | instskip(NEXT) | instid1(VALU_DEP_3)
	v_cmp_eq_u64_e64 s13, v[2:3], v[46:47]
	v_mov_b64_e32 v[2:3], v[0:1]
	s_and_saveexec_b32 s77, s13
; %bb.8422:                             ;   in Loop: Header=BB6_5830 Depth=4
	v_bfe_u32 v2, v0, 21, 1
	v_mov_b32_e32 v3, v113
	s_delay_alu instid0(VALU_DEP_1) | instskip(NEXT) | instid1(VALU_DEP_1)
	v_add_nc_u64_e32 v[2:3], v[0:1], v[2:3]
	v_add_nc_u64_e32 v[2:3], -1, v[2:3]
; %bb.8423:                             ;   in Loop: Header=BB6_5830 Depth=4
	s_or_b32 exec_lo, exec_lo, s77
	v_add_nc_u32_e32 v1, 0xffffff81, v23
	v_lshrrev_b32_e32 v3, 23, v0
	s_mov_b32 s13, exec_lo
	s_delay_alu instid0(VALU_DEP_2) | instskip(NEXT) | instid1(VALU_DEP_1)
	v_cndmask_b32_e64 v1, v1, 0xffffff82, vcc_lo
	v_add3_u32 v23, v41, v1, v3
	v_and_b32_e32 v1, 0x1fffff, v2
                                        ; implicit-def: $vgpr2
	s_delay_alu instid0(VALU_DEP_1) | instskip(SKIP_1) | instid1(VALU_DEP_2)
	v_dual_add_nc_u32 v3, 14, v23 :: v_dual_add_nc_u32 v0, v1, v0
	v_mov_b32_e32 v1, v113
	v_cmpx_ne_u32_e32 0, v3
	s_xor_b32 s13, exec_lo, s13
; %bb.8424:                             ;   in Loop: Header=BB6_5830 Depth=4
	s_delay_alu instid0(VALU_DEP_2) | instskip(SKIP_1) | instid1(VALU_DEP_1)
	v_cmp_lt_u64_e32 vcc_lo, 0xffffff, v[0:1]
	v_add_nc_u32_e32 v2, 15, v23
	v_cndmask_b32_e32 v2, v3, v2, vcc_lo
	v_cndmask_b32_e64 v3, 0, 1, vcc_lo
	s_delay_alu instid0(VALU_DEP_1)
	v_lshrrev_b64 v[0:1], v3, v[0:1]
; %bb.8425:                             ;   in Loop: Header=BB6_5830 Depth=4
	s_and_not1_saveexec_b32 s13, s13
; %bb.8426:                             ;   in Loop: Header=BB6_5830 Depth=4
	s_delay_alu instid0(VALU_DEP_1)
	v_bfe_u32 v2, v0, 23, 1
; %bb.8427:                             ;   in Loop: Header=BB6_5830 Depth=4
	s_or_b32 exec_lo, exec_lo, s13
	s_delay_alu instid0(VALU_DEP_2) | instskip(NEXT) | instid1(VALU_DEP_2)
	v_lshrrev_b64 v[0:1], 21, v[0:1]
	v_cmp_gt_i32_e32 vcc_lo, 32, v2
	v_min_i32_e32 v3, 31, v2
	v_cmp_eq_u32_e64 s13, 0, v2
	s_delay_alu instid0(VALU_DEP_2) | instskip(SKIP_1) | instid1(VALU_DEP_2)
	v_dual_cndmask_b32 v1, 0, v1, vcc_lo :: v_dual_lshlrev_b32 v3, 2, v3
	v_cndmask_b32_e32 v0, 3, v0, vcc_lo
	v_and_b32_e32 v3, 0xfc, v3
	s_delay_alu instid0(VALU_DEP_2) | instskip(NEXT) | instid1(VALU_DEP_2)
	v_cmp_eq_u64_e32 vcc_lo, 0, v[0:1]
	v_and_or_b32 v0, v0, 3, v3
	s_and_b32 s13, s13, vcc_lo
	s_delay_alu instid0(VALU_DEP_1) | instid1(SALU_CYCLE_1)
	v_cndmask_b32_e64 v0, v0, 0, s13
	s_delay_alu instid0(VALU_DEP_1)
	v_or_b32_e32 v23, v0, v114
.LBB6_8428:                             ;   in Loop: Header=BB6_5830 Depth=4
	s_or_b32 exec_lo, exec_lo, s76
                                        ; implicit-def: $vgpr114
.LBB6_8429:                             ;   in Loop: Header=BB6_5830 Depth=4
	s_and_not1_saveexec_b32 s13, s75
; %bb.8430:                             ;   in Loop: Header=BB6_5830 Depth=4
	v_or_b32_e32 v23, 0x7b, v114
; %bb.8431:                             ;   in Loop: Header=BB6_5830 Depth=4
	s_or_b32 exec_lo, exec_lo, s13
                                        ; implicit-def: $vgpr2
                                        ; implicit-def: $vgpr0_vgpr1
                                        ; implicit-def: $vgpr3
.LBB6_8432:                             ;   in Loop: Header=BB6_5830 Depth=4
	s_and_not1_saveexec_b32 s13, s74
	s_cbranch_execz .LBB6_8438
; %bb.8433:                             ;   in Loop: Header=BB6_5830 Depth=4
	s_mov_b32 s74, exec_lo
                                        ; implicit-def: $vgpr23
	v_cmpx_ne_u64_e32 0, v[0:1]
	s_xor_b32 s74, exec_lo, s74
; %bb.8434:                             ;   in Loop: Header=BB6_5830 Depth=4
	v_or_b32_e32 v23, 0x7f, v3
                                        ; implicit-def: $vgpr2
; %bb.8435:                             ;   in Loop: Header=BB6_5830 Depth=4
	s_and_not1_saveexec_b32 s74, s74
; %bb.8436:                             ;   in Loop: Header=BB6_5830 Depth=4
	v_cmp_lt_i32_e32 vcc_lo, -1, v2
	v_mov_b32_e32 v0, 0x7c
	s_delay_alu instid0(VALU_DEP_1)
	v_cndmask_b32_e32 v23, 0xfc, v0, vcc_lo
; %bb.8437:                             ;   in Loop: Header=BB6_5830 Depth=4
	s_or_b32 exec_lo, exec_lo, s74
.LBB6_8438:                             ;   in Loop: Header=BB6_5830 Depth=4
	s_delay_alu instid0(SALU_CYCLE_1) | instskip(SKIP_3) | instid1(VALU_DEP_2)
	s_or_b32 exec_lo, exec_lo, s13
	v_lshrrev_b16 v0, 8, v118
	v_dual_mov_b32 v2, 0 :: v_dual_mov_b32 v3, 0
	s_mov_b32 s74, exec_lo
	v_cmpx_ne_u16_e32 0, v0
	s_cbranch_execz .LBB6_8448
; %bb.8439:                             ;   in Loop: Header=BB6_5830 Depth=4
	v_bfrev_b32_e32 v3, 1
	s_mov_b32 s75, exec_lo
	v_cmpx_ne_u16_e32 0x80, v0
	s_cbranch_execz .LBB6_8447
; %bb.8440:                             ;   in Loop: Header=BB6_5830 Depth=4
	v_and_b32_e32 v114, 0xffff, v0
	s_delay_alu instid0(VALU_DEP_1) | instskip(SKIP_1) | instid1(VALU_DEP_2)
	v_and_b32_e32 v3, 0x7c, v114
	v_and_b32_e32 v1, 3, v114
	v_cmp_ne_u32_e32 vcc_lo, 0x7c, v3
                                        ; implicit-def: $vgpr3
	s_and_saveexec_b32 s13, vcc_lo
	s_delay_alu instid0(SALU_CYCLE_1)
	s_xor_b32 s13, exec_lo, s13
	s_cbranch_execz .LBB6_8444
; %bb.8441:                             ;   in Loop: Header=BB6_5830 Depth=4
	v_bfe_u32 v3, v114, 2, 5
	s_mov_b32 s76, exec_lo
	s_delay_alu instid0(VALU_DEP_1)
	v_cmpx_eq_u32_e32 0, v3
	s_cbranch_execz .LBB6_8443
; %bb.8442:                             ;   in Loop: Header=BB6_5830 Depth=4
	v_clz_i32_u32_e32 v1, v1
	s_delay_alu instid0(VALU_DEP_1) | instskip(SKIP_1) | instid1(VALU_DEP_2)
	v_min_u32_e32 v3, 32, v1
	v_mov_b32_e32 v1, v113
	v_subrev_nc_u32_e32 v114, 29, v3
	v_sub_nc_u32_e32 v3, 30, v3
	s_delay_alu instid0(VALU_DEP_2) | instskip(NEXT) | instid1(VALU_DEP_1)
	v_lshlrev_b64_e32 v[0:1], v114, v[0:1]
	v_and_b32_e32 v1, 3, v0
.LBB6_8443:                             ;   in Loop: Header=BB6_5830 Depth=4
	s_or_b32 exec_lo, exec_lo, s76
	v_lshlrev_b32_e32 v0, 16, v118
                                        ; implicit-def: $vgpr118
	s_delay_alu instid0(VALU_DEP_1) | instskip(NEXT) | instid1(VALU_DEP_1)
	v_and_b32_e32 v0, 0x80000000, v0
	v_lshl_add_u32 v0, v3, 23, v0
	s_delay_alu instid0(VALU_DEP_1) | instskip(NEXT) | instid1(VALU_DEP_1)
	v_lshl_or_b32 v0, v1, 21, v0
                                        ; implicit-def: $vgpr1
	v_add_nc_u32_e32 v3, 0x38000000, v0
.LBB6_8444:                             ;   in Loop: Header=BB6_5830 Depth=4
	s_and_not1_saveexec_b32 s76, s13
; %bb.8445:                             ;   in Loop: Header=BB6_5830 Depth=4
	v_cmp_lt_i16_e64 s13, -1, v118
	v_mov_b32_e32 v0, 0x7f800000
	v_cmp_eq_u32_e32 vcc_lo, 0, v1
	s_delay_alu instid0(VALU_DEP_2) | instskip(NEXT) | instid1(VALU_DEP_1)
	v_cndmask_b32_e64 v0, 0xff800000, v0, s13
	v_cndmask_b32_e32 v3, 0x7f800001, v0, vcc_lo
; %bb.8446:                             ;   in Loop: Header=BB6_5830 Depth=4
	s_or_b32 exec_lo, exec_lo, s76
.LBB6_8447:                             ;   in Loop: Header=BB6_5830 Depth=4
	s_delay_alu instid0(SALU_CYCLE_1)
	s_or_b32 exec_lo, exec_lo, s75
.LBB6_8448:                             ;   in Loop: Header=BB6_5830 Depth=4
	s_delay_alu instid0(SALU_CYCLE_1) | instskip(SKIP_2) | instid1(VALU_DEP_1)
	s_or_b32 exec_lo, exec_lo, s74
	v_lshrrev_b16 v0, 8, v16
	s_mov_b32 s74, exec_lo
	v_cmpx_ne_u16_e32 0, v0
	s_cbranch_execz .LBB6_8458
; %bb.8449:                             ;   in Loop: Header=BB6_5830 Depth=4
	v_bfrev_b32_e32 v2, 1
	s_mov_b32 s75, exec_lo
	v_cmpx_ne_u16_e32 0x80, v0
	s_cbranch_execz .LBB6_8457
; %bb.8450:                             ;   in Loop: Header=BB6_5830 Depth=4
	v_and_b32_e32 v114, 0xffff, v0
	s_delay_alu instid0(VALU_DEP_1) | instskip(SKIP_1) | instid1(VALU_DEP_2)
	v_and_b32_e32 v2, 0x7c, v114
	v_and_b32_e32 v1, 3, v114
	v_cmp_ne_u32_e32 vcc_lo, 0x7c, v2
                                        ; implicit-def: $vgpr2
	s_and_saveexec_b32 s13, vcc_lo
	s_delay_alu instid0(SALU_CYCLE_1)
	s_xor_b32 s13, exec_lo, s13
	s_cbranch_execz .LBB6_8454
; %bb.8451:                             ;   in Loop: Header=BB6_5830 Depth=4
	v_bfe_u32 v2, v114, 2, 5
	s_mov_b32 s76, exec_lo
	s_delay_alu instid0(VALU_DEP_1)
	v_cmpx_eq_u32_e32 0, v2
	s_cbranch_execz .LBB6_8453
; %bb.8452:                             ;   in Loop: Header=BB6_5830 Depth=4
	v_clz_i32_u32_e32 v1, v1
	s_delay_alu instid0(VALU_DEP_1) | instskip(SKIP_1) | instid1(VALU_DEP_2)
	v_min_u32_e32 v2, 32, v1
	v_mov_b32_e32 v1, v113
	v_subrev_nc_u32_e32 v114, 29, v2
	v_sub_nc_u32_e32 v2, 30, v2
	s_delay_alu instid0(VALU_DEP_2) | instskip(NEXT) | instid1(VALU_DEP_1)
	v_lshlrev_b64_e32 v[0:1], v114, v[0:1]
	v_and_b32_e32 v1, 3, v0
.LBB6_8453:                             ;   in Loop: Header=BB6_5830 Depth=4
	s_or_b32 exec_lo, exec_lo, s76
	v_lshlrev_b32_e32 v0, 16, v16
	s_delay_alu instid0(VALU_DEP_1) | instskip(NEXT) | instid1(VALU_DEP_1)
	v_and_b32_e32 v0, 0x80000000, v0
	v_lshl_add_u32 v0, v2, 23, v0
	s_delay_alu instid0(VALU_DEP_1) | instskip(NEXT) | instid1(VALU_DEP_1)
	v_lshl_or_b32 v0, v1, 21, v0
                                        ; implicit-def: $vgpr1
	v_add_nc_u32_e32 v2, 0x38000000, v0
.LBB6_8454:                             ;   in Loop: Header=BB6_5830 Depth=4
	s_and_not1_saveexec_b32 s76, s13
; %bb.8455:                             ;   in Loop: Header=BB6_5830 Depth=4
	v_cmp_lt_i16_e64 s13, -1, v16
	v_mov_b32_e32 v0, 0x7f800000
	v_cmp_eq_u32_e32 vcc_lo, 0, v1
	s_delay_alu instid0(VALU_DEP_2) | instskip(NEXT) | instid1(VALU_DEP_1)
	v_cndmask_b32_e64 v0, 0xff800000, v0, s13
	v_cndmask_b32_e32 v2, 0x7f800001, v0, vcc_lo
; %bb.8456:                             ;   in Loop: Header=BB6_5830 Depth=4
	s_or_b32 exec_lo, exec_lo, s76
.LBB6_8457:                             ;   in Loop: Header=BB6_5830 Depth=4
	s_delay_alu instid0(SALU_CYCLE_1)
	s_or_b32 exec_lo, exec_lo, s75
.LBB6_8458:                             ;   in Loop: Header=BB6_5830 Depth=4
	s_delay_alu instid0(SALU_CYCLE_1) | instskip(NEXT) | instid1(VALU_DEP_1)
	s_or_b32 exec_lo, exec_lo, s74
	v_dual_add_f32 v2, v3, v2 :: v_dual_mov_b32 v47, v113
	v_mov_b32_e32 v1, v113
                                        ; implicit-def: $vgpr114
	s_mov_b32 s13, exec_lo
	s_delay_alu instid0(VALU_DEP_2) | instskip(SKIP_2) | instid1(VALU_DEP_3)
	v_and_b32_e32 v46, 0x7f800000, v2
	v_and_b32_e32 v0, 0x7fffff, v2
	v_lshrrev_b32_e32 v3, 24, v2
	v_cmpx_ne_u64_e32 0x7f800000, v[46:47]
	s_xor_b32 s74, exec_lo, s13
	s_cbranch_execz .LBB6_8472
; %bb.8459:                             ;   in Loop: Header=BB6_5830 Depth=4
	v_and_b32_e32 v46, 0x7fffffff, v2
	v_mov_b32_e32 v47, v113
	v_and_b32_e32 v118, 0x80, v3
                                        ; implicit-def: $vgpr114
	s_mov_b32 s13, exec_lo
	s_delay_alu instid0(VALU_DEP_2)
	v_cmpx_gt_u64_e32 0x47600001, v[46:47]
	s_xor_b32 s75, exec_lo, s13
	s_cbranch_execz .LBB6_8469
; %bb.8460:                             ;   in Loop: Header=BB6_5830 Depth=4
	v_mov_b32_e32 v114, 0
	s_mov_b32 s76, exec_lo
	v_cmpx_ne_u32_e32 0, v2
	s_cbranch_execz .LBB6_8468
; %bb.8461:                             ;   in Loop: Header=BB6_5830 Depth=4
	v_bfe_u32 v114, v2, 23, 8
	v_or_b32_e32 v3, 0x800000, v0
	s_delay_alu instid0(VALU_DEP_2) | instskip(SKIP_2) | instid1(VALU_DEP_2)
	v_cmp_gt_u32_e64 s13, 0x72, v114
	v_sub_nc_u32_e32 v2, 0x71, v114
	v_cmp_eq_u32_e32 vcc_lo, 0, v114
	v_dual_cndmask_b32 v2, 0, v2, s13 :: v_dual_cndmask_b32 v0, v3, v0, vcc_lo
	s_delay_alu instid0(VALU_DEP_1) | instskip(NEXT) | instid1(VALU_DEP_1)
	v_cndmask_b32_e64 v41, v2, 0x70, vcc_lo
	v_dual_add_nc_u32 v2, 21, v41 :: v_dual_add_nc_u32 v43, 20, v41
	s_delay_alu instid0(VALU_DEP_1) | instskip(NEXT) | instid1(VALU_DEP_2)
	v_lshlrev_b64_e64 v[2:3], v2, -1
	v_lshlrev_b64_e64 v[46:47], v43, 1
	s_delay_alu instid0(VALU_DEP_2) | instskip(SKIP_1) | instid1(VALU_DEP_4)
	v_bfi_b32 v2, v2, 0, v0
	v_lshrrev_b64 v[0:1], v41, v[0:1]
	v_bfi_b32 v3, v3, 0, 0
	s_delay_alu instid0(VALU_DEP_1) | instskip(NEXT) | instid1(VALU_DEP_3)
	v_cmp_eq_u64_e64 s13, v[2:3], v[46:47]
	v_mov_b64_e32 v[2:3], v[0:1]
	s_and_saveexec_b32 s77, s13
; %bb.8462:                             ;   in Loop: Header=BB6_5830 Depth=4
	v_bfe_u32 v2, v0, 21, 1
	v_mov_b32_e32 v3, v113
	s_delay_alu instid0(VALU_DEP_1) | instskip(NEXT) | instid1(VALU_DEP_1)
	v_add_nc_u64_e32 v[2:3], v[0:1], v[2:3]
	v_add_nc_u64_e32 v[2:3], -1, v[2:3]
; %bb.8463:                             ;   in Loop: Header=BB6_5830 Depth=4
	s_or_b32 exec_lo, exec_lo, s77
	v_add_nc_u32_e32 v1, 0xffffff81, v114
	v_lshrrev_b32_e32 v3, 23, v0
	s_mov_b32 s13, exec_lo
	s_delay_alu instid0(VALU_DEP_2) | instskip(NEXT) | instid1(VALU_DEP_1)
	v_cndmask_b32_e64 v1, v1, 0xffffff82, vcc_lo
	v_add3_u32 v114, v41, v1, v3
	v_and_b32_e32 v1, 0x1fffff, v2
                                        ; implicit-def: $vgpr2
	s_delay_alu instid0(VALU_DEP_1) | instskip(SKIP_1) | instid1(VALU_DEP_2)
	v_dual_add_nc_u32 v3, 14, v114 :: v_dual_add_nc_u32 v0, v1, v0
	v_mov_b32_e32 v1, v113
	v_cmpx_ne_u32_e32 0, v3
	s_xor_b32 s13, exec_lo, s13
; %bb.8464:                             ;   in Loop: Header=BB6_5830 Depth=4
	s_delay_alu instid0(VALU_DEP_2) | instskip(SKIP_1) | instid1(VALU_DEP_1)
	v_cmp_lt_u64_e32 vcc_lo, 0xffffff, v[0:1]
	v_add_nc_u32_e32 v2, 15, v114
	v_cndmask_b32_e32 v2, v3, v2, vcc_lo
	v_cndmask_b32_e64 v3, 0, 1, vcc_lo
	s_delay_alu instid0(VALU_DEP_1)
	v_lshrrev_b64 v[0:1], v3, v[0:1]
; %bb.8465:                             ;   in Loop: Header=BB6_5830 Depth=4
	s_and_not1_saveexec_b32 s13, s13
; %bb.8466:                             ;   in Loop: Header=BB6_5830 Depth=4
	s_delay_alu instid0(VALU_DEP_1)
	v_bfe_u32 v2, v0, 23, 1
; %bb.8467:                             ;   in Loop: Header=BB6_5830 Depth=4
	s_or_b32 exec_lo, exec_lo, s13
	s_delay_alu instid0(VALU_DEP_2) | instskip(NEXT) | instid1(VALU_DEP_2)
	v_lshrrev_b64 v[0:1], 21, v[0:1]
	v_cmp_gt_i32_e32 vcc_lo, 32, v2
	v_min_i32_e32 v3, 31, v2
	v_cmp_eq_u32_e64 s13, 0, v2
	s_delay_alu instid0(VALU_DEP_2) | instskip(SKIP_1) | instid1(VALU_DEP_2)
	v_dual_cndmask_b32 v1, 0, v1, vcc_lo :: v_dual_lshlrev_b32 v3, 2, v3
	v_cndmask_b32_e32 v0, 3, v0, vcc_lo
	v_and_b32_e32 v3, 0xfc, v3
	s_delay_alu instid0(VALU_DEP_2) | instskip(NEXT) | instid1(VALU_DEP_2)
	v_cmp_eq_u64_e32 vcc_lo, 0, v[0:1]
	v_and_or_b32 v0, v0, 3, v3
	s_and_b32 s13, s13, vcc_lo
	s_delay_alu instid0(VALU_DEP_1) | instid1(SALU_CYCLE_1)
	v_cndmask_b32_e64 v0, v0, 0, s13
	s_delay_alu instid0(VALU_DEP_1)
	v_or_b32_e32 v114, v0, v118
.LBB6_8468:                             ;   in Loop: Header=BB6_5830 Depth=4
	s_or_b32 exec_lo, exec_lo, s76
                                        ; implicit-def: $vgpr118
.LBB6_8469:                             ;   in Loop: Header=BB6_5830 Depth=4
	s_and_not1_saveexec_b32 s13, s75
; %bb.8470:                             ;   in Loop: Header=BB6_5830 Depth=4
	v_or_b32_e32 v114, 0x7b, v118
; %bb.8471:                             ;   in Loop: Header=BB6_5830 Depth=4
	s_or_b32 exec_lo, exec_lo, s13
                                        ; implicit-def: $vgpr2
                                        ; implicit-def: $vgpr0_vgpr1
                                        ; implicit-def: $vgpr3
.LBB6_8472:                             ;   in Loop: Header=BB6_5830 Depth=4
	s_and_not1_saveexec_b32 s13, s74
	s_cbranch_execz .LBB6_8478
; %bb.8473:                             ;   in Loop: Header=BB6_5830 Depth=4
	s_mov_b32 s74, exec_lo
                                        ; implicit-def: $vgpr114
	v_cmpx_ne_u64_e32 0, v[0:1]
	s_xor_b32 s74, exec_lo, s74
; %bb.8474:                             ;   in Loop: Header=BB6_5830 Depth=4
	v_or_b32_e32 v114, 0x7f, v3
                                        ; implicit-def: $vgpr2
; %bb.8475:                             ;   in Loop: Header=BB6_5830 Depth=4
	s_and_not1_saveexec_b32 s74, s74
; %bb.8476:                             ;   in Loop: Header=BB6_5830 Depth=4
	v_cmp_lt_i32_e32 vcc_lo, -1, v2
	v_mov_b32_e32 v0, 0x7c
	s_delay_alu instid0(VALU_DEP_1)
	v_cndmask_b32_e32 v114, 0xfc, v0, vcc_lo
; %bb.8477:                             ;   in Loop: Header=BB6_5830 Depth=4
	s_or_b32 exec_lo, exec_lo, s74
.LBB6_8478:                             ;   in Loop: Header=BB6_5830 Depth=4
	s_delay_alu instid0(SALU_CYCLE_1) | instskip(SKIP_3) | instid1(VALU_DEP_2)
	s_or_b32 exec_lo, exec_lo, s13
	v_dual_mov_b32 v1, 0 :: v_dual_lshrrev_b32 v0, 16, v112
	v_mov_b32_e32 v2, 0
	s_mov_b32 s74, exec_lo
	v_and_b32_e32 v3, 0xff, v0
	s_delay_alu instid0(VALU_DEP_1)
	v_cmpx_ne_u16_e32 0, v3
	s_cbranch_execz .LBB6_8488
; %bb.8479:                             ;   in Loop: Header=BB6_5830 Depth=4
	v_bfrev_b32_e32 v2, 1
	s_mov_b32 s75, exec_lo
	v_cmpx_ne_u16_e32 0x80, v3
	s_cbranch_execz .LBB6_8487
; %bb.8480:                             ;   in Loop: Header=BB6_5830 Depth=4
	v_and_b32_e32 v2, 0x7c0000, v112
	v_bfe_u32 v3, v112, 16, 2
	s_delay_alu instid0(VALU_DEP_2) | instskip(SKIP_1) | instid1(SALU_CYCLE_1)
	v_cmp_ne_u32_e32 vcc_lo, 0x7c0000, v2
                                        ; implicit-def: $vgpr2
	s_and_saveexec_b32 s13, vcc_lo
	s_xor_b32 s13, exec_lo, s13
	s_cbranch_execz .LBB6_8484
; %bb.8481:                             ;   in Loop: Header=BB6_5830 Depth=4
	v_bfe_u32 v2, v112, 18, 5
	s_mov_b32 s76, exec_lo
	s_delay_alu instid0(VALU_DEP_1)
	v_cmpx_eq_u32_e32 0, v2
; %bb.8482:                             ;   in Loop: Header=BB6_5830 Depth=4
	v_clz_i32_u32_e32 v2, v3
	s_delay_alu instid0(VALU_DEP_1) | instskip(NEXT) | instid1(VALU_DEP_1)
	v_min_u32_e32 v2, 32, v2
	v_subrev_nc_u32_e32 v3, 29, v2
	v_sub_nc_u32_e32 v2, 30, v2
	s_delay_alu instid0(VALU_DEP_2) | instskip(NEXT) | instid1(VALU_DEP_1)
	v_lshlrev_b64_e32 v[46:47], v3, v[0:1]
	v_and_b32_e32 v3, 3, v46
; %bb.8483:                             ;   in Loop: Header=BB6_5830 Depth=4
	s_or_b32 exec_lo, exec_lo, s76
	v_lshlrev_b32_e32 v0, 24, v0
	s_delay_alu instid0(VALU_DEP_1) | instskip(NEXT) | instid1(VALU_DEP_1)
	v_and_b32_e32 v0, 0x80000000, v0
	v_lshl_add_u32 v0, v2, 23, v0
	s_delay_alu instid0(VALU_DEP_1) | instskip(NEXT) | instid1(VALU_DEP_1)
	v_lshl_or_b32 v0, v3, 21, v0
                                        ; implicit-def: $vgpr3
	v_add_nc_u32_e32 v2, 0x38000000, v0
                                        ; implicit-def: $vgpr0
.LBB6_8484:                             ;   in Loop: Header=BB6_5830 Depth=4
	s_and_not1_saveexec_b32 s76, s13
; %bb.8485:                             ;   in Loop: Header=BB6_5830 Depth=4
	v_bfe_i32 v0, v0, 0, 8
	v_cmp_eq_u32_e32 vcc_lo, 0, v3
	s_delay_alu instid0(VALU_DEP_2) | instskip(SKIP_1) | instid1(VALU_DEP_1)
	v_cmp_lt_i16_e64 s13, -1, v0
	v_mov_b32_e32 v0, 0x7f800000
	v_cndmask_b32_e64 v0, 0xff800000, v0, s13
	s_delay_alu instid0(VALU_DEP_1)
	v_cndmask_b32_e32 v2, 0x7f800001, v0, vcc_lo
; %bb.8486:                             ;   in Loop: Header=BB6_5830 Depth=4
	s_or_b32 exec_lo, exec_lo, s76
.LBB6_8487:                             ;   in Loop: Header=BB6_5830 Depth=4
	s_delay_alu instid0(SALU_CYCLE_1)
	s_or_b32 exec_lo, exec_lo, s75
.LBB6_8488:                             ;   in Loop: Header=BB6_5830 Depth=4
	s_delay_alu instid0(SALU_CYCLE_1) | instskip(SKIP_2) | instid1(VALU_DEP_1)
	s_or_b32 exec_lo, exec_lo, s74
	v_lshrrev_b32_e32 v0, 16, v16
	s_mov_b32 s74, exec_lo
	v_and_b32_e32 v3, 0xff, v0
	s_delay_alu instid0(VALU_DEP_1)
	v_cmpx_ne_u16_e32 0, v3
	s_cbranch_execz .LBB6_8498
; %bb.8489:                             ;   in Loop: Header=BB6_5830 Depth=4
	v_bfrev_b32_e32 v1, 1
	s_mov_b32 s75, exec_lo
	v_cmpx_ne_u16_e32 0x80, v3
	s_cbranch_execz .LBB6_8497
; %bb.8490:                             ;   in Loop: Header=BB6_5830 Depth=4
	v_and_b32_e32 v1, 0x7c0000, v16
	v_bfe_u32 v3, v16, 16, 2
	s_delay_alu instid0(VALU_DEP_2) | instskip(SKIP_1) | instid1(SALU_CYCLE_1)
	v_cmp_ne_u32_e32 vcc_lo, 0x7c0000, v1
                                        ; implicit-def: $vgpr1
	s_and_saveexec_b32 s13, vcc_lo
	s_xor_b32 s13, exec_lo, s13
	s_cbranch_execz .LBB6_8494
; %bb.8491:                             ;   in Loop: Header=BB6_5830 Depth=4
	v_bfe_u32 v1, v16, 18, 5
	s_mov_b32 s76, exec_lo
	s_delay_alu instid0(VALU_DEP_1)
	v_cmpx_eq_u32_e32 0, v1
; %bb.8492:                             ;   in Loop: Header=BB6_5830 Depth=4
	v_clz_i32_u32_e32 v1, v3
	s_delay_alu instid0(VALU_DEP_1) | instskip(NEXT) | instid1(VALU_DEP_1)
	v_min_u32_e32 v1, 32, v1
	v_subrev_nc_u32_e32 v3, 29, v1
	s_delay_alu instid0(VALU_DEP_1) | instskip(NEXT) | instid1(VALU_DEP_1)
	v_lshlrev_b64_e32 v[46:47], v3, v[0:1]
	v_dual_sub_nc_u32 v1, 30, v1 :: v_dual_bitop2_b32 v3, 3, v46 bitop3:0x40
; %bb.8493:                             ;   in Loop: Header=BB6_5830 Depth=4
	s_or_b32 exec_lo, exec_lo, s76
	v_lshlrev_b32_e32 v0, 24, v0
	s_delay_alu instid0(VALU_DEP_1) | instskip(NEXT) | instid1(VALU_DEP_1)
	v_and_b32_e32 v0, 0x80000000, v0
	v_lshl_add_u32 v0, v1, 23, v0
	s_delay_alu instid0(VALU_DEP_1) | instskip(NEXT) | instid1(VALU_DEP_1)
	v_lshl_or_b32 v0, v3, 21, v0
                                        ; implicit-def: $vgpr3
	v_add_nc_u32_e32 v1, 0x38000000, v0
                                        ; implicit-def: $vgpr0
.LBB6_8494:                             ;   in Loop: Header=BB6_5830 Depth=4
	s_and_not1_saveexec_b32 s76, s13
; %bb.8495:                             ;   in Loop: Header=BB6_5830 Depth=4
	v_bfe_i32 v0, v0, 0, 8
	v_cmp_eq_u32_e32 vcc_lo, 0, v3
	s_delay_alu instid0(VALU_DEP_2) | instskip(SKIP_1) | instid1(VALU_DEP_1)
	v_cmp_lt_i16_e64 s13, -1, v0
	v_mov_b32_e32 v0, 0x7f800000
	v_cndmask_b32_e64 v0, 0xff800000, v0, s13
	s_delay_alu instid0(VALU_DEP_1)
	v_cndmask_b32_e32 v1, 0x7f800001, v0, vcc_lo
; %bb.8496:                             ;   in Loop: Header=BB6_5830 Depth=4
	s_or_b32 exec_lo, exec_lo, s76
.LBB6_8497:                             ;   in Loop: Header=BB6_5830 Depth=4
	s_delay_alu instid0(SALU_CYCLE_1)
	s_or_b32 exec_lo, exec_lo, s75
.LBB6_8498:                             ;   in Loop: Header=BB6_5830 Depth=4
	s_delay_alu instid0(SALU_CYCLE_1) | instskip(NEXT) | instid1(VALU_DEP_1)
	s_or_b32 exec_lo, exec_lo, s74
	v_dual_add_f32 v2, v2, v1 :: v_dual_mov_b32 v47, v113
	v_mov_b32_e32 v1, v113
                                        ; implicit-def: $vgpr118
	s_mov_b32 s13, exec_lo
	s_delay_alu instid0(VALU_DEP_2) | instskip(SKIP_2) | instid1(VALU_DEP_3)
	v_and_b32_e32 v46, 0x7f800000, v2
	v_and_b32_e32 v0, 0x7fffff, v2
	v_lshrrev_b32_e32 v3, 24, v2
	v_cmpx_ne_u64_e32 0x7f800000, v[46:47]
	s_xor_b32 s74, exec_lo, s13
	s_cbranch_execz .LBB6_8512
; %bb.8499:                             ;   in Loop: Header=BB6_5830 Depth=4
	v_and_b32_e32 v46, 0x7fffffff, v2
	v_mov_b32_e32 v47, v113
	v_and_b32_e32 v41, 0x80, v3
                                        ; implicit-def: $vgpr118
	s_mov_b32 s13, exec_lo
	s_delay_alu instid0(VALU_DEP_2)
	v_cmpx_gt_u64_e32 0x47600001, v[46:47]
	s_xor_b32 s75, exec_lo, s13
	s_cbranch_execz .LBB6_8509
; %bb.8500:                             ;   in Loop: Header=BB6_5830 Depth=4
	v_mov_b32_e32 v118, 0
	s_mov_b32 s76, exec_lo
	v_cmpx_ne_u32_e32 0, v2
	s_cbranch_execz .LBB6_8508
; %bb.8501:                             ;   in Loop: Header=BB6_5830 Depth=4
	v_bfe_u32 v118, v2, 23, 8
	v_or_b32_e32 v3, 0x800000, v0
	s_delay_alu instid0(VALU_DEP_2) | instskip(SKIP_2) | instid1(VALU_DEP_2)
	v_cmp_gt_u32_e64 s13, 0x72, v118
	v_sub_nc_u32_e32 v2, 0x71, v118
	v_cmp_eq_u32_e32 vcc_lo, 0, v118
	v_dual_cndmask_b32 v2, 0, v2, s13 :: v_dual_cndmask_b32 v0, v3, v0, vcc_lo
	s_delay_alu instid0(VALU_DEP_1) | instskip(NEXT) | instid1(VALU_DEP_1)
	v_cndmask_b32_e64 v43, v2, 0x70, vcc_lo
	v_dual_add_nc_u32 v2, 21, v43 :: v_dual_add_nc_u32 v45, 20, v43
	s_delay_alu instid0(VALU_DEP_1) | instskip(NEXT) | instid1(VALU_DEP_2)
	v_lshlrev_b64_e64 v[2:3], v2, -1
	v_lshlrev_b64_e64 v[46:47], v45, 1
	s_delay_alu instid0(VALU_DEP_2) | instskip(SKIP_1) | instid1(VALU_DEP_4)
	v_bfi_b32 v2, v2, 0, v0
	v_lshrrev_b64 v[0:1], v43, v[0:1]
	v_bfi_b32 v3, v3, 0, 0
	s_delay_alu instid0(VALU_DEP_1) | instskip(NEXT) | instid1(VALU_DEP_3)
	v_cmp_eq_u64_e64 s13, v[2:3], v[46:47]
	v_mov_b64_e32 v[2:3], v[0:1]
	s_and_saveexec_b32 s77, s13
; %bb.8502:                             ;   in Loop: Header=BB6_5830 Depth=4
	v_bfe_u32 v2, v0, 21, 1
	v_mov_b32_e32 v3, v113
	s_delay_alu instid0(VALU_DEP_1) | instskip(NEXT) | instid1(VALU_DEP_1)
	v_add_nc_u64_e32 v[2:3], v[0:1], v[2:3]
	v_add_nc_u64_e32 v[2:3], -1, v[2:3]
; %bb.8503:                             ;   in Loop: Header=BB6_5830 Depth=4
	s_or_b32 exec_lo, exec_lo, s77
	v_add_nc_u32_e32 v1, 0xffffff81, v118
	v_lshrrev_b32_e32 v3, 23, v0
	s_mov_b32 s13, exec_lo
	s_delay_alu instid0(VALU_DEP_2) | instskip(NEXT) | instid1(VALU_DEP_1)
	v_cndmask_b32_e64 v1, v1, 0xffffff82, vcc_lo
	v_add3_u32 v118, v43, v1, v3
	v_and_b32_e32 v1, 0x1fffff, v2
                                        ; implicit-def: $vgpr2
	s_delay_alu instid0(VALU_DEP_1) | instskip(SKIP_1) | instid1(VALU_DEP_2)
	v_dual_add_nc_u32 v3, 14, v118 :: v_dual_add_nc_u32 v0, v1, v0
	v_mov_b32_e32 v1, v113
	v_cmpx_ne_u32_e32 0, v3
	s_xor_b32 s13, exec_lo, s13
; %bb.8504:                             ;   in Loop: Header=BB6_5830 Depth=4
	s_delay_alu instid0(VALU_DEP_2) | instskip(SKIP_1) | instid1(VALU_DEP_1)
	v_cmp_lt_u64_e32 vcc_lo, 0xffffff, v[0:1]
	v_add_nc_u32_e32 v2, 15, v118
	v_cndmask_b32_e32 v2, v3, v2, vcc_lo
	v_cndmask_b32_e64 v3, 0, 1, vcc_lo
	s_delay_alu instid0(VALU_DEP_1)
	v_lshrrev_b64 v[0:1], v3, v[0:1]
; %bb.8505:                             ;   in Loop: Header=BB6_5830 Depth=4
	s_and_not1_saveexec_b32 s13, s13
; %bb.8506:                             ;   in Loop: Header=BB6_5830 Depth=4
	s_delay_alu instid0(VALU_DEP_1)
	v_bfe_u32 v2, v0, 23, 1
; %bb.8507:                             ;   in Loop: Header=BB6_5830 Depth=4
	s_or_b32 exec_lo, exec_lo, s13
	s_delay_alu instid0(VALU_DEP_2) | instskip(NEXT) | instid1(VALU_DEP_2)
	v_lshrrev_b64 v[0:1], 21, v[0:1]
	v_cmp_gt_i32_e32 vcc_lo, 32, v2
	v_min_i32_e32 v3, 31, v2
	v_cmp_eq_u32_e64 s13, 0, v2
	s_delay_alu instid0(VALU_DEP_2) | instskip(SKIP_1) | instid1(VALU_DEP_2)
	v_dual_cndmask_b32 v1, 0, v1, vcc_lo :: v_dual_lshlrev_b32 v3, 2, v3
	v_cndmask_b32_e32 v0, 3, v0, vcc_lo
	v_and_b32_e32 v3, 0xfc, v3
	s_delay_alu instid0(VALU_DEP_2) | instskip(NEXT) | instid1(VALU_DEP_2)
	v_cmp_eq_u64_e32 vcc_lo, 0, v[0:1]
	v_and_or_b32 v0, v0, 3, v3
	s_and_b32 s13, s13, vcc_lo
	s_delay_alu instid0(VALU_DEP_1) | instid1(SALU_CYCLE_1)
	v_cndmask_b32_e64 v0, v0, 0, s13
	s_delay_alu instid0(VALU_DEP_1)
	v_or_b32_e32 v118, v0, v41
.LBB6_8508:                             ;   in Loop: Header=BB6_5830 Depth=4
	s_or_b32 exec_lo, exec_lo, s76
                                        ; implicit-def: $vgpr41
.LBB6_8509:                             ;   in Loop: Header=BB6_5830 Depth=4
	s_and_not1_saveexec_b32 s13, s75
; %bb.8510:                             ;   in Loop: Header=BB6_5830 Depth=4
	v_or_b32_e32 v118, 0x7b, v41
; %bb.8511:                             ;   in Loop: Header=BB6_5830 Depth=4
	s_or_b32 exec_lo, exec_lo, s13
                                        ; implicit-def: $vgpr2
                                        ; implicit-def: $vgpr0_vgpr1
                                        ; implicit-def: $vgpr3
.LBB6_8512:                             ;   in Loop: Header=BB6_5830 Depth=4
	s_and_not1_saveexec_b32 s13, s74
	s_cbranch_execz .LBB6_8518
; %bb.8513:                             ;   in Loop: Header=BB6_5830 Depth=4
	s_mov_b32 s74, exec_lo
                                        ; implicit-def: $vgpr118
	v_cmpx_ne_u64_e32 0, v[0:1]
	s_xor_b32 s74, exec_lo, s74
; %bb.8514:                             ;   in Loop: Header=BB6_5830 Depth=4
	v_or_b32_e32 v118, 0x7f, v3
                                        ; implicit-def: $vgpr2
; %bb.8515:                             ;   in Loop: Header=BB6_5830 Depth=4
	s_and_not1_saveexec_b32 s74, s74
; %bb.8516:                             ;   in Loop: Header=BB6_5830 Depth=4
	v_cmp_lt_i32_e32 vcc_lo, -1, v2
	v_mov_b32_e32 v0, 0x7c
	s_delay_alu instid0(VALU_DEP_1)
	v_cndmask_b32_e32 v118, 0xfc, v0, vcc_lo
; %bb.8517:                             ;   in Loop: Header=BB6_5830 Depth=4
	s_or_b32 exec_lo, exec_lo, s74
.LBB6_8518:                             ;   in Loop: Header=BB6_5830 Depth=4
	s_delay_alu instid0(SALU_CYCLE_1)
	s_or_b32 exec_lo, exec_lo, s13
	v_dual_mov_b32 v1, 0 :: v_dual_mov_b32 v2, 0
	s_mov_b32 s74, exec_lo
	v_cmpx_lt_u32_e32 0xffffff, v112
	s_cbranch_execz .LBB6_8528
; %bb.8519:                             ;   in Loop: Header=BB6_5830 Depth=4
	v_lshrrev_b32_e32 v0, 24, v112
	v_bfrev_b32_e32 v2, 1
	s_mov_b32 s75, exec_lo
	s_delay_alu instid0(VALU_DEP_2)
	v_cmpx_ne_u32_e32 0x80, v0
	s_cbranch_execz .LBB6_8527
; %bb.8520:                             ;   in Loop: Header=BB6_5830 Depth=4
	v_and_b32_e32 v2, 0x7c000000, v112
	v_bfe_u32 v3, v112, 24, 2
	s_delay_alu instid0(VALU_DEP_2) | instskip(SKIP_1) | instid1(SALU_CYCLE_1)
	v_cmp_ne_u32_e32 vcc_lo, 0x7c000000, v2
                                        ; implicit-def: $vgpr2
	s_and_saveexec_b32 s13, vcc_lo
	s_xor_b32 s13, exec_lo, s13
	s_cbranch_execz .LBB6_8524
; %bb.8521:                             ;   in Loop: Header=BB6_5830 Depth=4
	v_bfe_u32 v2, v112, 26, 5
	s_mov_b32 s76, exec_lo
	s_delay_alu instid0(VALU_DEP_1)
	v_cmpx_eq_u32_e32 0, v2
; %bb.8522:                             ;   in Loop: Header=BB6_5830 Depth=4
	v_clz_i32_u32_e32 v2, v3
	s_delay_alu instid0(VALU_DEP_1) | instskip(NEXT) | instid1(VALU_DEP_1)
	v_min_u32_e32 v2, 32, v2
	v_subrev_nc_u32_e32 v3, 29, v2
	v_sub_nc_u32_e32 v2, 30, v2
	s_delay_alu instid0(VALU_DEP_2) | instskip(NEXT) | instid1(VALU_DEP_1)
	v_lshlrev_b64_e32 v[46:47], v3, v[0:1]
	v_and_b32_e32 v3, 3, v46
; %bb.8523:                             ;   in Loop: Header=BB6_5830 Depth=4
	s_or_b32 exec_lo, exec_lo, s76
	v_and_b32_e32 v0, 0x80000000, v112
	s_delay_alu instid0(VALU_DEP_1) | instskip(NEXT) | instid1(VALU_DEP_1)
	v_lshl_add_u32 v0, v2, 23, v0
	v_lshl_or_b32 v0, v3, 21, v0
                                        ; implicit-def: $vgpr3
	s_delay_alu instid0(VALU_DEP_1)
	v_add_nc_u32_e32 v2, 0x38000000, v0
.LBB6_8524:                             ;   in Loop: Header=BB6_5830 Depth=4
	s_and_not1_saveexec_b32 s76, s13
; %bb.8525:                             ;   in Loop: Header=BB6_5830 Depth=4
	v_cmp_lt_i32_e64 s13, -1, v112
	v_mov_b32_e32 v0, 0x7f800000
	v_cmp_eq_u32_e32 vcc_lo, 0, v3
	s_delay_alu instid0(VALU_DEP_2) | instskip(NEXT) | instid1(VALU_DEP_1)
	v_cndmask_b32_e64 v0, 0xff800000, v0, s13
	v_cndmask_b32_e32 v2, 0x7f800001, v0, vcc_lo
; %bb.8526:                             ;   in Loop: Header=BB6_5830 Depth=4
	s_or_b32 exec_lo, exec_lo, s76
.LBB6_8527:                             ;   in Loop: Header=BB6_5830 Depth=4
	s_delay_alu instid0(SALU_CYCLE_1)
	s_or_b32 exec_lo, exec_lo, s75
.LBB6_8528:                             ;   in Loop: Header=BB6_5830 Depth=4
	s_delay_alu instid0(SALU_CYCLE_1) | instskip(NEXT) | instid1(SALU_CYCLE_1)
	s_or_b32 exec_lo, exec_lo, s74
	s_mov_b32 s74, exec_lo
	v_cmpx_lt_u32_e32 0xffffff, v16
	s_cbranch_execz .LBB6_8538
; %bb.8529:                             ;   in Loop: Header=BB6_5830 Depth=4
	v_lshrrev_b32_e32 v0, 24, v16
	v_bfrev_b32_e32 v1, 1
	s_mov_b32 s75, exec_lo
	s_delay_alu instid0(VALU_DEP_2)
	v_cmpx_ne_u32_e32 0x80, v0
	s_cbranch_execz .LBB6_8537
; %bb.8530:                             ;   in Loop: Header=BB6_5830 Depth=4
	v_and_b32_e32 v1, 0x7c000000, v16
	v_bfe_u32 v3, v16, 24, 2
	s_delay_alu instid0(VALU_DEP_2) | instskip(SKIP_1) | instid1(SALU_CYCLE_1)
	v_cmp_ne_u32_e32 vcc_lo, 0x7c000000, v1
                                        ; implicit-def: $vgpr1
	s_and_saveexec_b32 s13, vcc_lo
	s_xor_b32 s13, exec_lo, s13
	s_cbranch_execz .LBB6_8534
; %bb.8531:                             ;   in Loop: Header=BB6_5830 Depth=4
	v_bfe_u32 v1, v16, 26, 5
	s_mov_b32 s76, exec_lo
	s_delay_alu instid0(VALU_DEP_1)
	v_cmpx_eq_u32_e32 0, v1
; %bb.8532:                             ;   in Loop: Header=BB6_5830 Depth=4
	v_clz_i32_u32_e32 v1, v3
	s_delay_alu instid0(VALU_DEP_1) | instskip(NEXT) | instid1(VALU_DEP_1)
	v_min_u32_e32 v3, 32, v1
	v_subrev_nc_u32_e32 v1, 29, v3
	s_delay_alu instid0(VALU_DEP_1) | instskip(NEXT) | instid1(VALU_DEP_1)
	v_lshlrev_b64_e32 v[0:1], v1, v[0:1]
	v_dual_sub_nc_u32 v1, 30, v3 :: v_dual_bitop2_b32 v3, 3, v0 bitop3:0x40
; %bb.8533:                             ;   in Loop: Header=BB6_5830 Depth=4
	s_or_b32 exec_lo, exec_lo, s76
	v_and_b32_e32 v0, 0x80000000, v16
	s_delay_alu instid0(VALU_DEP_1) | instskip(NEXT) | instid1(VALU_DEP_1)
	v_lshl_add_u32 v0, v1, 23, v0
	v_lshl_or_b32 v0, v3, 21, v0
                                        ; implicit-def: $vgpr3
	s_delay_alu instid0(VALU_DEP_1)
	v_add_nc_u32_e32 v1, 0x38000000, v0
.LBB6_8534:                             ;   in Loop: Header=BB6_5830 Depth=4
	s_and_not1_saveexec_b32 s76, s13
; %bb.8535:                             ;   in Loop: Header=BB6_5830 Depth=4
	v_cmp_lt_i32_e64 s13, -1, v16
	v_mov_b32_e32 v0, 0x7f800000
	v_cmp_eq_u32_e32 vcc_lo, 0, v3
	s_delay_alu instid0(VALU_DEP_2) | instskip(NEXT) | instid1(VALU_DEP_1)
	v_cndmask_b32_e64 v0, 0xff800000, v0, s13
	v_cndmask_b32_e32 v1, 0x7f800001, v0, vcc_lo
; %bb.8536:                             ;   in Loop: Header=BB6_5830 Depth=4
	s_or_b32 exec_lo, exec_lo, s76
.LBB6_8537:                             ;   in Loop: Header=BB6_5830 Depth=4
	s_delay_alu instid0(SALU_CYCLE_1)
	s_or_b32 exec_lo, exec_lo, s75
.LBB6_8538:                             ;   in Loop: Header=BB6_5830 Depth=4
	s_delay_alu instid0(SALU_CYCLE_1) | instskip(NEXT) | instid1(VALU_DEP_1)
	s_or_b32 exec_lo, exec_lo, s74
	v_dual_add_f32 v0, v2, v1 :: v_dual_mov_b32 v3, v113
                                        ; implicit-def: $vgpr41
	s_mov_b32 s13, exec_lo
	s_delay_alu instid0(VALU_DEP_1) | instskip(SKIP_2) | instid1(VALU_DEP_3)
	v_and_b32_e32 v2, 0x7f800000, v0
	v_and_b32_e32 v112, 0x7fffff, v0
	v_lshrrev_b32_e32 v1, 24, v0
	v_cmpx_ne_u64_e32 0x7f800000, v[2:3]
	s_xor_b32 s74, exec_lo, s13
	s_cbranch_execz .LBB6_8552
; %bb.8539:                             ;   in Loop: Header=BB6_5830 Depth=4
	v_and_b32_e32 v2, 0x7fffffff, v0
	v_mov_b32_e32 v3, v113
	v_and_b32_e32 v43, 0x80, v1
                                        ; implicit-def: $vgpr41
	s_mov_b32 s13, exec_lo
	s_delay_alu instid0(VALU_DEP_2)
	v_cmpx_gt_u64_e32 0x47600001, v[2:3]
	s_xor_b32 s75, exec_lo, s13
	s_cbranch_execz .LBB6_8549
; %bb.8540:                             ;   in Loop: Header=BB6_5830 Depth=4
	v_mov_b32_e32 v41, 0
	s_mov_b32 s76, exec_lo
	v_cmpx_ne_u32_e32 0, v0
	s_cbranch_execz .LBB6_8548
; %bb.8541:                             ;   in Loop: Header=BB6_5830 Depth=4
	v_bfe_u32 v41, v0, 23, 8
	v_or_b32_e32 v1, 0x800000, v112
	s_delay_alu instid0(VALU_DEP_2) | instskip(SKIP_2) | instid1(VALU_DEP_2)
	v_cmp_gt_u32_e64 s13, 0x72, v41
	v_sub_nc_u32_e32 v0, 0x71, v41
	v_cmp_eq_u32_e32 vcc_lo, 0, v41
	v_cndmask_b32_e64 v0, 0, v0, s13
	s_delay_alu instid0(VALU_DEP_1) | instskip(SKIP_1) | instid1(VALU_DEP_2)
	v_cndmask_b32_e64 v45, v0, 0x70, vcc_lo
	v_cndmask_b32_e32 v0, v1, v112, vcc_lo
	v_dual_mov_b32 v1, v113 :: v_dual_add_nc_u32 v2, 21, v45
	v_add_nc_u32_e32 v112, 20, v45
	s_delay_alu instid0(VALU_DEP_2) | instskip(NEXT) | instid1(VALU_DEP_2)
	v_lshlrev_b64_e64 v[2:3], v2, -1
	v_lshlrev_b64_e64 v[46:47], v112, 1
	s_delay_alu instid0(VALU_DEP_2) | instskip(SKIP_1) | instid1(VALU_DEP_4)
	v_bfi_b32 v2, v2, 0, v0
	v_lshrrev_b64 v[0:1], v45, v[0:1]
	v_bfi_b32 v3, v3, 0, 0
	s_delay_alu instid0(VALU_DEP_1) | instskip(NEXT) | instid1(VALU_DEP_3)
	v_cmp_eq_u64_e64 s13, v[2:3], v[46:47]
	v_mov_b64_e32 v[2:3], v[0:1]
	s_and_saveexec_b32 s77, s13
; %bb.8542:                             ;   in Loop: Header=BB6_5830 Depth=4
	v_bfe_u32 v2, v0, 21, 1
	v_mov_b32_e32 v3, v113
	s_delay_alu instid0(VALU_DEP_1) | instskip(NEXT) | instid1(VALU_DEP_1)
	v_add_nc_u64_e32 v[2:3], v[0:1], v[2:3]
	v_add_nc_u64_e32 v[2:3], -1, v[2:3]
; %bb.8543:                             ;   in Loop: Header=BB6_5830 Depth=4
	s_or_b32 exec_lo, exec_lo, s77
	v_add_nc_u32_e32 v1, 0xffffff81, v41
	v_lshrrev_b32_e32 v3, 23, v0
	s_mov_b32 s13, exec_lo
	s_delay_alu instid0(VALU_DEP_2) | instskip(NEXT) | instid1(VALU_DEP_1)
	v_cndmask_b32_e64 v1, v1, 0xffffff82, vcc_lo
	v_add3_u32 v41, v45, v1, v3
	v_and_b32_e32 v1, 0x1fffff, v2
                                        ; implicit-def: $vgpr2
	s_delay_alu instid0(VALU_DEP_1) | instskip(NEXT) | instid1(VALU_DEP_1)
	v_dual_add_nc_u32 v3, 14, v41 :: v_dual_add_nc_u32 v112, v1, v0
                                        ; implicit-def: $vgpr0_vgpr1
	v_cmpx_ne_u32_e32 0, v3
	s_xor_b32 s13, exec_lo, s13
; %bb.8544:                             ;   in Loop: Header=BB6_5830 Depth=4
	s_delay_alu instid0(VALU_DEP_2) | instskip(SKIP_1) | instid1(VALU_DEP_1)
	v_cmp_lt_u64_e32 vcc_lo, 0xffffff, v[112:113]
	v_add_nc_u32_e32 v0, 15, v41
	v_cndmask_b32_e32 v2, v3, v0, vcc_lo
	v_cndmask_b32_e64 v0, 0, 1, vcc_lo
	s_delay_alu instid0(VALU_DEP_1)
	v_lshrrev_b64 v[0:1], v0, v[112:113]
; %bb.8545:                             ;   in Loop: Header=BB6_5830 Depth=4
	s_and_not1_saveexec_b32 s13, s13
; %bb.8546:                             ;   in Loop: Header=BB6_5830 Depth=4
	v_mov_b64_e32 v[0:1], v[112:113]
	v_bfe_u32 v2, v112, 23, 1
; %bb.8547:                             ;   in Loop: Header=BB6_5830 Depth=4
	s_or_b32 exec_lo, exec_lo, s13
	s_delay_alu instid0(VALU_DEP_2) | instskip(NEXT) | instid1(VALU_DEP_2)
	v_lshrrev_b64 v[0:1], 21, v[0:1]
	v_cmp_gt_i32_e32 vcc_lo, 32, v2
	v_min_i32_e32 v3, 31, v2
	v_cmp_eq_u32_e64 s13, 0, v2
	s_delay_alu instid0(VALU_DEP_2) | instskip(SKIP_1) | instid1(VALU_DEP_2)
	v_dual_cndmask_b32 v1, 0, v1, vcc_lo :: v_dual_lshlrev_b32 v3, 2, v3
	v_cndmask_b32_e32 v0, 3, v0, vcc_lo
	v_and_b32_e32 v3, 0xfc, v3
	s_delay_alu instid0(VALU_DEP_2) | instskip(NEXT) | instid1(VALU_DEP_2)
	v_cmp_eq_u64_e32 vcc_lo, 0, v[0:1]
	v_and_or_b32 v0, v0, 3, v3
	s_and_b32 s13, s13, vcc_lo
	s_delay_alu instid0(VALU_DEP_1) | instid1(SALU_CYCLE_1)
	v_cndmask_b32_e64 v0, v0, 0, s13
	s_delay_alu instid0(VALU_DEP_1)
	v_or_b32_e32 v41, v0, v43
.LBB6_8548:                             ;   in Loop: Header=BB6_5830 Depth=4
	s_or_b32 exec_lo, exec_lo, s76
                                        ; implicit-def: $vgpr43
.LBB6_8549:                             ;   in Loop: Header=BB6_5830 Depth=4
	s_and_not1_saveexec_b32 s13, s75
; %bb.8550:                             ;   in Loop: Header=BB6_5830 Depth=4
	v_or_b32_e32 v41, 0x7b, v43
; %bb.8551:                             ;   in Loop: Header=BB6_5830 Depth=4
	s_or_b32 exec_lo, exec_lo, s13
                                        ; implicit-def: $vgpr0
                                        ; implicit-def: $vgpr1
.LBB6_8552:                             ;   in Loop: Header=BB6_5830 Depth=4
	s_and_not1_saveexec_b32 s13, s74
	s_cbranch_execz .LBB6_8558
; %bb.8553:                             ;   in Loop: Header=BB6_5830 Depth=4
	s_mov_b32 s74, exec_lo
                                        ; implicit-def: $vgpr41
	v_cmpx_ne_u64_e32 0, v[112:113]
	s_xor_b32 s74, exec_lo, s74
; %bb.8554:                             ;   in Loop: Header=BB6_5830 Depth=4
	v_or_b32_e32 v41, 0x7f, v1
                                        ; implicit-def: $vgpr0
; %bb.8555:                             ;   in Loop: Header=BB6_5830 Depth=4
	s_and_not1_saveexec_b32 s74, s74
; %bb.8556:                             ;   in Loop: Header=BB6_5830 Depth=4
	v_cmp_lt_i32_e32 vcc_lo, -1, v0
	v_mov_b32_e32 v0, 0x7c
	s_delay_alu instid0(VALU_DEP_1)
	v_cndmask_b32_e32 v41, 0xfc, v0, vcc_lo
; %bb.8557:                             ;   in Loop: Header=BB6_5830 Depth=4
	s_or_b32 exec_lo, exec_lo, s74
.LBB6_8558:                             ;   in Loop: Header=BB6_5830 Depth=4
	s_delay_alu instid0(SALU_CYCLE_1) | instskip(SKIP_3) | instid1(VALU_DEP_1)
	s_or_b32 exec_lo, exec_lo, s13
	v_lshl_or_b32 v102, v102, 8, v99
	v_dual_lshlrev_b32 v0, 16, v116 :: v_dual_lshlrev_b32 v1, 24, v119
	s_mov_b32 s74, exec_lo
	v_or3_b32 v112, v0, v1, v102
	v_dual_mov_b32 v1, 0 :: v_dual_mov_b32 v0, 0
	v_cmpx_ne_u32_e32 0, v99
	s_cbranch_execz .LBB6_8568
; %bb.8559:                             ;   in Loop: Header=BB6_5830 Depth=4
	v_bfrev_b32_e32 v0, 1
	s_mov_b32 s75, exec_lo
	v_cmpx_ne_u32_e32 0x80, v99
	s_cbranch_execz .LBB6_8567
; %bb.8560:                             ;   in Loop: Header=BB6_5830 Depth=4
	v_and_b32_e32 v0, 0x7c, v99
	v_and_b32_e32 v2, 3, v99
	s_delay_alu instid0(VALU_DEP_2) | instskip(SKIP_1) | instid1(SALU_CYCLE_1)
	v_cmp_ne_u32_e32 vcc_lo, 0x7c, v0
                                        ; implicit-def: $vgpr0
	s_and_saveexec_b32 s13, vcc_lo
	s_xor_b32 s13, exec_lo, s13
	s_cbranch_execz .LBB6_8564
; %bb.8561:                             ;   in Loop: Header=BB6_5830 Depth=4
	v_bfe_u32 v0, v99, 2, 5
	s_mov_b32 s76, exec_lo
	s_delay_alu instid0(VALU_DEP_1)
	v_cmpx_eq_u32_e32 0, v0
; %bb.8562:                             ;   in Loop: Header=BB6_5830 Depth=4
	v_clz_i32_u32_e32 v0, v2
	s_delay_alu instid0(VALU_DEP_1) | instskip(NEXT) | instid1(VALU_DEP_1)
	v_min_u32_e32 v0, 32, v0
	v_subrev_nc_u32_e32 v2, 29, v0
	s_delay_alu instid0(VALU_DEP_1) | instskip(NEXT) | instid1(VALU_DEP_1)
	v_lshlrev_b64_e32 v[2:3], v2, v[112:113]
	v_dual_sub_nc_u32 v0, 30, v0 :: v_dual_bitop2_b32 v2, 3, v2 bitop3:0x40
; %bb.8563:                             ;   in Loop: Header=BB6_5830 Depth=4
	s_or_b32 exec_lo, exec_lo, s76
	v_lshlrev_b32_e32 v3, 24, v99
                                        ; implicit-def: $vgpr99
	s_delay_alu instid0(VALU_DEP_1) | instskip(NEXT) | instid1(VALU_DEP_1)
	v_and_b32_e32 v3, 0x80000000, v3
	v_lshl_add_u32 v0, v0, 23, v3
	s_delay_alu instid0(VALU_DEP_1) | instskip(NEXT) | instid1(VALU_DEP_1)
	v_lshl_or_b32 v0, v2, 21, v0
                                        ; implicit-def: $vgpr2
	v_add_nc_u32_e32 v0, 0x38000000, v0
.LBB6_8564:                             ;   in Loop: Header=BB6_5830 Depth=4
	s_and_not1_saveexec_b32 s76, s13
; %bb.8565:                             ;   in Loop: Header=BB6_5830 Depth=4
	v_and_b32_e32 v0, 0x80, v99
	v_cmp_eq_u32_e32 vcc_lo, 0, v2
	s_delay_alu instid0(VALU_DEP_2) | instskip(SKIP_1) | instid1(VALU_DEP_1)
	v_cmp_eq_u32_e64 s13, 0, v0
	v_mov_b32_e32 v0, 0x7f800000
	v_cndmask_b32_e64 v0, 0xff800000, v0, s13
	s_delay_alu instid0(VALU_DEP_1)
	v_cndmask_b32_e32 v0, 0x7f800001, v0, vcc_lo
; %bb.8566:                             ;   in Loop: Header=BB6_5830 Depth=4
	s_or_b32 exec_lo, exec_lo, s76
.LBB6_8567:                             ;   in Loop: Header=BB6_5830 Depth=4
	s_delay_alu instid0(SALU_CYCLE_1)
	s_or_b32 exec_lo, exec_lo, s75
.LBB6_8568:                             ;   in Loop: Header=BB6_5830 Depth=4
	s_delay_alu instid0(SALU_CYCLE_1) | instskip(SKIP_2) | instid1(VALU_DEP_1)
	s_or_b32 exec_lo, exec_lo, s74
	v_and_b32_e32 v2, 0xff, v17
	s_mov_b32 s74, exec_lo
	v_cmpx_ne_u16_e32 0, v2
	s_cbranch_execz .LBB6_8578
; %bb.8569:                             ;   in Loop: Header=BB6_5830 Depth=4
	v_bfrev_b32_e32 v1, 1
	s_mov_b32 s75, exec_lo
	v_cmpx_ne_u16_e32 0x80, v2
	s_cbranch_execz .LBB6_8577
; %bb.8570:                             ;   in Loop: Header=BB6_5830 Depth=4
	v_and_b32_e32 v1, 0x7c, v17
	v_and_b32_e32 v2, 3, v17
	s_delay_alu instid0(VALU_DEP_2) | instskip(SKIP_1) | instid1(SALU_CYCLE_1)
	v_cmp_ne_u32_e32 vcc_lo, 0x7c, v1
                                        ; implicit-def: $vgpr1
	s_and_saveexec_b32 s13, vcc_lo
	s_xor_b32 s13, exec_lo, s13
	s_cbranch_execz .LBB6_8574
; %bb.8571:                             ;   in Loop: Header=BB6_5830 Depth=4
	v_bfe_u32 v1, v17, 2, 5
	s_mov_b32 s76, exec_lo
	s_delay_alu instid0(VALU_DEP_1)
	v_cmpx_eq_u32_e32 0, v1
; %bb.8572:                             ;   in Loop: Header=BB6_5830 Depth=4
	v_clz_i32_u32_e32 v1, v2
	v_dual_mov_b32 v2, v17 :: v_dual_mov_b32 v3, v113
	s_delay_alu instid0(VALU_DEP_2) | instskip(NEXT) | instid1(VALU_DEP_1)
	v_min_u32_e32 v1, 32, v1
	v_subrev_nc_u32_e32 v99, 29, v1
	s_delay_alu instid0(VALU_DEP_1) | instskip(NEXT) | instid1(VALU_DEP_1)
	v_lshlrev_b64_e32 v[2:3], v99, v[2:3]
	v_dual_sub_nc_u32 v1, 30, v1 :: v_dual_bitop2_b32 v2, 3, v2 bitop3:0x40
; %bb.8573:                             ;   in Loop: Header=BB6_5830 Depth=4
	s_or_b32 exec_lo, exec_lo, s76
	v_lshlrev_b32_e32 v3, 24, v17
	s_delay_alu instid0(VALU_DEP_1) | instskip(NEXT) | instid1(VALU_DEP_1)
	v_and_b32_e32 v3, 0x80000000, v3
	v_lshl_add_u32 v1, v1, 23, v3
	s_delay_alu instid0(VALU_DEP_1) | instskip(NEXT) | instid1(VALU_DEP_1)
	v_lshl_or_b32 v1, v2, 21, v1
                                        ; implicit-def: $vgpr2
	v_add_nc_u32_e32 v1, 0x38000000, v1
.LBB6_8574:                             ;   in Loop: Header=BB6_5830 Depth=4
	s_and_not1_saveexec_b32 s76, s13
; %bb.8575:                             ;   in Loop: Header=BB6_5830 Depth=4
	v_bfe_i32 v1, v17, 0, 8
	v_cmp_eq_u32_e32 vcc_lo, 0, v2
	s_delay_alu instid0(VALU_DEP_2) | instskip(SKIP_1) | instid1(VALU_DEP_1)
	v_cmp_lt_i16_e64 s13, -1, v1
	v_mov_b32_e32 v1, 0x7f800000
	v_cndmask_b32_e64 v1, 0xff800000, v1, s13
	s_delay_alu instid0(VALU_DEP_1)
	v_cndmask_b32_e32 v1, 0x7f800001, v1, vcc_lo
; %bb.8576:                             ;   in Loop: Header=BB6_5830 Depth=4
	s_or_b32 exec_lo, exec_lo, s76
.LBB6_8577:                             ;   in Loop: Header=BB6_5830 Depth=4
	s_delay_alu instid0(SALU_CYCLE_1)
	s_or_b32 exec_lo, exec_lo, s75
.LBB6_8578:                             ;   in Loop: Header=BB6_5830 Depth=4
	s_delay_alu instid0(SALU_CYCLE_1) | instskip(NEXT) | instid1(VALU_DEP_1)
	s_or_b32 exec_lo, exec_lo, s74
	v_dual_add_f32 v2, v0, v1 :: v_dual_mov_b32 v47, v113
	v_mov_b32_e32 v1, v113
                                        ; implicit-def: $vgpr99
	s_mov_b32 s13, exec_lo
	s_delay_alu instid0(VALU_DEP_2) | instskip(SKIP_2) | instid1(VALU_DEP_3)
	v_and_b32_e32 v46, 0x7f800000, v2
	v_and_b32_e32 v0, 0x7fffff, v2
	v_lshrrev_b32_e32 v3, 24, v2
	v_cmpx_ne_u64_e32 0x7f800000, v[46:47]
	s_xor_b32 s74, exec_lo, s13
	s_cbranch_execz .LBB6_8592
; %bb.8579:                             ;   in Loop: Header=BB6_5830 Depth=4
	v_and_b32_e32 v46, 0x7fffffff, v2
	v_mov_b32_e32 v47, v113
	v_and_b32_e32 v116, 0x80, v3
                                        ; implicit-def: $vgpr99
	s_mov_b32 s13, exec_lo
	s_delay_alu instid0(VALU_DEP_2)
	v_cmpx_gt_u64_e32 0x47600001, v[46:47]
	s_xor_b32 s75, exec_lo, s13
	s_cbranch_execz .LBB6_8589
; %bb.8580:                             ;   in Loop: Header=BB6_5830 Depth=4
	v_mov_b32_e32 v99, 0
	s_mov_b32 s76, exec_lo
	v_cmpx_ne_u32_e32 0, v2
	s_cbranch_execz .LBB6_8588
; %bb.8581:                             ;   in Loop: Header=BB6_5830 Depth=4
	v_bfe_u32 v99, v2, 23, 8
	v_or_b32_e32 v3, 0x800000, v0
	s_delay_alu instid0(VALU_DEP_2) | instskip(SKIP_2) | instid1(VALU_DEP_2)
	v_cmp_gt_u32_e64 s13, 0x72, v99
	v_sub_nc_u32_e32 v2, 0x71, v99
	v_cmp_eq_u32_e32 vcc_lo, 0, v99
	v_dual_cndmask_b32 v2, 0, v2, s13 :: v_dual_cndmask_b32 v0, v3, v0, vcc_lo
	s_delay_alu instid0(VALU_DEP_1) | instskip(NEXT) | instid1(VALU_DEP_1)
	v_cndmask_b32_e64 v119, v2, 0x70, vcc_lo
	v_dual_add_nc_u32 v2, 21, v119 :: v_dual_add_nc_u32 v43, 20, v119
	s_delay_alu instid0(VALU_DEP_1) | instskip(NEXT) | instid1(VALU_DEP_2)
	v_lshlrev_b64_e64 v[2:3], v2, -1
	v_lshlrev_b64_e64 v[46:47], v43, 1
	s_delay_alu instid0(VALU_DEP_2) | instskip(SKIP_1) | instid1(VALU_DEP_4)
	v_bfi_b32 v2, v2, 0, v0
	v_lshrrev_b64 v[0:1], v119, v[0:1]
	v_bfi_b32 v3, v3, 0, 0
	s_delay_alu instid0(VALU_DEP_1) | instskip(NEXT) | instid1(VALU_DEP_3)
	v_cmp_eq_u64_e64 s13, v[2:3], v[46:47]
	v_mov_b64_e32 v[2:3], v[0:1]
	s_and_saveexec_b32 s77, s13
; %bb.8582:                             ;   in Loop: Header=BB6_5830 Depth=4
	v_bfe_u32 v2, v0, 21, 1
	v_mov_b32_e32 v3, v113
	s_delay_alu instid0(VALU_DEP_1) | instskip(NEXT) | instid1(VALU_DEP_1)
	v_add_nc_u64_e32 v[2:3], v[0:1], v[2:3]
	v_add_nc_u64_e32 v[2:3], -1, v[2:3]
; %bb.8583:                             ;   in Loop: Header=BB6_5830 Depth=4
	s_or_b32 exec_lo, exec_lo, s77
	v_add_nc_u32_e32 v1, 0xffffff81, v99
	v_lshrrev_b32_e32 v3, 23, v0
	s_mov_b32 s13, exec_lo
	s_delay_alu instid0(VALU_DEP_2) | instskip(NEXT) | instid1(VALU_DEP_1)
	v_cndmask_b32_e64 v1, v1, 0xffffff82, vcc_lo
	v_add3_u32 v99, v119, v1, v3
	v_and_b32_e32 v1, 0x1fffff, v2
                                        ; implicit-def: $vgpr2
	s_delay_alu instid0(VALU_DEP_1) | instskip(SKIP_1) | instid1(VALU_DEP_2)
	v_dual_add_nc_u32 v3, 14, v99 :: v_dual_add_nc_u32 v0, v1, v0
	v_mov_b32_e32 v1, v113
	v_cmpx_ne_u32_e32 0, v3
	s_xor_b32 s13, exec_lo, s13
; %bb.8584:                             ;   in Loop: Header=BB6_5830 Depth=4
	s_delay_alu instid0(VALU_DEP_2) | instskip(SKIP_1) | instid1(VALU_DEP_1)
	v_cmp_lt_u64_e32 vcc_lo, 0xffffff, v[0:1]
	v_add_nc_u32_e32 v2, 15, v99
	v_cndmask_b32_e32 v2, v3, v2, vcc_lo
	v_cndmask_b32_e64 v3, 0, 1, vcc_lo
	s_delay_alu instid0(VALU_DEP_1)
	v_lshrrev_b64 v[0:1], v3, v[0:1]
; %bb.8585:                             ;   in Loop: Header=BB6_5830 Depth=4
	s_and_not1_saveexec_b32 s13, s13
; %bb.8586:                             ;   in Loop: Header=BB6_5830 Depth=4
	s_delay_alu instid0(VALU_DEP_1)
	v_bfe_u32 v2, v0, 23, 1
; %bb.8587:                             ;   in Loop: Header=BB6_5830 Depth=4
	s_or_b32 exec_lo, exec_lo, s13
	s_delay_alu instid0(VALU_DEP_2) | instskip(NEXT) | instid1(VALU_DEP_2)
	v_lshrrev_b64 v[0:1], 21, v[0:1]
	v_cmp_gt_i32_e32 vcc_lo, 32, v2
	v_min_i32_e32 v3, 31, v2
	v_cmp_eq_u32_e64 s13, 0, v2
	s_delay_alu instid0(VALU_DEP_2) | instskip(SKIP_1) | instid1(VALU_DEP_2)
	v_dual_cndmask_b32 v1, 0, v1, vcc_lo :: v_dual_lshlrev_b32 v3, 2, v3
	v_cndmask_b32_e32 v0, 3, v0, vcc_lo
	v_and_b32_e32 v3, 0xfc, v3
	s_delay_alu instid0(VALU_DEP_2) | instskip(NEXT) | instid1(VALU_DEP_2)
	v_cmp_eq_u64_e32 vcc_lo, 0, v[0:1]
	v_and_or_b32 v0, v0, 3, v3
	s_and_b32 s13, s13, vcc_lo
	s_delay_alu instid0(VALU_DEP_1) | instid1(SALU_CYCLE_1)
	v_cndmask_b32_e64 v0, v0, 0, s13
	s_delay_alu instid0(VALU_DEP_1)
	v_or_b32_e32 v99, v0, v116
.LBB6_8588:                             ;   in Loop: Header=BB6_5830 Depth=4
	s_or_b32 exec_lo, exec_lo, s76
                                        ; implicit-def: $vgpr116
.LBB6_8589:                             ;   in Loop: Header=BB6_5830 Depth=4
	s_and_not1_saveexec_b32 s13, s75
; %bb.8590:                             ;   in Loop: Header=BB6_5830 Depth=4
	v_or_b32_e32 v99, 0x7b, v116
; %bb.8591:                             ;   in Loop: Header=BB6_5830 Depth=4
	s_or_b32 exec_lo, exec_lo, s13
                                        ; implicit-def: $vgpr2
                                        ; implicit-def: $vgpr0_vgpr1
                                        ; implicit-def: $vgpr3
.LBB6_8592:                             ;   in Loop: Header=BB6_5830 Depth=4
	s_and_not1_saveexec_b32 s13, s74
	s_cbranch_execz .LBB6_8598
; %bb.8593:                             ;   in Loop: Header=BB6_5830 Depth=4
	s_mov_b32 s74, exec_lo
                                        ; implicit-def: $vgpr99
	v_cmpx_ne_u64_e32 0, v[0:1]
	s_xor_b32 s74, exec_lo, s74
; %bb.8594:                             ;   in Loop: Header=BB6_5830 Depth=4
	v_or_b32_e32 v99, 0x7f, v3
                                        ; implicit-def: $vgpr2
; %bb.8595:                             ;   in Loop: Header=BB6_5830 Depth=4
	s_and_not1_saveexec_b32 s74, s74
; %bb.8596:                             ;   in Loop: Header=BB6_5830 Depth=4
	v_cmp_lt_i32_e32 vcc_lo, -1, v2
	v_mov_b32_e32 v0, 0x7c
	s_delay_alu instid0(VALU_DEP_1)
	v_cndmask_b32_e32 v99, 0xfc, v0, vcc_lo
; %bb.8597:                             ;   in Loop: Header=BB6_5830 Depth=4
	s_or_b32 exec_lo, exec_lo, s74
.LBB6_8598:                             ;   in Loop: Header=BB6_5830 Depth=4
	s_delay_alu instid0(SALU_CYCLE_1) | instskip(SKIP_3) | instid1(VALU_DEP_2)
	s_or_b32 exec_lo, exec_lo, s13
	v_lshrrev_b16 v0, 8, v102
	v_dual_mov_b32 v2, 0 :: v_dual_mov_b32 v3, 0
	s_mov_b32 s74, exec_lo
	v_cmpx_ne_u16_e32 0, v0
	s_cbranch_execz .LBB6_8608
; %bb.8599:                             ;   in Loop: Header=BB6_5830 Depth=4
	v_bfrev_b32_e32 v3, 1
	s_mov_b32 s75, exec_lo
	v_cmpx_ne_u16_e32 0x80, v0
	s_cbranch_execz .LBB6_8607
; %bb.8600:                             ;   in Loop: Header=BB6_5830 Depth=4
	v_and_b32_e32 v116, 0xffff, v0
	s_delay_alu instid0(VALU_DEP_1) | instskip(SKIP_1) | instid1(VALU_DEP_2)
	v_and_b32_e32 v3, 0x7c, v116
	v_and_b32_e32 v1, 3, v116
	v_cmp_ne_u32_e32 vcc_lo, 0x7c, v3
                                        ; implicit-def: $vgpr3
	s_and_saveexec_b32 s13, vcc_lo
	s_delay_alu instid0(SALU_CYCLE_1)
	s_xor_b32 s13, exec_lo, s13
	s_cbranch_execz .LBB6_8604
; %bb.8601:                             ;   in Loop: Header=BB6_5830 Depth=4
	v_bfe_u32 v3, v116, 2, 5
	s_mov_b32 s76, exec_lo
	s_delay_alu instid0(VALU_DEP_1)
	v_cmpx_eq_u32_e32 0, v3
	s_cbranch_execz .LBB6_8603
; %bb.8602:                             ;   in Loop: Header=BB6_5830 Depth=4
	v_clz_i32_u32_e32 v1, v1
	s_delay_alu instid0(VALU_DEP_1) | instskip(SKIP_1) | instid1(VALU_DEP_2)
	v_min_u32_e32 v3, 32, v1
	v_mov_b32_e32 v1, v113
	v_subrev_nc_u32_e32 v116, 29, v3
	v_sub_nc_u32_e32 v3, 30, v3
	s_delay_alu instid0(VALU_DEP_2) | instskip(NEXT) | instid1(VALU_DEP_1)
	v_lshlrev_b64_e32 v[0:1], v116, v[0:1]
	v_and_b32_e32 v1, 3, v0
.LBB6_8603:                             ;   in Loop: Header=BB6_5830 Depth=4
	s_or_b32 exec_lo, exec_lo, s76
	v_lshlrev_b32_e32 v0, 16, v102
                                        ; implicit-def: $vgpr102
	s_delay_alu instid0(VALU_DEP_1) | instskip(NEXT) | instid1(VALU_DEP_1)
	v_and_b32_e32 v0, 0x80000000, v0
	v_lshl_add_u32 v0, v3, 23, v0
	s_delay_alu instid0(VALU_DEP_1) | instskip(NEXT) | instid1(VALU_DEP_1)
	v_lshl_or_b32 v0, v1, 21, v0
                                        ; implicit-def: $vgpr1
	v_add_nc_u32_e32 v3, 0x38000000, v0
.LBB6_8604:                             ;   in Loop: Header=BB6_5830 Depth=4
	s_and_not1_saveexec_b32 s76, s13
; %bb.8605:                             ;   in Loop: Header=BB6_5830 Depth=4
	v_cmp_lt_i16_e64 s13, -1, v102
	v_mov_b32_e32 v0, 0x7f800000
	v_cmp_eq_u32_e32 vcc_lo, 0, v1
	s_delay_alu instid0(VALU_DEP_2) | instskip(NEXT) | instid1(VALU_DEP_1)
	v_cndmask_b32_e64 v0, 0xff800000, v0, s13
	v_cndmask_b32_e32 v3, 0x7f800001, v0, vcc_lo
; %bb.8606:                             ;   in Loop: Header=BB6_5830 Depth=4
	s_or_b32 exec_lo, exec_lo, s76
.LBB6_8607:                             ;   in Loop: Header=BB6_5830 Depth=4
	s_delay_alu instid0(SALU_CYCLE_1)
	s_or_b32 exec_lo, exec_lo, s75
.LBB6_8608:                             ;   in Loop: Header=BB6_5830 Depth=4
	s_delay_alu instid0(SALU_CYCLE_1) | instskip(SKIP_2) | instid1(VALU_DEP_1)
	s_or_b32 exec_lo, exec_lo, s74
	v_lshrrev_b16 v0, 8, v17
	s_mov_b32 s74, exec_lo
	v_cmpx_ne_u16_e32 0, v0
	s_cbranch_execz .LBB6_8618
; %bb.8609:                             ;   in Loop: Header=BB6_5830 Depth=4
	v_bfrev_b32_e32 v2, 1
	s_mov_b32 s75, exec_lo
	v_cmpx_ne_u16_e32 0x80, v0
	s_cbranch_execz .LBB6_8617
; %bb.8610:                             ;   in Loop: Header=BB6_5830 Depth=4
	v_and_b32_e32 v102, 0xffff, v0
	s_delay_alu instid0(VALU_DEP_1) | instskip(SKIP_1) | instid1(VALU_DEP_2)
	v_and_b32_e32 v2, 0x7c, v102
	v_and_b32_e32 v1, 3, v102
	v_cmp_ne_u32_e32 vcc_lo, 0x7c, v2
                                        ; implicit-def: $vgpr2
	s_and_saveexec_b32 s13, vcc_lo
	s_delay_alu instid0(SALU_CYCLE_1)
	s_xor_b32 s13, exec_lo, s13
	s_cbranch_execz .LBB6_8614
; %bb.8611:                             ;   in Loop: Header=BB6_5830 Depth=4
	v_bfe_u32 v2, v102, 2, 5
	s_mov_b32 s76, exec_lo
	s_delay_alu instid0(VALU_DEP_1)
	v_cmpx_eq_u32_e32 0, v2
	s_cbranch_execz .LBB6_8613
; %bb.8612:                             ;   in Loop: Header=BB6_5830 Depth=4
	v_clz_i32_u32_e32 v1, v1
	s_delay_alu instid0(VALU_DEP_1) | instskip(SKIP_1) | instid1(VALU_DEP_2)
	v_min_u32_e32 v2, 32, v1
	v_mov_b32_e32 v1, v113
	v_subrev_nc_u32_e32 v102, 29, v2
	v_sub_nc_u32_e32 v2, 30, v2
	s_delay_alu instid0(VALU_DEP_2) | instskip(NEXT) | instid1(VALU_DEP_1)
	v_lshlrev_b64_e32 v[0:1], v102, v[0:1]
	v_and_b32_e32 v1, 3, v0
.LBB6_8613:                             ;   in Loop: Header=BB6_5830 Depth=4
	s_or_b32 exec_lo, exec_lo, s76
	v_lshlrev_b32_e32 v0, 16, v17
	s_delay_alu instid0(VALU_DEP_1) | instskip(NEXT) | instid1(VALU_DEP_1)
	v_and_b32_e32 v0, 0x80000000, v0
	v_lshl_add_u32 v0, v2, 23, v0
	s_delay_alu instid0(VALU_DEP_1) | instskip(NEXT) | instid1(VALU_DEP_1)
	v_lshl_or_b32 v0, v1, 21, v0
                                        ; implicit-def: $vgpr1
	v_add_nc_u32_e32 v2, 0x38000000, v0
.LBB6_8614:                             ;   in Loop: Header=BB6_5830 Depth=4
	s_and_not1_saveexec_b32 s76, s13
; %bb.8615:                             ;   in Loop: Header=BB6_5830 Depth=4
	v_cmp_lt_i16_e64 s13, -1, v17
	v_mov_b32_e32 v0, 0x7f800000
	v_cmp_eq_u32_e32 vcc_lo, 0, v1
	s_delay_alu instid0(VALU_DEP_2) | instskip(NEXT) | instid1(VALU_DEP_1)
	v_cndmask_b32_e64 v0, 0xff800000, v0, s13
	v_cndmask_b32_e32 v2, 0x7f800001, v0, vcc_lo
; %bb.8616:                             ;   in Loop: Header=BB6_5830 Depth=4
	s_or_b32 exec_lo, exec_lo, s76
.LBB6_8617:                             ;   in Loop: Header=BB6_5830 Depth=4
	s_delay_alu instid0(SALU_CYCLE_1)
	s_or_b32 exec_lo, exec_lo, s75
.LBB6_8618:                             ;   in Loop: Header=BB6_5830 Depth=4
	s_delay_alu instid0(SALU_CYCLE_1) | instskip(NEXT) | instid1(VALU_DEP_1)
	s_or_b32 exec_lo, exec_lo, s74
	v_dual_add_f32 v2, v3, v2 :: v_dual_mov_b32 v47, v113
	v_mov_b32_e32 v1, v113
                                        ; implicit-def: $vgpr102
	s_mov_b32 s13, exec_lo
	s_delay_alu instid0(VALU_DEP_2) | instskip(SKIP_2) | instid1(VALU_DEP_3)
	v_and_b32_e32 v46, 0x7f800000, v2
	v_and_b32_e32 v0, 0x7fffff, v2
	v_lshrrev_b32_e32 v3, 24, v2
	v_cmpx_ne_u64_e32 0x7f800000, v[46:47]
	s_xor_b32 s74, exec_lo, s13
	s_cbranch_execz .LBB6_8632
; %bb.8619:                             ;   in Loop: Header=BB6_5830 Depth=4
	v_and_b32_e32 v46, 0x7fffffff, v2
	v_mov_b32_e32 v47, v113
	v_and_b32_e32 v116, 0x80, v3
                                        ; implicit-def: $vgpr102
	s_mov_b32 s13, exec_lo
	s_delay_alu instid0(VALU_DEP_2)
	v_cmpx_gt_u64_e32 0x47600001, v[46:47]
	s_xor_b32 s75, exec_lo, s13
	s_cbranch_execz .LBB6_8629
; %bb.8620:                             ;   in Loop: Header=BB6_5830 Depth=4
	v_mov_b32_e32 v102, 0
	s_mov_b32 s76, exec_lo
	v_cmpx_ne_u32_e32 0, v2
	s_cbranch_execz .LBB6_8628
; %bb.8621:                             ;   in Loop: Header=BB6_5830 Depth=4
	v_bfe_u32 v102, v2, 23, 8
	v_or_b32_e32 v3, 0x800000, v0
	s_delay_alu instid0(VALU_DEP_2) | instskip(SKIP_2) | instid1(VALU_DEP_2)
	v_cmp_gt_u32_e64 s13, 0x72, v102
	v_sub_nc_u32_e32 v2, 0x71, v102
	v_cmp_eq_u32_e32 vcc_lo, 0, v102
	v_dual_cndmask_b32 v2, 0, v2, s13 :: v_dual_cndmask_b32 v0, v3, v0, vcc_lo
	s_delay_alu instid0(VALU_DEP_1) | instskip(NEXT) | instid1(VALU_DEP_1)
	v_cndmask_b32_e64 v119, v2, 0x70, vcc_lo
	v_dual_add_nc_u32 v2, 21, v119 :: v_dual_add_nc_u32 v43, 20, v119
	s_delay_alu instid0(VALU_DEP_1) | instskip(NEXT) | instid1(VALU_DEP_2)
	v_lshlrev_b64_e64 v[2:3], v2, -1
	v_lshlrev_b64_e64 v[46:47], v43, 1
	s_delay_alu instid0(VALU_DEP_2) | instskip(SKIP_1) | instid1(VALU_DEP_4)
	v_bfi_b32 v2, v2, 0, v0
	v_lshrrev_b64 v[0:1], v119, v[0:1]
	v_bfi_b32 v3, v3, 0, 0
	s_delay_alu instid0(VALU_DEP_1) | instskip(NEXT) | instid1(VALU_DEP_3)
	v_cmp_eq_u64_e64 s13, v[2:3], v[46:47]
	v_mov_b64_e32 v[2:3], v[0:1]
	s_and_saveexec_b32 s77, s13
; %bb.8622:                             ;   in Loop: Header=BB6_5830 Depth=4
	v_bfe_u32 v2, v0, 21, 1
	v_mov_b32_e32 v3, v113
	s_delay_alu instid0(VALU_DEP_1) | instskip(NEXT) | instid1(VALU_DEP_1)
	v_add_nc_u64_e32 v[2:3], v[0:1], v[2:3]
	v_add_nc_u64_e32 v[2:3], -1, v[2:3]
; %bb.8623:                             ;   in Loop: Header=BB6_5830 Depth=4
	s_or_b32 exec_lo, exec_lo, s77
	v_add_nc_u32_e32 v1, 0xffffff81, v102
	v_lshrrev_b32_e32 v3, 23, v0
	s_mov_b32 s13, exec_lo
	s_delay_alu instid0(VALU_DEP_2) | instskip(NEXT) | instid1(VALU_DEP_1)
	v_cndmask_b32_e64 v1, v1, 0xffffff82, vcc_lo
	v_add3_u32 v102, v119, v1, v3
	v_and_b32_e32 v1, 0x1fffff, v2
                                        ; implicit-def: $vgpr2
	s_delay_alu instid0(VALU_DEP_1) | instskip(SKIP_1) | instid1(VALU_DEP_2)
	v_dual_add_nc_u32 v3, 14, v102 :: v_dual_add_nc_u32 v0, v1, v0
	v_mov_b32_e32 v1, v113
	v_cmpx_ne_u32_e32 0, v3
	s_xor_b32 s13, exec_lo, s13
; %bb.8624:                             ;   in Loop: Header=BB6_5830 Depth=4
	s_delay_alu instid0(VALU_DEP_2) | instskip(SKIP_1) | instid1(VALU_DEP_1)
	v_cmp_lt_u64_e32 vcc_lo, 0xffffff, v[0:1]
	v_add_nc_u32_e32 v2, 15, v102
	v_cndmask_b32_e32 v2, v3, v2, vcc_lo
	v_cndmask_b32_e64 v3, 0, 1, vcc_lo
	s_delay_alu instid0(VALU_DEP_1)
	v_lshrrev_b64 v[0:1], v3, v[0:1]
; %bb.8625:                             ;   in Loop: Header=BB6_5830 Depth=4
	s_and_not1_saveexec_b32 s13, s13
; %bb.8626:                             ;   in Loop: Header=BB6_5830 Depth=4
	s_delay_alu instid0(VALU_DEP_1)
	v_bfe_u32 v2, v0, 23, 1
; %bb.8627:                             ;   in Loop: Header=BB6_5830 Depth=4
	s_or_b32 exec_lo, exec_lo, s13
	s_delay_alu instid0(VALU_DEP_2) | instskip(NEXT) | instid1(VALU_DEP_2)
	v_lshrrev_b64 v[0:1], 21, v[0:1]
	v_cmp_gt_i32_e32 vcc_lo, 32, v2
	v_min_i32_e32 v3, 31, v2
	v_cmp_eq_u32_e64 s13, 0, v2
	s_delay_alu instid0(VALU_DEP_2) | instskip(SKIP_1) | instid1(VALU_DEP_2)
	v_dual_cndmask_b32 v1, 0, v1, vcc_lo :: v_dual_lshlrev_b32 v3, 2, v3
	v_cndmask_b32_e32 v0, 3, v0, vcc_lo
	v_and_b32_e32 v3, 0xfc, v3
	s_delay_alu instid0(VALU_DEP_2) | instskip(NEXT) | instid1(VALU_DEP_2)
	v_cmp_eq_u64_e32 vcc_lo, 0, v[0:1]
	v_and_or_b32 v0, v0, 3, v3
	s_and_b32 s13, s13, vcc_lo
	s_delay_alu instid0(VALU_DEP_1) | instid1(SALU_CYCLE_1)
	v_cndmask_b32_e64 v0, v0, 0, s13
	s_delay_alu instid0(VALU_DEP_1)
	v_or_b32_e32 v102, v0, v116
.LBB6_8628:                             ;   in Loop: Header=BB6_5830 Depth=4
	s_or_b32 exec_lo, exec_lo, s76
                                        ; implicit-def: $vgpr116
.LBB6_8629:                             ;   in Loop: Header=BB6_5830 Depth=4
	s_and_not1_saveexec_b32 s13, s75
; %bb.8630:                             ;   in Loop: Header=BB6_5830 Depth=4
	v_or_b32_e32 v102, 0x7b, v116
; %bb.8631:                             ;   in Loop: Header=BB6_5830 Depth=4
	s_or_b32 exec_lo, exec_lo, s13
                                        ; implicit-def: $vgpr2
                                        ; implicit-def: $vgpr0_vgpr1
                                        ; implicit-def: $vgpr3
.LBB6_8632:                             ;   in Loop: Header=BB6_5830 Depth=4
	s_and_not1_saveexec_b32 s13, s74
	s_cbranch_execz .LBB6_8638
; %bb.8633:                             ;   in Loop: Header=BB6_5830 Depth=4
	s_mov_b32 s74, exec_lo
                                        ; implicit-def: $vgpr102
	v_cmpx_ne_u64_e32 0, v[0:1]
	s_xor_b32 s74, exec_lo, s74
; %bb.8634:                             ;   in Loop: Header=BB6_5830 Depth=4
	v_or_b32_e32 v102, 0x7f, v3
                                        ; implicit-def: $vgpr2
; %bb.8635:                             ;   in Loop: Header=BB6_5830 Depth=4
	s_and_not1_saveexec_b32 s74, s74
; %bb.8636:                             ;   in Loop: Header=BB6_5830 Depth=4
	v_cmp_lt_i32_e32 vcc_lo, -1, v2
	v_mov_b32_e32 v0, 0x7c
	s_delay_alu instid0(VALU_DEP_1)
	v_cndmask_b32_e32 v102, 0xfc, v0, vcc_lo
; %bb.8637:                             ;   in Loop: Header=BB6_5830 Depth=4
	s_or_b32 exec_lo, exec_lo, s74
.LBB6_8638:                             ;   in Loop: Header=BB6_5830 Depth=4
	s_delay_alu instid0(SALU_CYCLE_1) | instskip(SKIP_3) | instid1(VALU_DEP_2)
	s_or_b32 exec_lo, exec_lo, s13
	v_dual_mov_b32 v1, 0 :: v_dual_lshrrev_b32 v0, 16, v112
	v_mov_b32_e32 v2, 0
	s_mov_b32 s74, exec_lo
	v_and_b32_e32 v3, 0xff, v0
	s_delay_alu instid0(VALU_DEP_1)
	v_cmpx_ne_u16_e32 0, v3
	s_cbranch_execz .LBB6_8648
; %bb.8639:                             ;   in Loop: Header=BB6_5830 Depth=4
	v_bfrev_b32_e32 v2, 1
	s_mov_b32 s75, exec_lo
	v_cmpx_ne_u16_e32 0x80, v3
	s_cbranch_execz .LBB6_8647
; %bb.8640:                             ;   in Loop: Header=BB6_5830 Depth=4
	v_and_b32_e32 v2, 0x7c0000, v112
	v_bfe_u32 v3, v112, 16, 2
	s_delay_alu instid0(VALU_DEP_2) | instskip(SKIP_1) | instid1(SALU_CYCLE_1)
	v_cmp_ne_u32_e32 vcc_lo, 0x7c0000, v2
                                        ; implicit-def: $vgpr2
	s_and_saveexec_b32 s13, vcc_lo
	s_xor_b32 s13, exec_lo, s13
	s_cbranch_execz .LBB6_8644
; %bb.8641:                             ;   in Loop: Header=BB6_5830 Depth=4
	v_bfe_u32 v2, v112, 18, 5
	s_mov_b32 s76, exec_lo
	s_delay_alu instid0(VALU_DEP_1)
	v_cmpx_eq_u32_e32 0, v2
; %bb.8642:                             ;   in Loop: Header=BB6_5830 Depth=4
	v_clz_i32_u32_e32 v2, v3
	s_delay_alu instid0(VALU_DEP_1) | instskip(NEXT) | instid1(VALU_DEP_1)
	v_min_u32_e32 v2, 32, v2
	v_subrev_nc_u32_e32 v3, 29, v2
	v_sub_nc_u32_e32 v2, 30, v2
	s_delay_alu instid0(VALU_DEP_2) | instskip(NEXT) | instid1(VALU_DEP_1)
	v_lshlrev_b64_e32 v[46:47], v3, v[0:1]
	v_and_b32_e32 v3, 3, v46
; %bb.8643:                             ;   in Loop: Header=BB6_5830 Depth=4
	s_or_b32 exec_lo, exec_lo, s76
	v_lshlrev_b32_e32 v0, 24, v0
	s_delay_alu instid0(VALU_DEP_1) | instskip(NEXT) | instid1(VALU_DEP_1)
	v_and_b32_e32 v0, 0x80000000, v0
	v_lshl_add_u32 v0, v2, 23, v0
	s_delay_alu instid0(VALU_DEP_1) | instskip(NEXT) | instid1(VALU_DEP_1)
	v_lshl_or_b32 v0, v3, 21, v0
                                        ; implicit-def: $vgpr3
	v_add_nc_u32_e32 v2, 0x38000000, v0
                                        ; implicit-def: $vgpr0
.LBB6_8644:                             ;   in Loop: Header=BB6_5830 Depth=4
	s_and_not1_saveexec_b32 s76, s13
; %bb.8645:                             ;   in Loop: Header=BB6_5830 Depth=4
	v_bfe_i32 v0, v0, 0, 8
	v_cmp_eq_u32_e32 vcc_lo, 0, v3
	s_delay_alu instid0(VALU_DEP_2) | instskip(SKIP_1) | instid1(VALU_DEP_1)
	v_cmp_lt_i16_e64 s13, -1, v0
	v_mov_b32_e32 v0, 0x7f800000
	v_cndmask_b32_e64 v0, 0xff800000, v0, s13
	s_delay_alu instid0(VALU_DEP_1)
	v_cndmask_b32_e32 v2, 0x7f800001, v0, vcc_lo
; %bb.8646:                             ;   in Loop: Header=BB6_5830 Depth=4
	s_or_b32 exec_lo, exec_lo, s76
.LBB6_8647:                             ;   in Loop: Header=BB6_5830 Depth=4
	s_delay_alu instid0(SALU_CYCLE_1)
	s_or_b32 exec_lo, exec_lo, s75
.LBB6_8648:                             ;   in Loop: Header=BB6_5830 Depth=4
	s_delay_alu instid0(SALU_CYCLE_1) | instskip(SKIP_2) | instid1(VALU_DEP_1)
	s_or_b32 exec_lo, exec_lo, s74
	v_lshrrev_b32_e32 v0, 16, v17
	s_mov_b32 s74, exec_lo
	v_and_b32_e32 v3, 0xff, v0
	s_delay_alu instid0(VALU_DEP_1)
	v_cmpx_ne_u16_e32 0, v3
	s_cbranch_execz .LBB6_8658
; %bb.8649:                             ;   in Loop: Header=BB6_5830 Depth=4
	v_bfrev_b32_e32 v1, 1
	s_mov_b32 s75, exec_lo
	v_cmpx_ne_u16_e32 0x80, v3
	s_cbranch_execz .LBB6_8657
; %bb.8650:                             ;   in Loop: Header=BB6_5830 Depth=4
	v_and_b32_e32 v1, 0x7c0000, v17
	v_bfe_u32 v3, v17, 16, 2
	s_delay_alu instid0(VALU_DEP_2) | instskip(SKIP_1) | instid1(SALU_CYCLE_1)
	v_cmp_ne_u32_e32 vcc_lo, 0x7c0000, v1
                                        ; implicit-def: $vgpr1
	s_and_saveexec_b32 s13, vcc_lo
	s_xor_b32 s13, exec_lo, s13
	s_cbranch_execz .LBB6_8654
; %bb.8651:                             ;   in Loop: Header=BB6_5830 Depth=4
	v_bfe_u32 v1, v17, 18, 5
	s_mov_b32 s76, exec_lo
	s_delay_alu instid0(VALU_DEP_1)
	v_cmpx_eq_u32_e32 0, v1
; %bb.8652:                             ;   in Loop: Header=BB6_5830 Depth=4
	v_clz_i32_u32_e32 v1, v3
	s_delay_alu instid0(VALU_DEP_1) | instskip(NEXT) | instid1(VALU_DEP_1)
	v_min_u32_e32 v1, 32, v1
	v_subrev_nc_u32_e32 v3, 29, v1
	s_delay_alu instid0(VALU_DEP_1) | instskip(NEXT) | instid1(VALU_DEP_1)
	v_lshlrev_b64_e32 v[46:47], v3, v[0:1]
	v_dual_sub_nc_u32 v1, 30, v1 :: v_dual_bitop2_b32 v3, 3, v46 bitop3:0x40
; %bb.8653:                             ;   in Loop: Header=BB6_5830 Depth=4
	s_or_b32 exec_lo, exec_lo, s76
	v_lshlrev_b32_e32 v0, 24, v0
	s_delay_alu instid0(VALU_DEP_1) | instskip(NEXT) | instid1(VALU_DEP_1)
	v_and_b32_e32 v0, 0x80000000, v0
	v_lshl_add_u32 v0, v1, 23, v0
	s_delay_alu instid0(VALU_DEP_1) | instskip(NEXT) | instid1(VALU_DEP_1)
	v_lshl_or_b32 v0, v3, 21, v0
                                        ; implicit-def: $vgpr3
	v_add_nc_u32_e32 v1, 0x38000000, v0
                                        ; implicit-def: $vgpr0
.LBB6_8654:                             ;   in Loop: Header=BB6_5830 Depth=4
	s_and_not1_saveexec_b32 s76, s13
; %bb.8655:                             ;   in Loop: Header=BB6_5830 Depth=4
	v_bfe_i32 v0, v0, 0, 8
	v_cmp_eq_u32_e32 vcc_lo, 0, v3
	s_delay_alu instid0(VALU_DEP_2) | instskip(SKIP_1) | instid1(VALU_DEP_1)
	v_cmp_lt_i16_e64 s13, -1, v0
	v_mov_b32_e32 v0, 0x7f800000
	v_cndmask_b32_e64 v0, 0xff800000, v0, s13
	s_delay_alu instid0(VALU_DEP_1)
	v_cndmask_b32_e32 v1, 0x7f800001, v0, vcc_lo
; %bb.8656:                             ;   in Loop: Header=BB6_5830 Depth=4
	s_or_b32 exec_lo, exec_lo, s76
.LBB6_8657:                             ;   in Loop: Header=BB6_5830 Depth=4
	s_delay_alu instid0(SALU_CYCLE_1)
	s_or_b32 exec_lo, exec_lo, s75
.LBB6_8658:                             ;   in Loop: Header=BB6_5830 Depth=4
	s_delay_alu instid0(SALU_CYCLE_1) | instskip(NEXT) | instid1(VALU_DEP_1)
	s_or_b32 exec_lo, exec_lo, s74
	v_dual_add_f32 v2, v2, v1 :: v_dual_mov_b32 v47, v113
	v_mov_b32_e32 v1, v113
                                        ; implicit-def: $vgpr116
	s_mov_b32 s13, exec_lo
	s_delay_alu instid0(VALU_DEP_2) | instskip(SKIP_2) | instid1(VALU_DEP_3)
	v_and_b32_e32 v46, 0x7f800000, v2
	v_and_b32_e32 v0, 0x7fffff, v2
	v_lshrrev_b32_e32 v3, 24, v2
	v_cmpx_ne_u64_e32 0x7f800000, v[46:47]
	s_xor_b32 s74, exec_lo, s13
	s_cbranch_execz .LBB6_8672
; %bb.8659:                             ;   in Loop: Header=BB6_5830 Depth=4
	v_and_b32_e32 v46, 0x7fffffff, v2
	v_mov_b32_e32 v47, v113
	v_and_b32_e32 v119, 0x80, v3
                                        ; implicit-def: $vgpr116
	s_mov_b32 s13, exec_lo
	s_delay_alu instid0(VALU_DEP_2)
	v_cmpx_gt_u64_e32 0x47600001, v[46:47]
	s_xor_b32 s75, exec_lo, s13
	s_cbranch_execz .LBB6_8669
; %bb.8660:                             ;   in Loop: Header=BB6_5830 Depth=4
	v_mov_b32_e32 v116, 0
	s_mov_b32 s76, exec_lo
	v_cmpx_ne_u32_e32 0, v2
	s_cbranch_execz .LBB6_8668
; %bb.8661:                             ;   in Loop: Header=BB6_5830 Depth=4
	v_bfe_u32 v116, v2, 23, 8
	v_or_b32_e32 v3, 0x800000, v0
	s_delay_alu instid0(VALU_DEP_2) | instskip(SKIP_2) | instid1(VALU_DEP_2)
	v_cmp_gt_u32_e64 s13, 0x72, v116
	v_sub_nc_u32_e32 v2, 0x71, v116
	v_cmp_eq_u32_e32 vcc_lo, 0, v116
	v_dual_cndmask_b32 v2, 0, v2, s13 :: v_dual_cndmask_b32 v0, v3, v0, vcc_lo
	s_delay_alu instid0(VALU_DEP_1) | instskip(NEXT) | instid1(VALU_DEP_1)
	v_cndmask_b32_e64 v43, v2, 0x70, vcc_lo
	v_dual_add_nc_u32 v2, 21, v43 :: v_dual_add_nc_u32 v45, 20, v43
	s_delay_alu instid0(VALU_DEP_1) | instskip(NEXT) | instid1(VALU_DEP_2)
	v_lshlrev_b64_e64 v[2:3], v2, -1
	v_lshlrev_b64_e64 v[46:47], v45, 1
	s_delay_alu instid0(VALU_DEP_2) | instskip(SKIP_1) | instid1(VALU_DEP_4)
	v_bfi_b32 v2, v2, 0, v0
	v_lshrrev_b64 v[0:1], v43, v[0:1]
	v_bfi_b32 v3, v3, 0, 0
	s_delay_alu instid0(VALU_DEP_1) | instskip(NEXT) | instid1(VALU_DEP_3)
	v_cmp_eq_u64_e64 s13, v[2:3], v[46:47]
	v_mov_b64_e32 v[2:3], v[0:1]
	s_and_saveexec_b32 s77, s13
; %bb.8662:                             ;   in Loop: Header=BB6_5830 Depth=4
	v_bfe_u32 v2, v0, 21, 1
	v_mov_b32_e32 v3, v113
	s_delay_alu instid0(VALU_DEP_1) | instskip(NEXT) | instid1(VALU_DEP_1)
	v_add_nc_u64_e32 v[2:3], v[0:1], v[2:3]
	v_add_nc_u64_e32 v[2:3], -1, v[2:3]
; %bb.8663:                             ;   in Loop: Header=BB6_5830 Depth=4
	s_or_b32 exec_lo, exec_lo, s77
	v_add_nc_u32_e32 v1, 0xffffff81, v116
	v_lshrrev_b32_e32 v3, 23, v0
	s_mov_b32 s13, exec_lo
	s_delay_alu instid0(VALU_DEP_2) | instskip(NEXT) | instid1(VALU_DEP_1)
	v_cndmask_b32_e64 v1, v1, 0xffffff82, vcc_lo
	v_add3_u32 v116, v43, v1, v3
	v_and_b32_e32 v1, 0x1fffff, v2
                                        ; implicit-def: $vgpr2
	s_delay_alu instid0(VALU_DEP_2) | instskip(NEXT) | instid1(VALU_DEP_2)
	v_add_nc_u32_e32 v3, 14, v116
	v_add_nc_u32_e32 v0, v1, v0
	v_mov_b32_e32 v1, v113
	s_delay_alu instid0(VALU_DEP_3)
	v_cmpx_ne_u32_e32 0, v3
	s_xor_b32 s13, exec_lo, s13
; %bb.8664:                             ;   in Loop: Header=BB6_5830 Depth=4
	s_delay_alu instid0(VALU_DEP_2) | instskip(SKIP_1) | instid1(VALU_DEP_1)
	v_cmp_lt_u64_e32 vcc_lo, 0xffffff, v[0:1]
	v_add_nc_u32_e32 v2, 15, v116
	v_cndmask_b32_e32 v2, v3, v2, vcc_lo
	v_cndmask_b32_e64 v3, 0, 1, vcc_lo
	s_delay_alu instid0(VALU_DEP_1)
	v_lshrrev_b64 v[0:1], v3, v[0:1]
; %bb.8665:                             ;   in Loop: Header=BB6_5830 Depth=4
	s_and_not1_saveexec_b32 s13, s13
; %bb.8666:                             ;   in Loop: Header=BB6_5830 Depth=4
	s_delay_alu instid0(VALU_DEP_1)
	v_bfe_u32 v2, v0, 23, 1
; %bb.8667:                             ;   in Loop: Header=BB6_5830 Depth=4
	s_or_b32 exec_lo, exec_lo, s13
	s_delay_alu instid0(VALU_DEP_2) | instskip(NEXT) | instid1(VALU_DEP_2)
	v_lshrrev_b64 v[0:1], 21, v[0:1]
	v_cmp_gt_i32_e32 vcc_lo, 32, v2
	v_min_i32_e32 v3, 31, v2
	v_cmp_eq_u32_e64 s13, 0, v2
	s_delay_alu instid0(VALU_DEP_2) | instskip(SKIP_1) | instid1(VALU_DEP_2)
	v_dual_cndmask_b32 v1, 0, v1, vcc_lo :: v_dual_lshlrev_b32 v3, 2, v3
	v_cndmask_b32_e32 v0, 3, v0, vcc_lo
	v_and_b32_e32 v3, 0xfc, v3
	s_delay_alu instid0(VALU_DEP_2) | instskip(NEXT) | instid1(VALU_DEP_2)
	v_cmp_eq_u64_e32 vcc_lo, 0, v[0:1]
	v_and_or_b32 v0, v0, 3, v3
	s_and_b32 s13, s13, vcc_lo
	s_delay_alu instid0(VALU_DEP_1) | instid1(SALU_CYCLE_1)
	v_cndmask_b32_e64 v0, v0, 0, s13
	s_delay_alu instid0(VALU_DEP_1)
	v_or_b32_e32 v116, v0, v119
.LBB6_8668:                             ;   in Loop: Header=BB6_5830 Depth=4
	s_or_b32 exec_lo, exec_lo, s76
                                        ; implicit-def: $vgpr119
.LBB6_8669:                             ;   in Loop: Header=BB6_5830 Depth=4
	s_and_not1_saveexec_b32 s13, s75
; %bb.8670:                             ;   in Loop: Header=BB6_5830 Depth=4
	v_or_b32_e32 v116, 0x7b, v119
; %bb.8671:                             ;   in Loop: Header=BB6_5830 Depth=4
	s_or_b32 exec_lo, exec_lo, s13
                                        ; implicit-def: $vgpr2
                                        ; implicit-def: $vgpr0_vgpr1
                                        ; implicit-def: $vgpr3
.LBB6_8672:                             ;   in Loop: Header=BB6_5830 Depth=4
	s_and_not1_saveexec_b32 s13, s74
	s_cbranch_execz .LBB6_8678
; %bb.8673:                             ;   in Loop: Header=BB6_5830 Depth=4
	s_mov_b32 s74, exec_lo
                                        ; implicit-def: $vgpr116
	v_cmpx_ne_u64_e32 0, v[0:1]
	s_xor_b32 s74, exec_lo, s74
; %bb.8674:                             ;   in Loop: Header=BB6_5830 Depth=4
	v_or_b32_e32 v116, 0x7f, v3
                                        ; implicit-def: $vgpr2
; %bb.8675:                             ;   in Loop: Header=BB6_5830 Depth=4
	s_and_not1_saveexec_b32 s74, s74
; %bb.8676:                             ;   in Loop: Header=BB6_5830 Depth=4
	v_cmp_lt_i32_e32 vcc_lo, -1, v2
	v_mov_b32_e32 v0, 0x7c
	s_delay_alu instid0(VALU_DEP_1)
	v_cndmask_b32_e32 v116, 0xfc, v0, vcc_lo
; %bb.8677:                             ;   in Loop: Header=BB6_5830 Depth=4
	s_or_b32 exec_lo, exec_lo, s74
.LBB6_8678:                             ;   in Loop: Header=BB6_5830 Depth=4
	s_delay_alu instid0(SALU_CYCLE_1)
	s_or_b32 exec_lo, exec_lo, s13
	v_dual_mov_b32 v1, 0 :: v_dual_mov_b32 v2, 0
	s_mov_b32 s74, exec_lo
	v_cmpx_lt_u32_e32 0xffffff, v112
	s_cbranch_execz .LBB6_8688
; %bb.8679:                             ;   in Loop: Header=BB6_5830 Depth=4
	v_lshrrev_b32_e32 v0, 24, v112
	v_bfrev_b32_e32 v2, 1
	s_mov_b32 s75, exec_lo
	s_delay_alu instid0(VALU_DEP_2)
	v_cmpx_ne_u32_e32 0x80, v0
	s_cbranch_execz .LBB6_8687
; %bb.8680:                             ;   in Loop: Header=BB6_5830 Depth=4
	v_and_b32_e32 v2, 0x7c000000, v112
	v_bfe_u32 v3, v112, 24, 2
	s_delay_alu instid0(VALU_DEP_2) | instskip(SKIP_1) | instid1(SALU_CYCLE_1)
	v_cmp_ne_u32_e32 vcc_lo, 0x7c000000, v2
                                        ; implicit-def: $vgpr2
	s_and_saveexec_b32 s13, vcc_lo
	s_xor_b32 s13, exec_lo, s13
	s_cbranch_execz .LBB6_8684
; %bb.8681:                             ;   in Loop: Header=BB6_5830 Depth=4
	v_bfe_u32 v2, v112, 26, 5
	s_mov_b32 s76, exec_lo
	s_delay_alu instid0(VALU_DEP_1)
	v_cmpx_eq_u32_e32 0, v2
; %bb.8682:                             ;   in Loop: Header=BB6_5830 Depth=4
	v_clz_i32_u32_e32 v2, v3
	s_delay_alu instid0(VALU_DEP_1) | instskip(NEXT) | instid1(VALU_DEP_1)
	v_min_u32_e32 v2, 32, v2
	v_subrev_nc_u32_e32 v3, 29, v2
	v_sub_nc_u32_e32 v2, 30, v2
	s_delay_alu instid0(VALU_DEP_2) | instskip(NEXT) | instid1(VALU_DEP_1)
	v_lshlrev_b64_e32 v[46:47], v3, v[0:1]
	v_and_b32_e32 v3, 3, v46
; %bb.8683:                             ;   in Loop: Header=BB6_5830 Depth=4
	s_or_b32 exec_lo, exec_lo, s76
	v_and_b32_e32 v0, 0x80000000, v112
	s_delay_alu instid0(VALU_DEP_1) | instskip(NEXT) | instid1(VALU_DEP_1)
	v_lshl_add_u32 v0, v2, 23, v0
	v_lshl_or_b32 v0, v3, 21, v0
                                        ; implicit-def: $vgpr3
	s_delay_alu instid0(VALU_DEP_1)
	v_add_nc_u32_e32 v2, 0x38000000, v0
.LBB6_8684:                             ;   in Loop: Header=BB6_5830 Depth=4
	s_and_not1_saveexec_b32 s76, s13
; %bb.8685:                             ;   in Loop: Header=BB6_5830 Depth=4
	v_cmp_lt_i32_e64 s13, -1, v112
	v_mov_b32_e32 v0, 0x7f800000
	v_cmp_eq_u32_e32 vcc_lo, 0, v3
	s_delay_alu instid0(VALU_DEP_2) | instskip(NEXT) | instid1(VALU_DEP_1)
	v_cndmask_b32_e64 v0, 0xff800000, v0, s13
	v_cndmask_b32_e32 v2, 0x7f800001, v0, vcc_lo
; %bb.8686:                             ;   in Loop: Header=BB6_5830 Depth=4
	s_or_b32 exec_lo, exec_lo, s76
.LBB6_8687:                             ;   in Loop: Header=BB6_5830 Depth=4
	s_delay_alu instid0(SALU_CYCLE_1)
	s_or_b32 exec_lo, exec_lo, s75
.LBB6_8688:                             ;   in Loop: Header=BB6_5830 Depth=4
	s_delay_alu instid0(SALU_CYCLE_1) | instskip(NEXT) | instid1(SALU_CYCLE_1)
	s_or_b32 exec_lo, exec_lo, s74
	s_mov_b32 s74, exec_lo
	v_cmpx_lt_u64_e64 s[22:23], v[16:17]
	s_cbranch_execz .LBB6_8698
; %bb.8689:                             ;   in Loop: Header=BB6_5830 Depth=4
	v_lshrrev_b32_e32 v0, 24, v17
	v_bfrev_b32_e32 v1, 1
	s_mov_b32 s75, exec_lo
	s_delay_alu instid0(VALU_DEP_2)
	v_cmpx_ne_u32_e32 0x80, v0
	s_cbranch_execz .LBB6_8697
; %bb.8690:                             ;   in Loop: Header=BB6_5830 Depth=4
	v_and_b32_e32 v1, 0x7c000000, v17
	v_bfe_u32 v3, v17, 24, 2
	s_delay_alu instid0(VALU_DEP_2) | instskip(SKIP_1) | instid1(SALU_CYCLE_1)
	v_cmp_ne_u32_e32 vcc_lo, 0x7c000000, v1
                                        ; implicit-def: $vgpr1
	s_and_saveexec_b32 s13, vcc_lo
	s_xor_b32 s13, exec_lo, s13
	s_cbranch_execz .LBB6_8694
; %bb.8691:                             ;   in Loop: Header=BB6_5830 Depth=4
	v_bfe_u32 v1, v17, 26, 5
	s_mov_b32 s76, exec_lo
	s_delay_alu instid0(VALU_DEP_1)
	v_cmpx_eq_u32_e32 0, v1
; %bb.8692:                             ;   in Loop: Header=BB6_5830 Depth=4
	v_clz_i32_u32_e32 v1, v3
	s_delay_alu instid0(VALU_DEP_1) | instskip(NEXT) | instid1(VALU_DEP_1)
	v_min_u32_e32 v3, 32, v1
	v_subrev_nc_u32_e32 v1, 29, v3
	s_delay_alu instid0(VALU_DEP_1) | instskip(NEXT) | instid1(VALU_DEP_1)
	v_lshlrev_b64_e32 v[0:1], v1, v[0:1]
	v_dual_sub_nc_u32 v1, 30, v3 :: v_dual_bitop2_b32 v3, 3, v0 bitop3:0x40
; %bb.8693:                             ;   in Loop: Header=BB6_5830 Depth=4
	s_or_b32 exec_lo, exec_lo, s76
	v_and_b32_e32 v0, 0x80000000, v17
	s_delay_alu instid0(VALU_DEP_1) | instskip(NEXT) | instid1(VALU_DEP_1)
	v_lshl_add_u32 v0, v1, 23, v0
	v_lshl_or_b32 v0, v3, 21, v0
                                        ; implicit-def: $vgpr3
	s_delay_alu instid0(VALU_DEP_1)
	v_add_nc_u32_e32 v1, 0x38000000, v0
.LBB6_8694:                             ;   in Loop: Header=BB6_5830 Depth=4
	s_and_not1_saveexec_b32 s76, s13
; %bb.8695:                             ;   in Loop: Header=BB6_5830 Depth=4
	v_cmp_lt_i64_e64 s13, -1, v[16:17]
	v_mov_b32_e32 v0, 0x7f800000
	v_cmp_eq_u32_e32 vcc_lo, 0, v3
	s_delay_alu instid0(VALU_DEP_2) | instskip(NEXT) | instid1(VALU_DEP_1)
	v_cndmask_b32_e64 v0, 0xff800000, v0, s13
	v_cndmask_b32_e32 v1, 0x7f800001, v0, vcc_lo
; %bb.8696:                             ;   in Loop: Header=BB6_5830 Depth=4
	s_or_b32 exec_lo, exec_lo, s76
.LBB6_8697:                             ;   in Loop: Header=BB6_5830 Depth=4
	s_delay_alu instid0(SALU_CYCLE_1)
	s_or_b32 exec_lo, exec_lo, s75
.LBB6_8698:                             ;   in Loop: Header=BB6_5830 Depth=4
	s_delay_alu instid0(SALU_CYCLE_1) | instskip(NEXT) | instid1(VALU_DEP_1)
	s_or_b32 exec_lo, exec_lo, s74
	v_dual_add_f32 v0, v2, v1 :: v_dual_mov_b32 v3, v113
                                        ; implicit-def: $vgpr16
	s_mov_b32 s13, exec_lo
	s_delay_alu instid0(VALU_DEP_1) | instskip(SKIP_2) | instid1(VALU_DEP_3)
	v_and_b32_e32 v2, 0x7f800000, v0
	v_and_b32_e32 v112, 0x7fffff, v0
	v_lshrrev_b32_e32 v1, 24, v0
	v_cmpx_ne_u64_e32 0x7f800000, v[2:3]
	s_xor_b32 s74, exec_lo, s13
	s_cbranch_execz .LBB6_8712
; %bb.8699:                             ;   in Loop: Header=BB6_5830 Depth=4
	v_and_b32_e32 v2, 0x7fffffff, v0
	v_mov_b32_e32 v3, v113
	v_and_b32_e32 v17, 0x80, v1
                                        ; implicit-def: $vgpr16
	s_mov_b32 s13, exec_lo
	s_delay_alu instid0(VALU_DEP_2)
	v_cmpx_gt_u64_e32 0x47600001, v[2:3]
	s_xor_b32 s75, exec_lo, s13
	s_cbranch_execz .LBB6_8709
; %bb.8700:                             ;   in Loop: Header=BB6_5830 Depth=4
	v_mov_b32_e32 v16, 0
	s_mov_b32 s76, exec_lo
	v_cmpx_ne_u32_e32 0, v0
	s_cbranch_execz .LBB6_8708
; %bb.8701:                             ;   in Loop: Header=BB6_5830 Depth=4
	v_bfe_u32 v16, v0, 23, 8
	v_or_b32_e32 v1, 0x800000, v112
	s_delay_alu instid0(VALU_DEP_2) | instskip(SKIP_2) | instid1(VALU_DEP_2)
	v_cmp_gt_u32_e64 s13, 0x72, v16
	v_sub_nc_u32_e32 v0, 0x71, v16
	v_cmp_eq_u32_e32 vcc_lo, 0, v16
	v_cndmask_b32_e64 v0, 0, v0, s13
	s_delay_alu instid0(VALU_DEP_1) | instskip(SKIP_1) | instid1(VALU_DEP_2)
	v_cndmask_b32_e64 v119, v0, 0x70, vcc_lo
	v_cndmask_b32_e32 v0, v1, v112, vcc_lo
	v_dual_mov_b32 v1, v113 :: v_dual_add_nc_u32 v2, 21, v119
	v_add_nc_u32_e32 v112, 20, v119
	s_delay_alu instid0(VALU_DEP_2) | instskip(NEXT) | instid1(VALU_DEP_2)
	v_lshlrev_b64_e64 v[2:3], v2, -1
	v_lshlrev_b64_e64 v[46:47], v112, 1
	s_delay_alu instid0(VALU_DEP_2) | instskip(SKIP_1) | instid1(VALU_DEP_4)
	v_bfi_b32 v2, v2, 0, v0
	v_lshrrev_b64 v[0:1], v119, v[0:1]
	v_bfi_b32 v3, v3, 0, 0
	s_delay_alu instid0(VALU_DEP_1) | instskip(NEXT) | instid1(VALU_DEP_3)
	v_cmp_eq_u64_e64 s13, v[2:3], v[46:47]
	v_mov_b64_e32 v[2:3], v[0:1]
	s_and_saveexec_b32 s77, s13
; %bb.8702:                             ;   in Loop: Header=BB6_5830 Depth=4
	v_bfe_u32 v2, v0, 21, 1
	v_mov_b32_e32 v3, v113
	s_delay_alu instid0(VALU_DEP_1) | instskip(NEXT) | instid1(VALU_DEP_1)
	v_add_nc_u64_e32 v[2:3], v[0:1], v[2:3]
	v_add_nc_u64_e32 v[2:3], -1, v[2:3]
; %bb.8703:                             ;   in Loop: Header=BB6_5830 Depth=4
	s_or_b32 exec_lo, exec_lo, s77
	v_add_nc_u32_e32 v1, 0xffffff81, v16
	v_lshrrev_b32_e32 v3, 23, v0
	s_mov_b32 s13, exec_lo
	s_delay_alu instid0(VALU_DEP_2) | instskip(NEXT) | instid1(VALU_DEP_1)
	v_cndmask_b32_e64 v1, v1, 0xffffff82, vcc_lo
	v_add3_u32 v16, v119, v1, v3
	v_and_b32_e32 v1, 0x1fffff, v2
                                        ; implicit-def: $vgpr2
	s_delay_alu instid0(VALU_DEP_2) | instskip(NEXT) | instid1(VALU_DEP_2)
	v_add_nc_u32_e32 v3, 14, v16
	v_add_nc_u32_e32 v112, v1, v0
                                        ; implicit-def: $vgpr0_vgpr1
	s_delay_alu instid0(VALU_DEP_2)
	v_cmpx_ne_u32_e32 0, v3
	s_xor_b32 s13, exec_lo, s13
; %bb.8704:                             ;   in Loop: Header=BB6_5830 Depth=4
	s_delay_alu instid0(VALU_DEP_2) | instskip(SKIP_1) | instid1(VALU_DEP_1)
	v_cmp_lt_u64_e32 vcc_lo, 0xffffff, v[112:113]
	v_add_nc_u32_e32 v0, 15, v16
	v_cndmask_b32_e32 v2, v3, v0, vcc_lo
	v_cndmask_b32_e64 v0, 0, 1, vcc_lo
	s_delay_alu instid0(VALU_DEP_1)
	v_lshrrev_b64 v[0:1], v0, v[112:113]
; %bb.8705:                             ;   in Loop: Header=BB6_5830 Depth=4
	s_and_not1_saveexec_b32 s13, s13
; %bb.8706:                             ;   in Loop: Header=BB6_5830 Depth=4
	v_mov_b64_e32 v[0:1], v[112:113]
	v_bfe_u32 v2, v112, 23, 1
; %bb.8707:                             ;   in Loop: Header=BB6_5830 Depth=4
	s_or_b32 exec_lo, exec_lo, s13
	s_delay_alu instid0(VALU_DEP_2) | instskip(NEXT) | instid1(VALU_DEP_2)
	v_lshrrev_b64 v[0:1], 21, v[0:1]
	v_cmp_gt_i32_e32 vcc_lo, 32, v2
	v_min_i32_e32 v3, 31, v2
	v_cmp_eq_u32_e64 s13, 0, v2
	s_delay_alu instid0(VALU_DEP_2) | instskip(SKIP_1) | instid1(VALU_DEP_2)
	v_dual_cndmask_b32 v1, 0, v1, vcc_lo :: v_dual_lshlrev_b32 v3, 2, v3
	v_cndmask_b32_e32 v0, 3, v0, vcc_lo
	v_and_b32_e32 v3, 0xfc, v3
	s_delay_alu instid0(VALU_DEP_2) | instskip(NEXT) | instid1(VALU_DEP_2)
	v_cmp_eq_u64_e32 vcc_lo, 0, v[0:1]
	v_and_or_b32 v0, v0, 3, v3
	s_and_b32 s13, s13, vcc_lo
	s_delay_alu instid0(VALU_DEP_1) | instid1(SALU_CYCLE_1)
	v_cndmask_b32_e64 v0, v0, 0, s13
	s_delay_alu instid0(VALU_DEP_1)
	v_or_b32_e32 v16, v0, v17
.LBB6_8708:                             ;   in Loop: Header=BB6_5830 Depth=4
	s_or_b32 exec_lo, exec_lo, s76
                                        ; implicit-def: $vgpr17
.LBB6_8709:                             ;   in Loop: Header=BB6_5830 Depth=4
	s_and_not1_saveexec_b32 s13, s75
; %bb.8710:                             ;   in Loop: Header=BB6_5830 Depth=4
	v_or_b32_e32 v16, 0x7b, v17
; %bb.8711:                             ;   in Loop: Header=BB6_5830 Depth=4
	s_or_b32 exec_lo, exec_lo, s13
                                        ; implicit-def: $vgpr0
                                        ; implicit-def: $vgpr1
.LBB6_8712:                             ;   in Loop: Header=BB6_5830 Depth=4
	s_and_not1_saveexec_b32 s13, s74
	s_cbranch_execz .LBB6_8718
; %bb.8713:                             ;   in Loop: Header=BB6_5830 Depth=4
	s_mov_b32 s74, exec_lo
                                        ; implicit-def: $vgpr16
	v_cmpx_ne_u64_e32 0, v[112:113]
	s_xor_b32 s74, exec_lo, s74
; %bb.8714:                             ;   in Loop: Header=BB6_5830 Depth=4
	v_or_b32_e32 v16, 0x7f, v1
                                        ; implicit-def: $vgpr0
; %bb.8715:                             ;   in Loop: Header=BB6_5830 Depth=4
	s_and_not1_saveexec_b32 s74, s74
; %bb.8716:                             ;   in Loop: Header=BB6_5830 Depth=4
	v_cmp_lt_i32_e32 vcc_lo, -1, v0
	v_mov_b32_e32 v0, 0x7c
	s_delay_alu instid0(VALU_DEP_1)
	v_cndmask_b32_e32 v16, 0xfc, v0, vcc_lo
; %bb.8717:                             ;   in Loop: Header=BB6_5830 Depth=4
	s_or_b32 exec_lo, exec_lo, s74
.LBB6_8718:                             ;   in Loop: Header=BB6_5830 Depth=4
	s_delay_alu instid0(SALU_CYCLE_1) | instskip(SKIP_3) | instid1(VALU_DEP_1)
	s_or_b32 exec_lo, exec_lo, s13
	v_lshl_or_b32 v97, v97, 8, v84
	v_dual_lshlrev_b32 v0, 16, v101 :: v_dual_lshlrev_b32 v1, 24, v115
	s_mov_b32 s74, exec_lo
	v_or3_b32 v112, v0, v1, v97
	v_dual_mov_b32 v0, 0 :: v_dual_mov_b32 v1, 0
	v_cmpx_ne_u32_e32 0, v84
	s_cbranch_execz .LBB6_8728
; %bb.8719:                             ;   in Loop: Header=BB6_5830 Depth=4
	v_bfrev_b32_e32 v1, 1
	s_mov_b32 s75, exec_lo
	v_cmpx_ne_u32_e32 0x80, v84
	s_cbranch_execz .LBB6_8727
; %bb.8720:                             ;   in Loop: Header=BB6_5830 Depth=4
	v_and_b32_e32 v1, 0x7c, v84
	v_and_b32_e32 v2, 3, v84
	s_delay_alu instid0(VALU_DEP_2) | instskip(SKIP_1) | instid1(SALU_CYCLE_1)
	v_cmp_ne_u32_e32 vcc_lo, 0x7c, v1
                                        ; implicit-def: $vgpr1
	s_and_saveexec_b32 s13, vcc_lo
	s_xor_b32 s13, exec_lo, s13
	s_cbranch_execz .LBB6_8724
; %bb.8721:                             ;   in Loop: Header=BB6_5830 Depth=4
	v_bfe_u32 v1, v84, 2, 5
	s_mov_b32 s76, exec_lo
	s_delay_alu instid0(VALU_DEP_1)
	v_cmpx_eq_u32_e32 0, v1
; %bb.8722:                             ;   in Loop: Header=BB6_5830 Depth=4
	v_clz_i32_u32_e32 v1, v2
	s_delay_alu instid0(VALU_DEP_1) | instskip(NEXT) | instid1(VALU_DEP_1)
	v_min_u32_e32 v1, 32, v1
	v_subrev_nc_u32_e32 v2, 29, v1
	s_delay_alu instid0(VALU_DEP_1) | instskip(NEXT) | instid1(VALU_DEP_1)
	v_lshlrev_b64_e32 v[2:3], v2, v[112:113]
	v_dual_sub_nc_u32 v1, 30, v1 :: v_dual_bitop2_b32 v2, 3, v2 bitop3:0x40
; %bb.8723:                             ;   in Loop: Header=BB6_5830 Depth=4
	s_or_b32 exec_lo, exec_lo, s76
	v_lshlrev_b32_e32 v3, 24, v84
                                        ; implicit-def: $vgpr84
	s_delay_alu instid0(VALU_DEP_1) | instskip(NEXT) | instid1(VALU_DEP_1)
	v_and_b32_e32 v3, 0x80000000, v3
	v_lshl_add_u32 v1, v1, 23, v3
	s_delay_alu instid0(VALU_DEP_1) | instskip(NEXT) | instid1(VALU_DEP_1)
	v_lshl_or_b32 v1, v2, 21, v1
                                        ; implicit-def: $vgpr2
	v_add_nc_u32_e32 v1, 0x38000000, v1
.LBB6_8724:                             ;   in Loop: Header=BB6_5830 Depth=4
	s_and_not1_saveexec_b32 s76, s13
; %bb.8725:                             ;   in Loop: Header=BB6_5830 Depth=4
	v_and_b32_e32 v1, 0x80, v84
	v_cmp_eq_u32_e32 vcc_lo, 0, v2
	s_delay_alu instid0(VALU_DEP_2) | instskip(SKIP_1) | instid1(VALU_DEP_1)
	v_cmp_eq_u32_e64 s13, 0, v1
	v_mov_b32_e32 v1, 0x7f800000
	v_cndmask_b32_e64 v1, 0xff800000, v1, s13
	s_delay_alu instid0(VALU_DEP_1)
	v_cndmask_b32_e32 v1, 0x7f800001, v1, vcc_lo
; %bb.8726:                             ;   in Loop: Header=BB6_5830 Depth=4
	s_or_b32 exec_lo, exec_lo, s76
.LBB6_8727:                             ;   in Loop: Header=BB6_5830 Depth=4
	s_delay_alu instid0(SALU_CYCLE_1)
	s_or_b32 exec_lo, exec_lo, s75
.LBB6_8728:                             ;   in Loop: Header=BB6_5830 Depth=4
	s_delay_alu instid0(SALU_CYCLE_1) | instskip(SKIP_2) | instid1(VALU_DEP_1)
	s_or_b32 exec_lo, exec_lo, s74
	v_and_b32_e32 v2, 0xff, v18
	s_mov_b32 s74, exec_lo
	v_cmpx_ne_u16_e32 0, v2
	s_cbranch_execz .LBB6_8738
; %bb.8729:                             ;   in Loop: Header=BB6_5830 Depth=4
	v_bfe_i32 v3, v18, 0, 8
	v_bfrev_b32_e32 v0, 1
	s_mov_b32 s75, exec_lo
	s_delay_alu instid0(VALU_DEP_2)
	v_cmpx_ne_u16_e32 0xff80, v3
	s_cbranch_execz .LBB6_8737
; %bb.8730:                             ;   in Loop: Header=BB6_5830 Depth=4
	v_and_b32_e32 v0, 0x7c, v18
	v_and_b32_e32 v2, 3, v18
	s_delay_alu instid0(VALU_DEP_2) | instskip(SKIP_1) | instid1(SALU_CYCLE_1)
	v_cmp_ne_u32_e32 vcc_lo, 0x7c, v0
                                        ; implicit-def: $vgpr0
	s_and_saveexec_b32 s13, vcc_lo
	s_xor_b32 s13, exec_lo, s13
	s_cbranch_execz .LBB6_8734
; %bb.8731:                             ;   in Loop: Header=BB6_5830 Depth=4
	v_bfe_u32 v0, v18, 2, 5
	s_mov_b32 s76, exec_lo
	s_delay_alu instid0(VALU_DEP_1)
	v_cmpx_eq_u32_e32 0, v0
; %bb.8732:                             ;   in Loop: Header=BB6_5830 Depth=4
	v_clz_i32_u32_e32 v0, v2
	s_delay_alu instid0(VALU_DEP_1) | instskip(NEXT) | instid1(VALU_DEP_1)
	v_min_u32_e32 v0, 32, v0
	v_subrev_nc_u32_e32 v2, 29, v0
	s_delay_alu instid0(VALU_DEP_1) | instskip(NEXT) | instid1(VALU_DEP_1)
	v_lshlrev_b64_e32 v[2:3], v2, v[18:19]
	v_dual_sub_nc_u32 v0, 30, v0 :: v_dual_bitop2_b32 v2, 3, v2 bitop3:0x40
; %bb.8733:                             ;   in Loop: Header=BB6_5830 Depth=4
	s_or_b32 exec_lo, exec_lo, s76
	v_lshlrev_b32_e32 v3, 24, v18
	s_delay_alu instid0(VALU_DEP_1) | instskip(NEXT) | instid1(VALU_DEP_1)
	v_and_b32_e32 v3, 0x80000000, v3
	v_lshl_add_u32 v0, v0, 23, v3
                                        ; implicit-def: $vgpr3
	s_delay_alu instid0(VALU_DEP_1) | instskip(NEXT) | instid1(VALU_DEP_1)
	v_lshl_or_b32 v0, v2, 21, v0
                                        ; implicit-def: $vgpr2
	v_add_nc_u32_e32 v0, 0x38000000, v0
.LBB6_8734:                             ;   in Loop: Header=BB6_5830 Depth=4
	s_and_not1_saveexec_b32 s76, s13
; %bb.8735:                             ;   in Loop: Header=BB6_5830 Depth=4
	v_cmp_lt_i16_e64 s13, -1, v3
	v_mov_b32_e32 v0, 0x7f800000
	v_cmp_eq_u32_e32 vcc_lo, 0, v2
	s_delay_alu instid0(VALU_DEP_2) | instskip(NEXT) | instid1(VALU_DEP_1)
	v_cndmask_b32_e64 v0, 0xff800000, v0, s13
	v_cndmask_b32_e32 v0, 0x7f800001, v0, vcc_lo
; %bb.8736:                             ;   in Loop: Header=BB6_5830 Depth=4
	s_or_b32 exec_lo, exec_lo, s76
.LBB6_8737:                             ;   in Loop: Header=BB6_5830 Depth=4
	s_delay_alu instid0(SALU_CYCLE_1)
	s_or_b32 exec_lo, exec_lo, s75
.LBB6_8738:                             ;   in Loop: Header=BB6_5830 Depth=4
	s_delay_alu instid0(SALU_CYCLE_1) | instskip(NEXT) | instid1(VALU_DEP_1)
	s_or_b32 exec_lo, exec_lo, s74
	v_add_f32_e32 v2, v1, v0
	v_dual_mov_b32 v47, v113 :: v_dual_mov_b32 v1, v113
                                        ; implicit-def: $vgpr17
	s_mov_b32 s13, exec_lo
	s_delay_alu instid0(VALU_DEP_2) | instskip(SKIP_2) | instid1(VALU_DEP_3)
	v_and_b32_e32 v46, 0x7f800000, v2
	v_and_b32_e32 v0, 0x7fffff, v2
	v_lshrrev_b32_e32 v3, 24, v2
	v_cmpx_ne_u64_e32 0x7f800000, v[46:47]
	s_xor_b32 s74, exec_lo, s13
	s_cbranch_execz .LBB6_8752
; %bb.8739:                             ;   in Loop: Header=BB6_5830 Depth=4
	v_and_b32_e32 v46, 0x7fffffff, v2
	v_mov_b32_e32 v47, v113
	v_and_b32_e32 v84, 0x80, v3
                                        ; implicit-def: $vgpr17
	s_mov_b32 s13, exec_lo
	s_delay_alu instid0(VALU_DEP_2)
	v_cmpx_gt_u64_e32 0x47600001, v[46:47]
	s_xor_b32 s75, exec_lo, s13
	s_cbranch_execz .LBB6_8749
; %bb.8740:                             ;   in Loop: Header=BB6_5830 Depth=4
	v_mov_b32_e32 v17, 0
	s_mov_b32 s76, exec_lo
	v_cmpx_ne_u32_e32 0, v2
	s_cbranch_execz .LBB6_8748
; %bb.8741:                             ;   in Loop: Header=BB6_5830 Depth=4
	v_bfe_u32 v17, v2, 23, 8
	v_or_b32_e32 v3, 0x800000, v0
	s_delay_alu instid0(VALU_DEP_2) | instskip(SKIP_2) | instid1(VALU_DEP_2)
	v_cmp_gt_u32_e64 s13, 0x72, v17
	v_sub_nc_u32_e32 v2, 0x71, v17
	v_cmp_eq_u32_e32 vcc_lo, 0, v17
	v_dual_cndmask_b32 v2, 0, v2, s13 :: v_dual_cndmask_b32 v0, v3, v0, vcc_lo
	s_delay_alu instid0(VALU_DEP_1) | instskip(NEXT) | instid1(VALU_DEP_1)
	v_cndmask_b32_e64 v101, v2, 0x70, vcc_lo
	v_dual_add_nc_u32 v2, 21, v101 :: v_dual_add_nc_u32 v115, 20, v101
	s_delay_alu instid0(VALU_DEP_1) | instskip(NEXT) | instid1(VALU_DEP_2)
	v_lshlrev_b64_e64 v[2:3], v2, -1
	v_lshlrev_b64_e64 v[46:47], v115, 1
	s_delay_alu instid0(VALU_DEP_2) | instskip(SKIP_1) | instid1(VALU_DEP_4)
	v_bfi_b32 v2, v2, 0, v0
	v_lshrrev_b64 v[0:1], v101, v[0:1]
	v_bfi_b32 v3, v3, 0, 0
	s_delay_alu instid0(VALU_DEP_1) | instskip(NEXT) | instid1(VALU_DEP_3)
	v_cmp_eq_u64_e64 s13, v[2:3], v[46:47]
	v_mov_b64_e32 v[2:3], v[0:1]
	s_and_saveexec_b32 s77, s13
; %bb.8742:                             ;   in Loop: Header=BB6_5830 Depth=4
	v_bfe_u32 v2, v0, 21, 1
	v_mov_b32_e32 v3, v113
	s_delay_alu instid0(VALU_DEP_1) | instskip(NEXT) | instid1(VALU_DEP_1)
	v_add_nc_u64_e32 v[2:3], v[0:1], v[2:3]
	v_add_nc_u64_e32 v[2:3], -1, v[2:3]
; %bb.8743:                             ;   in Loop: Header=BB6_5830 Depth=4
	s_or_b32 exec_lo, exec_lo, s77
	v_add_nc_u32_e32 v1, 0xffffff81, v17
	v_lshrrev_b32_e32 v3, 23, v0
	s_mov_b32 s13, exec_lo
	s_delay_alu instid0(VALU_DEP_2) | instskip(NEXT) | instid1(VALU_DEP_1)
	v_cndmask_b32_e64 v1, v1, 0xffffff82, vcc_lo
	v_add3_u32 v17, v101, v1, v3
	v_and_b32_e32 v1, 0x1fffff, v2
                                        ; implicit-def: $vgpr2
	s_delay_alu instid0(VALU_DEP_1) | instskip(SKIP_1) | instid1(VALU_DEP_2)
	v_dual_add_nc_u32 v3, 14, v17 :: v_dual_add_nc_u32 v0, v1, v0
	v_mov_b32_e32 v1, v113
	v_cmpx_ne_u32_e32 0, v3
	s_xor_b32 s13, exec_lo, s13
; %bb.8744:                             ;   in Loop: Header=BB6_5830 Depth=4
	s_delay_alu instid0(VALU_DEP_2) | instskip(SKIP_1) | instid1(VALU_DEP_1)
	v_cmp_lt_u64_e32 vcc_lo, 0xffffff, v[0:1]
	v_add_nc_u32_e32 v2, 15, v17
	v_cndmask_b32_e32 v2, v3, v2, vcc_lo
	v_cndmask_b32_e64 v3, 0, 1, vcc_lo
	s_delay_alu instid0(VALU_DEP_1)
	v_lshrrev_b64 v[0:1], v3, v[0:1]
; %bb.8745:                             ;   in Loop: Header=BB6_5830 Depth=4
	s_and_not1_saveexec_b32 s13, s13
; %bb.8746:                             ;   in Loop: Header=BB6_5830 Depth=4
	s_delay_alu instid0(VALU_DEP_1)
	v_bfe_u32 v2, v0, 23, 1
; %bb.8747:                             ;   in Loop: Header=BB6_5830 Depth=4
	s_or_b32 exec_lo, exec_lo, s13
	s_delay_alu instid0(VALU_DEP_2) | instskip(NEXT) | instid1(VALU_DEP_2)
	v_lshrrev_b64 v[0:1], 21, v[0:1]
	v_cmp_gt_i32_e32 vcc_lo, 32, v2
	v_min_i32_e32 v3, 31, v2
	v_cmp_eq_u32_e64 s13, 0, v2
	s_delay_alu instid0(VALU_DEP_2) | instskip(SKIP_1) | instid1(VALU_DEP_2)
	v_dual_cndmask_b32 v1, 0, v1, vcc_lo :: v_dual_lshlrev_b32 v3, 2, v3
	v_cndmask_b32_e32 v0, 3, v0, vcc_lo
	v_and_b32_e32 v3, 0xfc, v3
	s_delay_alu instid0(VALU_DEP_2) | instskip(NEXT) | instid1(VALU_DEP_2)
	v_cmp_eq_u64_e32 vcc_lo, 0, v[0:1]
	v_and_or_b32 v0, v0, 3, v3
	s_and_b32 s13, s13, vcc_lo
	s_delay_alu instid0(VALU_DEP_1) | instid1(SALU_CYCLE_1)
	v_cndmask_b32_e64 v0, v0, 0, s13
	s_delay_alu instid0(VALU_DEP_1)
	v_or_b32_e32 v17, v0, v84
.LBB6_8748:                             ;   in Loop: Header=BB6_5830 Depth=4
	s_or_b32 exec_lo, exec_lo, s76
                                        ; implicit-def: $vgpr84
.LBB6_8749:                             ;   in Loop: Header=BB6_5830 Depth=4
	s_and_not1_saveexec_b32 s13, s75
; %bb.8750:                             ;   in Loop: Header=BB6_5830 Depth=4
	v_or_b32_e32 v17, 0x7b, v84
; %bb.8751:                             ;   in Loop: Header=BB6_5830 Depth=4
	s_or_b32 exec_lo, exec_lo, s13
                                        ; implicit-def: $vgpr2
                                        ; implicit-def: $vgpr0_vgpr1
                                        ; implicit-def: $vgpr3
.LBB6_8752:                             ;   in Loop: Header=BB6_5830 Depth=4
	s_and_not1_saveexec_b32 s13, s74
	s_cbranch_execz .LBB6_8758
; %bb.8753:                             ;   in Loop: Header=BB6_5830 Depth=4
	s_mov_b32 s74, exec_lo
                                        ; implicit-def: $vgpr17
	v_cmpx_ne_u64_e32 0, v[0:1]
	s_xor_b32 s74, exec_lo, s74
; %bb.8754:                             ;   in Loop: Header=BB6_5830 Depth=4
	v_or_b32_e32 v17, 0x7f, v3
                                        ; implicit-def: $vgpr2
; %bb.8755:                             ;   in Loop: Header=BB6_5830 Depth=4
	s_and_not1_saveexec_b32 s74, s74
; %bb.8756:                             ;   in Loop: Header=BB6_5830 Depth=4
	v_cmp_lt_i32_e32 vcc_lo, -1, v2
	v_mov_b32_e32 v0, 0x7c
	s_delay_alu instid0(VALU_DEP_1)
	v_cndmask_b32_e32 v17, 0xfc, v0, vcc_lo
; %bb.8757:                             ;   in Loop: Header=BB6_5830 Depth=4
	s_or_b32 exec_lo, exec_lo, s74
.LBB6_8758:                             ;   in Loop: Header=BB6_5830 Depth=4
	s_delay_alu instid0(SALU_CYCLE_1) | instskip(SKIP_3) | instid1(VALU_DEP_2)
	s_or_b32 exec_lo, exec_lo, s13
	v_lshrrev_b16 v0, 8, v97
	v_dual_mov_b32 v2, 0 :: v_dual_mov_b32 v3, 0
	s_mov_b32 s74, exec_lo
	v_cmpx_ne_u16_e32 0, v0
	s_cbranch_execz .LBB6_8768
; %bb.8759:                             ;   in Loop: Header=BB6_5830 Depth=4
	v_bfrev_b32_e32 v3, 1
	s_mov_b32 s75, exec_lo
	v_cmpx_ne_u16_e32 0x80, v0
	s_cbranch_execz .LBB6_8767
; %bb.8760:                             ;   in Loop: Header=BB6_5830 Depth=4
	v_and_b32_e32 v84, 0xffff, v0
	s_delay_alu instid0(VALU_DEP_1) | instskip(SKIP_1) | instid1(VALU_DEP_2)
	v_and_b32_e32 v3, 0x7c, v84
	v_and_b32_e32 v1, 3, v84
	v_cmp_ne_u32_e32 vcc_lo, 0x7c, v3
                                        ; implicit-def: $vgpr3
	s_and_saveexec_b32 s13, vcc_lo
	s_delay_alu instid0(SALU_CYCLE_1)
	s_xor_b32 s13, exec_lo, s13
	s_cbranch_execz .LBB6_8764
; %bb.8761:                             ;   in Loop: Header=BB6_5830 Depth=4
	v_bfe_u32 v3, v84, 2, 5
	s_mov_b32 s76, exec_lo
	s_delay_alu instid0(VALU_DEP_1)
	v_cmpx_eq_u32_e32 0, v3
	s_cbranch_execz .LBB6_8763
; %bb.8762:                             ;   in Loop: Header=BB6_5830 Depth=4
	v_clz_i32_u32_e32 v1, v1
	s_delay_alu instid0(VALU_DEP_1) | instskip(SKIP_1) | instid1(VALU_DEP_2)
	v_min_u32_e32 v3, 32, v1
	v_mov_b32_e32 v1, v113
	v_subrev_nc_u32_e32 v84, 29, v3
	v_sub_nc_u32_e32 v3, 30, v3
	s_delay_alu instid0(VALU_DEP_2) | instskip(NEXT) | instid1(VALU_DEP_1)
	v_lshlrev_b64_e32 v[0:1], v84, v[0:1]
	v_and_b32_e32 v1, 3, v0
.LBB6_8763:                             ;   in Loop: Header=BB6_5830 Depth=4
	s_or_b32 exec_lo, exec_lo, s76
	v_lshlrev_b32_e32 v0, 16, v97
                                        ; implicit-def: $vgpr97
	s_delay_alu instid0(VALU_DEP_1) | instskip(NEXT) | instid1(VALU_DEP_1)
	v_and_b32_e32 v0, 0x80000000, v0
	v_lshl_add_u32 v0, v3, 23, v0
	s_delay_alu instid0(VALU_DEP_1) | instskip(NEXT) | instid1(VALU_DEP_1)
	v_lshl_or_b32 v0, v1, 21, v0
                                        ; implicit-def: $vgpr1
	v_add_nc_u32_e32 v3, 0x38000000, v0
.LBB6_8764:                             ;   in Loop: Header=BB6_5830 Depth=4
	s_and_not1_saveexec_b32 s76, s13
; %bb.8765:                             ;   in Loop: Header=BB6_5830 Depth=4
	v_cmp_lt_i16_e64 s13, -1, v97
	v_mov_b32_e32 v0, 0x7f800000
	v_cmp_eq_u32_e32 vcc_lo, 0, v1
	s_delay_alu instid0(VALU_DEP_2) | instskip(NEXT) | instid1(VALU_DEP_1)
	v_cndmask_b32_e64 v0, 0xff800000, v0, s13
	v_cndmask_b32_e32 v3, 0x7f800001, v0, vcc_lo
; %bb.8766:                             ;   in Loop: Header=BB6_5830 Depth=4
	s_or_b32 exec_lo, exec_lo, s76
.LBB6_8767:                             ;   in Loop: Header=BB6_5830 Depth=4
	s_delay_alu instid0(SALU_CYCLE_1)
	s_or_b32 exec_lo, exec_lo, s75
.LBB6_8768:                             ;   in Loop: Header=BB6_5830 Depth=4
	s_delay_alu instid0(SALU_CYCLE_1) | instskip(SKIP_2) | instid1(VALU_DEP_1)
	s_or_b32 exec_lo, exec_lo, s74
	v_lshrrev_b16 v0, 8, v18
	s_mov_b32 s74, exec_lo
	v_cmpx_ne_u16_e32 0, v0
	s_cbranch_execz .LBB6_8778
; %bb.8769:                             ;   in Loop: Header=BB6_5830 Depth=4
	v_bfrev_b32_e32 v2, 1
	s_mov_b32 s75, exec_lo
	v_cmpx_ne_u16_e32 0x80, v0
	s_cbranch_execz .LBB6_8777
; %bb.8770:                             ;   in Loop: Header=BB6_5830 Depth=4
	v_and_b32_e32 v84, 0xffff, v0
	s_delay_alu instid0(VALU_DEP_1) | instskip(SKIP_1) | instid1(VALU_DEP_2)
	v_and_b32_e32 v2, 0x7c, v84
	v_and_b32_e32 v1, 3, v84
	v_cmp_ne_u32_e32 vcc_lo, 0x7c, v2
                                        ; implicit-def: $vgpr2
	s_and_saveexec_b32 s13, vcc_lo
	s_delay_alu instid0(SALU_CYCLE_1)
	s_xor_b32 s13, exec_lo, s13
	s_cbranch_execz .LBB6_8774
; %bb.8771:                             ;   in Loop: Header=BB6_5830 Depth=4
	v_bfe_u32 v2, v84, 2, 5
	s_mov_b32 s76, exec_lo
	s_delay_alu instid0(VALU_DEP_1)
	v_cmpx_eq_u32_e32 0, v2
	s_cbranch_execz .LBB6_8773
; %bb.8772:                             ;   in Loop: Header=BB6_5830 Depth=4
	v_clz_i32_u32_e32 v1, v1
	s_delay_alu instid0(VALU_DEP_1) | instskip(SKIP_1) | instid1(VALU_DEP_2)
	v_min_u32_e32 v2, 32, v1
	v_mov_b32_e32 v1, v113
	v_subrev_nc_u32_e32 v84, 29, v2
	v_sub_nc_u32_e32 v2, 30, v2
	s_delay_alu instid0(VALU_DEP_2) | instskip(NEXT) | instid1(VALU_DEP_1)
	v_lshlrev_b64_e32 v[0:1], v84, v[0:1]
	v_and_b32_e32 v1, 3, v0
.LBB6_8773:                             ;   in Loop: Header=BB6_5830 Depth=4
	s_or_b32 exec_lo, exec_lo, s76
	v_lshlrev_b32_e32 v0, 16, v18
	s_delay_alu instid0(VALU_DEP_1) | instskip(NEXT) | instid1(VALU_DEP_1)
	v_and_b32_e32 v0, 0x80000000, v0
	v_lshl_add_u32 v0, v2, 23, v0
	s_delay_alu instid0(VALU_DEP_1) | instskip(NEXT) | instid1(VALU_DEP_1)
	v_lshl_or_b32 v0, v1, 21, v0
                                        ; implicit-def: $vgpr1
	v_add_nc_u32_e32 v2, 0x38000000, v0
.LBB6_8774:                             ;   in Loop: Header=BB6_5830 Depth=4
	s_and_not1_saveexec_b32 s76, s13
; %bb.8775:                             ;   in Loop: Header=BB6_5830 Depth=4
	v_cmp_lt_i16_e64 s13, -1, v18
	v_mov_b32_e32 v0, 0x7f800000
	v_cmp_eq_u32_e32 vcc_lo, 0, v1
	s_delay_alu instid0(VALU_DEP_2) | instskip(NEXT) | instid1(VALU_DEP_1)
	v_cndmask_b32_e64 v0, 0xff800000, v0, s13
	v_cndmask_b32_e32 v2, 0x7f800001, v0, vcc_lo
; %bb.8776:                             ;   in Loop: Header=BB6_5830 Depth=4
	s_or_b32 exec_lo, exec_lo, s76
.LBB6_8777:                             ;   in Loop: Header=BB6_5830 Depth=4
	s_delay_alu instid0(SALU_CYCLE_1)
	s_or_b32 exec_lo, exec_lo, s75
.LBB6_8778:                             ;   in Loop: Header=BB6_5830 Depth=4
	s_delay_alu instid0(SALU_CYCLE_1) | instskip(NEXT) | instid1(VALU_DEP_1)
	s_or_b32 exec_lo, exec_lo, s74
	v_dual_add_f32 v2, v3, v2 :: v_dual_mov_b32 v47, v113
	v_mov_b32_e32 v1, v113
                                        ; implicit-def: $vgpr84
	s_mov_b32 s13, exec_lo
	s_delay_alu instid0(VALU_DEP_2) | instskip(SKIP_2) | instid1(VALU_DEP_3)
	v_and_b32_e32 v46, 0x7f800000, v2
	v_and_b32_e32 v0, 0x7fffff, v2
	v_lshrrev_b32_e32 v3, 24, v2
	v_cmpx_ne_u64_e32 0x7f800000, v[46:47]
	s_xor_b32 s74, exec_lo, s13
	s_cbranch_execz .LBB6_8792
; %bb.8779:                             ;   in Loop: Header=BB6_5830 Depth=4
	v_and_b32_e32 v46, 0x7fffffff, v2
	v_mov_b32_e32 v47, v113
	v_and_b32_e32 v97, 0x80, v3
                                        ; implicit-def: $vgpr84
	s_mov_b32 s13, exec_lo
	s_delay_alu instid0(VALU_DEP_2)
	v_cmpx_gt_u64_e32 0x47600001, v[46:47]
	s_xor_b32 s75, exec_lo, s13
	s_cbranch_execz .LBB6_8789
; %bb.8780:                             ;   in Loop: Header=BB6_5830 Depth=4
	v_mov_b32_e32 v84, 0
	s_mov_b32 s76, exec_lo
	v_cmpx_ne_u32_e32 0, v2
	s_cbranch_execz .LBB6_8788
; %bb.8781:                             ;   in Loop: Header=BB6_5830 Depth=4
	v_bfe_u32 v84, v2, 23, 8
	v_or_b32_e32 v3, 0x800000, v0
	s_delay_alu instid0(VALU_DEP_2) | instskip(SKIP_2) | instid1(VALU_DEP_2)
	v_cmp_gt_u32_e64 s13, 0x72, v84
	v_sub_nc_u32_e32 v2, 0x71, v84
	v_cmp_eq_u32_e32 vcc_lo, 0, v84
	v_dual_cndmask_b32 v2, 0, v2, s13 :: v_dual_cndmask_b32 v0, v3, v0, vcc_lo
	s_delay_alu instid0(VALU_DEP_1) | instskip(NEXT) | instid1(VALU_DEP_1)
	v_cndmask_b32_e64 v101, v2, 0x70, vcc_lo
	v_dual_add_nc_u32 v2, 21, v101 :: v_dual_add_nc_u32 v115, 20, v101
	s_delay_alu instid0(VALU_DEP_1) | instskip(NEXT) | instid1(VALU_DEP_2)
	v_lshlrev_b64_e64 v[2:3], v2, -1
	v_lshlrev_b64_e64 v[46:47], v115, 1
	s_delay_alu instid0(VALU_DEP_2) | instskip(SKIP_1) | instid1(VALU_DEP_4)
	v_bfi_b32 v2, v2, 0, v0
	v_lshrrev_b64 v[0:1], v101, v[0:1]
	v_bfi_b32 v3, v3, 0, 0
	s_delay_alu instid0(VALU_DEP_1) | instskip(NEXT) | instid1(VALU_DEP_3)
	v_cmp_eq_u64_e64 s13, v[2:3], v[46:47]
	v_mov_b64_e32 v[2:3], v[0:1]
	s_and_saveexec_b32 s77, s13
; %bb.8782:                             ;   in Loop: Header=BB6_5830 Depth=4
	v_bfe_u32 v2, v0, 21, 1
	v_mov_b32_e32 v3, v113
	s_delay_alu instid0(VALU_DEP_1) | instskip(NEXT) | instid1(VALU_DEP_1)
	v_add_nc_u64_e32 v[2:3], v[0:1], v[2:3]
	v_add_nc_u64_e32 v[2:3], -1, v[2:3]
; %bb.8783:                             ;   in Loop: Header=BB6_5830 Depth=4
	s_or_b32 exec_lo, exec_lo, s77
	v_add_nc_u32_e32 v1, 0xffffff81, v84
	v_lshrrev_b32_e32 v3, 23, v0
	s_mov_b32 s13, exec_lo
	s_delay_alu instid0(VALU_DEP_2) | instskip(NEXT) | instid1(VALU_DEP_1)
	v_cndmask_b32_e64 v1, v1, 0xffffff82, vcc_lo
	v_add3_u32 v84, v101, v1, v3
	v_and_b32_e32 v1, 0x1fffff, v2
                                        ; implicit-def: $vgpr2
	s_delay_alu instid0(VALU_DEP_2) | instskip(NEXT) | instid1(VALU_DEP_2)
	v_add_nc_u32_e32 v3, 14, v84
	v_add_nc_u32_e32 v0, v1, v0
	v_mov_b32_e32 v1, v113
	s_delay_alu instid0(VALU_DEP_3)
	v_cmpx_ne_u32_e32 0, v3
	s_xor_b32 s13, exec_lo, s13
; %bb.8784:                             ;   in Loop: Header=BB6_5830 Depth=4
	s_delay_alu instid0(VALU_DEP_2) | instskip(SKIP_1) | instid1(VALU_DEP_1)
	v_cmp_lt_u64_e32 vcc_lo, 0xffffff, v[0:1]
	v_add_nc_u32_e32 v2, 15, v84
	v_cndmask_b32_e32 v2, v3, v2, vcc_lo
	v_cndmask_b32_e64 v3, 0, 1, vcc_lo
	s_delay_alu instid0(VALU_DEP_1)
	v_lshrrev_b64 v[0:1], v3, v[0:1]
; %bb.8785:                             ;   in Loop: Header=BB6_5830 Depth=4
	s_and_not1_saveexec_b32 s13, s13
; %bb.8786:                             ;   in Loop: Header=BB6_5830 Depth=4
	s_delay_alu instid0(VALU_DEP_1)
	v_bfe_u32 v2, v0, 23, 1
; %bb.8787:                             ;   in Loop: Header=BB6_5830 Depth=4
	s_or_b32 exec_lo, exec_lo, s13
	s_delay_alu instid0(VALU_DEP_2) | instskip(NEXT) | instid1(VALU_DEP_2)
	v_lshrrev_b64 v[0:1], 21, v[0:1]
	v_cmp_gt_i32_e32 vcc_lo, 32, v2
	v_min_i32_e32 v3, 31, v2
	v_cmp_eq_u32_e64 s13, 0, v2
	s_delay_alu instid0(VALU_DEP_2) | instskip(SKIP_1) | instid1(VALU_DEP_2)
	v_dual_cndmask_b32 v1, 0, v1, vcc_lo :: v_dual_lshlrev_b32 v3, 2, v3
	v_cndmask_b32_e32 v0, 3, v0, vcc_lo
	v_and_b32_e32 v3, 0xfc, v3
	s_delay_alu instid0(VALU_DEP_2) | instskip(NEXT) | instid1(VALU_DEP_2)
	v_cmp_eq_u64_e32 vcc_lo, 0, v[0:1]
	v_and_or_b32 v0, v0, 3, v3
	s_and_b32 s13, s13, vcc_lo
	s_delay_alu instid0(VALU_DEP_1) | instid1(SALU_CYCLE_1)
	v_cndmask_b32_e64 v0, v0, 0, s13
	s_delay_alu instid0(VALU_DEP_1)
	v_or_b32_e32 v84, v0, v97
.LBB6_8788:                             ;   in Loop: Header=BB6_5830 Depth=4
	s_or_b32 exec_lo, exec_lo, s76
                                        ; implicit-def: $vgpr97
.LBB6_8789:                             ;   in Loop: Header=BB6_5830 Depth=4
	s_and_not1_saveexec_b32 s13, s75
; %bb.8790:                             ;   in Loop: Header=BB6_5830 Depth=4
	v_or_b32_e32 v84, 0x7b, v97
; %bb.8791:                             ;   in Loop: Header=BB6_5830 Depth=4
	s_or_b32 exec_lo, exec_lo, s13
                                        ; implicit-def: $vgpr2
                                        ; implicit-def: $vgpr0_vgpr1
                                        ; implicit-def: $vgpr3
.LBB6_8792:                             ;   in Loop: Header=BB6_5830 Depth=4
	s_and_not1_saveexec_b32 s13, s74
	s_cbranch_execz .LBB6_8798
; %bb.8793:                             ;   in Loop: Header=BB6_5830 Depth=4
	s_mov_b32 s74, exec_lo
                                        ; implicit-def: $vgpr84
	v_cmpx_ne_u64_e32 0, v[0:1]
	s_xor_b32 s74, exec_lo, s74
; %bb.8794:                             ;   in Loop: Header=BB6_5830 Depth=4
	v_or_b32_e32 v84, 0x7f, v3
                                        ; implicit-def: $vgpr2
; %bb.8795:                             ;   in Loop: Header=BB6_5830 Depth=4
	s_and_not1_saveexec_b32 s74, s74
; %bb.8796:                             ;   in Loop: Header=BB6_5830 Depth=4
	v_cmp_lt_i32_e32 vcc_lo, -1, v2
	v_mov_b32_e32 v0, 0x7c
	s_delay_alu instid0(VALU_DEP_1)
	v_cndmask_b32_e32 v84, 0xfc, v0, vcc_lo
; %bb.8797:                             ;   in Loop: Header=BB6_5830 Depth=4
	s_or_b32 exec_lo, exec_lo, s74
.LBB6_8798:                             ;   in Loop: Header=BB6_5830 Depth=4
	s_delay_alu instid0(SALU_CYCLE_1) | instskip(SKIP_3) | instid1(VALU_DEP_2)
	s_or_b32 exec_lo, exec_lo, s13
	v_dual_mov_b32 v1, 0 :: v_dual_lshrrev_b32 v0, 16, v112
	v_mov_b32_e32 v2, 0
	s_mov_b32 s74, exec_lo
	v_and_b32_e32 v3, 0xff, v0
	s_delay_alu instid0(VALU_DEP_1)
	v_cmpx_ne_u16_e32 0, v3
	s_cbranch_execz .LBB6_8808
; %bb.8799:                             ;   in Loop: Header=BB6_5830 Depth=4
	v_bfrev_b32_e32 v2, 1
	s_mov_b32 s75, exec_lo
	v_cmpx_ne_u16_e32 0x80, v3
	s_cbranch_execz .LBB6_8807
; %bb.8800:                             ;   in Loop: Header=BB6_5830 Depth=4
	v_and_b32_e32 v2, 0x7c0000, v112
	v_bfe_u32 v3, v112, 16, 2
	s_delay_alu instid0(VALU_DEP_2) | instskip(SKIP_1) | instid1(SALU_CYCLE_1)
	v_cmp_ne_u32_e32 vcc_lo, 0x7c0000, v2
                                        ; implicit-def: $vgpr2
	s_and_saveexec_b32 s13, vcc_lo
	s_xor_b32 s13, exec_lo, s13
	s_cbranch_execz .LBB6_8804
; %bb.8801:                             ;   in Loop: Header=BB6_5830 Depth=4
	v_bfe_u32 v2, v112, 18, 5
	s_mov_b32 s76, exec_lo
	s_delay_alu instid0(VALU_DEP_1)
	v_cmpx_eq_u32_e32 0, v2
; %bb.8802:                             ;   in Loop: Header=BB6_5830 Depth=4
	v_clz_i32_u32_e32 v2, v3
	s_delay_alu instid0(VALU_DEP_1) | instskip(NEXT) | instid1(VALU_DEP_1)
	v_min_u32_e32 v2, 32, v2
	v_subrev_nc_u32_e32 v3, 29, v2
	v_sub_nc_u32_e32 v2, 30, v2
	s_delay_alu instid0(VALU_DEP_2) | instskip(NEXT) | instid1(VALU_DEP_1)
	v_lshlrev_b64_e32 v[46:47], v3, v[0:1]
	v_and_b32_e32 v3, 3, v46
; %bb.8803:                             ;   in Loop: Header=BB6_5830 Depth=4
	s_or_b32 exec_lo, exec_lo, s76
	v_lshlrev_b32_e32 v0, 24, v0
	s_delay_alu instid0(VALU_DEP_1) | instskip(NEXT) | instid1(VALU_DEP_1)
	v_and_b32_e32 v0, 0x80000000, v0
	v_lshl_add_u32 v0, v2, 23, v0
	s_delay_alu instid0(VALU_DEP_1) | instskip(NEXT) | instid1(VALU_DEP_1)
	v_lshl_or_b32 v0, v3, 21, v0
                                        ; implicit-def: $vgpr3
	v_add_nc_u32_e32 v2, 0x38000000, v0
                                        ; implicit-def: $vgpr0
.LBB6_8804:                             ;   in Loop: Header=BB6_5830 Depth=4
	s_and_not1_saveexec_b32 s76, s13
; %bb.8805:                             ;   in Loop: Header=BB6_5830 Depth=4
	v_bfe_i32 v0, v0, 0, 8
	v_cmp_eq_u32_e32 vcc_lo, 0, v3
	s_delay_alu instid0(VALU_DEP_2) | instskip(SKIP_1) | instid1(VALU_DEP_1)
	v_cmp_lt_i16_e64 s13, -1, v0
	v_mov_b32_e32 v0, 0x7f800000
	v_cndmask_b32_e64 v0, 0xff800000, v0, s13
	s_delay_alu instid0(VALU_DEP_1)
	v_cndmask_b32_e32 v2, 0x7f800001, v0, vcc_lo
; %bb.8806:                             ;   in Loop: Header=BB6_5830 Depth=4
	s_or_b32 exec_lo, exec_lo, s76
.LBB6_8807:                             ;   in Loop: Header=BB6_5830 Depth=4
	s_delay_alu instid0(SALU_CYCLE_1)
	s_or_b32 exec_lo, exec_lo, s75
.LBB6_8808:                             ;   in Loop: Header=BB6_5830 Depth=4
	s_delay_alu instid0(SALU_CYCLE_1) | instskip(SKIP_2) | instid1(VALU_DEP_1)
	s_or_b32 exec_lo, exec_lo, s74
	v_lshrrev_b32_e32 v0, 16, v18
	s_mov_b32 s74, exec_lo
	v_and_b32_e32 v3, 0xff, v0
	s_delay_alu instid0(VALU_DEP_1)
	v_cmpx_ne_u16_e32 0, v3
	s_cbranch_execz .LBB6_8818
; %bb.8809:                             ;   in Loop: Header=BB6_5830 Depth=4
	v_bfrev_b32_e32 v1, 1
	s_mov_b32 s75, exec_lo
	v_cmpx_ne_u16_e32 0x80, v3
	s_cbranch_execz .LBB6_8817
; %bb.8810:                             ;   in Loop: Header=BB6_5830 Depth=4
	v_and_b32_e32 v1, 0x7c0000, v18
	v_bfe_u32 v3, v18, 16, 2
	s_delay_alu instid0(VALU_DEP_2) | instskip(SKIP_1) | instid1(SALU_CYCLE_1)
	v_cmp_ne_u32_e32 vcc_lo, 0x7c0000, v1
                                        ; implicit-def: $vgpr1
	s_and_saveexec_b32 s13, vcc_lo
	s_xor_b32 s13, exec_lo, s13
	s_cbranch_execz .LBB6_8814
; %bb.8811:                             ;   in Loop: Header=BB6_5830 Depth=4
	v_bfe_u32 v1, v18, 18, 5
	s_mov_b32 s76, exec_lo
	s_delay_alu instid0(VALU_DEP_1)
	v_cmpx_eq_u32_e32 0, v1
; %bb.8812:                             ;   in Loop: Header=BB6_5830 Depth=4
	v_clz_i32_u32_e32 v1, v3
	s_delay_alu instid0(VALU_DEP_1) | instskip(NEXT) | instid1(VALU_DEP_1)
	v_min_u32_e32 v1, 32, v1
	v_subrev_nc_u32_e32 v3, 29, v1
	s_delay_alu instid0(VALU_DEP_1) | instskip(NEXT) | instid1(VALU_DEP_1)
	v_lshlrev_b64_e32 v[46:47], v3, v[0:1]
	v_dual_sub_nc_u32 v1, 30, v1 :: v_dual_bitop2_b32 v3, 3, v46 bitop3:0x40
; %bb.8813:                             ;   in Loop: Header=BB6_5830 Depth=4
	s_or_b32 exec_lo, exec_lo, s76
	v_lshlrev_b32_e32 v0, 24, v0
	s_delay_alu instid0(VALU_DEP_1) | instskip(NEXT) | instid1(VALU_DEP_1)
	v_and_b32_e32 v0, 0x80000000, v0
	v_lshl_add_u32 v0, v1, 23, v0
	s_delay_alu instid0(VALU_DEP_1) | instskip(NEXT) | instid1(VALU_DEP_1)
	v_lshl_or_b32 v0, v3, 21, v0
                                        ; implicit-def: $vgpr3
	v_add_nc_u32_e32 v1, 0x38000000, v0
                                        ; implicit-def: $vgpr0
.LBB6_8814:                             ;   in Loop: Header=BB6_5830 Depth=4
	s_and_not1_saveexec_b32 s76, s13
; %bb.8815:                             ;   in Loop: Header=BB6_5830 Depth=4
	v_bfe_i32 v0, v0, 0, 8
	v_cmp_eq_u32_e32 vcc_lo, 0, v3
	s_delay_alu instid0(VALU_DEP_2) | instskip(SKIP_1) | instid1(VALU_DEP_1)
	v_cmp_lt_i16_e64 s13, -1, v0
	v_mov_b32_e32 v0, 0x7f800000
	v_cndmask_b32_e64 v0, 0xff800000, v0, s13
	s_delay_alu instid0(VALU_DEP_1)
	v_cndmask_b32_e32 v1, 0x7f800001, v0, vcc_lo
; %bb.8816:                             ;   in Loop: Header=BB6_5830 Depth=4
	s_or_b32 exec_lo, exec_lo, s76
.LBB6_8817:                             ;   in Loop: Header=BB6_5830 Depth=4
	s_delay_alu instid0(SALU_CYCLE_1)
	s_or_b32 exec_lo, exec_lo, s75
.LBB6_8818:                             ;   in Loop: Header=BB6_5830 Depth=4
	s_delay_alu instid0(SALU_CYCLE_1) | instskip(NEXT) | instid1(VALU_DEP_1)
	s_or_b32 exec_lo, exec_lo, s74
	v_dual_add_f32 v2, v2, v1 :: v_dual_mov_b32 v47, v113
	v_mov_b32_e32 v1, v113
                                        ; implicit-def: $vgpr97
	s_mov_b32 s13, exec_lo
	s_delay_alu instid0(VALU_DEP_2) | instskip(SKIP_2) | instid1(VALU_DEP_3)
	v_and_b32_e32 v46, 0x7f800000, v2
	v_and_b32_e32 v0, 0x7fffff, v2
	v_lshrrev_b32_e32 v3, 24, v2
	v_cmpx_ne_u64_e32 0x7f800000, v[46:47]
	s_xor_b32 s74, exec_lo, s13
	s_cbranch_execz .LBB6_8832
; %bb.8819:                             ;   in Loop: Header=BB6_5830 Depth=4
	v_and_b32_e32 v46, 0x7fffffff, v2
	v_mov_b32_e32 v47, v113
	v_and_b32_e32 v101, 0x80, v3
                                        ; implicit-def: $vgpr97
	s_mov_b32 s13, exec_lo
	s_delay_alu instid0(VALU_DEP_2)
	v_cmpx_gt_u64_e32 0x47600001, v[46:47]
	s_xor_b32 s75, exec_lo, s13
	s_cbranch_execz .LBB6_8829
; %bb.8820:                             ;   in Loop: Header=BB6_5830 Depth=4
	v_mov_b32_e32 v97, 0
	s_mov_b32 s76, exec_lo
	v_cmpx_ne_u32_e32 0, v2
	s_cbranch_execz .LBB6_8828
; %bb.8821:                             ;   in Loop: Header=BB6_5830 Depth=4
	v_bfe_u32 v97, v2, 23, 8
	v_or_b32_e32 v3, 0x800000, v0
	s_delay_alu instid0(VALU_DEP_2) | instskip(SKIP_2) | instid1(VALU_DEP_2)
	v_cmp_gt_u32_e64 s13, 0x72, v97
	v_sub_nc_u32_e32 v2, 0x71, v97
	v_cmp_eq_u32_e32 vcc_lo, 0, v97
	v_dual_cndmask_b32 v2, 0, v2, s13 :: v_dual_cndmask_b32 v0, v3, v0, vcc_lo
	s_delay_alu instid0(VALU_DEP_1) | instskip(NEXT) | instid1(VALU_DEP_1)
	v_cndmask_b32_e64 v115, v2, 0x70, vcc_lo
	v_dual_add_nc_u32 v2, 21, v115 :: v_dual_add_nc_u32 v119, 20, v115
	s_delay_alu instid0(VALU_DEP_1) | instskip(NEXT) | instid1(VALU_DEP_2)
	v_lshlrev_b64_e64 v[2:3], v2, -1
	v_lshlrev_b64_e64 v[46:47], v119, 1
	s_delay_alu instid0(VALU_DEP_2) | instskip(SKIP_1) | instid1(VALU_DEP_4)
	v_bfi_b32 v2, v2, 0, v0
	v_lshrrev_b64 v[0:1], v115, v[0:1]
	v_bfi_b32 v3, v3, 0, 0
	s_delay_alu instid0(VALU_DEP_1) | instskip(NEXT) | instid1(VALU_DEP_3)
	v_cmp_eq_u64_e64 s13, v[2:3], v[46:47]
	v_mov_b64_e32 v[2:3], v[0:1]
	s_and_saveexec_b32 s77, s13
; %bb.8822:                             ;   in Loop: Header=BB6_5830 Depth=4
	v_bfe_u32 v2, v0, 21, 1
	v_mov_b32_e32 v3, v113
	s_delay_alu instid0(VALU_DEP_1) | instskip(NEXT) | instid1(VALU_DEP_1)
	v_add_nc_u64_e32 v[2:3], v[0:1], v[2:3]
	v_add_nc_u64_e32 v[2:3], -1, v[2:3]
; %bb.8823:                             ;   in Loop: Header=BB6_5830 Depth=4
	s_or_b32 exec_lo, exec_lo, s77
	v_add_nc_u32_e32 v1, 0xffffff81, v97
	v_lshrrev_b32_e32 v3, 23, v0
	s_mov_b32 s13, exec_lo
	s_delay_alu instid0(VALU_DEP_2) | instskip(NEXT) | instid1(VALU_DEP_1)
	v_cndmask_b32_e64 v1, v1, 0xffffff82, vcc_lo
	v_add3_u32 v97, v115, v1, v3
	v_and_b32_e32 v1, 0x1fffff, v2
                                        ; implicit-def: $vgpr2
	s_delay_alu instid0(VALU_DEP_1) | instskip(SKIP_1) | instid1(VALU_DEP_2)
	v_dual_add_nc_u32 v3, 14, v97 :: v_dual_add_nc_u32 v0, v1, v0
	v_mov_b32_e32 v1, v113
	v_cmpx_ne_u32_e32 0, v3
	s_xor_b32 s13, exec_lo, s13
; %bb.8824:                             ;   in Loop: Header=BB6_5830 Depth=4
	s_delay_alu instid0(VALU_DEP_2) | instskip(SKIP_1) | instid1(VALU_DEP_1)
	v_cmp_lt_u64_e32 vcc_lo, 0xffffff, v[0:1]
	v_add_nc_u32_e32 v2, 15, v97
	v_cndmask_b32_e32 v2, v3, v2, vcc_lo
	v_cndmask_b32_e64 v3, 0, 1, vcc_lo
	s_delay_alu instid0(VALU_DEP_1)
	v_lshrrev_b64 v[0:1], v3, v[0:1]
; %bb.8825:                             ;   in Loop: Header=BB6_5830 Depth=4
	s_and_not1_saveexec_b32 s13, s13
; %bb.8826:                             ;   in Loop: Header=BB6_5830 Depth=4
	s_delay_alu instid0(VALU_DEP_1)
	v_bfe_u32 v2, v0, 23, 1
; %bb.8827:                             ;   in Loop: Header=BB6_5830 Depth=4
	s_or_b32 exec_lo, exec_lo, s13
	s_delay_alu instid0(VALU_DEP_2) | instskip(NEXT) | instid1(VALU_DEP_2)
	v_lshrrev_b64 v[0:1], 21, v[0:1]
	v_cmp_gt_i32_e32 vcc_lo, 32, v2
	v_min_i32_e32 v3, 31, v2
	v_cmp_eq_u32_e64 s13, 0, v2
	s_delay_alu instid0(VALU_DEP_2) | instskip(SKIP_1) | instid1(VALU_DEP_2)
	v_dual_cndmask_b32 v1, 0, v1, vcc_lo :: v_dual_lshlrev_b32 v3, 2, v3
	v_cndmask_b32_e32 v0, 3, v0, vcc_lo
	v_and_b32_e32 v3, 0xfc, v3
	s_delay_alu instid0(VALU_DEP_2) | instskip(NEXT) | instid1(VALU_DEP_2)
	v_cmp_eq_u64_e32 vcc_lo, 0, v[0:1]
	v_and_or_b32 v0, v0, 3, v3
	s_and_b32 s13, s13, vcc_lo
	s_delay_alu instid0(VALU_DEP_1) | instid1(SALU_CYCLE_1)
	v_cndmask_b32_e64 v0, v0, 0, s13
	s_delay_alu instid0(VALU_DEP_1)
	v_or_b32_e32 v97, v0, v101
.LBB6_8828:                             ;   in Loop: Header=BB6_5830 Depth=4
	s_or_b32 exec_lo, exec_lo, s76
                                        ; implicit-def: $vgpr101
.LBB6_8829:                             ;   in Loop: Header=BB6_5830 Depth=4
	s_and_not1_saveexec_b32 s13, s75
; %bb.8830:                             ;   in Loop: Header=BB6_5830 Depth=4
	v_or_b32_e32 v97, 0x7b, v101
; %bb.8831:                             ;   in Loop: Header=BB6_5830 Depth=4
	s_or_b32 exec_lo, exec_lo, s13
                                        ; implicit-def: $vgpr2
                                        ; implicit-def: $vgpr0_vgpr1
                                        ; implicit-def: $vgpr3
.LBB6_8832:                             ;   in Loop: Header=BB6_5830 Depth=4
	s_and_not1_saveexec_b32 s13, s74
	s_cbranch_execz .LBB6_8838
; %bb.8833:                             ;   in Loop: Header=BB6_5830 Depth=4
	s_mov_b32 s74, exec_lo
                                        ; implicit-def: $vgpr97
	v_cmpx_ne_u64_e32 0, v[0:1]
	s_xor_b32 s74, exec_lo, s74
; %bb.8834:                             ;   in Loop: Header=BB6_5830 Depth=4
	v_or_b32_e32 v97, 0x7f, v3
                                        ; implicit-def: $vgpr2
; %bb.8835:                             ;   in Loop: Header=BB6_5830 Depth=4
	s_and_not1_saveexec_b32 s74, s74
; %bb.8836:                             ;   in Loop: Header=BB6_5830 Depth=4
	v_cmp_lt_i32_e32 vcc_lo, -1, v2
	v_mov_b32_e32 v0, 0x7c
	s_delay_alu instid0(VALU_DEP_1)
	v_cndmask_b32_e32 v97, 0xfc, v0, vcc_lo
; %bb.8837:                             ;   in Loop: Header=BB6_5830 Depth=4
	s_or_b32 exec_lo, exec_lo, s74
.LBB6_8838:                             ;   in Loop: Header=BB6_5830 Depth=4
	s_delay_alu instid0(SALU_CYCLE_1)
	s_or_b32 exec_lo, exec_lo, s13
	v_dual_mov_b32 v1, 0 :: v_dual_mov_b32 v2, 0
	s_mov_b32 s74, exec_lo
	v_cmpx_lt_u32_e32 0xffffff, v112
	s_cbranch_execz .LBB6_8848
; %bb.8839:                             ;   in Loop: Header=BB6_5830 Depth=4
	v_lshrrev_b32_e32 v0, 24, v112
	v_bfrev_b32_e32 v2, 1
	s_mov_b32 s75, exec_lo
	s_delay_alu instid0(VALU_DEP_2)
	v_cmpx_ne_u32_e32 0x80, v0
	s_cbranch_execz .LBB6_8847
; %bb.8840:                             ;   in Loop: Header=BB6_5830 Depth=4
	v_and_b32_e32 v2, 0x7c000000, v112
	v_bfe_u32 v3, v112, 24, 2
	s_delay_alu instid0(VALU_DEP_2) | instskip(SKIP_1) | instid1(SALU_CYCLE_1)
	v_cmp_ne_u32_e32 vcc_lo, 0x7c000000, v2
                                        ; implicit-def: $vgpr2
	s_and_saveexec_b32 s13, vcc_lo
	s_xor_b32 s13, exec_lo, s13
	s_cbranch_execz .LBB6_8844
; %bb.8841:                             ;   in Loop: Header=BB6_5830 Depth=4
	v_bfe_u32 v2, v112, 26, 5
	s_mov_b32 s76, exec_lo
	s_delay_alu instid0(VALU_DEP_1)
	v_cmpx_eq_u32_e32 0, v2
; %bb.8842:                             ;   in Loop: Header=BB6_5830 Depth=4
	v_clz_i32_u32_e32 v2, v3
	s_delay_alu instid0(VALU_DEP_1) | instskip(NEXT) | instid1(VALU_DEP_1)
	v_min_u32_e32 v2, 32, v2
	v_subrev_nc_u32_e32 v3, 29, v2
	v_sub_nc_u32_e32 v2, 30, v2
	s_delay_alu instid0(VALU_DEP_2) | instskip(NEXT) | instid1(VALU_DEP_1)
	v_lshlrev_b64_e32 v[46:47], v3, v[0:1]
	v_and_b32_e32 v3, 3, v46
; %bb.8843:                             ;   in Loop: Header=BB6_5830 Depth=4
	s_or_b32 exec_lo, exec_lo, s76
	v_and_b32_e32 v0, 0x80000000, v112
	s_delay_alu instid0(VALU_DEP_1) | instskip(NEXT) | instid1(VALU_DEP_1)
	v_lshl_add_u32 v0, v2, 23, v0
	v_lshl_or_b32 v0, v3, 21, v0
                                        ; implicit-def: $vgpr3
	s_delay_alu instid0(VALU_DEP_1)
	v_add_nc_u32_e32 v2, 0x38000000, v0
.LBB6_8844:                             ;   in Loop: Header=BB6_5830 Depth=4
	s_and_not1_saveexec_b32 s76, s13
; %bb.8845:                             ;   in Loop: Header=BB6_5830 Depth=4
	v_cmp_lt_i32_e64 s13, -1, v112
	v_mov_b32_e32 v0, 0x7f800000
	v_cmp_eq_u32_e32 vcc_lo, 0, v3
	s_delay_alu instid0(VALU_DEP_2) | instskip(NEXT) | instid1(VALU_DEP_1)
	v_cndmask_b32_e64 v0, 0xff800000, v0, s13
	v_cndmask_b32_e32 v2, 0x7f800001, v0, vcc_lo
; %bb.8846:                             ;   in Loop: Header=BB6_5830 Depth=4
	s_or_b32 exec_lo, exec_lo, s76
.LBB6_8847:                             ;   in Loop: Header=BB6_5830 Depth=4
	s_delay_alu instid0(SALU_CYCLE_1)
	s_or_b32 exec_lo, exec_lo, s75
.LBB6_8848:                             ;   in Loop: Header=BB6_5830 Depth=4
	s_delay_alu instid0(SALU_CYCLE_1) | instskip(NEXT) | instid1(SALU_CYCLE_1)
	s_or_b32 exec_lo, exec_lo, s74
	s_mov_b32 s74, exec_lo
	v_cmpx_lt_u32_e32 0xffffff, v18
	s_cbranch_execz .LBB6_8858
; %bb.8849:                             ;   in Loop: Header=BB6_5830 Depth=4
	v_lshrrev_b32_e32 v0, 24, v18
	v_bfrev_b32_e32 v1, 1
	s_mov_b32 s75, exec_lo
	s_delay_alu instid0(VALU_DEP_2)
	v_cmpx_ne_u32_e32 0x80, v0
	s_cbranch_execz .LBB6_8857
; %bb.8850:                             ;   in Loop: Header=BB6_5830 Depth=4
	v_and_b32_e32 v1, 0x7c000000, v18
	v_bfe_u32 v3, v18, 24, 2
	s_delay_alu instid0(VALU_DEP_2) | instskip(SKIP_1) | instid1(SALU_CYCLE_1)
	v_cmp_ne_u32_e32 vcc_lo, 0x7c000000, v1
                                        ; implicit-def: $vgpr1
	s_and_saveexec_b32 s13, vcc_lo
	s_xor_b32 s13, exec_lo, s13
	s_cbranch_execz .LBB6_8854
; %bb.8851:                             ;   in Loop: Header=BB6_5830 Depth=4
	v_bfe_u32 v1, v18, 26, 5
	s_mov_b32 s76, exec_lo
	s_delay_alu instid0(VALU_DEP_1)
	v_cmpx_eq_u32_e32 0, v1
; %bb.8852:                             ;   in Loop: Header=BB6_5830 Depth=4
	v_clz_i32_u32_e32 v1, v3
	s_delay_alu instid0(VALU_DEP_1) | instskip(NEXT) | instid1(VALU_DEP_1)
	v_min_u32_e32 v3, 32, v1
	v_subrev_nc_u32_e32 v1, 29, v3
	s_delay_alu instid0(VALU_DEP_1) | instskip(NEXT) | instid1(VALU_DEP_1)
	v_lshlrev_b64_e32 v[0:1], v1, v[0:1]
	v_dual_sub_nc_u32 v1, 30, v3 :: v_dual_bitop2_b32 v3, 3, v0 bitop3:0x40
; %bb.8853:                             ;   in Loop: Header=BB6_5830 Depth=4
	s_or_b32 exec_lo, exec_lo, s76
	v_and_b32_e32 v0, 0x80000000, v18
	s_delay_alu instid0(VALU_DEP_1) | instskip(NEXT) | instid1(VALU_DEP_1)
	v_lshl_add_u32 v0, v1, 23, v0
	v_lshl_or_b32 v0, v3, 21, v0
                                        ; implicit-def: $vgpr3
	s_delay_alu instid0(VALU_DEP_1)
	v_add_nc_u32_e32 v1, 0x38000000, v0
.LBB6_8854:                             ;   in Loop: Header=BB6_5830 Depth=4
	s_and_not1_saveexec_b32 s76, s13
; %bb.8855:                             ;   in Loop: Header=BB6_5830 Depth=4
	v_cmp_lt_i32_e64 s13, -1, v18
	v_mov_b32_e32 v0, 0x7f800000
	v_cmp_eq_u32_e32 vcc_lo, 0, v3
	s_delay_alu instid0(VALU_DEP_2) | instskip(NEXT) | instid1(VALU_DEP_1)
	v_cndmask_b32_e64 v0, 0xff800000, v0, s13
	v_cndmask_b32_e32 v1, 0x7f800001, v0, vcc_lo
; %bb.8856:                             ;   in Loop: Header=BB6_5830 Depth=4
	s_or_b32 exec_lo, exec_lo, s76
.LBB6_8857:                             ;   in Loop: Header=BB6_5830 Depth=4
	s_delay_alu instid0(SALU_CYCLE_1)
	s_or_b32 exec_lo, exec_lo, s75
.LBB6_8858:                             ;   in Loop: Header=BB6_5830 Depth=4
	s_delay_alu instid0(SALU_CYCLE_1) | instskip(NEXT) | instid1(VALU_DEP_1)
	s_or_b32 exec_lo, exec_lo, s74
	v_dual_add_f32 v0, v2, v1 :: v_dual_mov_b32 v3, v113
                                        ; implicit-def: $vgpr101
	s_mov_b32 s13, exec_lo
	s_delay_alu instid0(VALU_DEP_1) | instskip(SKIP_2) | instid1(VALU_DEP_3)
	v_and_b32_e32 v2, 0x7f800000, v0
	v_and_b32_e32 v112, 0x7fffff, v0
	v_lshrrev_b32_e32 v1, 24, v0
	v_cmpx_ne_u64_e32 0x7f800000, v[2:3]
	s_xor_b32 s74, exec_lo, s13
	s_cbranch_execz .LBB6_8872
; %bb.8859:                             ;   in Loop: Header=BB6_5830 Depth=4
	v_and_b32_e32 v2, 0x7fffffff, v0
	v_mov_b32_e32 v3, v113
	v_and_b32_e32 v115, 0x80, v1
                                        ; implicit-def: $vgpr101
	s_mov_b32 s13, exec_lo
	s_delay_alu instid0(VALU_DEP_2)
	v_cmpx_gt_u64_e32 0x47600001, v[2:3]
	s_xor_b32 s75, exec_lo, s13
	s_cbranch_execz .LBB6_8869
; %bb.8860:                             ;   in Loop: Header=BB6_5830 Depth=4
	v_mov_b32_e32 v101, 0
	s_mov_b32 s76, exec_lo
	v_cmpx_ne_u32_e32 0, v0
	s_cbranch_execz .LBB6_8868
; %bb.8861:                             ;   in Loop: Header=BB6_5830 Depth=4
	v_bfe_u32 v101, v0, 23, 8
	v_or_b32_e32 v1, 0x800000, v112
	s_delay_alu instid0(VALU_DEP_2) | instskip(SKIP_2) | instid1(VALU_DEP_2)
	v_cmp_gt_u32_e64 s13, 0x72, v101
	v_sub_nc_u32_e32 v0, 0x71, v101
	v_cmp_eq_u32_e32 vcc_lo, 0, v101
	v_cndmask_b32_e64 v0, 0, v0, s13
	s_delay_alu instid0(VALU_DEP_1) | instskip(SKIP_1) | instid1(VALU_DEP_2)
	v_cndmask_b32_e64 v119, v0, 0x70, vcc_lo
	v_cndmask_b32_e32 v0, v1, v112, vcc_lo
	v_dual_mov_b32 v1, v113 :: v_dual_add_nc_u32 v2, 21, v119
	v_add_nc_u32_e32 v112, 20, v119
	s_delay_alu instid0(VALU_DEP_2) | instskip(NEXT) | instid1(VALU_DEP_2)
	v_lshlrev_b64_e64 v[2:3], v2, -1
	v_lshlrev_b64_e64 v[46:47], v112, 1
	s_delay_alu instid0(VALU_DEP_2) | instskip(SKIP_1) | instid1(VALU_DEP_4)
	v_bfi_b32 v2, v2, 0, v0
	v_lshrrev_b64 v[0:1], v119, v[0:1]
	v_bfi_b32 v3, v3, 0, 0
	s_delay_alu instid0(VALU_DEP_1) | instskip(NEXT) | instid1(VALU_DEP_3)
	v_cmp_eq_u64_e64 s13, v[2:3], v[46:47]
	v_mov_b64_e32 v[2:3], v[0:1]
	s_and_saveexec_b32 s77, s13
; %bb.8862:                             ;   in Loop: Header=BB6_5830 Depth=4
	v_bfe_u32 v2, v0, 21, 1
	v_mov_b32_e32 v3, v113
	s_delay_alu instid0(VALU_DEP_1) | instskip(NEXT) | instid1(VALU_DEP_1)
	v_add_nc_u64_e32 v[2:3], v[0:1], v[2:3]
	v_add_nc_u64_e32 v[2:3], -1, v[2:3]
; %bb.8863:                             ;   in Loop: Header=BB6_5830 Depth=4
	s_or_b32 exec_lo, exec_lo, s77
	v_add_nc_u32_e32 v1, 0xffffff81, v101
	s_delay_alu instid0(VALU_DEP_2) | instskip(SKIP_2) | instid1(VALU_DEP_3)
	v_and_b32_e32 v2, 0x1fffff, v2
	v_lshrrev_b32_e32 v3, 23, v0
	s_mov_b32 s13, exec_lo
	v_cndmask_b32_e64 v1, v1, 0xffffff82, vcc_lo
	s_delay_alu instid0(VALU_DEP_3) | instskip(NEXT) | instid1(VALU_DEP_2)
	v_add_nc_u32_e32 v112, v2, v0
                                        ; implicit-def: $vgpr2
	v_add3_u32 v101, v119, v1, v3
                                        ; implicit-def: $vgpr0_vgpr1
	s_delay_alu instid0(VALU_DEP_1) | instskip(NEXT) | instid1(VALU_DEP_1)
	v_add_nc_u32_e32 v3, 14, v101
	v_cmpx_ne_u32_e32 0, v3
	s_xor_b32 s13, exec_lo, s13
; %bb.8864:                             ;   in Loop: Header=BB6_5830 Depth=4
	v_cmp_lt_u64_e32 vcc_lo, 0xffffff, v[112:113]
	v_add_nc_u32_e32 v0, 15, v101
	s_delay_alu instid0(VALU_DEP_1) | instskip(SKIP_1) | instid1(VALU_DEP_1)
	v_cndmask_b32_e32 v2, v3, v0, vcc_lo
	v_cndmask_b32_e64 v0, 0, 1, vcc_lo
	v_lshrrev_b64 v[0:1], v0, v[112:113]
; %bb.8865:                             ;   in Loop: Header=BB6_5830 Depth=4
	s_and_not1_saveexec_b32 s13, s13
; %bb.8866:                             ;   in Loop: Header=BB6_5830 Depth=4
	v_mov_b64_e32 v[0:1], v[112:113]
	v_bfe_u32 v2, v112, 23, 1
; %bb.8867:                             ;   in Loop: Header=BB6_5830 Depth=4
	s_or_b32 exec_lo, exec_lo, s13
	s_delay_alu instid0(VALU_DEP_2) | instskip(NEXT) | instid1(VALU_DEP_2)
	v_lshrrev_b64 v[0:1], 21, v[0:1]
	v_cmp_gt_i32_e32 vcc_lo, 32, v2
	v_min_i32_e32 v3, 31, v2
	v_cmp_eq_u32_e64 s13, 0, v2
	s_delay_alu instid0(VALU_DEP_2) | instskip(SKIP_1) | instid1(VALU_DEP_2)
	v_dual_cndmask_b32 v1, 0, v1, vcc_lo :: v_dual_lshlrev_b32 v3, 2, v3
	v_cndmask_b32_e32 v0, 3, v0, vcc_lo
	v_and_b32_e32 v3, 0xfc, v3
	s_delay_alu instid0(VALU_DEP_2) | instskip(NEXT) | instid1(VALU_DEP_2)
	v_cmp_eq_u64_e32 vcc_lo, 0, v[0:1]
	v_and_or_b32 v0, v0, 3, v3
	s_and_b32 s13, s13, vcc_lo
	s_delay_alu instid0(VALU_DEP_1) | instid1(SALU_CYCLE_1)
	v_cndmask_b32_e64 v0, v0, 0, s13
	s_delay_alu instid0(VALU_DEP_1)
	v_or_b32_e32 v101, v0, v115
.LBB6_8868:                             ;   in Loop: Header=BB6_5830 Depth=4
	s_or_b32 exec_lo, exec_lo, s76
                                        ; implicit-def: $vgpr115
.LBB6_8869:                             ;   in Loop: Header=BB6_5830 Depth=4
	s_and_not1_saveexec_b32 s13, s75
; %bb.8870:                             ;   in Loop: Header=BB6_5830 Depth=4
	v_or_b32_e32 v101, 0x7b, v115
; %bb.8871:                             ;   in Loop: Header=BB6_5830 Depth=4
	s_or_b32 exec_lo, exec_lo, s13
                                        ; implicit-def: $vgpr0
                                        ; implicit-def: $vgpr1
.LBB6_8872:                             ;   in Loop: Header=BB6_5830 Depth=4
	s_and_not1_saveexec_b32 s13, s74
	s_cbranch_execz .LBB6_8878
; %bb.8873:                             ;   in Loop: Header=BB6_5830 Depth=4
	s_mov_b32 s74, exec_lo
                                        ; implicit-def: $vgpr101
	v_cmpx_ne_u64_e32 0, v[112:113]
	s_xor_b32 s74, exec_lo, s74
; %bb.8874:                             ;   in Loop: Header=BB6_5830 Depth=4
	v_or_b32_e32 v101, 0x7f, v1
                                        ; implicit-def: $vgpr0
; %bb.8875:                             ;   in Loop: Header=BB6_5830 Depth=4
	s_and_not1_saveexec_b32 s74, s74
; %bb.8876:                             ;   in Loop: Header=BB6_5830 Depth=4
	v_cmp_lt_i32_e32 vcc_lo, -1, v0
	v_mov_b32_e32 v0, 0x7c
	s_delay_alu instid0(VALU_DEP_1)
	v_cndmask_b32_e32 v101, 0xfc, v0, vcc_lo
; %bb.8877:                             ;   in Loop: Header=BB6_5830 Depth=4
	s_or_b32 exec_lo, exec_lo, s74
.LBB6_8878:                             ;   in Loop: Header=BB6_5830 Depth=4
	s_delay_alu instid0(SALU_CYCLE_1) | instskip(SKIP_4) | instid1(VALU_DEP_1)
	s_or_b32 exec_lo, exec_lo, s13
	v_lshlrev_b32_e32 v0, 24, v100
	v_lshlrev_b32_e32 v1, 16, v96
	v_lshl_or_b32 v86, v86, 8, v71
	s_mov_b32 s74, exec_lo
	v_or3_b32 v112, v1, v0, v86
	v_dual_mov_b32 v1, 0 :: v_dual_mov_b32 v0, 0
	v_cmpx_ne_u32_e32 0, v71
	s_cbranch_execz .LBB6_8888
; %bb.8879:                             ;   in Loop: Header=BB6_5830 Depth=4
	v_bfrev_b32_e32 v0, 1
	s_mov_b32 s75, exec_lo
	v_cmpx_ne_u32_e32 0x80, v71
	s_cbranch_execz .LBB6_8887
; %bb.8880:                             ;   in Loop: Header=BB6_5830 Depth=4
	v_and_b32_e32 v0, 0x7c, v71
	v_and_b32_e32 v2, 3, v71
	s_delay_alu instid0(VALU_DEP_2) | instskip(SKIP_1) | instid1(SALU_CYCLE_1)
	v_cmp_ne_u32_e32 vcc_lo, 0x7c, v0
                                        ; implicit-def: $vgpr0
	s_and_saveexec_b32 s13, vcc_lo
	s_xor_b32 s13, exec_lo, s13
	s_cbranch_execz .LBB6_8884
; %bb.8881:                             ;   in Loop: Header=BB6_5830 Depth=4
	v_bfe_u32 v0, v71, 2, 5
	s_mov_b32 s76, exec_lo
	s_delay_alu instid0(VALU_DEP_1)
	v_cmpx_eq_u32_e32 0, v0
; %bb.8882:                             ;   in Loop: Header=BB6_5830 Depth=4
	v_clz_i32_u32_e32 v0, v2
	s_delay_alu instid0(VALU_DEP_1) | instskip(NEXT) | instid1(VALU_DEP_1)
	v_min_u32_e32 v0, 32, v0
	v_subrev_nc_u32_e32 v2, 29, v0
	s_delay_alu instid0(VALU_DEP_1) | instskip(NEXT) | instid1(VALU_DEP_1)
	v_lshlrev_b64_e32 v[2:3], v2, v[112:113]
	v_dual_sub_nc_u32 v0, 30, v0 :: v_dual_bitop2_b32 v2, 3, v2 bitop3:0x40
; %bb.8883:                             ;   in Loop: Header=BB6_5830 Depth=4
	s_or_b32 exec_lo, exec_lo, s76
	v_lshlrev_b32_e32 v3, 24, v71
                                        ; implicit-def: $vgpr71
	s_delay_alu instid0(VALU_DEP_1) | instskip(NEXT) | instid1(VALU_DEP_1)
	v_and_b32_e32 v3, 0x80000000, v3
	v_lshl_add_u32 v0, v0, 23, v3
	s_delay_alu instid0(VALU_DEP_1) | instskip(NEXT) | instid1(VALU_DEP_1)
	v_lshl_or_b32 v0, v2, 21, v0
                                        ; implicit-def: $vgpr2
	v_add_nc_u32_e32 v0, 0x38000000, v0
.LBB6_8884:                             ;   in Loop: Header=BB6_5830 Depth=4
	s_and_not1_saveexec_b32 s76, s13
; %bb.8885:                             ;   in Loop: Header=BB6_5830 Depth=4
	v_and_b32_e32 v0, 0x80, v71
	v_cmp_eq_u32_e32 vcc_lo, 0, v2
	s_delay_alu instid0(VALU_DEP_2) | instskip(SKIP_1) | instid1(VALU_DEP_1)
	v_cmp_eq_u32_e64 s13, 0, v0
	v_mov_b32_e32 v0, 0x7f800000
	v_cndmask_b32_e64 v0, 0xff800000, v0, s13
	s_delay_alu instid0(VALU_DEP_1)
	v_cndmask_b32_e32 v0, 0x7f800001, v0, vcc_lo
; %bb.8886:                             ;   in Loop: Header=BB6_5830 Depth=4
	s_or_b32 exec_lo, exec_lo, s76
.LBB6_8887:                             ;   in Loop: Header=BB6_5830 Depth=4
	s_delay_alu instid0(SALU_CYCLE_1)
	s_or_b32 exec_lo, exec_lo, s75
.LBB6_8888:                             ;   in Loop: Header=BB6_5830 Depth=4
	s_delay_alu instid0(SALU_CYCLE_1) | instskip(SKIP_2) | instid1(VALU_DEP_1)
	s_or_b32 exec_lo, exec_lo, s74
	v_and_b32_e32 v2, 0xff, v19
	s_mov_b32 s74, exec_lo
	v_cmpx_ne_u16_e32 0, v2
	s_cbranch_execz .LBB6_8898
; %bb.8889:                             ;   in Loop: Header=BB6_5830 Depth=4
	v_bfrev_b32_e32 v1, 1
	s_mov_b32 s75, exec_lo
	v_cmpx_ne_u16_e32 0x80, v2
	s_cbranch_execz .LBB6_8897
; %bb.8890:                             ;   in Loop: Header=BB6_5830 Depth=4
	v_and_b32_e32 v1, 0x7c, v19
	v_and_b32_e32 v2, 3, v19
	s_delay_alu instid0(VALU_DEP_2) | instskip(SKIP_1) | instid1(SALU_CYCLE_1)
	v_cmp_ne_u32_e32 vcc_lo, 0x7c, v1
                                        ; implicit-def: $vgpr1
	s_and_saveexec_b32 s13, vcc_lo
	s_xor_b32 s13, exec_lo, s13
	s_cbranch_execz .LBB6_8894
; %bb.8891:                             ;   in Loop: Header=BB6_5830 Depth=4
	v_bfe_u32 v1, v19, 2, 5
	s_mov_b32 s76, exec_lo
	s_delay_alu instid0(VALU_DEP_1)
	v_cmpx_eq_u32_e32 0, v1
; %bb.8892:                             ;   in Loop: Header=BB6_5830 Depth=4
	v_clz_i32_u32_e32 v1, v2
	v_dual_mov_b32 v2, v19 :: v_dual_mov_b32 v3, v113
	s_delay_alu instid0(VALU_DEP_2) | instskip(NEXT) | instid1(VALU_DEP_1)
	v_min_u32_e32 v1, 32, v1
	v_subrev_nc_u32_e32 v71, 29, v1
	s_delay_alu instid0(VALU_DEP_1) | instskip(NEXT) | instid1(VALU_DEP_1)
	v_lshlrev_b64_e32 v[2:3], v71, v[2:3]
	v_dual_sub_nc_u32 v1, 30, v1 :: v_dual_bitop2_b32 v2, 3, v2 bitop3:0x40
; %bb.8893:                             ;   in Loop: Header=BB6_5830 Depth=4
	s_or_b32 exec_lo, exec_lo, s76
	v_lshlrev_b32_e32 v3, 24, v19
	s_delay_alu instid0(VALU_DEP_1) | instskip(NEXT) | instid1(VALU_DEP_1)
	v_and_b32_e32 v3, 0x80000000, v3
	v_lshl_add_u32 v1, v1, 23, v3
	s_delay_alu instid0(VALU_DEP_1) | instskip(NEXT) | instid1(VALU_DEP_1)
	v_lshl_or_b32 v1, v2, 21, v1
                                        ; implicit-def: $vgpr2
	v_add_nc_u32_e32 v1, 0x38000000, v1
.LBB6_8894:                             ;   in Loop: Header=BB6_5830 Depth=4
	s_and_not1_saveexec_b32 s76, s13
; %bb.8895:                             ;   in Loop: Header=BB6_5830 Depth=4
	v_bfe_i32 v1, v19, 0, 8
	v_cmp_eq_u32_e32 vcc_lo, 0, v2
	s_delay_alu instid0(VALU_DEP_2) | instskip(SKIP_1) | instid1(VALU_DEP_1)
	v_cmp_lt_i16_e64 s13, -1, v1
	v_mov_b32_e32 v1, 0x7f800000
	v_cndmask_b32_e64 v1, 0xff800000, v1, s13
	s_delay_alu instid0(VALU_DEP_1)
	v_cndmask_b32_e32 v1, 0x7f800001, v1, vcc_lo
; %bb.8896:                             ;   in Loop: Header=BB6_5830 Depth=4
	s_or_b32 exec_lo, exec_lo, s76
.LBB6_8897:                             ;   in Loop: Header=BB6_5830 Depth=4
	s_delay_alu instid0(SALU_CYCLE_1)
	s_or_b32 exec_lo, exec_lo, s75
.LBB6_8898:                             ;   in Loop: Header=BB6_5830 Depth=4
	s_delay_alu instid0(SALU_CYCLE_1) | instskip(NEXT) | instid1(VALU_DEP_1)
	s_or_b32 exec_lo, exec_lo, s74
	v_dual_add_f32 v2, v0, v1 :: v_dual_mov_b32 v47, v113
	v_mov_b32_e32 v1, v113
                                        ; implicit-def: $vgpr71
	s_mov_b32 s13, exec_lo
	s_delay_alu instid0(VALU_DEP_2) | instskip(SKIP_2) | instid1(VALU_DEP_3)
	v_and_b32_e32 v46, 0x7f800000, v2
	v_and_b32_e32 v0, 0x7fffff, v2
	v_lshrrev_b32_e32 v3, 24, v2
	v_cmpx_ne_u64_e32 0x7f800000, v[46:47]
	s_xor_b32 s74, exec_lo, s13
	s_cbranch_execz .LBB6_8912
; %bb.8899:                             ;   in Loop: Header=BB6_5830 Depth=4
	v_and_b32_e32 v46, 0x7fffffff, v2
	v_mov_b32_e32 v47, v113
	v_and_b32_e32 v96, 0x80, v3
                                        ; implicit-def: $vgpr71
	s_mov_b32 s13, exec_lo
	s_delay_alu instid0(VALU_DEP_2)
	v_cmpx_gt_u64_e32 0x47600001, v[46:47]
	s_xor_b32 s75, exec_lo, s13
	s_cbranch_execz .LBB6_8909
; %bb.8900:                             ;   in Loop: Header=BB6_5830 Depth=4
	v_mov_b32_e32 v71, 0
	s_mov_b32 s76, exec_lo
	v_cmpx_ne_u32_e32 0, v2
	s_cbranch_execz .LBB6_8908
; %bb.8901:                             ;   in Loop: Header=BB6_5830 Depth=4
	v_bfe_u32 v71, v2, 23, 8
	v_or_b32_e32 v3, 0x800000, v0
	s_delay_alu instid0(VALU_DEP_2) | instskip(SKIP_2) | instid1(VALU_DEP_2)
	v_cmp_gt_u32_e64 s13, 0x72, v71
	v_sub_nc_u32_e32 v2, 0x71, v71
	v_cmp_eq_u32_e32 vcc_lo, 0, v71
	v_dual_cndmask_b32 v2, 0, v2, s13 :: v_dual_cndmask_b32 v0, v3, v0, vcc_lo
	s_delay_alu instid0(VALU_DEP_1) | instskip(NEXT) | instid1(VALU_DEP_1)
	v_cndmask_b32_e64 v100, v2, 0x70, vcc_lo
	v_dual_add_nc_u32 v2, 21, v100 :: v_dual_add_nc_u32 v115, 20, v100
	s_delay_alu instid0(VALU_DEP_1) | instskip(NEXT) | instid1(VALU_DEP_2)
	v_lshlrev_b64_e64 v[2:3], v2, -1
	v_lshlrev_b64_e64 v[46:47], v115, 1
	s_delay_alu instid0(VALU_DEP_2) | instskip(SKIP_1) | instid1(VALU_DEP_4)
	v_bfi_b32 v2, v2, 0, v0
	v_lshrrev_b64 v[0:1], v100, v[0:1]
	v_bfi_b32 v3, v3, 0, 0
	s_delay_alu instid0(VALU_DEP_1) | instskip(NEXT) | instid1(VALU_DEP_3)
	v_cmp_eq_u64_e64 s13, v[2:3], v[46:47]
	v_mov_b64_e32 v[2:3], v[0:1]
	s_and_saveexec_b32 s77, s13
; %bb.8902:                             ;   in Loop: Header=BB6_5830 Depth=4
	v_bfe_u32 v2, v0, 21, 1
	v_mov_b32_e32 v3, v113
	s_delay_alu instid0(VALU_DEP_1) | instskip(NEXT) | instid1(VALU_DEP_1)
	v_add_nc_u64_e32 v[2:3], v[0:1], v[2:3]
	v_add_nc_u64_e32 v[2:3], -1, v[2:3]
; %bb.8903:                             ;   in Loop: Header=BB6_5830 Depth=4
	s_or_b32 exec_lo, exec_lo, s77
	v_add_nc_u32_e32 v1, 0xffffff81, v71
	v_lshrrev_b32_e32 v3, 23, v0
	s_mov_b32 s13, exec_lo
	s_delay_alu instid0(VALU_DEP_2) | instskip(NEXT) | instid1(VALU_DEP_1)
	v_cndmask_b32_e64 v1, v1, 0xffffff82, vcc_lo
	v_add3_u32 v71, v100, v1, v3
	v_and_b32_e32 v1, 0x1fffff, v2
                                        ; implicit-def: $vgpr2
	s_delay_alu instid0(VALU_DEP_1) | instskip(SKIP_1) | instid1(VALU_DEP_2)
	v_dual_add_nc_u32 v3, 14, v71 :: v_dual_add_nc_u32 v0, v1, v0
	v_mov_b32_e32 v1, v113
	v_cmpx_ne_u32_e32 0, v3
	s_xor_b32 s13, exec_lo, s13
; %bb.8904:                             ;   in Loop: Header=BB6_5830 Depth=4
	s_delay_alu instid0(VALU_DEP_2) | instskip(SKIP_1) | instid1(VALU_DEP_1)
	v_cmp_lt_u64_e32 vcc_lo, 0xffffff, v[0:1]
	v_add_nc_u32_e32 v2, 15, v71
	v_cndmask_b32_e32 v2, v3, v2, vcc_lo
	v_cndmask_b32_e64 v3, 0, 1, vcc_lo
	s_delay_alu instid0(VALU_DEP_1)
	v_lshrrev_b64 v[0:1], v3, v[0:1]
; %bb.8905:                             ;   in Loop: Header=BB6_5830 Depth=4
	s_and_not1_saveexec_b32 s13, s13
; %bb.8906:                             ;   in Loop: Header=BB6_5830 Depth=4
	s_delay_alu instid0(VALU_DEP_1)
	v_bfe_u32 v2, v0, 23, 1
; %bb.8907:                             ;   in Loop: Header=BB6_5830 Depth=4
	s_or_b32 exec_lo, exec_lo, s13
	s_delay_alu instid0(VALU_DEP_2) | instskip(NEXT) | instid1(VALU_DEP_2)
	v_lshrrev_b64 v[0:1], 21, v[0:1]
	v_cmp_gt_i32_e32 vcc_lo, 32, v2
	v_min_i32_e32 v3, 31, v2
	v_cmp_eq_u32_e64 s13, 0, v2
	s_delay_alu instid0(VALU_DEP_2) | instskip(SKIP_1) | instid1(VALU_DEP_2)
	v_dual_cndmask_b32 v1, 0, v1, vcc_lo :: v_dual_lshlrev_b32 v3, 2, v3
	v_cndmask_b32_e32 v0, 3, v0, vcc_lo
	v_and_b32_e32 v3, 0xfc, v3
	s_delay_alu instid0(VALU_DEP_2) | instskip(NEXT) | instid1(VALU_DEP_2)
	v_cmp_eq_u64_e32 vcc_lo, 0, v[0:1]
	v_and_or_b32 v0, v0, 3, v3
	s_and_b32 s13, s13, vcc_lo
	s_delay_alu instid0(VALU_DEP_1) | instid1(SALU_CYCLE_1)
	v_cndmask_b32_e64 v0, v0, 0, s13
	s_delay_alu instid0(VALU_DEP_1)
	v_or_b32_e32 v71, v0, v96
.LBB6_8908:                             ;   in Loop: Header=BB6_5830 Depth=4
	s_or_b32 exec_lo, exec_lo, s76
                                        ; implicit-def: $vgpr96
.LBB6_8909:                             ;   in Loop: Header=BB6_5830 Depth=4
	s_and_not1_saveexec_b32 s13, s75
; %bb.8910:                             ;   in Loop: Header=BB6_5830 Depth=4
	v_or_b32_e32 v71, 0x7b, v96
; %bb.8911:                             ;   in Loop: Header=BB6_5830 Depth=4
	s_or_b32 exec_lo, exec_lo, s13
                                        ; implicit-def: $vgpr2
                                        ; implicit-def: $vgpr0_vgpr1
                                        ; implicit-def: $vgpr3
.LBB6_8912:                             ;   in Loop: Header=BB6_5830 Depth=4
	s_and_not1_saveexec_b32 s13, s74
	s_cbranch_execz .LBB6_8918
; %bb.8913:                             ;   in Loop: Header=BB6_5830 Depth=4
	s_mov_b32 s74, exec_lo
                                        ; implicit-def: $vgpr71
	v_cmpx_ne_u64_e32 0, v[0:1]
	s_xor_b32 s74, exec_lo, s74
; %bb.8914:                             ;   in Loop: Header=BB6_5830 Depth=4
	v_or_b32_e32 v71, 0x7f, v3
                                        ; implicit-def: $vgpr2
; %bb.8915:                             ;   in Loop: Header=BB6_5830 Depth=4
	s_and_not1_saveexec_b32 s74, s74
; %bb.8916:                             ;   in Loop: Header=BB6_5830 Depth=4
	v_cmp_lt_i32_e32 vcc_lo, -1, v2
	v_mov_b32_e32 v0, 0x7c
	s_delay_alu instid0(VALU_DEP_1)
	v_cndmask_b32_e32 v71, 0xfc, v0, vcc_lo
; %bb.8917:                             ;   in Loop: Header=BB6_5830 Depth=4
	s_or_b32 exec_lo, exec_lo, s74
.LBB6_8918:                             ;   in Loop: Header=BB6_5830 Depth=4
	s_delay_alu instid0(SALU_CYCLE_1) | instskip(SKIP_3) | instid1(VALU_DEP_2)
	s_or_b32 exec_lo, exec_lo, s13
	v_lshrrev_b16 v0, 8, v86
	v_dual_mov_b32 v2, 0 :: v_dual_mov_b32 v3, 0
	s_mov_b32 s74, exec_lo
	v_cmpx_ne_u16_e32 0, v0
	s_cbranch_execz .LBB6_8928
; %bb.8919:                             ;   in Loop: Header=BB6_5830 Depth=4
	v_bfrev_b32_e32 v3, 1
	s_mov_b32 s75, exec_lo
	v_cmpx_ne_u16_e32 0x80, v0
	s_cbranch_execz .LBB6_8927
; %bb.8920:                             ;   in Loop: Header=BB6_5830 Depth=4
	v_and_b32_e32 v96, 0xffff, v0
	s_delay_alu instid0(VALU_DEP_1) | instskip(SKIP_1) | instid1(VALU_DEP_2)
	v_and_b32_e32 v3, 0x7c, v96
	v_and_b32_e32 v1, 3, v96
	v_cmp_ne_u32_e32 vcc_lo, 0x7c, v3
                                        ; implicit-def: $vgpr3
	s_and_saveexec_b32 s13, vcc_lo
	s_delay_alu instid0(SALU_CYCLE_1)
	s_xor_b32 s13, exec_lo, s13
	s_cbranch_execz .LBB6_8924
; %bb.8921:                             ;   in Loop: Header=BB6_5830 Depth=4
	v_bfe_u32 v3, v96, 2, 5
	s_mov_b32 s76, exec_lo
	s_delay_alu instid0(VALU_DEP_1)
	v_cmpx_eq_u32_e32 0, v3
	s_cbranch_execz .LBB6_8923
; %bb.8922:                             ;   in Loop: Header=BB6_5830 Depth=4
	v_clz_i32_u32_e32 v1, v1
	s_delay_alu instid0(VALU_DEP_1) | instskip(SKIP_1) | instid1(VALU_DEP_2)
	v_min_u32_e32 v3, 32, v1
	v_mov_b32_e32 v1, v113
	v_subrev_nc_u32_e32 v96, 29, v3
	v_sub_nc_u32_e32 v3, 30, v3
	s_delay_alu instid0(VALU_DEP_2) | instskip(NEXT) | instid1(VALU_DEP_1)
	v_lshlrev_b64_e32 v[0:1], v96, v[0:1]
	v_and_b32_e32 v1, 3, v0
.LBB6_8923:                             ;   in Loop: Header=BB6_5830 Depth=4
	s_or_b32 exec_lo, exec_lo, s76
	v_lshlrev_b32_e32 v0, 16, v86
                                        ; implicit-def: $vgpr86
	s_delay_alu instid0(VALU_DEP_1) | instskip(NEXT) | instid1(VALU_DEP_1)
	v_and_b32_e32 v0, 0x80000000, v0
	v_lshl_add_u32 v0, v3, 23, v0
	s_delay_alu instid0(VALU_DEP_1) | instskip(NEXT) | instid1(VALU_DEP_1)
	v_lshl_or_b32 v0, v1, 21, v0
                                        ; implicit-def: $vgpr1
	v_add_nc_u32_e32 v3, 0x38000000, v0
.LBB6_8924:                             ;   in Loop: Header=BB6_5830 Depth=4
	s_and_not1_saveexec_b32 s76, s13
; %bb.8925:                             ;   in Loop: Header=BB6_5830 Depth=4
	v_cmp_lt_i16_e64 s13, -1, v86
	v_mov_b32_e32 v0, 0x7f800000
	v_cmp_eq_u32_e32 vcc_lo, 0, v1
	s_delay_alu instid0(VALU_DEP_2) | instskip(NEXT) | instid1(VALU_DEP_1)
	v_cndmask_b32_e64 v0, 0xff800000, v0, s13
	v_cndmask_b32_e32 v3, 0x7f800001, v0, vcc_lo
; %bb.8926:                             ;   in Loop: Header=BB6_5830 Depth=4
	s_or_b32 exec_lo, exec_lo, s76
.LBB6_8927:                             ;   in Loop: Header=BB6_5830 Depth=4
	s_delay_alu instid0(SALU_CYCLE_1)
	s_or_b32 exec_lo, exec_lo, s75
.LBB6_8928:                             ;   in Loop: Header=BB6_5830 Depth=4
	s_delay_alu instid0(SALU_CYCLE_1) | instskip(SKIP_2) | instid1(VALU_DEP_1)
	s_or_b32 exec_lo, exec_lo, s74
	v_lshrrev_b16 v0, 8, v19
	s_mov_b32 s74, exec_lo
	v_cmpx_ne_u16_e32 0, v0
	s_cbranch_execz .LBB6_8938
; %bb.8929:                             ;   in Loop: Header=BB6_5830 Depth=4
	v_bfrev_b32_e32 v2, 1
	s_mov_b32 s75, exec_lo
	v_cmpx_ne_u16_e32 0x80, v0
	s_cbranch_execz .LBB6_8937
; %bb.8930:                             ;   in Loop: Header=BB6_5830 Depth=4
	v_and_b32_e32 v86, 0xffff, v0
	s_delay_alu instid0(VALU_DEP_1) | instskip(SKIP_1) | instid1(VALU_DEP_2)
	v_and_b32_e32 v2, 0x7c, v86
	v_and_b32_e32 v1, 3, v86
	v_cmp_ne_u32_e32 vcc_lo, 0x7c, v2
                                        ; implicit-def: $vgpr2
	s_and_saveexec_b32 s13, vcc_lo
	s_delay_alu instid0(SALU_CYCLE_1)
	s_xor_b32 s13, exec_lo, s13
	s_cbranch_execz .LBB6_8934
; %bb.8931:                             ;   in Loop: Header=BB6_5830 Depth=4
	v_bfe_u32 v2, v86, 2, 5
	s_mov_b32 s76, exec_lo
	s_delay_alu instid0(VALU_DEP_1)
	v_cmpx_eq_u32_e32 0, v2
	s_cbranch_execz .LBB6_8933
; %bb.8932:                             ;   in Loop: Header=BB6_5830 Depth=4
	v_clz_i32_u32_e32 v1, v1
	s_delay_alu instid0(VALU_DEP_1) | instskip(SKIP_1) | instid1(VALU_DEP_2)
	v_min_u32_e32 v2, 32, v1
	v_mov_b32_e32 v1, v113
	v_subrev_nc_u32_e32 v86, 29, v2
	v_sub_nc_u32_e32 v2, 30, v2
	s_delay_alu instid0(VALU_DEP_2) | instskip(NEXT) | instid1(VALU_DEP_1)
	v_lshlrev_b64_e32 v[0:1], v86, v[0:1]
	v_and_b32_e32 v1, 3, v0
.LBB6_8933:                             ;   in Loop: Header=BB6_5830 Depth=4
	s_or_b32 exec_lo, exec_lo, s76
	v_lshlrev_b32_e32 v0, 16, v19
	s_delay_alu instid0(VALU_DEP_1) | instskip(NEXT) | instid1(VALU_DEP_1)
	v_and_b32_e32 v0, 0x80000000, v0
	v_lshl_add_u32 v0, v2, 23, v0
	s_delay_alu instid0(VALU_DEP_1) | instskip(NEXT) | instid1(VALU_DEP_1)
	v_lshl_or_b32 v0, v1, 21, v0
                                        ; implicit-def: $vgpr1
	v_add_nc_u32_e32 v2, 0x38000000, v0
.LBB6_8934:                             ;   in Loop: Header=BB6_5830 Depth=4
	s_and_not1_saveexec_b32 s76, s13
; %bb.8935:                             ;   in Loop: Header=BB6_5830 Depth=4
	v_cmp_lt_i16_e64 s13, -1, v19
	v_mov_b32_e32 v0, 0x7f800000
	v_cmp_eq_u32_e32 vcc_lo, 0, v1
	s_delay_alu instid0(VALU_DEP_2) | instskip(NEXT) | instid1(VALU_DEP_1)
	v_cndmask_b32_e64 v0, 0xff800000, v0, s13
	v_cndmask_b32_e32 v2, 0x7f800001, v0, vcc_lo
; %bb.8936:                             ;   in Loop: Header=BB6_5830 Depth=4
	s_or_b32 exec_lo, exec_lo, s76
.LBB6_8937:                             ;   in Loop: Header=BB6_5830 Depth=4
	s_delay_alu instid0(SALU_CYCLE_1)
	s_or_b32 exec_lo, exec_lo, s75
.LBB6_8938:                             ;   in Loop: Header=BB6_5830 Depth=4
	s_delay_alu instid0(SALU_CYCLE_1) | instskip(NEXT) | instid1(VALU_DEP_1)
	s_or_b32 exec_lo, exec_lo, s74
	v_dual_add_f32 v2, v3, v2 :: v_dual_mov_b32 v47, v113
	v_mov_b32_e32 v1, v113
                                        ; implicit-def: $vgpr86
	s_mov_b32 s13, exec_lo
	s_delay_alu instid0(VALU_DEP_2) | instskip(SKIP_2) | instid1(VALU_DEP_3)
	v_and_b32_e32 v46, 0x7f800000, v2
	v_and_b32_e32 v0, 0x7fffff, v2
	v_lshrrev_b32_e32 v3, 24, v2
	v_cmpx_ne_u64_e32 0x7f800000, v[46:47]
	s_xor_b32 s74, exec_lo, s13
	s_cbranch_execz .LBB6_8952
; %bb.8939:                             ;   in Loop: Header=BB6_5830 Depth=4
	v_and_b32_e32 v46, 0x7fffffff, v2
	v_mov_b32_e32 v47, v113
	v_and_b32_e32 v96, 0x80, v3
                                        ; implicit-def: $vgpr86
	s_mov_b32 s13, exec_lo
	s_delay_alu instid0(VALU_DEP_2)
	v_cmpx_gt_u64_e32 0x47600001, v[46:47]
	s_xor_b32 s75, exec_lo, s13
	s_cbranch_execz .LBB6_8949
; %bb.8940:                             ;   in Loop: Header=BB6_5830 Depth=4
	v_mov_b32_e32 v86, 0
	s_mov_b32 s76, exec_lo
	v_cmpx_ne_u32_e32 0, v2
	s_cbranch_execz .LBB6_8948
; %bb.8941:                             ;   in Loop: Header=BB6_5830 Depth=4
	v_bfe_u32 v86, v2, 23, 8
	v_or_b32_e32 v3, 0x800000, v0
	s_delay_alu instid0(VALU_DEP_2) | instskip(SKIP_2) | instid1(VALU_DEP_2)
	v_cmp_gt_u32_e64 s13, 0x72, v86
	v_sub_nc_u32_e32 v2, 0x71, v86
	v_cmp_eq_u32_e32 vcc_lo, 0, v86
	v_dual_cndmask_b32 v2, 0, v2, s13 :: v_dual_cndmask_b32 v0, v3, v0, vcc_lo
	s_delay_alu instid0(VALU_DEP_1) | instskip(NEXT) | instid1(VALU_DEP_1)
	v_cndmask_b32_e64 v100, v2, 0x70, vcc_lo
	v_dual_add_nc_u32 v2, 21, v100 :: v_dual_add_nc_u32 v115, 20, v100
	s_delay_alu instid0(VALU_DEP_1) | instskip(NEXT) | instid1(VALU_DEP_2)
	v_lshlrev_b64_e64 v[2:3], v2, -1
	v_lshlrev_b64_e64 v[46:47], v115, 1
	s_delay_alu instid0(VALU_DEP_2) | instskip(SKIP_1) | instid1(VALU_DEP_4)
	v_bfi_b32 v2, v2, 0, v0
	v_lshrrev_b64 v[0:1], v100, v[0:1]
	v_bfi_b32 v3, v3, 0, 0
	s_delay_alu instid0(VALU_DEP_1) | instskip(NEXT) | instid1(VALU_DEP_3)
	v_cmp_eq_u64_e64 s13, v[2:3], v[46:47]
	v_mov_b64_e32 v[2:3], v[0:1]
	s_and_saveexec_b32 s77, s13
; %bb.8942:                             ;   in Loop: Header=BB6_5830 Depth=4
	v_bfe_u32 v2, v0, 21, 1
	v_mov_b32_e32 v3, v113
	s_delay_alu instid0(VALU_DEP_1) | instskip(NEXT) | instid1(VALU_DEP_1)
	v_add_nc_u64_e32 v[2:3], v[0:1], v[2:3]
	v_add_nc_u64_e32 v[2:3], -1, v[2:3]
; %bb.8943:                             ;   in Loop: Header=BB6_5830 Depth=4
	s_or_b32 exec_lo, exec_lo, s77
	v_add_nc_u32_e32 v1, 0xffffff81, v86
	v_lshrrev_b32_e32 v3, 23, v0
	s_mov_b32 s13, exec_lo
	s_delay_alu instid0(VALU_DEP_2) | instskip(NEXT) | instid1(VALU_DEP_1)
	v_cndmask_b32_e64 v1, v1, 0xffffff82, vcc_lo
	v_add3_u32 v86, v100, v1, v3
	v_and_b32_e32 v1, 0x1fffff, v2
                                        ; implicit-def: $vgpr2
	s_delay_alu instid0(VALU_DEP_1) | instskip(SKIP_1) | instid1(VALU_DEP_2)
	v_dual_add_nc_u32 v3, 14, v86 :: v_dual_add_nc_u32 v0, v1, v0
	v_mov_b32_e32 v1, v113
	v_cmpx_ne_u32_e32 0, v3
	s_xor_b32 s13, exec_lo, s13
; %bb.8944:                             ;   in Loop: Header=BB6_5830 Depth=4
	s_delay_alu instid0(VALU_DEP_2) | instskip(SKIP_1) | instid1(VALU_DEP_1)
	v_cmp_lt_u64_e32 vcc_lo, 0xffffff, v[0:1]
	v_add_nc_u32_e32 v2, 15, v86
	v_cndmask_b32_e32 v2, v3, v2, vcc_lo
	v_cndmask_b32_e64 v3, 0, 1, vcc_lo
	s_delay_alu instid0(VALU_DEP_1)
	v_lshrrev_b64 v[0:1], v3, v[0:1]
; %bb.8945:                             ;   in Loop: Header=BB6_5830 Depth=4
	s_and_not1_saveexec_b32 s13, s13
; %bb.8946:                             ;   in Loop: Header=BB6_5830 Depth=4
	s_delay_alu instid0(VALU_DEP_1)
	v_bfe_u32 v2, v0, 23, 1
; %bb.8947:                             ;   in Loop: Header=BB6_5830 Depth=4
	s_or_b32 exec_lo, exec_lo, s13
	s_delay_alu instid0(VALU_DEP_2) | instskip(NEXT) | instid1(VALU_DEP_2)
	v_lshrrev_b64 v[0:1], 21, v[0:1]
	v_cmp_gt_i32_e32 vcc_lo, 32, v2
	v_min_i32_e32 v3, 31, v2
	v_cmp_eq_u32_e64 s13, 0, v2
	s_delay_alu instid0(VALU_DEP_2) | instskip(SKIP_1) | instid1(VALU_DEP_2)
	v_dual_cndmask_b32 v1, 0, v1, vcc_lo :: v_dual_lshlrev_b32 v3, 2, v3
	v_cndmask_b32_e32 v0, 3, v0, vcc_lo
	v_and_b32_e32 v3, 0xfc, v3
	s_delay_alu instid0(VALU_DEP_2) | instskip(NEXT) | instid1(VALU_DEP_2)
	v_cmp_eq_u64_e32 vcc_lo, 0, v[0:1]
	v_and_or_b32 v0, v0, 3, v3
	s_and_b32 s13, s13, vcc_lo
	s_delay_alu instid0(VALU_DEP_1) | instid1(SALU_CYCLE_1)
	v_cndmask_b32_e64 v0, v0, 0, s13
	s_delay_alu instid0(VALU_DEP_1)
	v_or_b32_e32 v86, v0, v96
.LBB6_8948:                             ;   in Loop: Header=BB6_5830 Depth=4
	s_or_b32 exec_lo, exec_lo, s76
                                        ; implicit-def: $vgpr96
.LBB6_8949:                             ;   in Loop: Header=BB6_5830 Depth=4
	s_and_not1_saveexec_b32 s13, s75
; %bb.8950:                             ;   in Loop: Header=BB6_5830 Depth=4
	v_or_b32_e32 v86, 0x7b, v96
; %bb.8951:                             ;   in Loop: Header=BB6_5830 Depth=4
	s_or_b32 exec_lo, exec_lo, s13
                                        ; implicit-def: $vgpr2
                                        ; implicit-def: $vgpr0_vgpr1
                                        ; implicit-def: $vgpr3
.LBB6_8952:                             ;   in Loop: Header=BB6_5830 Depth=4
	s_and_not1_saveexec_b32 s13, s74
	s_cbranch_execz .LBB6_8958
; %bb.8953:                             ;   in Loop: Header=BB6_5830 Depth=4
	s_mov_b32 s74, exec_lo
                                        ; implicit-def: $vgpr86
	v_cmpx_ne_u64_e32 0, v[0:1]
	s_xor_b32 s74, exec_lo, s74
; %bb.8954:                             ;   in Loop: Header=BB6_5830 Depth=4
	v_or_b32_e32 v86, 0x7f, v3
                                        ; implicit-def: $vgpr2
; %bb.8955:                             ;   in Loop: Header=BB6_5830 Depth=4
	s_and_not1_saveexec_b32 s74, s74
; %bb.8956:                             ;   in Loop: Header=BB6_5830 Depth=4
	v_cmp_lt_i32_e32 vcc_lo, -1, v2
	v_mov_b32_e32 v0, 0x7c
	s_delay_alu instid0(VALU_DEP_1)
	v_cndmask_b32_e32 v86, 0xfc, v0, vcc_lo
; %bb.8957:                             ;   in Loop: Header=BB6_5830 Depth=4
	s_or_b32 exec_lo, exec_lo, s74
.LBB6_8958:                             ;   in Loop: Header=BB6_5830 Depth=4
	s_delay_alu instid0(SALU_CYCLE_1) | instskip(SKIP_3) | instid1(VALU_DEP_2)
	s_or_b32 exec_lo, exec_lo, s13
	v_dual_mov_b32 v1, 0 :: v_dual_lshrrev_b32 v0, 16, v112
	v_mov_b32_e32 v2, 0
	s_mov_b32 s74, exec_lo
	v_and_b32_e32 v3, 0xff, v0
	s_delay_alu instid0(VALU_DEP_1)
	v_cmpx_ne_u16_e32 0, v3
	s_cbranch_execz .LBB6_8968
; %bb.8959:                             ;   in Loop: Header=BB6_5830 Depth=4
	v_bfrev_b32_e32 v2, 1
	s_mov_b32 s75, exec_lo
	v_cmpx_ne_u16_e32 0x80, v3
	s_cbranch_execz .LBB6_8967
; %bb.8960:                             ;   in Loop: Header=BB6_5830 Depth=4
	v_and_b32_e32 v2, 0x7c0000, v112
	v_bfe_u32 v3, v112, 16, 2
	s_delay_alu instid0(VALU_DEP_2) | instskip(SKIP_1) | instid1(SALU_CYCLE_1)
	v_cmp_ne_u32_e32 vcc_lo, 0x7c0000, v2
                                        ; implicit-def: $vgpr2
	s_and_saveexec_b32 s13, vcc_lo
	s_xor_b32 s13, exec_lo, s13
	s_cbranch_execz .LBB6_8964
; %bb.8961:                             ;   in Loop: Header=BB6_5830 Depth=4
	v_bfe_u32 v2, v112, 18, 5
	s_mov_b32 s76, exec_lo
	s_delay_alu instid0(VALU_DEP_1)
	v_cmpx_eq_u32_e32 0, v2
; %bb.8962:                             ;   in Loop: Header=BB6_5830 Depth=4
	v_clz_i32_u32_e32 v2, v3
	s_delay_alu instid0(VALU_DEP_1) | instskip(NEXT) | instid1(VALU_DEP_1)
	v_min_u32_e32 v2, 32, v2
	v_subrev_nc_u32_e32 v3, 29, v2
	v_sub_nc_u32_e32 v2, 30, v2
	s_delay_alu instid0(VALU_DEP_2) | instskip(NEXT) | instid1(VALU_DEP_1)
	v_lshlrev_b64_e32 v[46:47], v3, v[0:1]
	v_and_b32_e32 v3, 3, v46
; %bb.8963:                             ;   in Loop: Header=BB6_5830 Depth=4
	s_or_b32 exec_lo, exec_lo, s76
	v_lshlrev_b32_e32 v0, 24, v0
	s_delay_alu instid0(VALU_DEP_1) | instskip(NEXT) | instid1(VALU_DEP_1)
	v_and_b32_e32 v0, 0x80000000, v0
	v_lshl_add_u32 v0, v2, 23, v0
	s_delay_alu instid0(VALU_DEP_1) | instskip(NEXT) | instid1(VALU_DEP_1)
	v_lshl_or_b32 v0, v3, 21, v0
                                        ; implicit-def: $vgpr3
	v_add_nc_u32_e32 v2, 0x38000000, v0
                                        ; implicit-def: $vgpr0
.LBB6_8964:                             ;   in Loop: Header=BB6_5830 Depth=4
	s_and_not1_saveexec_b32 s76, s13
; %bb.8965:                             ;   in Loop: Header=BB6_5830 Depth=4
	v_bfe_i32 v0, v0, 0, 8
	v_cmp_eq_u32_e32 vcc_lo, 0, v3
	s_delay_alu instid0(VALU_DEP_2) | instskip(SKIP_1) | instid1(VALU_DEP_1)
	v_cmp_lt_i16_e64 s13, -1, v0
	v_mov_b32_e32 v0, 0x7f800000
	v_cndmask_b32_e64 v0, 0xff800000, v0, s13
	s_delay_alu instid0(VALU_DEP_1)
	v_cndmask_b32_e32 v2, 0x7f800001, v0, vcc_lo
; %bb.8966:                             ;   in Loop: Header=BB6_5830 Depth=4
	s_or_b32 exec_lo, exec_lo, s76
.LBB6_8967:                             ;   in Loop: Header=BB6_5830 Depth=4
	s_delay_alu instid0(SALU_CYCLE_1)
	s_or_b32 exec_lo, exec_lo, s75
.LBB6_8968:                             ;   in Loop: Header=BB6_5830 Depth=4
	s_delay_alu instid0(SALU_CYCLE_1) | instskip(SKIP_2) | instid1(VALU_DEP_1)
	s_or_b32 exec_lo, exec_lo, s74
	v_lshrrev_b32_e32 v0, 16, v19
	s_mov_b32 s74, exec_lo
	v_and_b32_e32 v3, 0xff, v0
	s_delay_alu instid0(VALU_DEP_1)
	v_cmpx_ne_u16_e32 0, v3
	s_cbranch_execz .LBB6_8978
; %bb.8969:                             ;   in Loop: Header=BB6_5830 Depth=4
	v_bfrev_b32_e32 v1, 1
	s_mov_b32 s75, exec_lo
	v_cmpx_ne_u16_e32 0x80, v3
	s_cbranch_execz .LBB6_8977
; %bb.8970:                             ;   in Loop: Header=BB6_5830 Depth=4
	v_and_b32_e32 v1, 0x7c0000, v19
	v_bfe_u32 v3, v19, 16, 2
	s_delay_alu instid0(VALU_DEP_2) | instskip(SKIP_1) | instid1(SALU_CYCLE_1)
	v_cmp_ne_u32_e32 vcc_lo, 0x7c0000, v1
                                        ; implicit-def: $vgpr1
	s_and_saveexec_b32 s13, vcc_lo
	s_xor_b32 s13, exec_lo, s13
	s_cbranch_execz .LBB6_8974
; %bb.8971:                             ;   in Loop: Header=BB6_5830 Depth=4
	v_bfe_u32 v1, v19, 18, 5
	s_mov_b32 s76, exec_lo
	s_delay_alu instid0(VALU_DEP_1)
	v_cmpx_eq_u32_e32 0, v1
; %bb.8972:                             ;   in Loop: Header=BB6_5830 Depth=4
	v_clz_i32_u32_e32 v1, v3
	s_delay_alu instid0(VALU_DEP_1) | instskip(NEXT) | instid1(VALU_DEP_1)
	v_min_u32_e32 v1, 32, v1
	v_subrev_nc_u32_e32 v3, 29, v1
	s_delay_alu instid0(VALU_DEP_1) | instskip(NEXT) | instid1(VALU_DEP_1)
	v_lshlrev_b64_e32 v[46:47], v3, v[0:1]
	v_dual_sub_nc_u32 v1, 30, v1 :: v_dual_bitop2_b32 v3, 3, v46 bitop3:0x40
; %bb.8973:                             ;   in Loop: Header=BB6_5830 Depth=4
	s_or_b32 exec_lo, exec_lo, s76
	v_lshlrev_b32_e32 v0, 24, v0
	s_delay_alu instid0(VALU_DEP_1) | instskip(NEXT) | instid1(VALU_DEP_1)
	v_and_b32_e32 v0, 0x80000000, v0
	v_lshl_add_u32 v0, v1, 23, v0
	s_delay_alu instid0(VALU_DEP_1) | instskip(NEXT) | instid1(VALU_DEP_1)
	v_lshl_or_b32 v0, v3, 21, v0
                                        ; implicit-def: $vgpr3
	v_add_nc_u32_e32 v1, 0x38000000, v0
                                        ; implicit-def: $vgpr0
.LBB6_8974:                             ;   in Loop: Header=BB6_5830 Depth=4
	s_and_not1_saveexec_b32 s76, s13
; %bb.8975:                             ;   in Loop: Header=BB6_5830 Depth=4
	v_bfe_i32 v0, v0, 0, 8
	v_cmp_eq_u32_e32 vcc_lo, 0, v3
	s_delay_alu instid0(VALU_DEP_2) | instskip(SKIP_1) | instid1(VALU_DEP_1)
	v_cmp_lt_i16_e64 s13, -1, v0
	v_mov_b32_e32 v0, 0x7f800000
	v_cndmask_b32_e64 v0, 0xff800000, v0, s13
	s_delay_alu instid0(VALU_DEP_1)
	v_cndmask_b32_e32 v1, 0x7f800001, v0, vcc_lo
; %bb.8976:                             ;   in Loop: Header=BB6_5830 Depth=4
	s_or_b32 exec_lo, exec_lo, s76
.LBB6_8977:                             ;   in Loop: Header=BB6_5830 Depth=4
	s_delay_alu instid0(SALU_CYCLE_1)
	s_or_b32 exec_lo, exec_lo, s75
.LBB6_8978:                             ;   in Loop: Header=BB6_5830 Depth=4
	s_delay_alu instid0(SALU_CYCLE_1) | instskip(NEXT) | instid1(VALU_DEP_1)
	s_or_b32 exec_lo, exec_lo, s74
	v_dual_add_f32 v2, v2, v1 :: v_dual_mov_b32 v47, v113
	v_mov_b32_e32 v1, v113
                                        ; implicit-def: $vgpr96
	s_mov_b32 s13, exec_lo
	s_delay_alu instid0(VALU_DEP_2) | instskip(SKIP_2) | instid1(VALU_DEP_3)
	v_and_b32_e32 v46, 0x7f800000, v2
	v_and_b32_e32 v0, 0x7fffff, v2
	v_lshrrev_b32_e32 v3, 24, v2
	v_cmpx_ne_u64_e32 0x7f800000, v[46:47]
	s_xor_b32 s74, exec_lo, s13
	s_cbranch_execz .LBB6_8992
; %bb.8979:                             ;   in Loop: Header=BB6_5830 Depth=4
	v_and_b32_e32 v46, 0x7fffffff, v2
	v_mov_b32_e32 v47, v113
	v_and_b32_e32 v100, 0x80, v3
                                        ; implicit-def: $vgpr96
	s_mov_b32 s13, exec_lo
	s_delay_alu instid0(VALU_DEP_2)
	v_cmpx_gt_u64_e32 0x47600001, v[46:47]
	s_xor_b32 s75, exec_lo, s13
	s_cbranch_execz .LBB6_8989
; %bb.8980:                             ;   in Loop: Header=BB6_5830 Depth=4
	v_mov_b32_e32 v96, 0
	s_mov_b32 s76, exec_lo
	v_cmpx_ne_u32_e32 0, v2
	s_cbranch_execz .LBB6_8988
; %bb.8981:                             ;   in Loop: Header=BB6_5830 Depth=4
	v_bfe_u32 v96, v2, 23, 8
	v_or_b32_e32 v3, 0x800000, v0
	s_delay_alu instid0(VALU_DEP_2) | instskip(SKIP_2) | instid1(VALU_DEP_2)
	v_cmp_gt_u32_e64 s13, 0x72, v96
	v_sub_nc_u32_e32 v2, 0x71, v96
	v_cmp_eq_u32_e32 vcc_lo, 0, v96
	v_dual_cndmask_b32 v2, 0, v2, s13 :: v_dual_cndmask_b32 v0, v3, v0, vcc_lo
	s_delay_alu instid0(VALU_DEP_1) | instskip(NEXT) | instid1(VALU_DEP_1)
	v_cndmask_b32_e64 v115, v2, 0x70, vcc_lo
	v_dual_add_nc_u32 v2, 21, v115 :: v_dual_add_nc_u32 v119, 20, v115
	s_delay_alu instid0(VALU_DEP_1) | instskip(NEXT) | instid1(VALU_DEP_2)
	v_lshlrev_b64_e64 v[2:3], v2, -1
	v_lshlrev_b64_e64 v[46:47], v119, 1
	s_delay_alu instid0(VALU_DEP_2) | instskip(SKIP_1) | instid1(VALU_DEP_4)
	v_bfi_b32 v2, v2, 0, v0
	v_lshrrev_b64 v[0:1], v115, v[0:1]
	v_bfi_b32 v3, v3, 0, 0
	s_delay_alu instid0(VALU_DEP_1) | instskip(NEXT) | instid1(VALU_DEP_3)
	v_cmp_eq_u64_e64 s13, v[2:3], v[46:47]
	v_mov_b64_e32 v[2:3], v[0:1]
	s_and_saveexec_b32 s77, s13
; %bb.8982:                             ;   in Loop: Header=BB6_5830 Depth=4
	v_bfe_u32 v2, v0, 21, 1
	v_mov_b32_e32 v3, v113
	s_delay_alu instid0(VALU_DEP_1) | instskip(NEXT) | instid1(VALU_DEP_1)
	v_add_nc_u64_e32 v[2:3], v[0:1], v[2:3]
	v_add_nc_u64_e32 v[2:3], -1, v[2:3]
; %bb.8983:                             ;   in Loop: Header=BB6_5830 Depth=4
	s_or_b32 exec_lo, exec_lo, s77
	v_add_nc_u32_e32 v1, 0xffffff81, v96
	v_lshrrev_b32_e32 v3, 23, v0
	s_mov_b32 s13, exec_lo
	s_delay_alu instid0(VALU_DEP_2) | instskip(NEXT) | instid1(VALU_DEP_1)
	v_cndmask_b32_e64 v1, v1, 0xffffff82, vcc_lo
	v_add3_u32 v96, v115, v1, v3
	v_and_b32_e32 v1, 0x1fffff, v2
                                        ; implicit-def: $vgpr2
	s_delay_alu instid0(VALU_DEP_2) | instskip(NEXT) | instid1(VALU_DEP_2)
	v_add_nc_u32_e32 v3, 14, v96
	v_add_nc_u32_e32 v0, v1, v0
	v_mov_b32_e32 v1, v113
	s_delay_alu instid0(VALU_DEP_3)
	v_cmpx_ne_u32_e32 0, v3
	s_xor_b32 s13, exec_lo, s13
; %bb.8984:                             ;   in Loop: Header=BB6_5830 Depth=4
	s_delay_alu instid0(VALU_DEP_2) | instskip(SKIP_1) | instid1(VALU_DEP_1)
	v_cmp_lt_u64_e32 vcc_lo, 0xffffff, v[0:1]
	v_add_nc_u32_e32 v2, 15, v96
	v_cndmask_b32_e32 v2, v3, v2, vcc_lo
	v_cndmask_b32_e64 v3, 0, 1, vcc_lo
	s_delay_alu instid0(VALU_DEP_1)
	v_lshrrev_b64 v[0:1], v3, v[0:1]
; %bb.8985:                             ;   in Loop: Header=BB6_5830 Depth=4
	s_and_not1_saveexec_b32 s13, s13
; %bb.8986:                             ;   in Loop: Header=BB6_5830 Depth=4
	s_delay_alu instid0(VALU_DEP_1)
	v_bfe_u32 v2, v0, 23, 1
; %bb.8987:                             ;   in Loop: Header=BB6_5830 Depth=4
	s_or_b32 exec_lo, exec_lo, s13
	s_delay_alu instid0(VALU_DEP_2) | instskip(NEXT) | instid1(VALU_DEP_2)
	v_lshrrev_b64 v[0:1], 21, v[0:1]
	v_cmp_gt_i32_e32 vcc_lo, 32, v2
	v_min_i32_e32 v3, 31, v2
	v_cmp_eq_u32_e64 s13, 0, v2
	s_delay_alu instid0(VALU_DEP_2) | instskip(SKIP_1) | instid1(VALU_DEP_2)
	v_dual_cndmask_b32 v1, 0, v1, vcc_lo :: v_dual_lshlrev_b32 v3, 2, v3
	v_cndmask_b32_e32 v0, 3, v0, vcc_lo
	v_and_b32_e32 v3, 0xfc, v3
	s_delay_alu instid0(VALU_DEP_2) | instskip(NEXT) | instid1(VALU_DEP_2)
	v_cmp_eq_u64_e32 vcc_lo, 0, v[0:1]
	v_and_or_b32 v0, v0, 3, v3
	s_and_b32 s13, s13, vcc_lo
	s_delay_alu instid0(VALU_DEP_1) | instid1(SALU_CYCLE_1)
	v_cndmask_b32_e64 v0, v0, 0, s13
	s_delay_alu instid0(VALU_DEP_1)
	v_or_b32_e32 v96, v0, v100
.LBB6_8988:                             ;   in Loop: Header=BB6_5830 Depth=4
	s_or_b32 exec_lo, exec_lo, s76
                                        ; implicit-def: $vgpr100
.LBB6_8989:                             ;   in Loop: Header=BB6_5830 Depth=4
	s_and_not1_saveexec_b32 s13, s75
; %bb.8990:                             ;   in Loop: Header=BB6_5830 Depth=4
	v_or_b32_e32 v96, 0x7b, v100
; %bb.8991:                             ;   in Loop: Header=BB6_5830 Depth=4
	s_or_b32 exec_lo, exec_lo, s13
                                        ; implicit-def: $vgpr2
                                        ; implicit-def: $vgpr0_vgpr1
                                        ; implicit-def: $vgpr3
.LBB6_8992:                             ;   in Loop: Header=BB6_5830 Depth=4
	s_and_not1_saveexec_b32 s13, s74
	s_cbranch_execz .LBB6_8998
; %bb.8993:                             ;   in Loop: Header=BB6_5830 Depth=4
	s_mov_b32 s74, exec_lo
                                        ; implicit-def: $vgpr96
	v_cmpx_ne_u64_e32 0, v[0:1]
	s_xor_b32 s74, exec_lo, s74
; %bb.8994:                             ;   in Loop: Header=BB6_5830 Depth=4
	v_or_b32_e32 v96, 0x7f, v3
                                        ; implicit-def: $vgpr2
; %bb.8995:                             ;   in Loop: Header=BB6_5830 Depth=4
	s_and_not1_saveexec_b32 s74, s74
; %bb.8996:                             ;   in Loop: Header=BB6_5830 Depth=4
	v_cmp_lt_i32_e32 vcc_lo, -1, v2
	v_mov_b32_e32 v0, 0x7c
	s_delay_alu instid0(VALU_DEP_1)
	v_cndmask_b32_e32 v96, 0xfc, v0, vcc_lo
; %bb.8997:                             ;   in Loop: Header=BB6_5830 Depth=4
	s_or_b32 exec_lo, exec_lo, s74
.LBB6_8998:                             ;   in Loop: Header=BB6_5830 Depth=4
	s_delay_alu instid0(SALU_CYCLE_1)
	s_or_b32 exec_lo, exec_lo, s13
	v_dual_mov_b32 v1, 0 :: v_dual_mov_b32 v2, 0
	s_mov_b32 s74, exec_lo
	v_cmpx_lt_u32_e32 0xffffff, v112
	s_cbranch_execz .LBB6_9008
; %bb.8999:                             ;   in Loop: Header=BB6_5830 Depth=4
	v_lshrrev_b32_e32 v0, 24, v112
	v_bfrev_b32_e32 v2, 1
	s_mov_b32 s75, exec_lo
	s_delay_alu instid0(VALU_DEP_2)
	v_cmpx_ne_u32_e32 0x80, v0
	s_cbranch_execz .LBB6_9007
; %bb.9000:                             ;   in Loop: Header=BB6_5830 Depth=4
	v_and_b32_e32 v2, 0x7c000000, v112
	v_bfe_u32 v3, v112, 24, 2
	s_delay_alu instid0(VALU_DEP_2) | instskip(SKIP_1) | instid1(SALU_CYCLE_1)
	v_cmp_ne_u32_e32 vcc_lo, 0x7c000000, v2
                                        ; implicit-def: $vgpr2
	s_and_saveexec_b32 s13, vcc_lo
	s_xor_b32 s13, exec_lo, s13
	s_cbranch_execz .LBB6_9004
; %bb.9001:                             ;   in Loop: Header=BB6_5830 Depth=4
	v_bfe_u32 v2, v112, 26, 5
	s_mov_b32 s76, exec_lo
	s_delay_alu instid0(VALU_DEP_1)
	v_cmpx_eq_u32_e32 0, v2
; %bb.9002:                             ;   in Loop: Header=BB6_5830 Depth=4
	v_clz_i32_u32_e32 v2, v3
	s_delay_alu instid0(VALU_DEP_1) | instskip(NEXT) | instid1(VALU_DEP_1)
	v_min_u32_e32 v2, 32, v2
	v_subrev_nc_u32_e32 v3, 29, v2
	v_sub_nc_u32_e32 v2, 30, v2
	s_delay_alu instid0(VALU_DEP_2) | instskip(NEXT) | instid1(VALU_DEP_1)
	v_lshlrev_b64_e32 v[46:47], v3, v[0:1]
	v_and_b32_e32 v3, 3, v46
; %bb.9003:                             ;   in Loop: Header=BB6_5830 Depth=4
	s_or_b32 exec_lo, exec_lo, s76
	v_and_b32_e32 v0, 0x80000000, v112
	s_delay_alu instid0(VALU_DEP_1) | instskip(NEXT) | instid1(VALU_DEP_1)
	v_lshl_add_u32 v0, v2, 23, v0
	v_lshl_or_b32 v0, v3, 21, v0
                                        ; implicit-def: $vgpr3
	s_delay_alu instid0(VALU_DEP_1)
	v_add_nc_u32_e32 v2, 0x38000000, v0
.LBB6_9004:                             ;   in Loop: Header=BB6_5830 Depth=4
	s_and_not1_saveexec_b32 s76, s13
; %bb.9005:                             ;   in Loop: Header=BB6_5830 Depth=4
	v_cmp_lt_i32_e64 s13, -1, v112
	v_mov_b32_e32 v0, 0x7f800000
	v_cmp_eq_u32_e32 vcc_lo, 0, v3
	s_delay_alu instid0(VALU_DEP_2) | instskip(NEXT) | instid1(VALU_DEP_1)
	v_cndmask_b32_e64 v0, 0xff800000, v0, s13
	v_cndmask_b32_e32 v2, 0x7f800001, v0, vcc_lo
; %bb.9006:                             ;   in Loop: Header=BB6_5830 Depth=4
	s_or_b32 exec_lo, exec_lo, s76
.LBB6_9007:                             ;   in Loop: Header=BB6_5830 Depth=4
	s_delay_alu instid0(SALU_CYCLE_1)
	s_or_b32 exec_lo, exec_lo, s75
.LBB6_9008:                             ;   in Loop: Header=BB6_5830 Depth=4
	s_delay_alu instid0(SALU_CYCLE_1) | instskip(NEXT) | instid1(SALU_CYCLE_1)
	s_or_b32 exec_lo, exec_lo, s74
	s_mov_b32 s74, exec_lo
	v_cmpx_lt_u64_e64 s[22:23], v[18:19]
	s_cbranch_execz .LBB6_9018
; %bb.9009:                             ;   in Loop: Header=BB6_5830 Depth=4
	v_lshrrev_b32_e32 v0, 24, v19
	v_bfrev_b32_e32 v1, 1
	s_mov_b32 s75, exec_lo
	s_delay_alu instid0(VALU_DEP_2)
	v_cmpx_ne_u32_e32 0x80, v0
	s_cbranch_execz .LBB6_9017
; %bb.9010:                             ;   in Loop: Header=BB6_5830 Depth=4
	v_and_b32_e32 v1, 0x7c000000, v19
	v_bfe_u32 v3, v19, 24, 2
	s_delay_alu instid0(VALU_DEP_2) | instskip(SKIP_1) | instid1(SALU_CYCLE_1)
	v_cmp_ne_u32_e32 vcc_lo, 0x7c000000, v1
                                        ; implicit-def: $vgpr1
	s_and_saveexec_b32 s13, vcc_lo
	s_xor_b32 s13, exec_lo, s13
	s_cbranch_execz .LBB6_9014
; %bb.9011:                             ;   in Loop: Header=BB6_5830 Depth=4
	v_bfe_u32 v1, v19, 26, 5
	s_mov_b32 s76, exec_lo
	s_delay_alu instid0(VALU_DEP_1)
	v_cmpx_eq_u32_e32 0, v1
; %bb.9012:                             ;   in Loop: Header=BB6_5830 Depth=4
	v_clz_i32_u32_e32 v1, v3
	s_delay_alu instid0(VALU_DEP_1) | instskip(NEXT) | instid1(VALU_DEP_1)
	v_min_u32_e32 v3, 32, v1
	v_subrev_nc_u32_e32 v1, 29, v3
	s_delay_alu instid0(VALU_DEP_1) | instskip(NEXT) | instid1(VALU_DEP_1)
	v_lshlrev_b64_e32 v[0:1], v1, v[0:1]
	v_dual_sub_nc_u32 v1, 30, v3 :: v_dual_bitop2_b32 v3, 3, v0 bitop3:0x40
; %bb.9013:                             ;   in Loop: Header=BB6_5830 Depth=4
	s_or_b32 exec_lo, exec_lo, s76
	v_and_b32_e32 v0, 0x80000000, v19
                                        ; implicit-def: $vgpr18_vgpr19
	s_delay_alu instid0(VALU_DEP_1) | instskip(NEXT) | instid1(VALU_DEP_1)
	v_lshl_add_u32 v0, v1, 23, v0
	v_lshl_or_b32 v0, v3, 21, v0
                                        ; implicit-def: $vgpr3
	s_delay_alu instid0(VALU_DEP_1)
	v_add_nc_u32_e32 v1, 0x38000000, v0
.LBB6_9014:                             ;   in Loop: Header=BB6_5830 Depth=4
	s_and_not1_saveexec_b32 s76, s13
; %bb.9015:                             ;   in Loop: Header=BB6_5830 Depth=4
	v_cmp_lt_i64_e64 s13, -1, v[18:19]
	v_mov_b32_e32 v0, 0x7f800000
	v_cmp_eq_u32_e32 vcc_lo, 0, v3
	s_delay_alu instid0(VALU_DEP_2) | instskip(NEXT) | instid1(VALU_DEP_1)
	v_cndmask_b32_e64 v0, 0xff800000, v0, s13
	v_cndmask_b32_e32 v1, 0x7f800001, v0, vcc_lo
; %bb.9016:                             ;   in Loop: Header=BB6_5830 Depth=4
	s_or_b32 exec_lo, exec_lo, s76
.LBB6_9017:                             ;   in Loop: Header=BB6_5830 Depth=4
	s_delay_alu instid0(SALU_CYCLE_1)
	s_or_b32 exec_lo, exec_lo, s75
.LBB6_9018:                             ;   in Loop: Header=BB6_5830 Depth=4
	s_delay_alu instid0(SALU_CYCLE_1) | instskip(NEXT) | instid1(VALU_DEP_1)
	s_or_b32 exec_lo, exec_lo, s74
	v_dual_add_f32 v0, v2, v1 :: v_dual_mov_b32 v3, v113
                                        ; implicit-def: $vgpr18
	s_mov_b32 s13, exec_lo
	s_delay_alu instid0(VALU_DEP_1) | instskip(SKIP_2) | instid1(VALU_DEP_3)
	v_and_b32_e32 v2, 0x7f800000, v0
	v_and_b32_e32 v112, 0x7fffff, v0
	v_lshrrev_b32_e32 v1, 24, v0
	v_cmpx_ne_u64_e32 0x7f800000, v[2:3]
	s_xor_b32 s74, exec_lo, s13
	s_cbranch_execz .LBB6_9032
; %bb.9019:                             ;   in Loop: Header=BB6_5830 Depth=4
	v_and_b32_e32 v2, 0x7fffffff, v0
	v_mov_b32_e32 v3, v113
	v_and_b32_e32 v19, 0x80, v1
                                        ; implicit-def: $vgpr18
	s_mov_b32 s13, exec_lo
	s_delay_alu instid0(VALU_DEP_2)
	v_cmpx_gt_u64_e32 0x47600001, v[2:3]
	s_xor_b32 s75, exec_lo, s13
	s_cbranch_execz .LBB6_9029
; %bb.9020:                             ;   in Loop: Header=BB6_5830 Depth=4
	v_mov_b32_e32 v18, 0
	s_mov_b32 s76, exec_lo
	v_cmpx_ne_u32_e32 0, v0
	s_cbranch_execz .LBB6_9028
; %bb.9021:                             ;   in Loop: Header=BB6_5830 Depth=4
	v_bfe_u32 v18, v0, 23, 8
	v_or_b32_e32 v1, 0x800000, v112
	s_delay_alu instid0(VALU_DEP_2) | instskip(SKIP_2) | instid1(VALU_DEP_2)
	v_cmp_gt_u32_e64 s13, 0x72, v18
	v_sub_nc_u32_e32 v0, 0x71, v18
	v_cmp_eq_u32_e32 vcc_lo, 0, v18
	v_cndmask_b32_e64 v0, 0, v0, s13
	s_delay_alu instid0(VALU_DEP_1) | instskip(SKIP_1) | instid1(VALU_DEP_2)
	v_cndmask_b32_e64 v100, v0, 0x70, vcc_lo
	v_cndmask_b32_e32 v0, v1, v112, vcc_lo
	v_dual_mov_b32 v1, v113 :: v_dual_add_nc_u32 v2, 21, v100
	v_add_nc_u32_e32 v112, 20, v100
	s_delay_alu instid0(VALU_DEP_2) | instskip(NEXT) | instid1(VALU_DEP_2)
	v_lshlrev_b64_e64 v[2:3], v2, -1
	v_lshlrev_b64_e64 v[46:47], v112, 1
	s_delay_alu instid0(VALU_DEP_2) | instskip(SKIP_1) | instid1(VALU_DEP_4)
	v_bfi_b32 v2, v2, 0, v0
	v_lshrrev_b64 v[0:1], v100, v[0:1]
	v_bfi_b32 v3, v3, 0, 0
	s_delay_alu instid0(VALU_DEP_1) | instskip(NEXT) | instid1(VALU_DEP_3)
	v_cmp_eq_u64_e64 s13, v[2:3], v[46:47]
	v_mov_b64_e32 v[2:3], v[0:1]
	s_and_saveexec_b32 s77, s13
; %bb.9022:                             ;   in Loop: Header=BB6_5830 Depth=4
	v_bfe_u32 v2, v0, 21, 1
	v_mov_b32_e32 v3, v113
	s_delay_alu instid0(VALU_DEP_1) | instskip(NEXT) | instid1(VALU_DEP_1)
	v_add_nc_u64_e32 v[2:3], v[0:1], v[2:3]
	v_add_nc_u64_e32 v[2:3], -1, v[2:3]
; %bb.9023:                             ;   in Loop: Header=BB6_5830 Depth=4
	s_or_b32 exec_lo, exec_lo, s77
	v_add_nc_u32_e32 v1, 0xffffff81, v18
	s_delay_alu instid0(VALU_DEP_2) | instskip(SKIP_2) | instid1(VALU_DEP_3)
	v_and_b32_e32 v2, 0x1fffff, v2
	v_lshrrev_b32_e32 v3, 23, v0
	s_mov_b32 s13, exec_lo
	v_cndmask_b32_e64 v1, v1, 0xffffff82, vcc_lo
	s_delay_alu instid0(VALU_DEP_3) | instskip(NEXT) | instid1(VALU_DEP_2)
	v_add_nc_u32_e32 v112, v2, v0
                                        ; implicit-def: $vgpr2
	v_add3_u32 v18, v100, v1, v3
                                        ; implicit-def: $vgpr0_vgpr1
	s_delay_alu instid0(VALU_DEP_1) | instskip(NEXT) | instid1(VALU_DEP_1)
	v_add_nc_u32_e32 v3, 14, v18
	v_cmpx_ne_u32_e32 0, v3
	s_xor_b32 s13, exec_lo, s13
; %bb.9024:                             ;   in Loop: Header=BB6_5830 Depth=4
	v_cmp_lt_u64_e32 vcc_lo, 0xffffff, v[112:113]
	v_add_nc_u32_e32 v0, 15, v18
	s_delay_alu instid0(VALU_DEP_1) | instskip(SKIP_1) | instid1(VALU_DEP_1)
	v_cndmask_b32_e32 v2, v3, v0, vcc_lo
	v_cndmask_b32_e64 v0, 0, 1, vcc_lo
	v_lshrrev_b64 v[0:1], v0, v[112:113]
; %bb.9025:                             ;   in Loop: Header=BB6_5830 Depth=4
	s_and_not1_saveexec_b32 s13, s13
; %bb.9026:                             ;   in Loop: Header=BB6_5830 Depth=4
	v_mov_b64_e32 v[0:1], v[112:113]
	v_bfe_u32 v2, v112, 23, 1
; %bb.9027:                             ;   in Loop: Header=BB6_5830 Depth=4
	s_or_b32 exec_lo, exec_lo, s13
	s_delay_alu instid0(VALU_DEP_2) | instskip(NEXT) | instid1(VALU_DEP_2)
	v_lshrrev_b64 v[0:1], 21, v[0:1]
	v_cmp_gt_i32_e32 vcc_lo, 32, v2
	v_min_i32_e32 v3, 31, v2
	v_cmp_eq_u32_e64 s13, 0, v2
	s_delay_alu instid0(VALU_DEP_2) | instskip(SKIP_1) | instid1(VALU_DEP_2)
	v_dual_cndmask_b32 v1, 0, v1, vcc_lo :: v_dual_lshlrev_b32 v3, 2, v3
	v_cndmask_b32_e32 v0, 3, v0, vcc_lo
	v_and_b32_e32 v3, 0xfc, v3
	s_delay_alu instid0(VALU_DEP_2) | instskip(NEXT) | instid1(VALU_DEP_2)
	v_cmp_eq_u64_e32 vcc_lo, 0, v[0:1]
	v_and_or_b32 v0, v0, 3, v3
	s_and_b32 s13, s13, vcc_lo
	s_delay_alu instid0(VALU_DEP_1) | instid1(SALU_CYCLE_1)
	v_cndmask_b32_e64 v0, v0, 0, s13
	s_delay_alu instid0(VALU_DEP_1)
	v_or_b32_e32 v18, v0, v19
.LBB6_9028:                             ;   in Loop: Header=BB6_5830 Depth=4
	s_or_b32 exec_lo, exec_lo, s76
                                        ; implicit-def: $vgpr19
.LBB6_9029:                             ;   in Loop: Header=BB6_5830 Depth=4
	s_and_not1_saveexec_b32 s13, s75
; %bb.9030:                             ;   in Loop: Header=BB6_5830 Depth=4
	v_or_b32_e32 v18, 0x7b, v19
; %bb.9031:                             ;   in Loop: Header=BB6_5830 Depth=4
	s_or_b32 exec_lo, exec_lo, s13
                                        ; implicit-def: $vgpr0
                                        ; implicit-def: $vgpr1
.LBB6_9032:                             ;   in Loop: Header=BB6_5830 Depth=4
	s_and_not1_saveexec_b32 s13, s74
	s_cbranch_execz .LBB6_9038
; %bb.9033:                             ;   in Loop: Header=BB6_5830 Depth=4
	s_mov_b32 s74, exec_lo
                                        ; implicit-def: $vgpr18
	v_cmpx_ne_u64_e32 0, v[112:113]
	s_xor_b32 s74, exec_lo, s74
; %bb.9034:                             ;   in Loop: Header=BB6_5830 Depth=4
	v_or_b32_e32 v18, 0x7f, v1
                                        ; implicit-def: $vgpr0
; %bb.9035:                             ;   in Loop: Header=BB6_5830 Depth=4
	s_and_not1_saveexec_b32 s74, s74
; %bb.9036:                             ;   in Loop: Header=BB6_5830 Depth=4
	v_cmp_lt_i32_e32 vcc_lo, -1, v0
	v_mov_b32_e32 v0, 0x7c
	s_delay_alu instid0(VALU_DEP_1)
	v_cndmask_b32_e32 v18, 0xfc, v0, vcc_lo
; %bb.9037:                             ;   in Loop: Header=BB6_5830 Depth=4
	s_or_b32 exec_lo, exec_lo, s74
.LBB6_9038:                             ;   in Loop: Header=BB6_5830 Depth=4
	s_delay_alu instid0(SALU_CYCLE_1) | instskip(SKIP_3) | instid1(VALU_DEP_1)
	s_or_b32 exec_lo, exec_lo, s13
	v_lshl_or_b32 v82, v82, 8, v67
	v_dual_lshlrev_b32 v0, 16, v85 :: v_dual_lshlrev_b32 v1, 24, v87
	s_mov_b32 s74, exec_lo
	v_or3_b32 v112, v0, v1, v82
	v_dual_mov_b32 v0, 0 :: v_dual_mov_b32 v1, 0
	v_cmpx_ne_u32_e32 0, v67
	s_cbranch_execz .LBB6_9048
; %bb.9039:                             ;   in Loop: Header=BB6_5830 Depth=4
	v_bfrev_b32_e32 v1, 1
	s_mov_b32 s75, exec_lo
	v_cmpx_ne_u32_e32 0x80, v67
	s_cbranch_execz .LBB6_9047
; %bb.9040:                             ;   in Loop: Header=BB6_5830 Depth=4
	v_and_b32_e32 v1, 0x7c, v67
	v_and_b32_e32 v2, 3, v67
	s_delay_alu instid0(VALU_DEP_2) | instskip(SKIP_1) | instid1(SALU_CYCLE_1)
	v_cmp_ne_u32_e32 vcc_lo, 0x7c, v1
                                        ; implicit-def: $vgpr1
	s_and_saveexec_b32 s13, vcc_lo
	s_xor_b32 s13, exec_lo, s13
	s_cbranch_execz .LBB6_9044
; %bb.9041:                             ;   in Loop: Header=BB6_5830 Depth=4
	v_bfe_u32 v1, v67, 2, 5
	s_mov_b32 s76, exec_lo
	s_delay_alu instid0(VALU_DEP_1)
	v_cmpx_eq_u32_e32 0, v1
; %bb.9042:                             ;   in Loop: Header=BB6_5830 Depth=4
	v_clz_i32_u32_e32 v1, v2
	s_delay_alu instid0(VALU_DEP_1) | instskip(NEXT) | instid1(VALU_DEP_1)
	v_min_u32_e32 v1, 32, v1
	v_subrev_nc_u32_e32 v2, 29, v1
	s_delay_alu instid0(VALU_DEP_1) | instskip(NEXT) | instid1(VALU_DEP_1)
	v_lshlrev_b64_e32 v[2:3], v2, v[112:113]
	v_dual_sub_nc_u32 v1, 30, v1 :: v_dual_bitop2_b32 v2, 3, v2 bitop3:0x40
; %bb.9043:                             ;   in Loop: Header=BB6_5830 Depth=4
	s_or_b32 exec_lo, exec_lo, s76
	v_lshlrev_b32_e32 v3, 24, v67
                                        ; implicit-def: $vgpr67
	s_delay_alu instid0(VALU_DEP_1) | instskip(NEXT) | instid1(VALU_DEP_1)
	v_and_b32_e32 v3, 0x80000000, v3
	v_lshl_add_u32 v1, v1, 23, v3
	s_delay_alu instid0(VALU_DEP_1) | instskip(NEXT) | instid1(VALU_DEP_1)
	v_lshl_or_b32 v1, v2, 21, v1
                                        ; implicit-def: $vgpr2
	v_add_nc_u32_e32 v1, 0x38000000, v1
.LBB6_9044:                             ;   in Loop: Header=BB6_5830 Depth=4
	s_and_not1_saveexec_b32 s76, s13
; %bb.9045:                             ;   in Loop: Header=BB6_5830 Depth=4
	v_and_b32_e32 v1, 0x80, v67
	v_cmp_eq_u32_e32 vcc_lo, 0, v2
	s_delay_alu instid0(VALU_DEP_2) | instskip(SKIP_1) | instid1(VALU_DEP_1)
	v_cmp_eq_u32_e64 s13, 0, v1
	v_mov_b32_e32 v1, 0x7f800000
	v_cndmask_b32_e64 v1, 0xff800000, v1, s13
	s_delay_alu instid0(VALU_DEP_1)
	v_cndmask_b32_e32 v1, 0x7f800001, v1, vcc_lo
; %bb.9046:                             ;   in Loop: Header=BB6_5830 Depth=4
	s_or_b32 exec_lo, exec_lo, s76
.LBB6_9047:                             ;   in Loop: Header=BB6_5830 Depth=4
	s_delay_alu instid0(SALU_CYCLE_1)
	s_or_b32 exec_lo, exec_lo, s75
.LBB6_9048:                             ;   in Loop: Header=BB6_5830 Depth=4
	s_delay_alu instid0(SALU_CYCLE_1) | instskip(SKIP_3) | instid1(VALU_DEP_1)
	s_or_b32 exec_lo, exec_lo, s74
	s_wait_loadcnt 0x1
	v_and_b32_e32 v2, 0xff, v12
	s_mov_b32 s74, exec_lo
	v_cmpx_ne_u16_e32 0, v2
	s_cbranch_execz .LBB6_9058
; %bb.9049:                             ;   in Loop: Header=BB6_5830 Depth=4
	v_bfe_i32 v3, v12, 0, 8
	v_bfrev_b32_e32 v0, 1
	s_mov_b32 s75, exec_lo
	s_delay_alu instid0(VALU_DEP_2)
	v_cmpx_ne_u16_e32 0xff80, v3
	s_cbranch_execz .LBB6_9057
; %bb.9050:                             ;   in Loop: Header=BB6_5830 Depth=4
	v_and_b32_e32 v0, 0x7c, v12
	v_and_b32_e32 v2, 3, v12
	s_delay_alu instid0(VALU_DEP_2) | instskip(SKIP_1) | instid1(SALU_CYCLE_1)
	v_cmp_ne_u32_e32 vcc_lo, 0x7c, v0
                                        ; implicit-def: $vgpr0
	s_and_saveexec_b32 s13, vcc_lo
	s_xor_b32 s13, exec_lo, s13
	s_cbranch_execz .LBB6_9054
; %bb.9051:                             ;   in Loop: Header=BB6_5830 Depth=4
	v_bfe_u32 v0, v12, 2, 5
	s_mov_b32 s76, exec_lo
	s_delay_alu instid0(VALU_DEP_1)
	v_cmpx_eq_u32_e32 0, v0
; %bb.9052:                             ;   in Loop: Header=BB6_5830 Depth=4
	v_clz_i32_u32_e32 v0, v2
	s_delay_alu instid0(VALU_DEP_1) | instskip(NEXT) | instid1(VALU_DEP_1)
	v_min_u32_e32 v0, 32, v0
	v_subrev_nc_u32_e32 v2, 29, v0
	s_delay_alu instid0(VALU_DEP_1) | instskip(NEXT) | instid1(VALU_DEP_1)
	v_lshlrev_b64_e32 v[2:3], v2, v[12:13]
	v_dual_sub_nc_u32 v0, 30, v0 :: v_dual_bitop2_b32 v2, 3, v2 bitop3:0x40
; %bb.9053:                             ;   in Loop: Header=BB6_5830 Depth=4
	s_or_b32 exec_lo, exec_lo, s76
	v_lshlrev_b32_e32 v3, 24, v12
	s_delay_alu instid0(VALU_DEP_1) | instskip(NEXT) | instid1(VALU_DEP_1)
	v_and_b32_e32 v3, 0x80000000, v3
	v_lshl_add_u32 v0, v0, 23, v3
                                        ; implicit-def: $vgpr3
	s_delay_alu instid0(VALU_DEP_1) | instskip(NEXT) | instid1(VALU_DEP_1)
	v_lshl_or_b32 v0, v2, 21, v0
                                        ; implicit-def: $vgpr2
	v_add_nc_u32_e32 v0, 0x38000000, v0
.LBB6_9054:                             ;   in Loop: Header=BB6_5830 Depth=4
	s_and_not1_saveexec_b32 s76, s13
; %bb.9055:                             ;   in Loop: Header=BB6_5830 Depth=4
	v_cmp_lt_i16_e64 s13, -1, v3
	v_mov_b32_e32 v0, 0x7f800000
	v_cmp_eq_u32_e32 vcc_lo, 0, v2
	s_delay_alu instid0(VALU_DEP_2) | instskip(NEXT) | instid1(VALU_DEP_1)
	v_cndmask_b32_e64 v0, 0xff800000, v0, s13
	v_cndmask_b32_e32 v0, 0x7f800001, v0, vcc_lo
; %bb.9056:                             ;   in Loop: Header=BB6_5830 Depth=4
	s_or_b32 exec_lo, exec_lo, s76
.LBB6_9057:                             ;   in Loop: Header=BB6_5830 Depth=4
	s_delay_alu instid0(SALU_CYCLE_1)
	s_or_b32 exec_lo, exec_lo, s75
.LBB6_9058:                             ;   in Loop: Header=BB6_5830 Depth=4
	s_delay_alu instid0(SALU_CYCLE_1) | instskip(NEXT) | instid1(VALU_DEP_1)
	s_or_b32 exec_lo, exec_lo, s74
	v_add_f32_e32 v2, v1, v0
	v_dual_mov_b32 v47, v113 :: v_dual_mov_b32 v1, v113
                                        ; implicit-def: $vgpr19
	s_mov_b32 s13, exec_lo
	s_delay_alu instid0(VALU_DEP_2) | instskip(SKIP_2) | instid1(VALU_DEP_3)
	v_and_b32_e32 v46, 0x7f800000, v2
	v_and_b32_e32 v0, 0x7fffff, v2
	v_lshrrev_b32_e32 v3, 24, v2
	v_cmpx_ne_u64_e32 0x7f800000, v[46:47]
	s_xor_b32 s74, exec_lo, s13
	s_cbranch_execz .LBB6_9072
; %bb.9059:                             ;   in Loop: Header=BB6_5830 Depth=4
	v_and_b32_e32 v46, 0x7fffffff, v2
	v_mov_b32_e32 v47, v113
	v_and_b32_e32 v67, 0x80, v3
                                        ; implicit-def: $vgpr19
	s_mov_b32 s13, exec_lo
	s_delay_alu instid0(VALU_DEP_2)
	v_cmpx_gt_u64_e32 0x47600001, v[46:47]
	s_xor_b32 s75, exec_lo, s13
	s_cbranch_execz .LBB6_9069
; %bb.9060:                             ;   in Loop: Header=BB6_5830 Depth=4
	v_mov_b32_e32 v19, 0
	s_mov_b32 s76, exec_lo
	v_cmpx_ne_u32_e32 0, v2
	s_cbranch_execz .LBB6_9068
; %bb.9061:                             ;   in Loop: Header=BB6_5830 Depth=4
	v_bfe_u32 v19, v2, 23, 8
	v_or_b32_e32 v3, 0x800000, v0
	s_delay_alu instid0(VALU_DEP_2) | instskip(SKIP_2) | instid1(VALU_DEP_2)
	v_cmp_gt_u32_e64 s13, 0x72, v19
	v_sub_nc_u32_e32 v2, 0x71, v19
	v_cmp_eq_u32_e32 vcc_lo, 0, v19
	v_dual_cndmask_b32 v2, 0, v2, s13 :: v_dual_cndmask_b32 v0, v3, v0, vcc_lo
	s_delay_alu instid0(VALU_DEP_1) | instskip(NEXT) | instid1(VALU_DEP_1)
	v_cndmask_b32_e64 v85, v2, 0x70, vcc_lo
	v_dual_add_nc_u32 v2, 21, v85 :: v_dual_add_nc_u32 v87, 20, v85
	s_delay_alu instid0(VALU_DEP_1) | instskip(NEXT) | instid1(VALU_DEP_2)
	v_lshlrev_b64_e64 v[2:3], v2, -1
	v_lshlrev_b64_e64 v[46:47], v87, 1
	s_delay_alu instid0(VALU_DEP_2) | instskip(SKIP_1) | instid1(VALU_DEP_4)
	v_bfi_b32 v2, v2, 0, v0
	v_lshrrev_b64 v[0:1], v85, v[0:1]
	v_bfi_b32 v3, v3, 0, 0
	s_delay_alu instid0(VALU_DEP_1) | instskip(NEXT) | instid1(VALU_DEP_3)
	v_cmp_eq_u64_e64 s13, v[2:3], v[46:47]
	v_mov_b64_e32 v[2:3], v[0:1]
	s_and_saveexec_b32 s77, s13
; %bb.9062:                             ;   in Loop: Header=BB6_5830 Depth=4
	v_bfe_u32 v2, v0, 21, 1
	v_mov_b32_e32 v3, v113
	s_delay_alu instid0(VALU_DEP_1) | instskip(NEXT) | instid1(VALU_DEP_1)
	v_add_nc_u64_e32 v[2:3], v[0:1], v[2:3]
	v_add_nc_u64_e32 v[2:3], -1, v[2:3]
; %bb.9063:                             ;   in Loop: Header=BB6_5830 Depth=4
	s_or_b32 exec_lo, exec_lo, s77
	v_add_nc_u32_e32 v1, 0xffffff81, v19
	v_lshrrev_b32_e32 v3, 23, v0
	s_mov_b32 s13, exec_lo
	s_delay_alu instid0(VALU_DEP_2) | instskip(NEXT) | instid1(VALU_DEP_1)
	v_cndmask_b32_e64 v1, v1, 0xffffff82, vcc_lo
	v_add3_u32 v19, v85, v1, v3
	v_and_b32_e32 v1, 0x1fffff, v2
                                        ; implicit-def: $vgpr2
	s_delay_alu instid0(VALU_DEP_1) | instskip(SKIP_1) | instid1(VALU_DEP_2)
	v_dual_add_nc_u32 v3, 14, v19 :: v_dual_add_nc_u32 v0, v1, v0
	v_mov_b32_e32 v1, v113
	v_cmpx_ne_u32_e32 0, v3
	s_xor_b32 s13, exec_lo, s13
; %bb.9064:                             ;   in Loop: Header=BB6_5830 Depth=4
	s_delay_alu instid0(VALU_DEP_2) | instskip(SKIP_1) | instid1(VALU_DEP_1)
	v_cmp_lt_u64_e32 vcc_lo, 0xffffff, v[0:1]
	v_add_nc_u32_e32 v2, 15, v19
	v_cndmask_b32_e32 v2, v3, v2, vcc_lo
	v_cndmask_b32_e64 v3, 0, 1, vcc_lo
	s_delay_alu instid0(VALU_DEP_1)
	v_lshrrev_b64 v[0:1], v3, v[0:1]
; %bb.9065:                             ;   in Loop: Header=BB6_5830 Depth=4
	s_and_not1_saveexec_b32 s13, s13
; %bb.9066:                             ;   in Loop: Header=BB6_5830 Depth=4
	s_delay_alu instid0(VALU_DEP_1)
	v_bfe_u32 v2, v0, 23, 1
; %bb.9067:                             ;   in Loop: Header=BB6_5830 Depth=4
	s_or_b32 exec_lo, exec_lo, s13
	s_delay_alu instid0(VALU_DEP_2) | instskip(NEXT) | instid1(VALU_DEP_2)
	v_lshrrev_b64 v[0:1], 21, v[0:1]
	v_cmp_gt_i32_e32 vcc_lo, 32, v2
	v_min_i32_e32 v3, 31, v2
	v_cmp_eq_u32_e64 s13, 0, v2
	s_delay_alu instid0(VALU_DEP_2) | instskip(SKIP_1) | instid1(VALU_DEP_2)
	v_dual_cndmask_b32 v1, 0, v1, vcc_lo :: v_dual_lshlrev_b32 v3, 2, v3
	v_cndmask_b32_e32 v0, 3, v0, vcc_lo
	v_and_b32_e32 v3, 0xfc, v3
	s_delay_alu instid0(VALU_DEP_2) | instskip(NEXT) | instid1(VALU_DEP_2)
	v_cmp_eq_u64_e32 vcc_lo, 0, v[0:1]
	v_and_or_b32 v0, v0, 3, v3
	s_and_b32 s13, s13, vcc_lo
	s_delay_alu instid0(VALU_DEP_1) | instid1(SALU_CYCLE_1)
	v_cndmask_b32_e64 v0, v0, 0, s13
	s_delay_alu instid0(VALU_DEP_1)
	v_or_b32_e32 v19, v0, v67
.LBB6_9068:                             ;   in Loop: Header=BB6_5830 Depth=4
	s_or_b32 exec_lo, exec_lo, s76
                                        ; implicit-def: $vgpr67
.LBB6_9069:                             ;   in Loop: Header=BB6_5830 Depth=4
	s_and_not1_saveexec_b32 s13, s75
; %bb.9070:                             ;   in Loop: Header=BB6_5830 Depth=4
	v_or_b32_e32 v19, 0x7b, v67
; %bb.9071:                             ;   in Loop: Header=BB6_5830 Depth=4
	s_or_b32 exec_lo, exec_lo, s13
                                        ; implicit-def: $vgpr2
                                        ; implicit-def: $vgpr0_vgpr1
                                        ; implicit-def: $vgpr3
.LBB6_9072:                             ;   in Loop: Header=BB6_5830 Depth=4
	s_and_not1_saveexec_b32 s13, s74
	s_cbranch_execz .LBB6_9078
; %bb.9073:                             ;   in Loop: Header=BB6_5830 Depth=4
	s_mov_b32 s74, exec_lo
                                        ; implicit-def: $vgpr19
	v_cmpx_ne_u64_e32 0, v[0:1]
	s_xor_b32 s74, exec_lo, s74
; %bb.9074:                             ;   in Loop: Header=BB6_5830 Depth=4
	v_or_b32_e32 v19, 0x7f, v3
                                        ; implicit-def: $vgpr2
; %bb.9075:                             ;   in Loop: Header=BB6_5830 Depth=4
	s_and_not1_saveexec_b32 s74, s74
; %bb.9076:                             ;   in Loop: Header=BB6_5830 Depth=4
	v_cmp_lt_i32_e32 vcc_lo, -1, v2
	v_mov_b32_e32 v0, 0x7c
	s_delay_alu instid0(VALU_DEP_1)
	v_cndmask_b32_e32 v19, 0xfc, v0, vcc_lo
; %bb.9077:                             ;   in Loop: Header=BB6_5830 Depth=4
	s_or_b32 exec_lo, exec_lo, s74
.LBB6_9078:                             ;   in Loop: Header=BB6_5830 Depth=4
	s_delay_alu instid0(SALU_CYCLE_1) | instskip(SKIP_3) | instid1(VALU_DEP_2)
	s_or_b32 exec_lo, exec_lo, s13
	v_lshrrev_b16 v0, 8, v82
	v_dual_mov_b32 v2, 0 :: v_dual_mov_b32 v3, 0
	s_mov_b32 s74, exec_lo
	v_cmpx_ne_u16_e32 0, v0
	s_cbranch_execz .LBB6_9088
; %bb.9079:                             ;   in Loop: Header=BB6_5830 Depth=4
	v_bfrev_b32_e32 v3, 1
	s_mov_b32 s75, exec_lo
	v_cmpx_ne_u16_e32 0x80, v0
	s_cbranch_execz .LBB6_9087
; %bb.9080:                             ;   in Loop: Header=BB6_5830 Depth=4
	v_and_b32_e32 v67, 0xffff, v0
	s_delay_alu instid0(VALU_DEP_1) | instskip(SKIP_1) | instid1(VALU_DEP_2)
	v_and_b32_e32 v3, 0x7c, v67
	v_and_b32_e32 v1, 3, v67
	v_cmp_ne_u32_e32 vcc_lo, 0x7c, v3
                                        ; implicit-def: $vgpr3
	s_and_saveexec_b32 s13, vcc_lo
	s_delay_alu instid0(SALU_CYCLE_1)
	s_xor_b32 s13, exec_lo, s13
	s_cbranch_execz .LBB6_9084
; %bb.9081:                             ;   in Loop: Header=BB6_5830 Depth=4
	v_bfe_u32 v3, v67, 2, 5
	s_mov_b32 s76, exec_lo
	s_delay_alu instid0(VALU_DEP_1)
	v_cmpx_eq_u32_e32 0, v3
	s_cbranch_execz .LBB6_9083
; %bb.9082:                             ;   in Loop: Header=BB6_5830 Depth=4
	v_clz_i32_u32_e32 v1, v1
	s_delay_alu instid0(VALU_DEP_1) | instskip(SKIP_1) | instid1(VALU_DEP_2)
	v_min_u32_e32 v3, 32, v1
	v_mov_b32_e32 v1, v113
	v_subrev_nc_u32_e32 v67, 29, v3
	v_sub_nc_u32_e32 v3, 30, v3
	s_delay_alu instid0(VALU_DEP_2) | instskip(NEXT) | instid1(VALU_DEP_1)
	v_lshlrev_b64_e32 v[0:1], v67, v[0:1]
	v_and_b32_e32 v1, 3, v0
.LBB6_9083:                             ;   in Loop: Header=BB6_5830 Depth=4
	s_or_b32 exec_lo, exec_lo, s76
	v_lshlrev_b32_e32 v0, 16, v82
                                        ; implicit-def: $vgpr82
	s_delay_alu instid0(VALU_DEP_1) | instskip(NEXT) | instid1(VALU_DEP_1)
	v_and_b32_e32 v0, 0x80000000, v0
	v_lshl_add_u32 v0, v3, 23, v0
	s_delay_alu instid0(VALU_DEP_1) | instskip(NEXT) | instid1(VALU_DEP_1)
	v_lshl_or_b32 v0, v1, 21, v0
                                        ; implicit-def: $vgpr1
	v_add_nc_u32_e32 v3, 0x38000000, v0
.LBB6_9084:                             ;   in Loop: Header=BB6_5830 Depth=4
	s_and_not1_saveexec_b32 s76, s13
; %bb.9085:                             ;   in Loop: Header=BB6_5830 Depth=4
	v_cmp_lt_i16_e64 s13, -1, v82
	v_mov_b32_e32 v0, 0x7f800000
	v_cmp_eq_u32_e32 vcc_lo, 0, v1
	s_delay_alu instid0(VALU_DEP_2) | instskip(NEXT) | instid1(VALU_DEP_1)
	v_cndmask_b32_e64 v0, 0xff800000, v0, s13
	v_cndmask_b32_e32 v3, 0x7f800001, v0, vcc_lo
; %bb.9086:                             ;   in Loop: Header=BB6_5830 Depth=4
	s_or_b32 exec_lo, exec_lo, s76
.LBB6_9087:                             ;   in Loop: Header=BB6_5830 Depth=4
	s_delay_alu instid0(SALU_CYCLE_1)
	s_or_b32 exec_lo, exec_lo, s75
.LBB6_9088:                             ;   in Loop: Header=BB6_5830 Depth=4
	s_delay_alu instid0(SALU_CYCLE_1) | instskip(SKIP_2) | instid1(VALU_DEP_1)
	s_or_b32 exec_lo, exec_lo, s74
	v_lshrrev_b16 v0, 8, v12
	s_mov_b32 s74, exec_lo
	v_cmpx_ne_u16_e32 0, v0
	s_cbranch_execz .LBB6_9098
; %bb.9089:                             ;   in Loop: Header=BB6_5830 Depth=4
	v_bfrev_b32_e32 v2, 1
	s_mov_b32 s75, exec_lo
	v_cmpx_ne_u16_e32 0x80, v0
	s_cbranch_execz .LBB6_9097
; %bb.9090:                             ;   in Loop: Header=BB6_5830 Depth=4
	v_and_b32_e32 v67, 0xffff, v0
	s_delay_alu instid0(VALU_DEP_1) | instskip(SKIP_1) | instid1(VALU_DEP_2)
	v_and_b32_e32 v2, 0x7c, v67
	v_and_b32_e32 v1, 3, v67
	v_cmp_ne_u32_e32 vcc_lo, 0x7c, v2
                                        ; implicit-def: $vgpr2
	s_and_saveexec_b32 s13, vcc_lo
	s_delay_alu instid0(SALU_CYCLE_1)
	s_xor_b32 s13, exec_lo, s13
	s_cbranch_execz .LBB6_9094
; %bb.9091:                             ;   in Loop: Header=BB6_5830 Depth=4
	v_bfe_u32 v2, v67, 2, 5
	s_mov_b32 s76, exec_lo
	s_delay_alu instid0(VALU_DEP_1)
	v_cmpx_eq_u32_e32 0, v2
	s_cbranch_execz .LBB6_9093
; %bb.9092:                             ;   in Loop: Header=BB6_5830 Depth=4
	v_clz_i32_u32_e32 v1, v1
	s_delay_alu instid0(VALU_DEP_1) | instskip(SKIP_1) | instid1(VALU_DEP_2)
	v_min_u32_e32 v2, 32, v1
	v_mov_b32_e32 v1, v113
	v_subrev_nc_u32_e32 v67, 29, v2
	v_sub_nc_u32_e32 v2, 30, v2
	s_delay_alu instid0(VALU_DEP_2) | instskip(NEXT) | instid1(VALU_DEP_1)
	v_lshlrev_b64_e32 v[0:1], v67, v[0:1]
	v_and_b32_e32 v1, 3, v0
.LBB6_9093:                             ;   in Loop: Header=BB6_5830 Depth=4
	s_or_b32 exec_lo, exec_lo, s76
	v_lshlrev_b32_e32 v0, 16, v12
	s_delay_alu instid0(VALU_DEP_1) | instskip(NEXT) | instid1(VALU_DEP_1)
	v_and_b32_e32 v0, 0x80000000, v0
	v_lshl_add_u32 v0, v2, 23, v0
	s_delay_alu instid0(VALU_DEP_1) | instskip(NEXT) | instid1(VALU_DEP_1)
	v_lshl_or_b32 v0, v1, 21, v0
                                        ; implicit-def: $vgpr1
	v_add_nc_u32_e32 v2, 0x38000000, v0
.LBB6_9094:                             ;   in Loop: Header=BB6_5830 Depth=4
	s_and_not1_saveexec_b32 s76, s13
; %bb.9095:                             ;   in Loop: Header=BB6_5830 Depth=4
	v_cmp_lt_i16_e64 s13, -1, v12
	v_mov_b32_e32 v0, 0x7f800000
	v_cmp_eq_u32_e32 vcc_lo, 0, v1
	s_delay_alu instid0(VALU_DEP_2) | instskip(NEXT) | instid1(VALU_DEP_1)
	v_cndmask_b32_e64 v0, 0xff800000, v0, s13
	v_cndmask_b32_e32 v2, 0x7f800001, v0, vcc_lo
; %bb.9096:                             ;   in Loop: Header=BB6_5830 Depth=4
	s_or_b32 exec_lo, exec_lo, s76
.LBB6_9097:                             ;   in Loop: Header=BB6_5830 Depth=4
	s_delay_alu instid0(SALU_CYCLE_1)
	s_or_b32 exec_lo, exec_lo, s75
.LBB6_9098:                             ;   in Loop: Header=BB6_5830 Depth=4
	s_delay_alu instid0(SALU_CYCLE_1) | instskip(NEXT) | instid1(VALU_DEP_1)
	s_or_b32 exec_lo, exec_lo, s74
	v_dual_add_f32 v2, v3, v2 :: v_dual_mov_b32 v47, v113
	v_mov_b32_e32 v1, v113
                                        ; implicit-def: $vgpr67
	s_mov_b32 s13, exec_lo
	s_delay_alu instid0(VALU_DEP_2) | instskip(SKIP_2) | instid1(VALU_DEP_3)
	v_and_b32_e32 v46, 0x7f800000, v2
	v_and_b32_e32 v0, 0x7fffff, v2
	v_lshrrev_b32_e32 v3, 24, v2
	v_cmpx_ne_u64_e32 0x7f800000, v[46:47]
	s_xor_b32 s74, exec_lo, s13
	s_cbranch_execz .LBB6_9112
; %bb.9099:                             ;   in Loop: Header=BB6_5830 Depth=4
	v_and_b32_e32 v46, 0x7fffffff, v2
	v_mov_b32_e32 v47, v113
	v_and_b32_e32 v82, 0x80, v3
                                        ; implicit-def: $vgpr67
	s_mov_b32 s13, exec_lo
	s_delay_alu instid0(VALU_DEP_2)
	v_cmpx_gt_u64_e32 0x47600001, v[46:47]
	s_xor_b32 s75, exec_lo, s13
	s_cbranch_execz .LBB6_9109
; %bb.9100:                             ;   in Loop: Header=BB6_5830 Depth=4
	v_mov_b32_e32 v67, 0
	s_mov_b32 s76, exec_lo
	v_cmpx_ne_u32_e32 0, v2
	s_cbranch_execz .LBB6_9108
; %bb.9101:                             ;   in Loop: Header=BB6_5830 Depth=4
	v_bfe_u32 v67, v2, 23, 8
	v_or_b32_e32 v3, 0x800000, v0
	s_delay_alu instid0(VALU_DEP_2) | instskip(SKIP_2) | instid1(VALU_DEP_2)
	v_cmp_gt_u32_e64 s13, 0x72, v67
	v_sub_nc_u32_e32 v2, 0x71, v67
	v_cmp_eq_u32_e32 vcc_lo, 0, v67
	v_dual_cndmask_b32 v2, 0, v2, s13 :: v_dual_cndmask_b32 v0, v3, v0, vcc_lo
	s_delay_alu instid0(VALU_DEP_1) | instskip(NEXT) | instid1(VALU_DEP_1)
	v_cndmask_b32_e64 v85, v2, 0x70, vcc_lo
	v_dual_add_nc_u32 v2, 21, v85 :: v_dual_add_nc_u32 v87, 20, v85
	s_delay_alu instid0(VALU_DEP_1) | instskip(NEXT) | instid1(VALU_DEP_2)
	v_lshlrev_b64_e64 v[2:3], v2, -1
	v_lshlrev_b64_e64 v[46:47], v87, 1
	s_delay_alu instid0(VALU_DEP_2) | instskip(SKIP_1) | instid1(VALU_DEP_4)
	v_bfi_b32 v2, v2, 0, v0
	v_lshrrev_b64 v[0:1], v85, v[0:1]
	v_bfi_b32 v3, v3, 0, 0
	s_delay_alu instid0(VALU_DEP_1) | instskip(NEXT) | instid1(VALU_DEP_3)
	v_cmp_eq_u64_e64 s13, v[2:3], v[46:47]
	v_mov_b64_e32 v[2:3], v[0:1]
	s_and_saveexec_b32 s77, s13
; %bb.9102:                             ;   in Loop: Header=BB6_5830 Depth=4
	v_bfe_u32 v2, v0, 21, 1
	v_mov_b32_e32 v3, v113
	s_delay_alu instid0(VALU_DEP_1) | instskip(NEXT) | instid1(VALU_DEP_1)
	v_add_nc_u64_e32 v[2:3], v[0:1], v[2:3]
	v_add_nc_u64_e32 v[2:3], -1, v[2:3]
; %bb.9103:                             ;   in Loop: Header=BB6_5830 Depth=4
	s_or_b32 exec_lo, exec_lo, s77
	v_add_nc_u32_e32 v1, 0xffffff81, v67
	v_lshrrev_b32_e32 v3, 23, v0
	s_mov_b32 s13, exec_lo
	s_delay_alu instid0(VALU_DEP_2) | instskip(NEXT) | instid1(VALU_DEP_1)
	v_cndmask_b32_e64 v1, v1, 0xffffff82, vcc_lo
	v_add3_u32 v67, v85, v1, v3
	v_and_b32_e32 v1, 0x1fffff, v2
                                        ; implicit-def: $vgpr2
	s_delay_alu instid0(VALU_DEP_1) | instskip(SKIP_1) | instid1(VALU_DEP_2)
	v_dual_add_nc_u32 v3, 14, v67 :: v_dual_add_nc_u32 v0, v1, v0
	v_mov_b32_e32 v1, v113
	v_cmpx_ne_u32_e32 0, v3
	s_xor_b32 s13, exec_lo, s13
; %bb.9104:                             ;   in Loop: Header=BB6_5830 Depth=4
	s_delay_alu instid0(VALU_DEP_2) | instskip(SKIP_1) | instid1(VALU_DEP_1)
	v_cmp_lt_u64_e32 vcc_lo, 0xffffff, v[0:1]
	v_add_nc_u32_e32 v2, 15, v67
	v_cndmask_b32_e32 v2, v3, v2, vcc_lo
	v_cndmask_b32_e64 v3, 0, 1, vcc_lo
	s_delay_alu instid0(VALU_DEP_1)
	v_lshrrev_b64 v[0:1], v3, v[0:1]
; %bb.9105:                             ;   in Loop: Header=BB6_5830 Depth=4
	s_and_not1_saveexec_b32 s13, s13
; %bb.9106:                             ;   in Loop: Header=BB6_5830 Depth=4
	s_delay_alu instid0(VALU_DEP_1)
	v_bfe_u32 v2, v0, 23, 1
; %bb.9107:                             ;   in Loop: Header=BB6_5830 Depth=4
	s_or_b32 exec_lo, exec_lo, s13
	s_delay_alu instid0(VALU_DEP_2) | instskip(NEXT) | instid1(VALU_DEP_2)
	v_lshrrev_b64 v[0:1], 21, v[0:1]
	v_cmp_gt_i32_e32 vcc_lo, 32, v2
	v_min_i32_e32 v3, 31, v2
	v_cmp_eq_u32_e64 s13, 0, v2
	s_delay_alu instid0(VALU_DEP_2) | instskip(SKIP_1) | instid1(VALU_DEP_2)
	v_dual_cndmask_b32 v1, 0, v1, vcc_lo :: v_dual_lshlrev_b32 v3, 2, v3
	v_cndmask_b32_e32 v0, 3, v0, vcc_lo
	v_and_b32_e32 v3, 0xfc, v3
	s_delay_alu instid0(VALU_DEP_2) | instskip(NEXT) | instid1(VALU_DEP_2)
	v_cmp_eq_u64_e32 vcc_lo, 0, v[0:1]
	v_and_or_b32 v0, v0, 3, v3
	s_and_b32 s13, s13, vcc_lo
	s_delay_alu instid0(VALU_DEP_1) | instid1(SALU_CYCLE_1)
	v_cndmask_b32_e64 v0, v0, 0, s13
	s_delay_alu instid0(VALU_DEP_1)
	v_or_b32_e32 v67, v0, v82
.LBB6_9108:                             ;   in Loop: Header=BB6_5830 Depth=4
	s_or_b32 exec_lo, exec_lo, s76
                                        ; implicit-def: $vgpr82
.LBB6_9109:                             ;   in Loop: Header=BB6_5830 Depth=4
	s_and_not1_saveexec_b32 s13, s75
; %bb.9110:                             ;   in Loop: Header=BB6_5830 Depth=4
	v_or_b32_e32 v67, 0x7b, v82
; %bb.9111:                             ;   in Loop: Header=BB6_5830 Depth=4
	s_or_b32 exec_lo, exec_lo, s13
                                        ; implicit-def: $vgpr2
                                        ; implicit-def: $vgpr0_vgpr1
                                        ; implicit-def: $vgpr3
.LBB6_9112:                             ;   in Loop: Header=BB6_5830 Depth=4
	s_and_not1_saveexec_b32 s13, s74
	s_cbranch_execz .LBB6_9118
; %bb.9113:                             ;   in Loop: Header=BB6_5830 Depth=4
	s_mov_b32 s74, exec_lo
                                        ; implicit-def: $vgpr67
	v_cmpx_ne_u64_e32 0, v[0:1]
	s_xor_b32 s74, exec_lo, s74
; %bb.9114:                             ;   in Loop: Header=BB6_5830 Depth=4
	v_or_b32_e32 v67, 0x7f, v3
                                        ; implicit-def: $vgpr2
; %bb.9115:                             ;   in Loop: Header=BB6_5830 Depth=4
	s_and_not1_saveexec_b32 s74, s74
; %bb.9116:                             ;   in Loop: Header=BB6_5830 Depth=4
	v_cmp_lt_i32_e32 vcc_lo, -1, v2
	v_mov_b32_e32 v0, 0x7c
	s_delay_alu instid0(VALU_DEP_1)
	v_cndmask_b32_e32 v67, 0xfc, v0, vcc_lo
; %bb.9117:                             ;   in Loop: Header=BB6_5830 Depth=4
	s_or_b32 exec_lo, exec_lo, s74
.LBB6_9118:                             ;   in Loop: Header=BB6_5830 Depth=4
	s_delay_alu instid0(SALU_CYCLE_1) | instskip(SKIP_3) | instid1(VALU_DEP_2)
	s_or_b32 exec_lo, exec_lo, s13
	v_dual_mov_b32 v1, 0 :: v_dual_lshrrev_b32 v0, 16, v112
	v_mov_b32_e32 v2, 0
	s_mov_b32 s74, exec_lo
	v_and_b32_e32 v3, 0xff, v0
	s_delay_alu instid0(VALU_DEP_1)
	v_cmpx_ne_u16_e32 0, v3
	s_cbranch_execz .LBB6_9128
; %bb.9119:                             ;   in Loop: Header=BB6_5830 Depth=4
	v_bfrev_b32_e32 v2, 1
	s_mov_b32 s75, exec_lo
	v_cmpx_ne_u16_e32 0x80, v3
	s_cbranch_execz .LBB6_9127
; %bb.9120:                             ;   in Loop: Header=BB6_5830 Depth=4
	v_and_b32_e32 v2, 0x7c0000, v112
	v_bfe_u32 v3, v112, 16, 2
	s_delay_alu instid0(VALU_DEP_2) | instskip(SKIP_1) | instid1(SALU_CYCLE_1)
	v_cmp_ne_u32_e32 vcc_lo, 0x7c0000, v2
                                        ; implicit-def: $vgpr2
	s_and_saveexec_b32 s13, vcc_lo
	s_xor_b32 s13, exec_lo, s13
	s_cbranch_execz .LBB6_9124
; %bb.9121:                             ;   in Loop: Header=BB6_5830 Depth=4
	v_bfe_u32 v2, v112, 18, 5
	s_mov_b32 s76, exec_lo
	s_delay_alu instid0(VALU_DEP_1)
	v_cmpx_eq_u32_e32 0, v2
; %bb.9122:                             ;   in Loop: Header=BB6_5830 Depth=4
	v_clz_i32_u32_e32 v2, v3
	s_delay_alu instid0(VALU_DEP_1) | instskip(NEXT) | instid1(VALU_DEP_1)
	v_min_u32_e32 v2, 32, v2
	v_subrev_nc_u32_e32 v3, 29, v2
	v_sub_nc_u32_e32 v2, 30, v2
	s_delay_alu instid0(VALU_DEP_2) | instskip(NEXT) | instid1(VALU_DEP_1)
	v_lshlrev_b64_e32 v[46:47], v3, v[0:1]
	v_and_b32_e32 v3, 3, v46
; %bb.9123:                             ;   in Loop: Header=BB6_5830 Depth=4
	s_or_b32 exec_lo, exec_lo, s76
	v_lshlrev_b32_e32 v0, 24, v0
	s_delay_alu instid0(VALU_DEP_1) | instskip(NEXT) | instid1(VALU_DEP_1)
	v_and_b32_e32 v0, 0x80000000, v0
	v_lshl_add_u32 v0, v2, 23, v0
	s_delay_alu instid0(VALU_DEP_1) | instskip(NEXT) | instid1(VALU_DEP_1)
	v_lshl_or_b32 v0, v3, 21, v0
                                        ; implicit-def: $vgpr3
	v_add_nc_u32_e32 v2, 0x38000000, v0
                                        ; implicit-def: $vgpr0
.LBB6_9124:                             ;   in Loop: Header=BB6_5830 Depth=4
	s_and_not1_saveexec_b32 s76, s13
; %bb.9125:                             ;   in Loop: Header=BB6_5830 Depth=4
	v_bfe_i32 v0, v0, 0, 8
	v_cmp_eq_u32_e32 vcc_lo, 0, v3
	s_delay_alu instid0(VALU_DEP_2) | instskip(SKIP_1) | instid1(VALU_DEP_1)
	v_cmp_lt_i16_e64 s13, -1, v0
	v_mov_b32_e32 v0, 0x7f800000
	v_cndmask_b32_e64 v0, 0xff800000, v0, s13
	s_delay_alu instid0(VALU_DEP_1)
	v_cndmask_b32_e32 v2, 0x7f800001, v0, vcc_lo
; %bb.9126:                             ;   in Loop: Header=BB6_5830 Depth=4
	s_or_b32 exec_lo, exec_lo, s76
.LBB6_9127:                             ;   in Loop: Header=BB6_5830 Depth=4
	s_delay_alu instid0(SALU_CYCLE_1)
	s_or_b32 exec_lo, exec_lo, s75
.LBB6_9128:                             ;   in Loop: Header=BB6_5830 Depth=4
	s_delay_alu instid0(SALU_CYCLE_1) | instskip(SKIP_2) | instid1(VALU_DEP_1)
	s_or_b32 exec_lo, exec_lo, s74
	v_lshrrev_b32_e32 v0, 16, v12
	s_mov_b32 s74, exec_lo
	v_and_b32_e32 v3, 0xff, v0
	s_delay_alu instid0(VALU_DEP_1)
	v_cmpx_ne_u16_e32 0, v3
	s_cbranch_execz .LBB6_9138
; %bb.9129:                             ;   in Loop: Header=BB6_5830 Depth=4
	v_bfrev_b32_e32 v1, 1
	s_mov_b32 s75, exec_lo
	v_cmpx_ne_u16_e32 0x80, v3
	s_cbranch_execz .LBB6_9137
; %bb.9130:                             ;   in Loop: Header=BB6_5830 Depth=4
	v_and_b32_e32 v1, 0x7c0000, v12
	v_bfe_u32 v3, v12, 16, 2
	s_delay_alu instid0(VALU_DEP_2) | instskip(SKIP_1) | instid1(SALU_CYCLE_1)
	v_cmp_ne_u32_e32 vcc_lo, 0x7c0000, v1
                                        ; implicit-def: $vgpr1
	s_and_saveexec_b32 s13, vcc_lo
	s_xor_b32 s13, exec_lo, s13
	s_cbranch_execz .LBB6_9134
; %bb.9131:                             ;   in Loop: Header=BB6_5830 Depth=4
	v_bfe_u32 v1, v12, 18, 5
	s_mov_b32 s76, exec_lo
	s_delay_alu instid0(VALU_DEP_1)
	v_cmpx_eq_u32_e32 0, v1
; %bb.9132:                             ;   in Loop: Header=BB6_5830 Depth=4
	v_clz_i32_u32_e32 v1, v3
	s_delay_alu instid0(VALU_DEP_1) | instskip(NEXT) | instid1(VALU_DEP_1)
	v_min_u32_e32 v1, 32, v1
	v_subrev_nc_u32_e32 v3, 29, v1
	s_delay_alu instid0(VALU_DEP_1) | instskip(NEXT) | instid1(VALU_DEP_1)
	v_lshlrev_b64_e32 v[46:47], v3, v[0:1]
	v_dual_sub_nc_u32 v1, 30, v1 :: v_dual_bitop2_b32 v3, 3, v46 bitop3:0x40
; %bb.9133:                             ;   in Loop: Header=BB6_5830 Depth=4
	s_or_b32 exec_lo, exec_lo, s76
	v_lshlrev_b32_e32 v0, 24, v0
	s_delay_alu instid0(VALU_DEP_1) | instskip(NEXT) | instid1(VALU_DEP_1)
	v_and_b32_e32 v0, 0x80000000, v0
	v_lshl_add_u32 v0, v1, 23, v0
	s_delay_alu instid0(VALU_DEP_1) | instskip(NEXT) | instid1(VALU_DEP_1)
	v_lshl_or_b32 v0, v3, 21, v0
                                        ; implicit-def: $vgpr3
	v_add_nc_u32_e32 v1, 0x38000000, v0
                                        ; implicit-def: $vgpr0
.LBB6_9134:                             ;   in Loop: Header=BB6_5830 Depth=4
	s_and_not1_saveexec_b32 s76, s13
; %bb.9135:                             ;   in Loop: Header=BB6_5830 Depth=4
	v_bfe_i32 v0, v0, 0, 8
	v_cmp_eq_u32_e32 vcc_lo, 0, v3
	s_delay_alu instid0(VALU_DEP_2) | instskip(SKIP_1) | instid1(VALU_DEP_1)
	v_cmp_lt_i16_e64 s13, -1, v0
	v_mov_b32_e32 v0, 0x7f800000
	v_cndmask_b32_e64 v0, 0xff800000, v0, s13
	s_delay_alu instid0(VALU_DEP_1)
	v_cndmask_b32_e32 v1, 0x7f800001, v0, vcc_lo
; %bb.9136:                             ;   in Loop: Header=BB6_5830 Depth=4
	s_or_b32 exec_lo, exec_lo, s76
.LBB6_9137:                             ;   in Loop: Header=BB6_5830 Depth=4
	s_delay_alu instid0(SALU_CYCLE_1)
	s_or_b32 exec_lo, exec_lo, s75
.LBB6_9138:                             ;   in Loop: Header=BB6_5830 Depth=4
	s_delay_alu instid0(SALU_CYCLE_1) | instskip(NEXT) | instid1(VALU_DEP_1)
	s_or_b32 exec_lo, exec_lo, s74
	v_dual_add_f32 v2, v2, v1 :: v_dual_mov_b32 v47, v113
	v_mov_b32_e32 v1, v113
                                        ; implicit-def: $vgpr82
	s_mov_b32 s13, exec_lo
	s_delay_alu instid0(VALU_DEP_2) | instskip(SKIP_2) | instid1(VALU_DEP_3)
	v_and_b32_e32 v46, 0x7f800000, v2
	v_and_b32_e32 v0, 0x7fffff, v2
	v_lshrrev_b32_e32 v3, 24, v2
	v_cmpx_ne_u64_e32 0x7f800000, v[46:47]
	s_xor_b32 s74, exec_lo, s13
	s_cbranch_execz .LBB6_9152
; %bb.9139:                             ;   in Loop: Header=BB6_5830 Depth=4
	v_and_b32_e32 v46, 0x7fffffff, v2
	v_mov_b32_e32 v47, v113
	v_and_b32_e32 v85, 0x80, v3
                                        ; implicit-def: $vgpr82
	s_mov_b32 s13, exec_lo
	s_delay_alu instid0(VALU_DEP_2)
	v_cmpx_gt_u64_e32 0x47600001, v[46:47]
	s_xor_b32 s75, exec_lo, s13
	s_cbranch_execz .LBB6_9149
; %bb.9140:                             ;   in Loop: Header=BB6_5830 Depth=4
	v_mov_b32_e32 v82, 0
	s_mov_b32 s76, exec_lo
	v_cmpx_ne_u32_e32 0, v2
	s_cbranch_execz .LBB6_9148
; %bb.9141:                             ;   in Loop: Header=BB6_5830 Depth=4
	v_bfe_u32 v82, v2, 23, 8
	v_or_b32_e32 v3, 0x800000, v0
	s_delay_alu instid0(VALU_DEP_2) | instskip(SKIP_2) | instid1(VALU_DEP_2)
	v_cmp_gt_u32_e64 s13, 0x72, v82
	v_sub_nc_u32_e32 v2, 0x71, v82
	v_cmp_eq_u32_e32 vcc_lo, 0, v82
	v_dual_cndmask_b32 v2, 0, v2, s13 :: v_dual_cndmask_b32 v0, v3, v0, vcc_lo
	s_delay_alu instid0(VALU_DEP_1) | instskip(NEXT) | instid1(VALU_DEP_1)
	v_cndmask_b32_e64 v87, v2, 0x70, vcc_lo
	v_dual_add_nc_u32 v2, 21, v87 :: v_dual_add_nc_u32 v100, 20, v87
	s_delay_alu instid0(VALU_DEP_1) | instskip(NEXT) | instid1(VALU_DEP_2)
	v_lshlrev_b64_e64 v[2:3], v2, -1
	v_lshlrev_b64_e64 v[46:47], v100, 1
	s_delay_alu instid0(VALU_DEP_2) | instskip(SKIP_1) | instid1(VALU_DEP_4)
	v_bfi_b32 v2, v2, 0, v0
	v_lshrrev_b64 v[0:1], v87, v[0:1]
	v_bfi_b32 v3, v3, 0, 0
	s_delay_alu instid0(VALU_DEP_1) | instskip(NEXT) | instid1(VALU_DEP_3)
	v_cmp_eq_u64_e64 s13, v[2:3], v[46:47]
	v_mov_b64_e32 v[2:3], v[0:1]
	s_and_saveexec_b32 s77, s13
; %bb.9142:                             ;   in Loop: Header=BB6_5830 Depth=4
	v_bfe_u32 v2, v0, 21, 1
	v_mov_b32_e32 v3, v113
	s_delay_alu instid0(VALU_DEP_1) | instskip(NEXT) | instid1(VALU_DEP_1)
	v_add_nc_u64_e32 v[2:3], v[0:1], v[2:3]
	v_add_nc_u64_e32 v[2:3], -1, v[2:3]
; %bb.9143:                             ;   in Loop: Header=BB6_5830 Depth=4
	s_or_b32 exec_lo, exec_lo, s77
	v_add_nc_u32_e32 v1, 0xffffff81, v82
	v_lshrrev_b32_e32 v3, 23, v0
	s_mov_b32 s13, exec_lo
	s_delay_alu instid0(VALU_DEP_2) | instskip(NEXT) | instid1(VALU_DEP_1)
	v_cndmask_b32_e64 v1, v1, 0xffffff82, vcc_lo
	v_add3_u32 v82, v87, v1, v3
	v_and_b32_e32 v1, 0x1fffff, v2
                                        ; implicit-def: $vgpr2
	s_delay_alu instid0(VALU_DEP_1) | instskip(SKIP_1) | instid1(VALU_DEP_2)
	v_dual_add_nc_u32 v3, 14, v82 :: v_dual_add_nc_u32 v0, v1, v0
	v_mov_b32_e32 v1, v113
	v_cmpx_ne_u32_e32 0, v3
	s_xor_b32 s13, exec_lo, s13
; %bb.9144:                             ;   in Loop: Header=BB6_5830 Depth=4
	s_delay_alu instid0(VALU_DEP_2) | instskip(SKIP_1) | instid1(VALU_DEP_1)
	v_cmp_lt_u64_e32 vcc_lo, 0xffffff, v[0:1]
	v_add_nc_u32_e32 v2, 15, v82
	v_cndmask_b32_e32 v2, v3, v2, vcc_lo
	v_cndmask_b32_e64 v3, 0, 1, vcc_lo
	s_delay_alu instid0(VALU_DEP_1)
	v_lshrrev_b64 v[0:1], v3, v[0:1]
; %bb.9145:                             ;   in Loop: Header=BB6_5830 Depth=4
	s_and_not1_saveexec_b32 s13, s13
; %bb.9146:                             ;   in Loop: Header=BB6_5830 Depth=4
	s_delay_alu instid0(VALU_DEP_1)
	v_bfe_u32 v2, v0, 23, 1
; %bb.9147:                             ;   in Loop: Header=BB6_5830 Depth=4
	s_or_b32 exec_lo, exec_lo, s13
	s_delay_alu instid0(VALU_DEP_2) | instskip(NEXT) | instid1(VALU_DEP_2)
	v_lshrrev_b64 v[0:1], 21, v[0:1]
	v_cmp_gt_i32_e32 vcc_lo, 32, v2
	v_min_i32_e32 v3, 31, v2
	v_cmp_eq_u32_e64 s13, 0, v2
	s_delay_alu instid0(VALU_DEP_2) | instskip(SKIP_1) | instid1(VALU_DEP_2)
	v_dual_cndmask_b32 v1, 0, v1, vcc_lo :: v_dual_lshlrev_b32 v3, 2, v3
	v_cndmask_b32_e32 v0, 3, v0, vcc_lo
	v_and_b32_e32 v3, 0xfc, v3
	s_delay_alu instid0(VALU_DEP_2) | instskip(NEXT) | instid1(VALU_DEP_2)
	v_cmp_eq_u64_e32 vcc_lo, 0, v[0:1]
	v_and_or_b32 v0, v0, 3, v3
	s_and_b32 s13, s13, vcc_lo
	s_delay_alu instid0(VALU_DEP_1) | instid1(SALU_CYCLE_1)
	v_cndmask_b32_e64 v0, v0, 0, s13
	s_delay_alu instid0(VALU_DEP_1)
	v_or_b32_e32 v82, v0, v85
.LBB6_9148:                             ;   in Loop: Header=BB6_5830 Depth=4
	s_or_b32 exec_lo, exec_lo, s76
                                        ; implicit-def: $vgpr85
.LBB6_9149:                             ;   in Loop: Header=BB6_5830 Depth=4
	s_and_not1_saveexec_b32 s13, s75
; %bb.9150:                             ;   in Loop: Header=BB6_5830 Depth=4
	v_or_b32_e32 v82, 0x7b, v85
; %bb.9151:                             ;   in Loop: Header=BB6_5830 Depth=4
	s_or_b32 exec_lo, exec_lo, s13
                                        ; implicit-def: $vgpr2
                                        ; implicit-def: $vgpr0_vgpr1
                                        ; implicit-def: $vgpr3
.LBB6_9152:                             ;   in Loop: Header=BB6_5830 Depth=4
	s_and_not1_saveexec_b32 s13, s74
	s_cbranch_execz .LBB6_9158
; %bb.9153:                             ;   in Loop: Header=BB6_5830 Depth=4
	s_mov_b32 s74, exec_lo
                                        ; implicit-def: $vgpr82
	v_cmpx_ne_u64_e32 0, v[0:1]
	s_xor_b32 s74, exec_lo, s74
; %bb.9154:                             ;   in Loop: Header=BB6_5830 Depth=4
	v_or_b32_e32 v82, 0x7f, v3
                                        ; implicit-def: $vgpr2
; %bb.9155:                             ;   in Loop: Header=BB6_5830 Depth=4
	s_and_not1_saveexec_b32 s74, s74
; %bb.9156:                             ;   in Loop: Header=BB6_5830 Depth=4
	v_cmp_lt_i32_e32 vcc_lo, -1, v2
	v_mov_b32_e32 v0, 0x7c
	s_delay_alu instid0(VALU_DEP_1)
	v_cndmask_b32_e32 v82, 0xfc, v0, vcc_lo
; %bb.9157:                             ;   in Loop: Header=BB6_5830 Depth=4
	s_or_b32 exec_lo, exec_lo, s74
.LBB6_9158:                             ;   in Loop: Header=BB6_5830 Depth=4
	s_delay_alu instid0(SALU_CYCLE_1)
	s_or_b32 exec_lo, exec_lo, s13
	v_dual_mov_b32 v1, 0 :: v_dual_mov_b32 v2, 0
	s_mov_b32 s74, exec_lo
	v_cmpx_lt_u32_e32 0xffffff, v112
	s_cbranch_execz .LBB6_9168
; %bb.9159:                             ;   in Loop: Header=BB6_5830 Depth=4
	v_lshrrev_b32_e32 v0, 24, v112
	v_bfrev_b32_e32 v2, 1
	s_mov_b32 s75, exec_lo
	s_delay_alu instid0(VALU_DEP_2)
	v_cmpx_ne_u32_e32 0x80, v0
	s_cbranch_execz .LBB6_9167
; %bb.9160:                             ;   in Loop: Header=BB6_5830 Depth=4
	v_and_b32_e32 v2, 0x7c000000, v112
	v_bfe_u32 v3, v112, 24, 2
	s_delay_alu instid0(VALU_DEP_2) | instskip(SKIP_1) | instid1(SALU_CYCLE_1)
	v_cmp_ne_u32_e32 vcc_lo, 0x7c000000, v2
                                        ; implicit-def: $vgpr2
	s_and_saveexec_b32 s13, vcc_lo
	s_xor_b32 s13, exec_lo, s13
	s_cbranch_execz .LBB6_9164
; %bb.9161:                             ;   in Loop: Header=BB6_5830 Depth=4
	v_bfe_u32 v2, v112, 26, 5
	s_mov_b32 s76, exec_lo
	s_delay_alu instid0(VALU_DEP_1)
	v_cmpx_eq_u32_e32 0, v2
; %bb.9162:                             ;   in Loop: Header=BB6_5830 Depth=4
	v_clz_i32_u32_e32 v2, v3
	s_delay_alu instid0(VALU_DEP_1) | instskip(NEXT) | instid1(VALU_DEP_1)
	v_min_u32_e32 v2, 32, v2
	v_subrev_nc_u32_e32 v3, 29, v2
	v_sub_nc_u32_e32 v2, 30, v2
	s_delay_alu instid0(VALU_DEP_2) | instskip(NEXT) | instid1(VALU_DEP_1)
	v_lshlrev_b64_e32 v[46:47], v3, v[0:1]
	v_and_b32_e32 v3, 3, v46
; %bb.9163:                             ;   in Loop: Header=BB6_5830 Depth=4
	s_or_b32 exec_lo, exec_lo, s76
	v_and_b32_e32 v0, 0x80000000, v112
	s_delay_alu instid0(VALU_DEP_1) | instskip(NEXT) | instid1(VALU_DEP_1)
	v_lshl_add_u32 v0, v2, 23, v0
	v_lshl_or_b32 v0, v3, 21, v0
                                        ; implicit-def: $vgpr3
	s_delay_alu instid0(VALU_DEP_1)
	v_add_nc_u32_e32 v2, 0x38000000, v0
.LBB6_9164:                             ;   in Loop: Header=BB6_5830 Depth=4
	s_and_not1_saveexec_b32 s76, s13
; %bb.9165:                             ;   in Loop: Header=BB6_5830 Depth=4
	v_cmp_lt_i32_e64 s13, -1, v112
	v_mov_b32_e32 v0, 0x7f800000
	v_cmp_eq_u32_e32 vcc_lo, 0, v3
	s_delay_alu instid0(VALU_DEP_2) | instskip(NEXT) | instid1(VALU_DEP_1)
	v_cndmask_b32_e64 v0, 0xff800000, v0, s13
	v_cndmask_b32_e32 v2, 0x7f800001, v0, vcc_lo
; %bb.9166:                             ;   in Loop: Header=BB6_5830 Depth=4
	s_or_b32 exec_lo, exec_lo, s76
.LBB6_9167:                             ;   in Loop: Header=BB6_5830 Depth=4
	s_delay_alu instid0(SALU_CYCLE_1)
	s_or_b32 exec_lo, exec_lo, s75
.LBB6_9168:                             ;   in Loop: Header=BB6_5830 Depth=4
	s_delay_alu instid0(SALU_CYCLE_1) | instskip(NEXT) | instid1(SALU_CYCLE_1)
	s_or_b32 exec_lo, exec_lo, s74
	s_mov_b32 s74, exec_lo
	v_cmpx_lt_u32_e32 0xffffff, v12
	s_cbranch_execz .LBB6_9178
; %bb.9169:                             ;   in Loop: Header=BB6_5830 Depth=4
	v_lshrrev_b32_e32 v0, 24, v12
	v_bfrev_b32_e32 v1, 1
	s_mov_b32 s75, exec_lo
	s_delay_alu instid0(VALU_DEP_2)
	v_cmpx_ne_u32_e32 0x80, v0
	s_cbranch_execz .LBB6_9177
; %bb.9170:                             ;   in Loop: Header=BB6_5830 Depth=4
	v_and_b32_e32 v1, 0x7c000000, v12
	v_bfe_u32 v3, v12, 24, 2
	s_delay_alu instid0(VALU_DEP_2) | instskip(SKIP_1) | instid1(SALU_CYCLE_1)
	v_cmp_ne_u32_e32 vcc_lo, 0x7c000000, v1
                                        ; implicit-def: $vgpr1
	s_and_saveexec_b32 s13, vcc_lo
	s_xor_b32 s13, exec_lo, s13
	s_cbranch_execz .LBB6_9174
; %bb.9171:                             ;   in Loop: Header=BB6_5830 Depth=4
	v_bfe_u32 v1, v12, 26, 5
	s_mov_b32 s76, exec_lo
	s_delay_alu instid0(VALU_DEP_1)
	v_cmpx_eq_u32_e32 0, v1
; %bb.9172:                             ;   in Loop: Header=BB6_5830 Depth=4
	v_clz_i32_u32_e32 v1, v3
	s_delay_alu instid0(VALU_DEP_1) | instskip(NEXT) | instid1(VALU_DEP_1)
	v_min_u32_e32 v3, 32, v1
	v_subrev_nc_u32_e32 v1, 29, v3
	s_delay_alu instid0(VALU_DEP_1) | instskip(NEXT) | instid1(VALU_DEP_1)
	v_lshlrev_b64_e32 v[0:1], v1, v[0:1]
	v_dual_sub_nc_u32 v1, 30, v3 :: v_dual_bitop2_b32 v3, 3, v0 bitop3:0x40
; %bb.9173:                             ;   in Loop: Header=BB6_5830 Depth=4
	s_or_b32 exec_lo, exec_lo, s76
	v_and_b32_e32 v0, 0x80000000, v12
	s_delay_alu instid0(VALU_DEP_1) | instskip(NEXT) | instid1(VALU_DEP_1)
	v_lshl_add_u32 v0, v1, 23, v0
	v_lshl_or_b32 v0, v3, 21, v0
                                        ; implicit-def: $vgpr3
	s_delay_alu instid0(VALU_DEP_1)
	v_add_nc_u32_e32 v1, 0x38000000, v0
.LBB6_9174:                             ;   in Loop: Header=BB6_5830 Depth=4
	s_and_not1_saveexec_b32 s76, s13
; %bb.9175:                             ;   in Loop: Header=BB6_5830 Depth=4
	v_cmp_lt_i32_e64 s13, -1, v12
	v_mov_b32_e32 v0, 0x7f800000
	v_cmp_eq_u32_e32 vcc_lo, 0, v3
	s_delay_alu instid0(VALU_DEP_2) | instskip(NEXT) | instid1(VALU_DEP_1)
	v_cndmask_b32_e64 v0, 0xff800000, v0, s13
	v_cndmask_b32_e32 v1, 0x7f800001, v0, vcc_lo
; %bb.9176:                             ;   in Loop: Header=BB6_5830 Depth=4
	s_or_b32 exec_lo, exec_lo, s76
.LBB6_9177:                             ;   in Loop: Header=BB6_5830 Depth=4
	s_delay_alu instid0(SALU_CYCLE_1)
	s_or_b32 exec_lo, exec_lo, s75
.LBB6_9178:                             ;   in Loop: Header=BB6_5830 Depth=4
	s_delay_alu instid0(SALU_CYCLE_1) | instskip(NEXT) | instid1(VALU_DEP_1)
	s_or_b32 exec_lo, exec_lo, s74
	v_dual_add_f32 v0, v2, v1 :: v_dual_mov_b32 v3, v113
                                        ; implicit-def: $vgpr85
	s_mov_b32 s13, exec_lo
	s_delay_alu instid0(VALU_DEP_1) | instskip(SKIP_2) | instid1(VALU_DEP_3)
	v_and_b32_e32 v2, 0x7f800000, v0
	v_and_b32_e32 v112, 0x7fffff, v0
	v_lshrrev_b32_e32 v1, 24, v0
	v_cmpx_ne_u64_e32 0x7f800000, v[2:3]
	s_xor_b32 s74, exec_lo, s13
	s_cbranch_execz .LBB6_9192
; %bb.9179:                             ;   in Loop: Header=BB6_5830 Depth=4
	v_and_b32_e32 v2, 0x7fffffff, v0
	v_mov_b32_e32 v3, v113
	v_and_b32_e32 v87, 0x80, v1
                                        ; implicit-def: $vgpr85
	s_mov_b32 s13, exec_lo
	s_delay_alu instid0(VALU_DEP_2)
	v_cmpx_gt_u64_e32 0x47600001, v[2:3]
	s_xor_b32 s75, exec_lo, s13
	s_cbranch_execz .LBB6_9189
; %bb.9180:                             ;   in Loop: Header=BB6_5830 Depth=4
	v_mov_b32_e32 v85, 0
	s_mov_b32 s76, exec_lo
	v_cmpx_ne_u32_e32 0, v0
	s_cbranch_execz .LBB6_9188
; %bb.9181:                             ;   in Loop: Header=BB6_5830 Depth=4
	v_bfe_u32 v85, v0, 23, 8
	v_or_b32_e32 v1, 0x800000, v112
	s_delay_alu instid0(VALU_DEP_2) | instskip(SKIP_2) | instid1(VALU_DEP_2)
	v_cmp_gt_u32_e64 s13, 0x72, v85
	v_sub_nc_u32_e32 v0, 0x71, v85
	v_cmp_eq_u32_e32 vcc_lo, 0, v85
	v_cndmask_b32_e64 v0, 0, v0, s13
	s_delay_alu instid0(VALU_DEP_1) | instskip(SKIP_1) | instid1(VALU_DEP_2)
	v_cndmask_b32_e64 v100, v0, 0x70, vcc_lo
	v_cndmask_b32_e32 v0, v1, v112, vcc_lo
	v_dual_mov_b32 v1, v113 :: v_dual_add_nc_u32 v2, 21, v100
	v_add_nc_u32_e32 v112, 20, v100
	s_delay_alu instid0(VALU_DEP_2) | instskip(NEXT) | instid1(VALU_DEP_2)
	v_lshlrev_b64_e64 v[2:3], v2, -1
	v_lshlrev_b64_e64 v[46:47], v112, 1
	s_delay_alu instid0(VALU_DEP_2) | instskip(SKIP_1) | instid1(VALU_DEP_4)
	v_bfi_b32 v2, v2, 0, v0
	v_lshrrev_b64 v[0:1], v100, v[0:1]
	v_bfi_b32 v3, v3, 0, 0
	s_delay_alu instid0(VALU_DEP_1) | instskip(NEXT) | instid1(VALU_DEP_3)
	v_cmp_eq_u64_e64 s13, v[2:3], v[46:47]
	v_mov_b64_e32 v[2:3], v[0:1]
	s_and_saveexec_b32 s77, s13
; %bb.9182:                             ;   in Loop: Header=BB6_5830 Depth=4
	v_bfe_u32 v2, v0, 21, 1
	v_mov_b32_e32 v3, v113
	s_delay_alu instid0(VALU_DEP_1) | instskip(NEXT) | instid1(VALU_DEP_1)
	v_add_nc_u64_e32 v[2:3], v[0:1], v[2:3]
	v_add_nc_u64_e32 v[2:3], -1, v[2:3]
; %bb.9183:                             ;   in Loop: Header=BB6_5830 Depth=4
	s_or_b32 exec_lo, exec_lo, s77
	v_add_nc_u32_e32 v1, 0xffffff81, v85
	s_delay_alu instid0(VALU_DEP_2) | instskip(SKIP_2) | instid1(VALU_DEP_3)
	v_and_b32_e32 v2, 0x1fffff, v2
	v_lshrrev_b32_e32 v3, 23, v0
	s_mov_b32 s13, exec_lo
	v_cndmask_b32_e64 v1, v1, 0xffffff82, vcc_lo
	s_delay_alu instid0(VALU_DEP_3) | instskip(NEXT) | instid1(VALU_DEP_2)
	v_add_nc_u32_e32 v112, v2, v0
                                        ; implicit-def: $vgpr2
	v_add3_u32 v85, v100, v1, v3
                                        ; implicit-def: $vgpr0_vgpr1
	s_delay_alu instid0(VALU_DEP_1) | instskip(NEXT) | instid1(VALU_DEP_1)
	v_add_nc_u32_e32 v3, 14, v85
	v_cmpx_ne_u32_e32 0, v3
	s_xor_b32 s13, exec_lo, s13
; %bb.9184:                             ;   in Loop: Header=BB6_5830 Depth=4
	v_cmp_lt_u64_e32 vcc_lo, 0xffffff, v[112:113]
	v_add_nc_u32_e32 v0, 15, v85
	s_delay_alu instid0(VALU_DEP_1) | instskip(SKIP_1) | instid1(VALU_DEP_1)
	v_cndmask_b32_e32 v2, v3, v0, vcc_lo
	v_cndmask_b32_e64 v0, 0, 1, vcc_lo
	v_lshrrev_b64 v[0:1], v0, v[112:113]
; %bb.9185:                             ;   in Loop: Header=BB6_5830 Depth=4
	s_and_not1_saveexec_b32 s13, s13
; %bb.9186:                             ;   in Loop: Header=BB6_5830 Depth=4
	v_mov_b64_e32 v[0:1], v[112:113]
	v_bfe_u32 v2, v112, 23, 1
; %bb.9187:                             ;   in Loop: Header=BB6_5830 Depth=4
	s_or_b32 exec_lo, exec_lo, s13
	s_delay_alu instid0(VALU_DEP_2) | instskip(NEXT) | instid1(VALU_DEP_2)
	v_lshrrev_b64 v[0:1], 21, v[0:1]
	v_cmp_gt_i32_e32 vcc_lo, 32, v2
	v_min_i32_e32 v3, 31, v2
	v_cmp_eq_u32_e64 s13, 0, v2
	s_delay_alu instid0(VALU_DEP_2) | instskip(SKIP_1) | instid1(VALU_DEP_2)
	v_dual_cndmask_b32 v1, 0, v1, vcc_lo :: v_dual_lshlrev_b32 v3, 2, v3
	v_cndmask_b32_e32 v0, 3, v0, vcc_lo
	v_and_b32_e32 v3, 0xfc, v3
	s_delay_alu instid0(VALU_DEP_2) | instskip(NEXT) | instid1(VALU_DEP_2)
	v_cmp_eq_u64_e32 vcc_lo, 0, v[0:1]
	v_and_or_b32 v0, v0, 3, v3
	s_and_b32 s13, s13, vcc_lo
	s_delay_alu instid0(VALU_DEP_1) | instid1(SALU_CYCLE_1)
	v_cndmask_b32_e64 v0, v0, 0, s13
	s_delay_alu instid0(VALU_DEP_1)
	v_or_b32_e32 v85, v0, v87
.LBB6_9188:                             ;   in Loop: Header=BB6_5830 Depth=4
	s_or_b32 exec_lo, exec_lo, s76
                                        ; implicit-def: $vgpr87
.LBB6_9189:                             ;   in Loop: Header=BB6_5830 Depth=4
	s_and_not1_saveexec_b32 s13, s75
; %bb.9190:                             ;   in Loop: Header=BB6_5830 Depth=4
	v_or_b32_e32 v85, 0x7b, v87
; %bb.9191:                             ;   in Loop: Header=BB6_5830 Depth=4
	s_or_b32 exec_lo, exec_lo, s13
                                        ; implicit-def: $vgpr0
                                        ; implicit-def: $vgpr1
.LBB6_9192:                             ;   in Loop: Header=BB6_5830 Depth=4
	s_and_not1_saveexec_b32 s13, s74
	s_cbranch_execz .LBB6_9198
; %bb.9193:                             ;   in Loop: Header=BB6_5830 Depth=4
	s_mov_b32 s74, exec_lo
                                        ; implicit-def: $vgpr85
	v_cmpx_ne_u64_e32 0, v[112:113]
	s_xor_b32 s74, exec_lo, s74
; %bb.9194:                             ;   in Loop: Header=BB6_5830 Depth=4
	v_or_b32_e32 v85, 0x7f, v1
                                        ; implicit-def: $vgpr0
; %bb.9195:                             ;   in Loop: Header=BB6_5830 Depth=4
	s_and_not1_saveexec_b32 s74, s74
; %bb.9196:                             ;   in Loop: Header=BB6_5830 Depth=4
	v_cmp_lt_i32_e32 vcc_lo, -1, v0
	v_mov_b32_e32 v0, 0x7c
	s_delay_alu instid0(VALU_DEP_1)
	v_cndmask_b32_e32 v85, 0xfc, v0, vcc_lo
; %bb.9197:                             ;   in Loop: Header=BB6_5830 Depth=4
	s_or_b32 exec_lo, exec_lo, s74
.LBB6_9198:                             ;   in Loop: Header=BB6_5830 Depth=4
	s_delay_alu instid0(SALU_CYCLE_1) | instskip(SKIP_3) | instid1(VALU_DEP_1)
	s_or_b32 exec_lo, exec_lo, s13
	v_lshl_or_b32 v70, v70, 8, v54
	v_dual_lshlrev_b32 v0, 16, v81 :: v_dual_lshlrev_b32 v1, 24, v83
	s_mov_b32 s74, exec_lo
	v_or3_b32 v112, v0, v1, v70
	v_dual_mov_b32 v1, 0 :: v_dual_mov_b32 v0, 0
	v_cmpx_ne_u32_e32 0, v54
	s_cbranch_execz .LBB6_9208
; %bb.9199:                             ;   in Loop: Header=BB6_5830 Depth=4
	v_bfrev_b32_e32 v0, 1
	s_mov_b32 s75, exec_lo
	v_cmpx_ne_u32_e32 0x80, v54
	s_cbranch_execz .LBB6_9207
; %bb.9200:                             ;   in Loop: Header=BB6_5830 Depth=4
	v_and_b32_e32 v0, 0x7c, v54
	v_and_b32_e32 v2, 3, v54
	s_delay_alu instid0(VALU_DEP_2) | instskip(SKIP_1) | instid1(SALU_CYCLE_1)
	v_cmp_ne_u32_e32 vcc_lo, 0x7c, v0
                                        ; implicit-def: $vgpr0
	s_and_saveexec_b32 s13, vcc_lo
	s_xor_b32 s13, exec_lo, s13
	s_cbranch_execz .LBB6_9204
; %bb.9201:                             ;   in Loop: Header=BB6_5830 Depth=4
	v_bfe_u32 v0, v54, 2, 5
	s_mov_b32 s76, exec_lo
	s_delay_alu instid0(VALU_DEP_1)
	v_cmpx_eq_u32_e32 0, v0
; %bb.9202:                             ;   in Loop: Header=BB6_5830 Depth=4
	v_clz_i32_u32_e32 v0, v2
	s_delay_alu instid0(VALU_DEP_1) | instskip(NEXT) | instid1(VALU_DEP_1)
	v_min_u32_e32 v0, 32, v0
	v_subrev_nc_u32_e32 v2, 29, v0
	s_delay_alu instid0(VALU_DEP_1) | instskip(NEXT) | instid1(VALU_DEP_1)
	v_lshlrev_b64_e32 v[2:3], v2, v[112:113]
	v_dual_sub_nc_u32 v0, 30, v0 :: v_dual_bitop2_b32 v2, 3, v2 bitop3:0x40
; %bb.9203:                             ;   in Loop: Header=BB6_5830 Depth=4
	s_or_b32 exec_lo, exec_lo, s76
	v_lshlrev_b32_e32 v3, 24, v54
                                        ; implicit-def: $vgpr54
	s_delay_alu instid0(VALU_DEP_1) | instskip(NEXT) | instid1(VALU_DEP_1)
	v_and_b32_e32 v3, 0x80000000, v3
	v_lshl_add_u32 v0, v0, 23, v3
	s_delay_alu instid0(VALU_DEP_1) | instskip(NEXT) | instid1(VALU_DEP_1)
	v_lshl_or_b32 v0, v2, 21, v0
                                        ; implicit-def: $vgpr2
	v_add_nc_u32_e32 v0, 0x38000000, v0
.LBB6_9204:                             ;   in Loop: Header=BB6_5830 Depth=4
	s_and_not1_saveexec_b32 s76, s13
; %bb.9205:                             ;   in Loop: Header=BB6_5830 Depth=4
	v_and_b32_e32 v0, 0x80, v54
	v_cmp_eq_u32_e32 vcc_lo, 0, v2
	s_delay_alu instid0(VALU_DEP_2) | instskip(SKIP_1) | instid1(VALU_DEP_1)
	v_cmp_eq_u32_e64 s13, 0, v0
	v_mov_b32_e32 v0, 0x7f800000
	v_cndmask_b32_e64 v0, 0xff800000, v0, s13
	s_delay_alu instid0(VALU_DEP_1)
	v_cndmask_b32_e32 v0, 0x7f800001, v0, vcc_lo
; %bb.9206:                             ;   in Loop: Header=BB6_5830 Depth=4
	s_or_b32 exec_lo, exec_lo, s76
.LBB6_9207:                             ;   in Loop: Header=BB6_5830 Depth=4
	s_delay_alu instid0(SALU_CYCLE_1)
	s_or_b32 exec_lo, exec_lo, s75
.LBB6_9208:                             ;   in Loop: Header=BB6_5830 Depth=4
	s_delay_alu instid0(SALU_CYCLE_1) | instskip(SKIP_2) | instid1(VALU_DEP_1)
	s_or_b32 exec_lo, exec_lo, s74
	v_and_b32_e32 v2, 0xff, v13
	s_mov_b32 s74, exec_lo
	v_cmpx_ne_u16_e32 0, v2
	s_cbranch_execz .LBB6_9218
; %bb.9209:                             ;   in Loop: Header=BB6_5830 Depth=4
	v_bfrev_b32_e32 v1, 1
	s_mov_b32 s75, exec_lo
	v_cmpx_ne_u16_e32 0x80, v2
	s_cbranch_execz .LBB6_9217
; %bb.9210:                             ;   in Loop: Header=BB6_5830 Depth=4
	v_and_b32_e32 v1, 0x7c, v13
	v_and_b32_e32 v2, 3, v13
	s_delay_alu instid0(VALU_DEP_2) | instskip(SKIP_1) | instid1(SALU_CYCLE_1)
	v_cmp_ne_u32_e32 vcc_lo, 0x7c, v1
                                        ; implicit-def: $vgpr1
	s_and_saveexec_b32 s13, vcc_lo
	s_xor_b32 s13, exec_lo, s13
	s_cbranch_execz .LBB6_9214
; %bb.9211:                             ;   in Loop: Header=BB6_5830 Depth=4
	v_bfe_u32 v1, v13, 2, 5
	s_mov_b32 s76, exec_lo
	s_delay_alu instid0(VALU_DEP_1)
	v_cmpx_eq_u32_e32 0, v1
; %bb.9212:                             ;   in Loop: Header=BB6_5830 Depth=4
	v_clz_i32_u32_e32 v1, v2
	v_dual_mov_b32 v2, v13 :: v_dual_mov_b32 v3, v113
	s_delay_alu instid0(VALU_DEP_2) | instskip(NEXT) | instid1(VALU_DEP_1)
	v_min_u32_e32 v1, 32, v1
	v_subrev_nc_u32_e32 v54, 29, v1
	s_delay_alu instid0(VALU_DEP_1) | instskip(NEXT) | instid1(VALU_DEP_1)
	v_lshlrev_b64_e32 v[2:3], v54, v[2:3]
	v_dual_sub_nc_u32 v1, 30, v1 :: v_dual_bitop2_b32 v2, 3, v2 bitop3:0x40
; %bb.9213:                             ;   in Loop: Header=BB6_5830 Depth=4
	s_or_b32 exec_lo, exec_lo, s76
	v_lshlrev_b32_e32 v3, 24, v13
	s_delay_alu instid0(VALU_DEP_1) | instskip(NEXT) | instid1(VALU_DEP_1)
	v_and_b32_e32 v3, 0x80000000, v3
	v_lshl_add_u32 v1, v1, 23, v3
	s_delay_alu instid0(VALU_DEP_1) | instskip(NEXT) | instid1(VALU_DEP_1)
	v_lshl_or_b32 v1, v2, 21, v1
                                        ; implicit-def: $vgpr2
	v_add_nc_u32_e32 v1, 0x38000000, v1
.LBB6_9214:                             ;   in Loop: Header=BB6_5830 Depth=4
	s_and_not1_saveexec_b32 s76, s13
; %bb.9215:                             ;   in Loop: Header=BB6_5830 Depth=4
	v_bfe_i32 v1, v13, 0, 8
	v_cmp_eq_u32_e32 vcc_lo, 0, v2
	s_delay_alu instid0(VALU_DEP_2) | instskip(SKIP_1) | instid1(VALU_DEP_1)
	v_cmp_lt_i16_e64 s13, -1, v1
	v_mov_b32_e32 v1, 0x7f800000
	v_cndmask_b32_e64 v1, 0xff800000, v1, s13
	s_delay_alu instid0(VALU_DEP_1)
	v_cndmask_b32_e32 v1, 0x7f800001, v1, vcc_lo
; %bb.9216:                             ;   in Loop: Header=BB6_5830 Depth=4
	s_or_b32 exec_lo, exec_lo, s76
.LBB6_9217:                             ;   in Loop: Header=BB6_5830 Depth=4
	s_delay_alu instid0(SALU_CYCLE_1)
	s_or_b32 exec_lo, exec_lo, s75
.LBB6_9218:                             ;   in Loop: Header=BB6_5830 Depth=4
	s_delay_alu instid0(SALU_CYCLE_1) | instskip(NEXT) | instid1(VALU_DEP_1)
	s_or_b32 exec_lo, exec_lo, s74
	v_dual_add_f32 v2, v0, v1 :: v_dual_mov_b32 v47, v113
	v_mov_b32_e32 v1, v113
                                        ; implicit-def: $vgpr54
	s_mov_b32 s13, exec_lo
	s_delay_alu instid0(VALU_DEP_2) | instskip(SKIP_2) | instid1(VALU_DEP_3)
	v_and_b32_e32 v46, 0x7f800000, v2
	v_and_b32_e32 v0, 0x7fffff, v2
	v_lshrrev_b32_e32 v3, 24, v2
	v_cmpx_ne_u64_e32 0x7f800000, v[46:47]
	s_xor_b32 s74, exec_lo, s13
	s_cbranch_execz .LBB6_9232
; %bb.9219:                             ;   in Loop: Header=BB6_5830 Depth=4
	v_and_b32_e32 v46, 0x7fffffff, v2
	v_mov_b32_e32 v47, v113
	v_and_b32_e32 v81, 0x80, v3
                                        ; implicit-def: $vgpr54
	s_mov_b32 s13, exec_lo
	s_delay_alu instid0(VALU_DEP_2)
	v_cmpx_gt_u64_e32 0x47600001, v[46:47]
	s_xor_b32 s75, exec_lo, s13
	s_cbranch_execz .LBB6_9229
; %bb.9220:                             ;   in Loop: Header=BB6_5830 Depth=4
	v_mov_b32_e32 v54, 0
	s_mov_b32 s76, exec_lo
	v_cmpx_ne_u32_e32 0, v2
	s_cbranch_execz .LBB6_9228
; %bb.9221:                             ;   in Loop: Header=BB6_5830 Depth=4
	v_bfe_u32 v54, v2, 23, 8
	v_or_b32_e32 v3, 0x800000, v0
	s_delay_alu instid0(VALU_DEP_2) | instskip(SKIP_2) | instid1(VALU_DEP_2)
	v_cmp_gt_u32_e64 s13, 0x72, v54
	v_sub_nc_u32_e32 v2, 0x71, v54
	v_cmp_eq_u32_e32 vcc_lo, 0, v54
	v_dual_cndmask_b32 v2, 0, v2, s13 :: v_dual_cndmask_b32 v0, v3, v0, vcc_lo
	s_delay_alu instid0(VALU_DEP_1) | instskip(NEXT) | instid1(VALU_DEP_1)
	v_cndmask_b32_e64 v83, v2, 0x70, vcc_lo
	v_dual_add_nc_u32 v2, 21, v83 :: v_dual_add_nc_u32 v87, 20, v83
	s_delay_alu instid0(VALU_DEP_1) | instskip(NEXT) | instid1(VALU_DEP_2)
	v_lshlrev_b64_e64 v[2:3], v2, -1
	v_lshlrev_b64_e64 v[46:47], v87, 1
	s_delay_alu instid0(VALU_DEP_2) | instskip(SKIP_1) | instid1(VALU_DEP_4)
	v_bfi_b32 v2, v2, 0, v0
	v_lshrrev_b64 v[0:1], v83, v[0:1]
	v_bfi_b32 v3, v3, 0, 0
	s_delay_alu instid0(VALU_DEP_1) | instskip(NEXT) | instid1(VALU_DEP_3)
	v_cmp_eq_u64_e64 s13, v[2:3], v[46:47]
	v_mov_b64_e32 v[2:3], v[0:1]
	s_and_saveexec_b32 s77, s13
; %bb.9222:                             ;   in Loop: Header=BB6_5830 Depth=4
	v_bfe_u32 v2, v0, 21, 1
	v_mov_b32_e32 v3, v113
	s_delay_alu instid0(VALU_DEP_1) | instskip(NEXT) | instid1(VALU_DEP_1)
	v_add_nc_u64_e32 v[2:3], v[0:1], v[2:3]
	v_add_nc_u64_e32 v[2:3], -1, v[2:3]
; %bb.9223:                             ;   in Loop: Header=BB6_5830 Depth=4
	s_or_b32 exec_lo, exec_lo, s77
	v_add_nc_u32_e32 v1, 0xffffff81, v54
	v_lshrrev_b32_e32 v3, 23, v0
	s_mov_b32 s13, exec_lo
	s_delay_alu instid0(VALU_DEP_2) | instskip(NEXT) | instid1(VALU_DEP_1)
	v_cndmask_b32_e64 v1, v1, 0xffffff82, vcc_lo
	v_add3_u32 v54, v83, v1, v3
	v_and_b32_e32 v1, 0x1fffff, v2
                                        ; implicit-def: $vgpr2
	s_delay_alu instid0(VALU_DEP_1) | instskip(SKIP_1) | instid1(VALU_DEP_2)
	v_dual_add_nc_u32 v3, 14, v54 :: v_dual_add_nc_u32 v0, v1, v0
	v_mov_b32_e32 v1, v113
	v_cmpx_ne_u32_e32 0, v3
	s_xor_b32 s13, exec_lo, s13
; %bb.9224:                             ;   in Loop: Header=BB6_5830 Depth=4
	s_delay_alu instid0(VALU_DEP_2) | instskip(SKIP_1) | instid1(VALU_DEP_1)
	v_cmp_lt_u64_e32 vcc_lo, 0xffffff, v[0:1]
	v_add_nc_u32_e32 v2, 15, v54
	v_cndmask_b32_e32 v2, v3, v2, vcc_lo
	v_cndmask_b32_e64 v3, 0, 1, vcc_lo
	s_delay_alu instid0(VALU_DEP_1)
	v_lshrrev_b64 v[0:1], v3, v[0:1]
; %bb.9225:                             ;   in Loop: Header=BB6_5830 Depth=4
	s_and_not1_saveexec_b32 s13, s13
; %bb.9226:                             ;   in Loop: Header=BB6_5830 Depth=4
	s_delay_alu instid0(VALU_DEP_1)
	v_bfe_u32 v2, v0, 23, 1
; %bb.9227:                             ;   in Loop: Header=BB6_5830 Depth=4
	s_or_b32 exec_lo, exec_lo, s13
	s_delay_alu instid0(VALU_DEP_2) | instskip(NEXT) | instid1(VALU_DEP_2)
	v_lshrrev_b64 v[0:1], 21, v[0:1]
	v_cmp_gt_i32_e32 vcc_lo, 32, v2
	v_min_i32_e32 v3, 31, v2
	v_cmp_eq_u32_e64 s13, 0, v2
	s_delay_alu instid0(VALU_DEP_2) | instskip(SKIP_1) | instid1(VALU_DEP_2)
	v_dual_cndmask_b32 v1, 0, v1, vcc_lo :: v_dual_lshlrev_b32 v3, 2, v3
	v_cndmask_b32_e32 v0, 3, v0, vcc_lo
	v_and_b32_e32 v3, 0xfc, v3
	s_delay_alu instid0(VALU_DEP_2) | instskip(NEXT) | instid1(VALU_DEP_2)
	v_cmp_eq_u64_e32 vcc_lo, 0, v[0:1]
	v_and_or_b32 v0, v0, 3, v3
	s_and_b32 s13, s13, vcc_lo
	s_delay_alu instid0(VALU_DEP_1) | instid1(SALU_CYCLE_1)
	v_cndmask_b32_e64 v0, v0, 0, s13
	s_delay_alu instid0(VALU_DEP_1)
	v_or_b32_e32 v54, v0, v81
.LBB6_9228:                             ;   in Loop: Header=BB6_5830 Depth=4
	s_or_b32 exec_lo, exec_lo, s76
                                        ; implicit-def: $vgpr81
.LBB6_9229:                             ;   in Loop: Header=BB6_5830 Depth=4
	s_and_not1_saveexec_b32 s13, s75
; %bb.9230:                             ;   in Loop: Header=BB6_5830 Depth=4
	v_or_b32_e32 v54, 0x7b, v81
; %bb.9231:                             ;   in Loop: Header=BB6_5830 Depth=4
	s_or_b32 exec_lo, exec_lo, s13
                                        ; implicit-def: $vgpr2
                                        ; implicit-def: $vgpr0_vgpr1
                                        ; implicit-def: $vgpr3
.LBB6_9232:                             ;   in Loop: Header=BB6_5830 Depth=4
	s_and_not1_saveexec_b32 s13, s74
	s_cbranch_execz .LBB6_9238
; %bb.9233:                             ;   in Loop: Header=BB6_5830 Depth=4
	s_mov_b32 s74, exec_lo
                                        ; implicit-def: $vgpr54
	v_cmpx_ne_u64_e32 0, v[0:1]
	s_xor_b32 s74, exec_lo, s74
; %bb.9234:                             ;   in Loop: Header=BB6_5830 Depth=4
	v_or_b32_e32 v54, 0x7f, v3
                                        ; implicit-def: $vgpr2
; %bb.9235:                             ;   in Loop: Header=BB6_5830 Depth=4
	s_and_not1_saveexec_b32 s74, s74
; %bb.9236:                             ;   in Loop: Header=BB6_5830 Depth=4
	v_cmp_lt_i32_e32 vcc_lo, -1, v2
	v_mov_b32_e32 v0, 0x7c
	s_delay_alu instid0(VALU_DEP_1)
	v_cndmask_b32_e32 v54, 0xfc, v0, vcc_lo
; %bb.9237:                             ;   in Loop: Header=BB6_5830 Depth=4
	s_or_b32 exec_lo, exec_lo, s74
.LBB6_9238:                             ;   in Loop: Header=BB6_5830 Depth=4
	s_delay_alu instid0(SALU_CYCLE_1) | instskip(SKIP_3) | instid1(VALU_DEP_2)
	s_or_b32 exec_lo, exec_lo, s13
	v_lshrrev_b16 v0, 8, v70
	v_dual_mov_b32 v2, 0 :: v_dual_mov_b32 v3, 0
	s_mov_b32 s74, exec_lo
	v_cmpx_ne_u16_e32 0, v0
	s_cbranch_execz .LBB6_9248
; %bb.9239:                             ;   in Loop: Header=BB6_5830 Depth=4
	v_bfrev_b32_e32 v3, 1
	s_mov_b32 s75, exec_lo
	v_cmpx_ne_u16_e32 0x80, v0
	s_cbranch_execz .LBB6_9247
; %bb.9240:                             ;   in Loop: Header=BB6_5830 Depth=4
	v_and_b32_e32 v81, 0xffff, v0
	s_delay_alu instid0(VALU_DEP_1) | instskip(SKIP_1) | instid1(VALU_DEP_2)
	v_and_b32_e32 v3, 0x7c, v81
	v_and_b32_e32 v1, 3, v81
	v_cmp_ne_u32_e32 vcc_lo, 0x7c, v3
                                        ; implicit-def: $vgpr3
	s_and_saveexec_b32 s13, vcc_lo
	s_delay_alu instid0(SALU_CYCLE_1)
	s_xor_b32 s13, exec_lo, s13
	s_cbranch_execz .LBB6_9244
; %bb.9241:                             ;   in Loop: Header=BB6_5830 Depth=4
	v_bfe_u32 v3, v81, 2, 5
	s_mov_b32 s76, exec_lo
	s_delay_alu instid0(VALU_DEP_1)
	v_cmpx_eq_u32_e32 0, v3
	s_cbranch_execz .LBB6_9243
; %bb.9242:                             ;   in Loop: Header=BB6_5830 Depth=4
	v_clz_i32_u32_e32 v1, v1
	s_delay_alu instid0(VALU_DEP_1) | instskip(SKIP_1) | instid1(VALU_DEP_2)
	v_min_u32_e32 v3, 32, v1
	v_mov_b32_e32 v1, v113
	v_subrev_nc_u32_e32 v81, 29, v3
	v_sub_nc_u32_e32 v3, 30, v3
	s_delay_alu instid0(VALU_DEP_2) | instskip(NEXT) | instid1(VALU_DEP_1)
	v_lshlrev_b64_e32 v[0:1], v81, v[0:1]
	v_and_b32_e32 v1, 3, v0
.LBB6_9243:                             ;   in Loop: Header=BB6_5830 Depth=4
	s_or_b32 exec_lo, exec_lo, s76
	v_lshlrev_b32_e32 v0, 16, v70
                                        ; implicit-def: $vgpr70
	s_delay_alu instid0(VALU_DEP_1) | instskip(NEXT) | instid1(VALU_DEP_1)
	v_and_b32_e32 v0, 0x80000000, v0
	v_lshl_add_u32 v0, v3, 23, v0
	s_delay_alu instid0(VALU_DEP_1) | instskip(NEXT) | instid1(VALU_DEP_1)
	v_lshl_or_b32 v0, v1, 21, v0
                                        ; implicit-def: $vgpr1
	v_add_nc_u32_e32 v3, 0x38000000, v0
.LBB6_9244:                             ;   in Loop: Header=BB6_5830 Depth=4
	s_and_not1_saveexec_b32 s76, s13
; %bb.9245:                             ;   in Loop: Header=BB6_5830 Depth=4
	v_cmp_lt_i16_e64 s13, -1, v70
	v_mov_b32_e32 v0, 0x7f800000
	v_cmp_eq_u32_e32 vcc_lo, 0, v1
	s_delay_alu instid0(VALU_DEP_2) | instskip(NEXT) | instid1(VALU_DEP_1)
	v_cndmask_b32_e64 v0, 0xff800000, v0, s13
	v_cndmask_b32_e32 v3, 0x7f800001, v0, vcc_lo
; %bb.9246:                             ;   in Loop: Header=BB6_5830 Depth=4
	s_or_b32 exec_lo, exec_lo, s76
.LBB6_9247:                             ;   in Loop: Header=BB6_5830 Depth=4
	s_delay_alu instid0(SALU_CYCLE_1)
	s_or_b32 exec_lo, exec_lo, s75
.LBB6_9248:                             ;   in Loop: Header=BB6_5830 Depth=4
	s_delay_alu instid0(SALU_CYCLE_1) | instskip(SKIP_2) | instid1(VALU_DEP_1)
	s_or_b32 exec_lo, exec_lo, s74
	v_lshrrev_b16 v0, 8, v13
	s_mov_b32 s74, exec_lo
	v_cmpx_ne_u16_e32 0, v0
	s_cbranch_execz .LBB6_9258
; %bb.9249:                             ;   in Loop: Header=BB6_5830 Depth=4
	v_bfrev_b32_e32 v2, 1
	s_mov_b32 s75, exec_lo
	v_cmpx_ne_u16_e32 0x80, v0
	s_cbranch_execz .LBB6_9257
; %bb.9250:                             ;   in Loop: Header=BB6_5830 Depth=4
	v_and_b32_e32 v70, 0xffff, v0
	s_delay_alu instid0(VALU_DEP_1) | instskip(SKIP_1) | instid1(VALU_DEP_2)
	v_and_b32_e32 v2, 0x7c, v70
	v_and_b32_e32 v1, 3, v70
	v_cmp_ne_u32_e32 vcc_lo, 0x7c, v2
                                        ; implicit-def: $vgpr2
	s_and_saveexec_b32 s13, vcc_lo
	s_delay_alu instid0(SALU_CYCLE_1)
	s_xor_b32 s13, exec_lo, s13
	s_cbranch_execz .LBB6_9254
; %bb.9251:                             ;   in Loop: Header=BB6_5830 Depth=4
	v_bfe_u32 v2, v70, 2, 5
	s_mov_b32 s76, exec_lo
	s_delay_alu instid0(VALU_DEP_1)
	v_cmpx_eq_u32_e32 0, v2
	s_cbranch_execz .LBB6_9253
; %bb.9252:                             ;   in Loop: Header=BB6_5830 Depth=4
	v_clz_i32_u32_e32 v1, v1
	s_delay_alu instid0(VALU_DEP_1) | instskip(SKIP_1) | instid1(VALU_DEP_2)
	v_min_u32_e32 v2, 32, v1
	v_mov_b32_e32 v1, v113
	v_subrev_nc_u32_e32 v70, 29, v2
	v_sub_nc_u32_e32 v2, 30, v2
	s_delay_alu instid0(VALU_DEP_2) | instskip(NEXT) | instid1(VALU_DEP_1)
	v_lshlrev_b64_e32 v[0:1], v70, v[0:1]
	v_and_b32_e32 v1, 3, v0
.LBB6_9253:                             ;   in Loop: Header=BB6_5830 Depth=4
	s_or_b32 exec_lo, exec_lo, s76
	v_lshlrev_b32_e32 v0, 16, v13
	s_delay_alu instid0(VALU_DEP_1) | instskip(NEXT) | instid1(VALU_DEP_1)
	v_and_b32_e32 v0, 0x80000000, v0
	v_lshl_add_u32 v0, v2, 23, v0
	s_delay_alu instid0(VALU_DEP_1) | instskip(NEXT) | instid1(VALU_DEP_1)
	v_lshl_or_b32 v0, v1, 21, v0
                                        ; implicit-def: $vgpr1
	v_add_nc_u32_e32 v2, 0x38000000, v0
.LBB6_9254:                             ;   in Loop: Header=BB6_5830 Depth=4
	s_and_not1_saveexec_b32 s76, s13
; %bb.9255:                             ;   in Loop: Header=BB6_5830 Depth=4
	v_cmp_lt_i16_e64 s13, -1, v13
	v_mov_b32_e32 v0, 0x7f800000
	v_cmp_eq_u32_e32 vcc_lo, 0, v1
	s_delay_alu instid0(VALU_DEP_2) | instskip(NEXT) | instid1(VALU_DEP_1)
	v_cndmask_b32_e64 v0, 0xff800000, v0, s13
	v_cndmask_b32_e32 v2, 0x7f800001, v0, vcc_lo
; %bb.9256:                             ;   in Loop: Header=BB6_5830 Depth=4
	s_or_b32 exec_lo, exec_lo, s76
.LBB6_9257:                             ;   in Loop: Header=BB6_5830 Depth=4
	s_delay_alu instid0(SALU_CYCLE_1)
	s_or_b32 exec_lo, exec_lo, s75
.LBB6_9258:                             ;   in Loop: Header=BB6_5830 Depth=4
	s_delay_alu instid0(SALU_CYCLE_1) | instskip(NEXT) | instid1(VALU_DEP_1)
	s_or_b32 exec_lo, exec_lo, s74
	v_dual_add_f32 v2, v3, v2 :: v_dual_mov_b32 v47, v113
	v_mov_b32_e32 v1, v113
                                        ; implicit-def: $vgpr70
	s_mov_b32 s13, exec_lo
	s_delay_alu instid0(VALU_DEP_2) | instskip(SKIP_2) | instid1(VALU_DEP_3)
	v_and_b32_e32 v46, 0x7f800000, v2
	v_and_b32_e32 v0, 0x7fffff, v2
	v_lshrrev_b32_e32 v3, 24, v2
	v_cmpx_ne_u64_e32 0x7f800000, v[46:47]
	s_xor_b32 s74, exec_lo, s13
	s_cbranch_execz .LBB6_9272
; %bb.9259:                             ;   in Loop: Header=BB6_5830 Depth=4
	v_and_b32_e32 v46, 0x7fffffff, v2
	v_mov_b32_e32 v47, v113
	v_and_b32_e32 v81, 0x80, v3
                                        ; implicit-def: $vgpr70
	s_mov_b32 s13, exec_lo
	s_delay_alu instid0(VALU_DEP_2)
	v_cmpx_gt_u64_e32 0x47600001, v[46:47]
	s_xor_b32 s75, exec_lo, s13
	s_cbranch_execz .LBB6_9269
; %bb.9260:                             ;   in Loop: Header=BB6_5830 Depth=4
	v_mov_b32_e32 v70, 0
	s_mov_b32 s76, exec_lo
	v_cmpx_ne_u32_e32 0, v2
	s_cbranch_execz .LBB6_9268
; %bb.9261:                             ;   in Loop: Header=BB6_5830 Depth=4
	v_bfe_u32 v70, v2, 23, 8
	v_or_b32_e32 v3, 0x800000, v0
	s_delay_alu instid0(VALU_DEP_2) | instskip(SKIP_2) | instid1(VALU_DEP_2)
	v_cmp_gt_u32_e64 s13, 0x72, v70
	v_sub_nc_u32_e32 v2, 0x71, v70
	v_cmp_eq_u32_e32 vcc_lo, 0, v70
	v_dual_cndmask_b32 v2, 0, v2, s13 :: v_dual_cndmask_b32 v0, v3, v0, vcc_lo
	s_delay_alu instid0(VALU_DEP_1) | instskip(NEXT) | instid1(VALU_DEP_1)
	v_cndmask_b32_e64 v83, v2, 0x70, vcc_lo
	v_dual_add_nc_u32 v2, 21, v83 :: v_dual_add_nc_u32 v87, 20, v83
	s_delay_alu instid0(VALU_DEP_1) | instskip(NEXT) | instid1(VALU_DEP_2)
	v_lshlrev_b64_e64 v[2:3], v2, -1
	v_lshlrev_b64_e64 v[46:47], v87, 1
	s_delay_alu instid0(VALU_DEP_2) | instskip(SKIP_1) | instid1(VALU_DEP_4)
	v_bfi_b32 v2, v2, 0, v0
	v_lshrrev_b64 v[0:1], v83, v[0:1]
	v_bfi_b32 v3, v3, 0, 0
	s_delay_alu instid0(VALU_DEP_1) | instskip(NEXT) | instid1(VALU_DEP_3)
	v_cmp_eq_u64_e64 s13, v[2:3], v[46:47]
	v_mov_b64_e32 v[2:3], v[0:1]
	s_and_saveexec_b32 s77, s13
; %bb.9262:                             ;   in Loop: Header=BB6_5830 Depth=4
	v_bfe_u32 v2, v0, 21, 1
	v_mov_b32_e32 v3, v113
	s_delay_alu instid0(VALU_DEP_1) | instskip(NEXT) | instid1(VALU_DEP_1)
	v_add_nc_u64_e32 v[2:3], v[0:1], v[2:3]
	v_add_nc_u64_e32 v[2:3], -1, v[2:3]
; %bb.9263:                             ;   in Loop: Header=BB6_5830 Depth=4
	s_or_b32 exec_lo, exec_lo, s77
	v_add_nc_u32_e32 v1, 0xffffff81, v70
	v_lshrrev_b32_e32 v3, 23, v0
	s_mov_b32 s13, exec_lo
	s_delay_alu instid0(VALU_DEP_2) | instskip(NEXT) | instid1(VALU_DEP_1)
	v_cndmask_b32_e64 v1, v1, 0xffffff82, vcc_lo
	v_add3_u32 v70, v83, v1, v3
	v_and_b32_e32 v1, 0x1fffff, v2
                                        ; implicit-def: $vgpr2
	s_delay_alu instid0(VALU_DEP_1) | instskip(SKIP_1) | instid1(VALU_DEP_2)
	v_dual_add_nc_u32 v3, 14, v70 :: v_dual_add_nc_u32 v0, v1, v0
	v_mov_b32_e32 v1, v113
	v_cmpx_ne_u32_e32 0, v3
	s_xor_b32 s13, exec_lo, s13
; %bb.9264:                             ;   in Loop: Header=BB6_5830 Depth=4
	s_delay_alu instid0(VALU_DEP_2) | instskip(SKIP_1) | instid1(VALU_DEP_1)
	v_cmp_lt_u64_e32 vcc_lo, 0xffffff, v[0:1]
	v_add_nc_u32_e32 v2, 15, v70
	v_cndmask_b32_e32 v2, v3, v2, vcc_lo
	v_cndmask_b32_e64 v3, 0, 1, vcc_lo
	s_delay_alu instid0(VALU_DEP_1)
	v_lshrrev_b64 v[0:1], v3, v[0:1]
; %bb.9265:                             ;   in Loop: Header=BB6_5830 Depth=4
	s_and_not1_saveexec_b32 s13, s13
; %bb.9266:                             ;   in Loop: Header=BB6_5830 Depth=4
	s_delay_alu instid0(VALU_DEP_1)
	v_bfe_u32 v2, v0, 23, 1
; %bb.9267:                             ;   in Loop: Header=BB6_5830 Depth=4
	s_or_b32 exec_lo, exec_lo, s13
	s_delay_alu instid0(VALU_DEP_2) | instskip(NEXT) | instid1(VALU_DEP_2)
	v_lshrrev_b64 v[0:1], 21, v[0:1]
	v_cmp_gt_i32_e32 vcc_lo, 32, v2
	v_min_i32_e32 v3, 31, v2
	v_cmp_eq_u32_e64 s13, 0, v2
	s_delay_alu instid0(VALU_DEP_2) | instskip(SKIP_1) | instid1(VALU_DEP_2)
	v_dual_cndmask_b32 v1, 0, v1, vcc_lo :: v_dual_lshlrev_b32 v3, 2, v3
	v_cndmask_b32_e32 v0, 3, v0, vcc_lo
	v_and_b32_e32 v3, 0xfc, v3
	s_delay_alu instid0(VALU_DEP_2) | instskip(NEXT) | instid1(VALU_DEP_2)
	v_cmp_eq_u64_e32 vcc_lo, 0, v[0:1]
	v_and_or_b32 v0, v0, 3, v3
	s_and_b32 s13, s13, vcc_lo
	s_delay_alu instid0(VALU_DEP_1) | instid1(SALU_CYCLE_1)
	v_cndmask_b32_e64 v0, v0, 0, s13
	s_delay_alu instid0(VALU_DEP_1)
	v_or_b32_e32 v70, v0, v81
.LBB6_9268:                             ;   in Loop: Header=BB6_5830 Depth=4
	s_or_b32 exec_lo, exec_lo, s76
                                        ; implicit-def: $vgpr81
.LBB6_9269:                             ;   in Loop: Header=BB6_5830 Depth=4
	s_and_not1_saveexec_b32 s13, s75
; %bb.9270:                             ;   in Loop: Header=BB6_5830 Depth=4
	v_or_b32_e32 v70, 0x7b, v81
; %bb.9271:                             ;   in Loop: Header=BB6_5830 Depth=4
	s_or_b32 exec_lo, exec_lo, s13
                                        ; implicit-def: $vgpr2
                                        ; implicit-def: $vgpr0_vgpr1
                                        ; implicit-def: $vgpr3
.LBB6_9272:                             ;   in Loop: Header=BB6_5830 Depth=4
	s_and_not1_saveexec_b32 s13, s74
	s_cbranch_execz .LBB6_9278
; %bb.9273:                             ;   in Loop: Header=BB6_5830 Depth=4
	s_mov_b32 s74, exec_lo
                                        ; implicit-def: $vgpr70
	v_cmpx_ne_u64_e32 0, v[0:1]
	s_xor_b32 s74, exec_lo, s74
; %bb.9274:                             ;   in Loop: Header=BB6_5830 Depth=4
	v_or_b32_e32 v70, 0x7f, v3
                                        ; implicit-def: $vgpr2
; %bb.9275:                             ;   in Loop: Header=BB6_5830 Depth=4
	s_and_not1_saveexec_b32 s74, s74
; %bb.9276:                             ;   in Loop: Header=BB6_5830 Depth=4
	v_cmp_lt_i32_e32 vcc_lo, -1, v2
	v_mov_b32_e32 v0, 0x7c
	s_delay_alu instid0(VALU_DEP_1)
	v_cndmask_b32_e32 v70, 0xfc, v0, vcc_lo
; %bb.9277:                             ;   in Loop: Header=BB6_5830 Depth=4
	s_or_b32 exec_lo, exec_lo, s74
.LBB6_9278:                             ;   in Loop: Header=BB6_5830 Depth=4
	s_delay_alu instid0(SALU_CYCLE_1) | instskip(SKIP_3) | instid1(VALU_DEP_2)
	s_or_b32 exec_lo, exec_lo, s13
	v_dual_mov_b32 v1, 0 :: v_dual_lshrrev_b32 v0, 16, v112
	v_mov_b32_e32 v2, 0
	s_mov_b32 s74, exec_lo
	v_and_b32_e32 v3, 0xff, v0
	s_delay_alu instid0(VALU_DEP_1)
	v_cmpx_ne_u16_e32 0, v3
	s_cbranch_execz .LBB6_9288
; %bb.9279:                             ;   in Loop: Header=BB6_5830 Depth=4
	v_bfrev_b32_e32 v2, 1
	s_mov_b32 s75, exec_lo
	v_cmpx_ne_u16_e32 0x80, v3
	s_cbranch_execz .LBB6_9287
; %bb.9280:                             ;   in Loop: Header=BB6_5830 Depth=4
	v_and_b32_e32 v2, 0x7c0000, v112
	v_bfe_u32 v3, v112, 16, 2
	s_delay_alu instid0(VALU_DEP_2) | instskip(SKIP_1) | instid1(SALU_CYCLE_1)
	v_cmp_ne_u32_e32 vcc_lo, 0x7c0000, v2
                                        ; implicit-def: $vgpr2
	s_and_saveexec_b32 s13, vcc_lo
	s_xor_b32 s13, exec_lo, s13
	s_cbranch_execz .LBB6_9284
; %bb.9281:                             ;   in Loop: Header=BB6_5830 Depth=4
	v_bfe_u32 v2, v112, 18, 5
	s_mov_b32 s76, exec_lo
	s_delay_alu instid0(VALU_DEP_1)
	v_cmpx_eq_u32_e32 0, v2
; %bb.9282:                             ;   in Loop: Header=BB6_5830 Depth=4
	v_clz_i32_u32_e32 v2, v3
	s_delay_alu instid0(VALU_DEP_1) | instskip(NEXT) | instid1(VALU_DEP_1)
	v_min_u32_e32 v2, 32, v2
	v_subrev_nc_u32_e32 v3, 29, v2
	v_sub_nc_u32_e32 v2, 30, v2
	s_delay_alu instid0(VALU_DEP_2) | instskip(NEXT) | instid1(VALU_DEP_1)
	v_lshlrev_b64_e32 v[46:47], v3, v[0:1]
	v_and_b32_e32 v3, 3, v46
; %bb.9283:                             ;   in Loop: Header=BB6_5830 Depth=4
	s_or_b32 exec_lo, exec_lo, s76
	v_lshlrev_b32_e32 v0, 24, v0
	s_delay_alu instid0(VALU_DEP_1) | instskip(NEXT) | instid1(VALU_DEP_1)
	v_and_b32_e32 v0, 0x80000000, v0
	v_lshl_add_u32 v0, v2, 23, v0
	s_delay_alu instid0(VALU_DEP_1) | instskip(NEXT) | instid1(VALU_DEP_1)
	v_lshl_or_b32 v0, v3, 21, v0
                                        ; implicit-def: $vgpr3
	v_add_nc_u32_e32 v2, 0x38000000, v0
                                        ; implicit-def: $vgpr0
.LBB6_9284:                             ;   in Loop: Header=BB6_5830 Depth=4
	s_and_not1_saveexec_b32 s76, s13
; %bb.9285:                             ;   in Loop: Header=BB6_5830 Depth=4
	v_bfe_i32 v0, v0, 0, 8
	v_cmp_eq_u32_e32 vcc_lo, 0, v3
	s_delay_alu instid0(VALU_DEP_2) | instskip(SKIP_1) | instid1(VALU_DEP_1)
	v_cmp_lt_i16_e64 s13, -1, v0
	v_mov_b32_e32 v0, 0x7f800000
	v_cndmask_b32_e64 v0, 0xff800000, v0, s13
	s_delay_alu instid0(VALU_DEP_1)
	v_cndmask_b32_e32 v2, 0x7f800001, v0, vcc_lo
; %bb.9286:                             ;   in Loop: Header=BB6_5830 Depth=4
	s_or_b32 exec_lo, exec_lo, s76
.LBB6_9287:                             ;   in Loop: Header=BB6_5830 Depth=4
	s_delay_alu instid0(SALU_CYCLE_1)
	s_or_b32 exec_lo, exec_lo, s75
.LBB6_9288:                             ;   in Loop: Header=BB6_5830 Depth=4
	s_delay_alu instid0(SALU_CYCLE_1) | instskip(SKIP_2) | instid1(VALU_DEP_1)
	s_or_b32 exec_lo, exec_lo, s74
	v_lshrrev_b32_e32 v0, 16, v13
	s_mov_b32 s74, exec_lo
	v_and_b32_e32 v3, 0xff, v0
	s_delay_alu instid0(VALU_DEP_1)
	v_cmpx_ne_u16_e32 0, v3
	s_cbranch_execz .LBB6_9298
; %bb.9289:                             ;   in Loop: Header=BB6_5830 Depth=4
	v_bfrev_b32_e32 v1, 1
	s_mov_b32 s75, exec_lo
	v_cmpx_ne_u16_e32 0x80, v3
	s_cbranch_execz .LBB6_9297
; %bb.9290:                             ;   in Loop: Header=BB6_5830 Depth=4
	v_and_b32_e32 v1, 0x7c0000, v13
	v_bfe_u32 v3, v13, 16, 2
	s_delay_alu instid0(VALU_DEP_2) | instskip(SKIP_1) | instid1(SALU_CYCLE_1)
	v_cmp_ne_u32_e32 vcc_lo, 0x7c0000, v1
                                        ; implicit-def: $vgpr1
	s_and_saveexec_b32 s13, vcc_lo
	s_xor_b32 s13, exec_lo, s13
	s_cbranch_execz .LBB6_9294
; %bb.9291:                             ;   in Loop: Header=BB6_5830 Depth=4
	v_bfe_u32 v1, v13, 18, 5
	s_mov_b32 s76, exec_lo
	s_delay_alu instid0(VALU_DEP_1)
	v_cmpx_eq_u32_e32 0, v1
; %bb.9292:                             ;   in Loop: Header=BB6_5830 Depth=4
	v_clz_i32_u32_e32 v1, v3
	s_delay_alu instid0(VALU_DEP_1) | instskip(NEXT) | instid1(VALU_DEP_1)
	v_min_u32_e32 v1, 32, v1
	v_subrev_nc_u32_e32 v3, 29, v1
	s_delay_alu instid0(VALU_DEP_1) | instskip(NEXT) | instid1(VALU_DEP_1)
	v_lshlrev_b64_e32 v[46:47], v3, v[0:1]
	v_dual_sub_nc_u32 v1, 30, v1 :: v_dual_bitop2_b32 v3, 3, v46 bitop3:0x40
; %bb.9293:                             ;   in Loop: Header=BB6_5830 Depth=4
	s_or_b32 exec_lo, exec_lo, s76
	v_lshlrev_b32_e32 v0, 24, v0
	s_delay_alu instid0(VALU_DEP_1) | instskip(NEXT) | instid1(VALU_DEP_1)
	v_and_b32_e32 v0, 0x80000000, v0
	v_lshl_add_u32 v0, v1, 23, v0
	s_delay_alu instid0(VALU_DEP_1) | instskip(NEXT) | instid1(VALU_DEP_1)
	v_lshl_or_b32 v0, v3, 21, v0
                                        ; implicit-def: $vgpr3
	v_add_nc_u32_e32 v1, 0x38000000, v0
                                        ; implicit-def: $vgpr0
.LBB6_9294:                             ;   in Loop: Header=BB6_5830 Depth=4
	s_and_not1_saveexec_b32 s76, s13
; %bb.9295:                             ;   in Loop: Header=BB6_5830 Depth=4
	v_bfe_i32 v0, v0, 0, 8
	v_cmp_eq_u32_e32 vcc_lo, 0, v3
	s_delay_alu instid0(VALU_DEP_2) | instskip(SKIP_1) | instid1(VALU_DEP_1)
	v_cmp_lt_i16_e64 s13, -1, v0
	v_mov_b32_e32 v0, 0x7f800000
	v_cndmask_b32_e64 v0, 0xff800000, v0, s13
	s_delay_alu instid0(VALU_DEP_1)
	v_cndmask_b32_e32 v1, 0x7f800001, v0, vcc_lo
; %bb.9296:                             ;   in Loop: Header=BB6_5830 Depth=4
	s_or_b32 exec_lo, exec_lo, s76
.LBB6_9297:                             ;   in Loop: Header=BB6_5830 Depth=4
	s_delay_alu instid0(SALU_CYCLE_1)
	s_or_b32 exec_lo, exec_lo, s75
.LBB6_9298:                             ;   in Loop: Header=BB6_5830 Depth=4
	s_delay_alu instid0(SALU_CYCLE_1) | instskip(NEXT) | instid1(VALU_DEP_1)
	s_or_b32 exec_lo, exec_lo, s74
	v_dual_add_f32 v2, v2, v1 :: v_dual_mov_b32 v47, v113
	v_mov_b32_e32 v1, v113
                                        ; implicit-def: $vgpr81
	s_mov_b32 s13, exec_lo
	s_delay_alu instid0(VALU_DEP_2) | instskip(SKIP_2) | instid1(VALU_DEP_3)
	v_and_b32_e32 v46, 0x7f800000, v2
	v_and_b32_e32 v0, 0x7fffff, v2
	v_lshrrev_b32_e32 v3, 24, v2
	v_cmpx_ne_u64_e32 0x7f800000, v[46:47]
	s_xor_b32 s74, exec_lo, s13
	s_cbranch_execz .LBB6_9312
; %bb.9299:                             ;   in Loop: Header=BB6_5830 Depth=4
	v_and_b32_e32 v46, 0x7fffffff, v2
	v_mov_b32_e32 v47, v113
	v_and_b32_e32 v83, 0x80, v3
                                        ; implicit-def: $vgpr81
	s_mov_b32 s13, exec_lo
	s_delay_alu instid0(VALU_DEP_2)
	v_cmpx_gt_u64_e32 0x47600001, v[46:47]
	s_xor_b32 s75, exec_lo, s13
	s_cbranch_execz .LBB6_9309
; %bb.9300:                             ;   in Loop: Header=BB6_5830 Depth=4
	v_mov_b32_e32 v81, 0
	s_mov_b32 s76, exec_lo
	v_cmpx_ne_u32_e32 0, v2
	s_cbranch_execz .LBB6_9308
; %bb.9301:                             ;   in Loop: Header=BB6_5830 Depth=4
	v_bfe_u32 v81, v2, 23, 8
	v_or_b32_e32 v3, 0x800000, v0
	s_delay_alu instid0(VALU_DEP_2) | instskip(SKIP_2) | instid1(VALU_DEP_2)
	v_cmp_gt_u32_e64 s13, 0x72, v81
	v_sub_nc_u32_e32 v2, 0x71, v81
	v_cmp_eq_u32_e32 vcc_lo, 0, v81
	v_dual_cndmask_b32 v2, 0, v2, s13 :: v_dual_cndmask_b32 v0, v3, v0, vcc_lo
	s_delay_alu instid0(VALU_DEP_1) | instskip(NEXT) | instid1(VALU_DEP_1)
	v_cndmask_b32_e64 v87, v2, 0x70, vcc_lo
	v_dual_add_nc_u32 v2, 21, v87 :: v_dual_add_nc_u32 v100, 20, v87
	s_delay_alu instid0(VALU_DEP_1) | instskip(NEXT) | instid1(VALU_DEP_2)
	v_lshlrev_b64_e64 v[2:3], v2, -1
	v_lshlrev_b64_e64 v[46:47], v100, 1
	s_delay_alu instid0(VALU_DEP_2) | instskip(SKIP_1) | instid1(VALU_DEP_4)
	v_bfi_b32 v2, v2, 0, v0
	v_lshrrev_b64 v[0:1], v87, v[0:1]
	v_bfi_b32 v3, v3, 0, 0
	s_delay_alu instid0(VALU_DEP_1) | instskip(NEXT) | instid1(VALU_DEP_3)
	v_cmp_eq_u64_e64 s13, v[2:3], v[46:47]
	v_mov_b64_e32 v[2:3], v[0:1]
	s_and_saveexec_b32 s77, s13
; %bb.9302:                             ;   in Loop: Header=BB6_5830 Depth=4
	v_bfe_u32 v2, v0, 21, 1
	v_mov_b32_e32 v3, v113
	s_delay_alu instid0(VALU_DEP_1) | instskip(NEXT) | instid1(VALU_DEP_1)
	v_add_nc_u64_e32 v[2:3], v[0:1], v[2:3]
	v_add_nc_u64_e32 v[2:3], -1, v[2:3]
; %bb.9303:                             ;   in Loop: Header=BB6_5830 Depth=4
	s_or_b32 exec_lo, exec_lo, s77
	v_add_nc_u32_e32 v1, 0xffffff81, v81
	v_lshrrev_b32_e32 v3, 23, v0
	s_mov_b32 s13, exec_lo
	s_delay_alu instid0(VALU_DEP_2) | instskip(NEXT) | instid1(VALU_DEP_1)
	v_cndmask_b32_e64 v1, v1, 0xffffff82, vcc_lo
	v_add3_u32 v81, v87, v1, v3
	v_and_b32_e32 v1, 0x1fffff, v2
                                        ; implicit-def: $vgpr2
	s_delay_alu instid0(VALU_DEP_1) | instskip(SKIP_1) | instid1(VALU_DEP_2)
	v_dual_add_nc_u32 v3, 14, v81 :: v_dual_add_nc_u32 v0, v1, v0
	v_mov_b32_e32 v1, v113
	v_cmpx_ne_u32_e32 0, v3
	s_xor_b32 s13, exec_lo, s13
; %bb.9304:                             ;   in Loop: Header=BB6_5830 Depth=4
	s_delay_alu instid0(VALU_DEP_2) | instskip(SKIP_1) | instid1(VALU_DEP_1)
	v_cmp_lt_u64_e32 vcc_lo, 0xffffff, v[0:1]
	v_add_nc_u32_e32 v2, 15, v81
	v_cndmask_b32_e32 v2, v3, v2, vcc_lo
	v_cndmask_b32_e64 v3, 0, 1, vcc_lo
	s_delay_alu instid0(VALU_DEP_1)
	v_lshrrev_b64 v[0:1], v3, v[0:1]
; %bb.9305:                             ;   in Loop: Header=BB6_5830 Depth=4
	s_and_not1_saveexec_b32 s13, s13
; %bb.9306:                             ;   in Loop: Header=BB6_5830 Depth=4
	s_delay_alu instid0(VALU_DEP_1)
	v_bfe_u32 v2, v0, 23, 1
; %bb.9307:                             ;   in Loop: Header=BB6_5830 Depth=4
	s_or_b32 exec_lo, exec_lo, s13
	s_delay_alu instid0(VALU_DEP_2) | instskip(NEXT) | instid1(VALU_DEP_2)
	v_lshrrev_b64 v[0:1], 21, v[0:1]
	v_cmp_gt_i32_e32 vcc_lo, 32, v2
	v_min_i32_e32 v3, 31, v2
	v_cmp_eq_u32_e64 s13, 0, v2
	s_delay_alu instid0(VALU_DEP_2) | instskip(SKIP_1) | instid1(VALU_DEP_2)
	v_dual_cndmask_b32 v1, 0, v1, vcc_lo :: v_dual_lshlrev_b32 v3, 2, v3
	v_cndmask_b32_e32 v0, 3, v0, vcc_lo
	v_and_b32_e32 v3, 0xfc, v3
	s_delay_alu instid0(VALU_DEP_2) | instskip(NEXT) | instid1(VALU_DEP_2)
	v_cmp_eq_u64_e32 vcc_lo, 0, v[0:1]
	v_and_or_b32 v0, v0, 3, v3
	s_and_b32 s13, s13, vcc_lo
	s_delay_alu instid0(VALU_DEP_1) | instid1(SALU_CYCLE_1)
	v_cndmask_b32_e64 v0, v0, 0, s13
	s_delay_alu instid0(VALU_DEP_1)
	v_or_b32_e32 v81, v0, v83
.LBB6_9308:                             ;   in Loop: Header=BB6_5830 Depth=4
	s_or_b32 exec_lo, exec_lo, s76
                                        ; implicit-def: $vgpr83
.LBB6_9309:                             ;   in Loop: Header=BB6_5830 Depth=4
	s_and_not1_saveexec_b32 s13, s75
; %bb.9310:                             ;   in Loop: Header=BB6_5830 Depth=4
	v_or_b32_e32 v81, 0x7b, v83
; %bb.9311:                             ;   in Loop: Header=BB6_5830 Depth=4
	s_or_b32 exec_lo, exec_lo, s13
                                        ; implicit-def: $vgpr2
                                        ; implicit-def: $vgpr0_vgpr1
                                        ; implicit-def: $vgpr3
.LBB6_9312:                             ;   in Loop: Header=BB6_5830 Depth=4
	s_and_not1_saveexec_b32 s13, s74
	s_cbranch_execz .LBB6_9318
; %bb.9313:                             ;   in Loop: Header=BB6_5830 Depth=4
	s_mov_b32 s74, exec_lo
                                        ; implicit-def: $vgpr81
	v_cmpx_ne_u64_e32 0, v[0:1]
	s_xor_b32 s74, exec_lo, s74
; %bb.9314:                             ;   in Loop: Header=BB6_5830 Depth=4
	v_or_b32_e32 v81, 0x7f, v3
                                        ; implicit-def: $vgpr2
; %bb.9315:                             ;   in Loop: Header=BB6_5830 Depth=4
	s_and_not1_saveexec_b32 s74, s74
; %bb.9316:                             ;   in Loop: Header=BB6_5830 Depth=4
	v_cmp_lt_i32_e32 vcc_lo, -1, v2
	v_mov_b32_e32 v0, 0x7c
	s_delay_alu instid0(VALU_DEP_1)
	v_cndmask_b32_e32 v81, 0xfc, v0, vcc_lo
; %bb.9317:                             ;   in Loop: Header=BB6_5830 Depth=4
	s_or_b32 exec_lo, exec_lo, s74
.LBB6_9318:                             ;   in Loop: Header=BB6_5830 Depth=4
	s_delay_alu instid0(SALU_CYCLE_1)
	s_or_b32 exec_lo, exec_lo, s13
	v_dual_mov_b32 v1, 0 :: v_dual_mov_b32 v2, 0
	s_mov_b32 s74, exec_lo
	v_cmpx_lt_u32_e32 0xffffff, v112
	s_cbranch_execz .LBB6_9328
; %bb.9319:                             ;   in Loop: Header=BB6_5830 Depth=4
	v_lshrrev_b32_e32 v0, 24, v112
	v_bfrev_b32_e32 v2, 1
	s_mov_b32 s75, exec_lo
	s_delay_alu instid0(VALU_DEP_2)
	v_cmpx_ne_u32_e32 0x80, v0
	s_cbranch_execz .LBB6_9327
; %bb.9320:                             ;   in Loop: Header=BB6_5830 Depth=4
	v_and_b32_e32 v2, 0x7c000000, v112
	v_bfe_u32 v3, v112, 24, 2
	s_delay_alu instid0(VALU_DEP_2) | instskip(SKIP_1) | instid1(SALU_CYCLE_1)
	v_cmp_ne_u32_e32 vcc_lo, 0x7c000000, v2
                                        ; implicit-def: $vgpr2
	s_and_saveexec_b32 s13, vcc_lo
	s_xor_b32 s13, exec_lo, s13
	s_cbranch_execz .LBB6_9324
; %bb.9321:                             ;   in Loop: Header=BB6_5830 Depth=4
	v_bfe_u32 v2, v112, 26, 5
	s_mov_b32 s76, exec_lo
	s_delay_alu instid0(VALU_DEP_1)
	v_cmpx_eq_u32_e32 0, v2
; %bb.9322:                             ;   in Loop: Header=BB6_5830 Depth=4
	v_clz_i32_u32_e32 v2, v3
	s_delay_alu instid0(VALU_DEP_1) | instskip(NEXT) | instid1(VALU_DEP_1)
	v_min_u32_e32 v2, 32, v2
	v_subrev_nc_u32_e32 v3, 29, v2
	v_sub_nc_u32_e32 v2, 30, v2
	s_delay_alu instid0(VALU_DEP_2) | instskip(NEXT) | instid1(VALU_DEP_1)
	v_lshlrev_b64_e32 v[46:47], v3, v[0:1]
	v_and_b32_e32 v3, 3, v46
; %bb.9323:                             ;   in Loop: Header=BB6_5830 Depth=4
	s_or_b32 exec_lo, exec_lo, s76
	v_and_b32_e32 v0, 0x80000000, v112
	s_delay_alu instid0(VALU_DEP_1) | instskip(NEXT) | instid1(VALU_DEP_1)
	v_lshl_add_u32 v0, v2, 23, v0
	v_lshl_or_b32 v0, v3, 21, v0
                                        ; implicit-def: $vgpr3
	s_delay_alu instid0(VALU_DEP_1)
	v_add_nc_u32_e32 v2, 0x38000000, v0
.LBB6_9324:                             ;   in Loop: Header=BB6_5830 Depth=4
	s_and_not1_saveexec_b32 s76, s13
; %bb.9325:                             ;   in Loop: Header=BB6_5830 Depth=4
	v_cmp_lt_i32_e64 s13, -1, v112
	v_mov_b32_e32 v0, 0x7f800000
	v_cmp_eq_u32_e32 vcc_lo, 0, v3
	s_delay_alu instid0(VALU_DEP_2) | instskip(NEXT) | instid1(VALU_DEP_1)
	v_cndmask_b32_e64 v0, 0xff800000, v0, s13
	v_cndmask_b32_e32 v2, 0x7f800001, v0, vcc_lo
; %bb.9326:                             ;   in Loop: Header=BB6_5830 Depth=4
	s_or_b32 exec_lo, exec_lo, s76
.LBB6_9327:                             ;   in Loop: Header=BB6_5830 Depth=4
	s_delay_alu instid0(SALU_CYCLE_1)
	s_or_b32 exec_lo, exec_lo, s75
.LBB6_9328:                             ;   in Loop: Header=BB6_5830 Depth=4
	s_delay_alu instid0(SALU_CYCLE_1) | instskip(NEXT) | instid1(SALU_CYCLE_1)
	s_or_b32 exec_lo, exec_lo, s74
	s_mov_b32 s74, exec_lo
	v_cmpx_lt_u64_e64 s[22:23], v[12:13]
	s_cbranch_execz .LBB6_9338
; %bb.9329:                             ;   in Loop: Header=BB6_5830 Depth=4
	v_lshrrev_b32_e32 v0, 24, v13
	v_bfrev_b32_e32 v1, 1
	s_mov_b32 s75, exec_lo
	s_delay_alu instid0(VALU_DEP_2)
	v_cmpx_ne_u32_e32 0x80, v0
	s_cbranch_execz .LBB6_9337
; %bb.9330:                             ;   in Loop: Header=BB6_5830 Depth=4
	v_and_b32_e32 v1, 0x7c000000, v13
	v_bfe_u32 v3, v13, 24, 2
	s_delay_alu instid0(VALU_DEP_2) | instskip(SKIP_1) | instid1(SALU_CYCLE_1)
	v_cmp_ne_u32_e32 vcc_lo, 0x7c000000, v1
                                        ; implicit-def: $vgpr1
	s_and_saveexec_b32 s13, vcc_lo
	s_xor_b32 s13, exec_lo, s13
	s_cbranch_execz .LBB6_9334
; %bb.9331:                             ;   in Loop: Header=BB6_5830 Depth=4
	v_bfe_u32 v1, v13, 26, 5
	s_mov_b32 s76, exec_lo
	s_delay_alu instid0(VALU_DEP_1)
	v_cmpx_eq_u32_e32 0, v1
; %bb.9332:                             ;   in Loop: Header=BB6_5830 Depth=4
	v_clz_i32_u32_e32 v1, v3
	s_delay_alu instid0(VALU_DEP_1) | instskip(NEXT) | instid1(VALU_DEP_1)
	v_min_u32_e32 v3, 32, v1
	v_subrev_nc_u32_e32 v1, 29, v3
	s_delay_alu instid0(VALU_DEP_1) | instskip(NEXT) | instid1(VALU_DEP_1)
	v_lshlrev_b64_e32 v[0:1], v1, v[0:1]
	v_dual_sub_nc_u32 v1, 30, v3 :: v_dual_bitop2_b32 v3, 3, v0 bitop3:0x40
; %bb.9333:                             ;   in Loop: Header=BB6_5830 Depth=4
	s_or_b32 exec_lo, exec_lo, s76
	v_and_b32_e32 v0, 0x80000000, v13
	s_delay_alu instid0(VALU_DEP_1) | instskip(NEXT) | instid1(VALU_DEP_1)
	v_lshl_add_u32 v0, v1, 23, v0
	v_lshl_or_b32 v0, v3, 21, v0
                                        ; implicit-def: $vgpr3
	s_delay_alu instid0(VALU_DEP_1)
	v_add_nc_u32_e32 v1, 0x38000000, v0
.LBB6_9334:                             ;   in Loop: Header=BB6_5830 Depth=4
	s_and_not1_saveexec_b32 s76, s13
; %bb.9335:                             ;   in Loop: Header=BB6_5830 Depth=4
	v_cmp_lt_i64_e64 s13, -1, v[12:13]
	v_mov_b32_e32 v0, 0x7f800000
	v_cmp_eq_u32_e32 vcc_lo, 0, v3
	s_delay_alu instid0(VALU_DEP_2) | instskip(NEXT) | instid1(VALU_DEP_1)
	v_cndmask_b32_e64 v0, 0xff800000, v0, s13
	v_cndmask_b32_e32 v1, 0x7f800001, v0, vcc_lo
; %bb.9336:                             ;   in Loop: Header=BB6_5830 Depth=4
	s_or_b32 exec_lo, exec_lo, s76
.LBB6_9337:                             ;   in Loop: Header=BB6_5830 Depth=4
	s_delay_alu instid0(SALU_CYCLE_1)
	s_or_b32 exec_lo, exec_lo, s75
.LBB6_9338:                             ;   in Loop: Header=BB6_5830 Depth=4
	s_delay_alu instid0(SALU_CYCLE_1) | instskip(NEXT) | instid1(VALU_DEP_1)
	s_or_b32 exec_lo, exec_lo, s74
	v_dual_add_f32 v0, v2, v1 :: v_dual_mov_b32 v3, v113
                                        ; implicit-def: $vgpr12
	s_mov_b32 s13, exec_lo
	s_delay_alu instid0(VALU_DEP_1) | instskip(SKIP_2) | instid1(VALU_DEP_3)
	v_and_b32_e32 v2, 0x7f800000, v0
	v_and_b32_e32 v112, 0x7fffff, v0
	v_lshrrev_b32_e32 v1, 24, v0
	v_cmpx_ne_u64_e32 0x7f800000, v[2:3]
	s_xor_b32 s74, exec_lo, s13
	s_cbranch_execz .LBB6_9352
; %bb.9339:                             ;   in Loop: Header=BB6_5830 Depth=4
	v_and_b32_e32 v2, 0x7fffffff, v0
	v_mov_b32_e32 v3, v113
	v_and_b32_e32 v13, 0x80, v1
                                        ; implicit-def: $vgpr12
	s_mov_b32 s13, exec_lo
	s_delay_alu instid0(VALU_DEP_2)
	v_cmpx_gt_u64_e32 0x47600001, v[2:3]
	s_xor_b32 s75, exec_lo, s13
	s_cbranch_execz .LBB6_9349
; %bb.9340:                             ;   in Loop: Header=BB6_5830 Depth=4
	v_mov_b32_e32 v12, 0
	s_mov_b32 s76, exec_lo
	v_cmpx_ne_u32_e32 0, v0
	s_cbranch_execz .LBB6_9348
; %bb.9341:                             ;   in Loop: Header=BB6_5830 Depth=4
	v_bfe_u32 v12, v0, 23, 8
	v_or_b32_e32 v1, 0x800000, v112
	s_delay_alu instid0(VALU_DEP_2) | instskip(SKIP_2) | instid1(VALU_DEP_2)
	v_cmp_gt_u32_e64 s13, 0x72, v12
	v_sub_nc_u32_e32 v0, 0x71, v12
	v_cmp_eq_u32_e32 vcc_lo, 0, v12
	v_cndmask_b32_e64 v0, 0, v0, s13
	s_delay_alu instid0(VALU_DEP_1) | instskip(SKIP_1) | instid1(VALU_DEP_2)
	v_cndmask_b32_e64 v83, v0, 0x70, vcc_lo
	v_cndmask_b32_e32 v0, v1, v112, vcc_lo
	v_dual_mov_b32 v1, v113 :: v_dual_add_nc_u32 v2, 21, v83
	v_add_nc_u32_e32 v87, 20, v83
	s_delay_alu instid0(VALU_DEP_2) | instskip(NEXT) | instid1(VALU_DEP_2)
	v_lshlrev_b64_e64 v[2:3], v2, -1
	v_lshlrev_b64_e64 v[46:47], v87, 1
	s_delay_alu instid0(VALU_DEP_2) | instskip(SKIP_1) | instid1(VALU_DEP_4)
	v_bfi_b32 v2, v2, 0, v0
	v_lshrrev_b64 v[0:1], v83, v[0:1]
	v_bfi_b32 v3, v3, 0, 0
	s_delay_alu instid0(VALU_DEP_1) | instskip(NEXT) | instid1(VALU_DEP_3)
	v_cmp_eq_u64_e64 s13, v[2:3], v[46:47]
	v_mov_b64_e32 v[2:3], v[0:1]
	s_and_saveexec_b32 s77, s13
; %bb.9342:                             ;   in Loop: Header=BB6_5830 Depth=4
	v_bfe_u32 v2, v0, 21, 1
	v_mov_b32_e32 v3, v113
	s_delay_alu instid0(VALU_DEP_1) | instskip(NEXT) | instid1(VALU_DEP_1)
	v_add_nc_u64_e32 v[2:3], v[0:1], v[2:3]
	v_add_nc_u64_e32 v[2:3], -1, v[2:3]
; %bb.9343:                             ;   in Loop: Header=BB6_5830 Depth=4
	s_or_b32 exec_lo, exec_lo, s77
	v_add_nc_u32_e32 v1, 0xffffff81, v12
	s_delay_alu instid0(VALU_DEP_2) | instskip(SKIP_2) | instid1(VALU_DEP_3)
	v_and_b32_e32 v2, 0x1fffff, v2
	v_lshrrev_b32_e32 v3, 23, v0
	s_mov_b32 s13, exec_lo
	v_cndmask_b32_e64 v1, v1, 0xffffff82, vcc_lo
	s_delay_alu instid0(VALU_DEP_3) | instskip(NEXT) | instid1(VALU_DEP_2)
	v_add_nc_u32_e32 v112, v2, v0
                                        ; implicit-def: $vgpr2
	v_add3_u32 v12, v83, v1, v3
                                        ; implicit-def: $vgpr0_vgpr1
	s_delay_alu instid0(VALU_DEP_1) | instskip(NEXT) | instid1(VALU_DEP_1)
	v_add_nc_u32_e32 v3, 14, v12
	v_cmpx_ne_u32_e32 0, v3
	s_xor_b32 s13, exec_lo, s13
; %bb.9344:                             ;   in Loop: Header=BB6_5830 Depth=4
	v_cmp_lt_u64_e32 vcc_lo, 0xffffff, v[112:113]
	v_add_nc_u32_e32 v0, 15, v12
	s_delay_alu instid0(VALU_DEP_1) | instskip(SKIP_1) | instid1(VALU_DEP_1)
	v_cndmask_b32_e32 v2, v3, v0, vcc_lo
	v_cndmask_b32_e64 v0, 0, 1, vcc_lo
	v_lshrrev_b64 v[0:1], v0, v[112:113]
; %bb.9345:                             ;   in Loop: Header=BB6_5830 Depth=4
	s_and_not1_saveexec_b32 s13, s13
; %bb.9346:                             ;   in Loop: Header=BB6_5830 Depth=4
	v_mov_b64_e32 v[0:1], v[112:113]
	v_bfe_u32 v2, v112, 23, 1
; %bb.9347:                             ;   in Loop: Header=BB6_5830 Depth=4
	s_or_b32 exec_lo, exec_lo, s13
	s_delay_alu instid0(VALU_DEP_2) | instskip(NEXT) | instid1(VALU_DEP_2)
	v_lshrrev_b64 v[0:1], 21, v[0:1]
	v_cmp_gt_i32_e32 vcc_lo, 32, v2
	v_min_i32_e32 v3, 31, v2
	v_cmp_eq_u32_e64 s13, 0, v2
	s_delay_alu instid0(VALU_DEP_2) | instskip(SKIP_1) | instid1(VALU_DEP_2)
	v_dual_cndmask_b32 v1, 0, v1, vcc_lo :: v_dual_lshlrev_b32 v3, 2, v3
	v_cndmask_b32_e32 v0, 3, v0, vcc_lo
	v_and_b32_e32 v3, 0xfc, v3
	s_delay_alu instid0(VALU_DEP_2) | instskip(NEXT) | instid1(VALU_DEP_2)
	v_cmp_eq_u64_e32 vcc_lo, 0, v[0:1]
	v_and_or_b32 v0, v0, 3, v3
	s_and_b32 s13, s13, vcc_lo
	s_delay_alu instid0(VALU_DEP_1) | instid1(SALU_CYCLE_1)
	v_cndmask_b32_e64 v0, v0, 0, s13
	s_delay_alu instid0(VALU_DEP_1)
	v_or_b32_e32 v12, v0, v13
.LBB6_9348:                             ;   in Loop: Header=BB6_5830 Depth=4
	s_or_b32 exec_lo, exec_lo, s76
                                        ; implicit-def: $vgpr13
.LBB6_9349:                             ;   in Loop: Header=BB6_5830 Depth=4
	s_and_not1_saveexec_b32 s13, s75
; %bb.9350:                             ;   in Loop: Header=BB6_5830 Depth=4
	v_or_b32_e32 v12, 0x7b, v13
; %bb.9351:                             ;   in Loop: Header=BB6_5830 Depth=4
	s_or_b32 exec_lo, exec_lo, s13
                                        ; implicit-def: $vgpr0
                                        ; implicit-def: $vgpr1
.LBB6_9352:                             ;   in Loop: Header=BB6_5830 Depth=4
	s_and_not1_saveexec_b32 s13, s74
	s_cbranch_execz .LBB6_9358
; %bb.9353:                             ;   in Loop: Header=BB6_5830 Depth=4
	s_mov_b32 s74, exec_lo
                                        ; implicit-def: $vgpr12
	v_cmpx_ne_u64_e32 0, v[112:113]
	s_xor_b32 s74, exec_lo, s74
; %bb.9354:                             ;   in Loop: Header=BB6_5830 Depth=4
	v_or_b32_e32 v12, 0x7f, v1
                                        ; implicit-def: $vgpr0
; %bb.9355:                             ;   in Loop: Header=BB6_5830 Depth=4
	s_and_not1_saveexec_b32 s74, s74
; %bb.9356:                             ;   in Loop: Header=BB6_5830 Depth=4
	v_cmp_lt_i32_e32 vcc_lo, -1, v0
	v_mov_b32_e32 v0, 0x7c
	s_delay_alu instid0(VALU_DEP_1)
	v_cndmask_b32_e32 v12, 0xfc, v0, vcc_lo
; %bb.9357:                             ;   in Loop: Header=BB6_5830 Depth=4
	s_or_b32 exec_lo, exec_lo, s74
.LBB6_9358:                             ;   in Loop: Header=BB6_5830 Depth=4
	s_delay_alu instid0(SALU_CYCLE_1) | instskip(SKIP_3) | instid1(VALU_DEP_1)
	s_or_b32 exec_lo, exec_lo, s13
	v_lshl_or_b32 v65, v65, 8, v49
	v_dual_lshlrev_b32 v0, 16, v69 :: v_dual_lshlrev_b32 v1, 24, v80
	s_mov_b32 s74, exec_lo
	v_or3_b32 v112, v0, v1, v65
	v_dual_mov_b32 v0, 0 :: v_dual_mov_b32 v1, 0
	v_cmpx_ne_u32_e32 0, v49
	s_cbranch_execz .LBB6_9368
; %bb.9359:                             ;   in Loop: Header=BB6_5830 Depth=4
	v_bfrev_b32_e32 v1, 1
	s_mov_b32 s75, exec_lo
	v_cmpx_ne_u32_e32 0x80, v49
	s_cbranch_execz .LBB6_9367
; %bb.9360:                             ;   in Loop: Header=BB6_5830 Depth=4
	v_and_b32_e32 v1, 0x7c, v49
	v_and_b32_e32 v2, 3, v49
	s_delay_alu instid0(VALU_DEP_2) | instskip(SKIP_1) | instid1(SALU_CYCLE_1)
	v_cmp_ne_u32_e32 vcc_lo, 0x7c, v1
                                        ; implicit-def: $vgpr1
	s_and_saveexec_b32 s13, vcc_lo
	s_xor_b32 s13, exec_lo, s13
	s_cbranch_execz .LBB6_9364
; %bb.9361:                             ;   in Loop: Header=BB6_5830 Depth=4
	v_bfe_u32 v1, v49, 2, 5
	s_mov_b32 s76, exec_lo
	s_delay_alu instid0(VALU_DEP_1)
	v_cmpx_eq_u32_e32 0, v1
; %bb.9362:                             ;   in Loop: Header=BB6_5830 Depth=4
	v_clz_i32_u32_e32 v1, v2
	s_delay_alu instid0(VALU_DEP_1) | instskip(NEXT) | instid1(VALU_DEP_1)
	v_min_u32_e32 v1, 32, v1
	v_subrev_nc_u32_e32 v2, 29, v1
	s_delay_alu instid0(VALU_DEP_1) | instskip(NEXT) | instid1(VALU_DEP_1)
	v_lshlrev_b64_e32 v[2:3], v2, v[112:113]
	v_dual_sub_nc_u32 v1, 30, v1 :: v_dual_bitop2_b32 v2, 3, v2 bitop3:0x40
; %bb.9363:                             ;   in Loop: Header=BB6_5830 Depth=4
	s_or_b32 exec_lo, exec_lo, s76
	v_lshlrev_b32_e32 v3, 24, v49
                                        ; implicit-def: $vgpr49
	s_delay_alu instid0(VALU_DEP_1) | instskip(NEXT) | instid1(VALU_DEP_1)
	v_and_b32_e32 v3, 0x80000000, v3
	v_lshl_add_u32 v1, v1, 23, v3
	s_delay_alu instid0(VALU_DEP_1) | instskip(NEXT) | instid1(VALU_DEP_1)
	v_lshl_or_b32 v1, v2, 21, v1
                                        ; implicit-def: $vgpr2
	v_add_nc_u32_e32 v1, 0x38000000, v1
.LBB6_9364:                             ;   in Loop: Header=BB6_5830 Depth=4
	s_and_not1_saveexec_b32 s76, s13
; %bb.9365:                             ;   in Loop: Header=BB6_5830 Depth=4
	v_and_b32_e32 v1, 0x80, v49
	v_cmp_eq_u32_e32 vcc_lo, 0, v2
	s_delay_alu instid0(VALU_DEP_2) | instskip(SKIP_1) | instid1(VALU_DEP_1)
	v_cmp_eq_u32_e64 s13, 0, v1
	v_mov_b32_e32 v1, 0x7f800000
	v_cndmask_b32_e64 v1, 0xff800000, v1, s13
	s_delay_alu instid0(VALU_DEP_1)
	v_cndmask_b32_e32 v1, 0x7f800001, v1, vcc_lo
; %bb.9366:                             ;   in Loop: Header=BB6_5830 Depth=4
	s_or_b32 exec_lo, exec_lo, s76
.LBB6_9367:                             ;   in Loop: Header=BB6_5830 Depth=4
	s_delay_alu instid0(SALU_CYCLE_1)
	s_or_b32 exec_lo, exec_lo, s75
.LBB6_9368:                             ;   in Loop: Header=BB6_5830 Depth=4
	s_delay_alu instid0(SALU_CYCLE_1) | instskip(SKIP_2) | instid1(VALU_DEP_1)
	s_or_b32 exec_lo, exec_lo, s74
	v_and_b32_e32 v2, 0xff, v14
	s_mov_b32 s74, exec_lo
	v_cmpx_ne_u16_e32 0, v2
	s_cbranch_execz .LBB6_9378
; %bb.9369:                             ;   in Loop: Header=BB6_5830 Depth=4
	v_bfe_i32 v3, v14, 0, 8
	v_bfrev_b32_e32 v0, 1
	s_mov_b32 s75, exec_lo
	s_delay_alu instid0(VALU_DEP_2)
	v_cmpx_ne_u16_e32 0xff80, v3
	s_cbranch_execz .LBB6_9377
; %bb.9370:                             ;   in Loop: Header=BB6_5830 Depth=4
	v_and_b32_e32 v0, 0x7c, v14
	v_and_b32_e32 v2, 3, v14
	s_delay_alu instid0(VALU_DEP_2) | instskip(SKIP_1) | instid1(SALU_CYCLE_1)
	v_cmp_ne_u32_e32 vcc_lo, 0x7c, v0
                                        ; implicit-def: $vgpr0
	s_and_saveexec_b32 s13, vcc_lo
	s_xor_b32 s13, exec_lo, s13
	s_cbranch_execz .LBB6_9374
; %bb.9371:                             ;   in Loop: Header=BB6_5830 Depth=4
	v_bfe_u32 v0, v14, 2, 5
	s_mov_b32 s76, exec_lo
	s_delay_alu instid0(VALU_DEP_1)
	v_cmpx_eq_u32_e32 0, v0
; %bb.9372:                             ;   in Loop: Header=BB6_5830 Depth=4
	v_clz_i32_u32_e32 v0, v2
	s_delay_alu instid0(VALU_DEP_1) | instskip(NEXT) | instid1(VALU_DEP_1)
	v_min_u32_e32 v0, 32, v0
	v_subrev_nc_u32_e32 v2, 29, v0
	s_delay_alu instid0(VALU_DEP_1) | instskip(NEXT) | instid1(VALU_DEP_1)
	v_lshlrev_b64_e32 v[2:3], v2, v[14:15]
	v_dual_sub_nc_u32 v0, 30, v0 :: v_dual_bitop2_b32 v2, 3, v2 bitop3:0x40
; %bb.9373:                             ;   in Loop: Header=BB6_5830 Depth=4
	s_or_b32 exec_lo, exec_lo, s76
	v_lshlrev_b32_e32 v3, 24, v14
	s_delay_alu instid0(VALU_DEP_1) | instskip(NEXT) | instid1(VALU_DEP_1)
	v_and_b32_e32 v3, 0x80000000, v3
	v_lshl_add_u32 v0, v0, 23, v3
                                        ; implicit-def: $vgpr3
	s_delay_alu instid0(VALU_DEP_1) | instskip(NEXT) | instid1(VALU_DEP_1)
	v_lshl_or_b32 v0, v2, 21, v0
                                        ; implicit-def: $vgpr2
	v_add_nc_u32_e32 v0, 0x38000000, v0
.LBB6_9374:                             ;   in Loop: Header=BB6_5830 Depth=4
	s_and_not1_saveexec_b32 s76, s13
; %bb.9375:                             ;   in Loop: Header=BB6_5830 Depth=4
	v_cmp_lt_i16_e64 s13, -1, v3
	v_mov_b32_e32 v0, 0x7f800000
	v_cmp_eq_u32_e32 vcc_lo, 0, v2
	s_delay_alu instid0(VALU_DEP_2) | instskip(NEXT) | instid1(VALU_DEP_1)
	v_cndmask_b32_e64 v0, 0xff800000, v0, s13
	v_cndmask_b32_e32 v0, 0x7f800001, v0, vcc_lo
; %bb.9376:                             ;   in Loop: Header=BB6_5830 Depth=4
	s_or_b32 exec_lo, exec_lo, s76
.LBB6_9377:                             ;   in Loop: Header=BB6_5830 Depth=4
	s_delay_alu instid0(SALU_CYCLE_1)
	s_or_b32 exec_lo, exec_lo, s75
.LBB6_9378:                             ;   in Loop: Header=BB6_5830 Depth=4
	s_delay_alu instid0(SALU_CYCLE_1) | instskip(NEXT) | instid1(VALU_DEP_1)
	s_or_b32 exec_lo, exec_lo, s74
	v_add_f32_e32 v2, v1, v0
	v_dual_mov_b32 v47, v113 :: v_dual_mov_b32 v1, v113
                                        ; implicit-def: $vgpr13
	s_mov_b32 s13, exec_lo
	s_delay_alu instid0(VALU_DEP_2) | instskip(SKIP_2) | instid1(VALU_DEP_3)
	v_and_b32_e32 v46, 0x7f800000, v2
	v_and_b32_e32 v0, 0x7fffff, v2
	v_lshrrev_b32_e32 v3, 24, v2
	v_cmpx_ne_u64_e32 0x7f800000, v[46:47]
	s_xor_b32 s74, exec_lo, s13
	s_cbranch_execz .LBB6_9392
; %bb.9379:                             ;   in Loop: Header=BB6_5830 Depth=4
	v_and_b32_e32 v46, 0x7fffffff, v2
	v_mov_b32_e32 v47, v113
	v_and_b32_e32 v49, 0x80, v3
                                        ; implicit-def: $vgpr13
	s_mov_b32 s13, exec_lo
	s_delay_alu instid0(VALU_DEP_2)
	v_cmpx_gt_u64_e32 0x47600001, v[46:47]
	s_xor_b32 s75, exec_lo, s13
	s_cbranch_execz .LBB6_9389
; %bb.9380:                             ;   in Loop: Header=BB6_5830 Depth=4
	v_mov_b32_e32 v13, 0
	s_mov_b32 s76, exec_lo
	v_cmpx_ne_u32_e32 0, v2
	s_cbranch_execz .LBB6_9388
; %bb.9381:                             ;   in Loop: Header=BB6_5830 Depth=4
	v_bfe_u32 v13, v2, 23, 8
	v_or_b32_e32 v3, 0x800000, v0
	s_delay_alu instid0(VALU_DEP_2) | instskip(SKIP_2) | instid1(VALU_DEP_2)
	v_cmp_gt_u32_e64 s13, 0x72, v13
	v_sub_nc_u32_e32 v2, 0x71, v13
	v_cmp_eq_u32_e32 vcc_lo, 0, v13
	v_dual_cndmask_b32 v2, 0, v2, s13 :: v_dual_cndmask_b32 v0, v3, v0, vcc_lo
	s_delay_alu instid0(VALU_DEP_1) | instskip(NEXT) | instid1(VALU_DEP_1)
	v_cndmask_b32_e64 v69, v2, 0x70, vcc_lo
	v_dual_add_nc_u32 v2, 21, v69 :: v_dual_add_nc_u32 v80, 20, v69
	s_delay_alu instid0(VALU_DEP_1) | instskip(NEXT) | instid1(VALU_DEP_2)
	v_lshlrev_b64_e64 v[2:3], v2, -1
	v_lshlrev_b64_e64 v[46:47], v80, 1
	s_delay_alu instid0(VALU_DEP_2) | instskip(SKIP_1) | instid1(VALU_DEP_4)
	v_bfi_b32 v2, v2, 0, v0
	v_lshrrev_b64 v[0:1], v69, v[0:1]
	v_bfi_b32 v3, v3, 0, 0
	s_delay_alu instid0(VALU_DEP_1) | instskip(NEXT) | instid1(VALU_DEP_3)
	v_cmp_eq_u64_e64 s13, v[2:3], v[46:47]
	v_mov_b64_e32 v[2:3], v[0:1]
	s_and_saveexec_b32 s77, s13
; %bb.9382:                             ;   in Loop: Header=BB6_5830 Depth=4
	v_bfe_u32 v2, v0, 21, 1
	v_mov_b32_e32 v3, v113
	s_delay_alu instid0(VALU_DEP_1) | instskip(NEXT) | instid1(VALU_DEP_1)
	v_add_nc_u64_e32 v[2:3], v[0:1], v[2:3]
	v_add_nc_u64_e32 v[2:3], -1, v[2:3]
; %bb.9383:                             ;   in Loop: Header=BB6_5830 Depth=4
	s_or_b32 exec_lo, exec_lo, s77
	v_add_nc_u32_e32 v1, 0xffffff81, v13
	v_lshrrev_b32_e32 v3, 23, v0
	s_mov_b32 s13, exec_lo
	s_delay_alu instid0(VALU_DEP_2) | instskip(NEXT) | instid1(VALU_DEP_1)
	v_cndmask_b32_e64 v1, v1, 0xffffff82, vcc_lo
	v_add3_u32 v13, v69, v1, v3
	v_and_b32_e32 v1, 0x1fffff, v2
                                        ; implicit-def: $vgpr2
	s_delay_alu instid0(VALU_DEP_1) | instskip(SKIP_1) | instid1(VALU_DEP_2)
	v_dual_add_nc_u32 v3, 14, v13 :: v_dual_add_nc_u32 v0, v1, v0
	v_mov_b32_e32 v1, v113
	v_cmpx_ne_u32_e32 0, v3
	s_xor_b32 s13, exec_lo, s13
; %bb.9384:                             ;   in Loop: Header=BB6_5830 Depth=4
	s_delay_alu instid0(VALU_DEP_2) | instskip(SKIP_1) | instid1(VALU_DEP_1)
	v_cmp_lt_u64_e32 vcc_lo, 0xffffff, v[0:1]
	v_add_nc_u32_e32 v2, 15, v13
	v_cndmask_b32_e32 v2, v3, v2, vcc_lo
	v_cndmask_b32_e64 v3, 0, 1, vcc_lo
	s_delay_alu instid0(VALU_DEP_1)
	v_lshrrev_b64 v[0:1], v3, v[0:1]
; %bb.9385:                             ;   in Loop: Header=BB6_5830 Depth=4
	s_and_not1_saveexec_b32 s13, s13
; %bb.9386:                             ;   in Loop: Header=BB6_5830 Depth=4
	s_delay_alu instid0(VALU_DEP_1)
	v_bfe_u32 v2, v0, 23, 1
; %bb.9387:                             ;   in Loop: Header=BB6_5830 Depth=4
	s_or_b32 exec_lo, exec_lo, s13
	s_delay_alu instid0(VALU_DEP_2) | instskip(NEXT) | instid1(VALU_DEP_2)
	v_lshrrev_b64 v[0:1], 21, v[0:1]
	v_cmp_gt_i32_e32 vcc_lo, 32, v2
	v_min_i32_e32 v3, 31, v2
	v_cmp_eq_u32_e64 s13, 0, v2
	s_delay_alu instid0(VALU_DEP_2) | instskip(SKIP_1) | instid1(VALU_DEP_2)
	v_dual_cndmask_b32 v1, 0, v1, vcc_lo :: v_dual_lshlrev_b32 v3, 2, v3
	v_cndmask_b32_e32 v0, 3, v0, vcc_lo
	v_and_b32_e32 v3, 0xfc, v3
	s_delay_alu instid0(VALU_DEP_2) | instskip(NEXT) | instid1(VALU_DEP_2)
	v_cmp_eq_u64_e32 vcc_lo, 0, v[0:1]
	v_and_or_b32 v0, v0, 3, v3
	s_and_b32 s13, s13, vcc_lo
	s_delay_alu instid0(VALU_DEP_1) | instid1(SALU_CYCLE_1)
	v_cndmask_b32_e64 v0, v0, 0, s13
	s_delay_alu instid0(VALU_DEP_1)
	v_or_b32_e32 v13, v0, v49
.LBB6_9388:                             ;   in Loop: Header=BB6_5830 Depth=4
	s_or_b32 exec_lo, exec_lo, s76
                                        ; implicit-def: $vgpr49
.LBB6_9389:                             ;   in Loop: Header=BB6_5830 Depth=4
	s_and_not1_saveexec_b32 s13, s75
; %bb.9390:                             ;   in Loop: Header=BB6_5830 Depth=4
	v_or_b32_e32 v13, 0x7b, v49
; %bb.9391:                             ;   in Loop: Header=BB6_5830 Depth=4
	s_or_b32 exec_lo, exec_lo, s13
                                        ; implicit-def: $vgpr2
                                        ; implicit-def: $vgpr0_vgpr1
                                        ; implicit-def: $vgpr3
.LBB6_9392:                             ;   in Loop: Header=BB6_5830 Depth=4
	s_and_not1_saveexec_b32 s13, s74
	s_cbranch_execz .LBB6_9398
; %bb.9393:                             ;   in Loop: Header=BB6_5830 Depth=4
	s_mov_b32 s74, exec_lo
                                        ; implicit-def: $vgpr13
	v_cmpx_ne_u64_e32 0, v[0:1]
	s_xor_b32 s74, exec_lo, s74
; %bb.9394:                             ;   in Loop: Header=BB6_5830 Depth=4
	v_or_b32_e32 v13, 0x7f, v3
                                        ; implicit-def: $vgpr2
; %bb.9395:                             ;   in Loop: Header=BB6_5830 Depth=4
	s_and_not1_saveexec_b32 s74, s74
; %bb.9396:                             ;   in Loop: Header=BB6_5830 Depth=4
	v_cmp_lt_i32_e32 vcc_lo, -1, v2
	v_mov_b32_e32 v0, 0x7c
	s_delay_alu instid0(VALU_DEP_1)
	v_cndmask_b32_e32 v13, 0xfc, v0, vcc_lo
; %bb.9397:                             ;   in Loop: Header=BB6_5830 Depth=4
	s_or_b32 exec_lo, exec_lo, s74
.LBB6_9398:                             ;   in Loop: Header=BB6_5830 Depth=4
	s_delay_alu instid0(SALU_CYCLE_1) | instskip(SKIP_3) | instid1(VALU_DEP_2)
	s_or_b32 exec_lo, exec_lo, s13
	v_lshrrev_b16 v0, 8, v65
	v_dual_mov_b32 v2, 0 :: v_dual_mov_b32 v3, 0
	s_mov_b32 s74, exec_lo
	v_cmpx_ne_u16_e32 0, v0
	s_cbranch_execz .LBB6_9408
; %bb.9399:                             ;   in Loop: Header=BB6_5830 Depth=4
	v_bfrev_b32_e32 v3, 1
	s_mov_b32 s75, exec_lo
	v_cmpx_ne_u16_e32 0x80, v0
	s_cbranch_execz .LBB6_9407
; %bb.9400:                             ;   in Loop: Header=BB6_5830 Depth=4
	v_and_b32_e32 v49, 0xffff, v0
	s_delay_alu instid0(VALU_DEP_1) | instskip(SKIP_1) | instid1(VALU_DEP_2)
	v_and_b32_e32 v3, 0x7c, v49
	v_and_b32_e32 v1, 3, v49
	v_cmp_ne_u32_e32 vcc_lo, 0x7c, v3
                                        ; implicit-def: $vgpr3
	s_and_saveexec_b32 s13, vcc_lo
	s_delay_alu instid0(SALU_CYCLE_1)
	s_xor_b32 s13, exec_lo, s13
	s_cbranch_execz .LBB6_9404
; %bb.9401:                             ;   in Loop: Header=BB6_5830 Depth=4
	v_bfe_u32 v3, v49, 2, 5
	s_mov_b32 s76, exec_lo
	s_delay_alu instid0(VALU_DEP_1)
	v_cmpx_eq_u32_e32 0, v3
	s_cbranch_execz .LBB6_9403
; %bb.9402:                             ;   in Loop: Header=BB6_5830 Depth=4
	v_clz_i32_u32_e32 v1, v1
	s_delay_alu instid0(VALU_DEP_1) | instskip(SKIP_1) | instid1(VALU_DEP_2)
	v_min_u32_e32 v3, 32, v1
	v_mov_b32_e32 v1, v113
	v_subrev_nc_u32_e32 v49, 29, v3
	v_sub_nc_u32_e32 v3, 30, v3
	s_delay_alu instid0(VALU_DEP_2) | instskip(NEXT) | instid1(VALU_DEP_1)
	v_lshlrev_b64_e32 v[0:1], v49, v[0:1]
	v_and_b32_e32 v1, 3, v0
.LBB6_9403:                             ;   in Loop: Header=BB6_5830 Depth=4
	s_or_b32 exec_lo, exec_lo, s76
	v_lshlrev_b32_e32 v0, 16, v65
                                        ; implicit-def: $vgpr65
	s_delay_alu instid0(VALU_DEP_1) | instskip(NEXT) | instid1(VALU_DEP_1)
	v_and_b32_e32 v0, 0x80000000, v0
	v_lshl_add_u32 v0, v3, 23, v0
	s_delay_alu instid0(VALU_DEP_1) | instskip(NEXT) | instid1(VALU_DEP_1)
	v_lshl_or_b32 v0, v1, 21, v0
                                        ; implicit-def: $vgpr1
	v_add_nc_u32_e32 v3, 0x38000000, v0
.LBB6_9404:                             ;   in Loop: Header=BB6_5830 Depth=4
	s_and_not1_saveexec_b32 s76, s13
; %bb.9405:                             ;   in Loop: Header=BB6_5830 Depth=4
	v_cmp_lt_i16_e64 s13, -1, v65
	v_mov_b32_e32 v0, 0x7f800000
	v_cmp_eq_u32_e32 vcc_lo, 0, v1
	s_delay_alu instid0(VALU_DEP_2) | instskip(NEXT) | instid1(VALU_DEP_1)
	v_cndmask_b32_e64 v0, 0xff800000, v0, s13
	v_cndmask_b32_e32 v3, 0x7f800001, v0, vcc_lo
; %bb.9406:                             ;   in Loop: Header=BB6_5830 Depth=4
	s_or_b32 exec_lo, exec_lo, s76
.LBB6_9407:                             ;   in Loop: Header=BB6_5830 Depth=4
	s_delay_alu instid0(SALU_CYCLE_1)
	s_or_b32 exec_lo, exec_lo, s75
.LBB6_9408:                             ;   in Loop: Header=BB6_5830 Depth=4
	s_delay_alu instid0(SALU_CYCLE_1) | instskip(SKIP_2) | instid1(VALU_DEP_1)
	s_or_b32 exec_lo, exec_lo, s74
	v_lshrrev_b16 v0, 8, v14
	s_mov_b32 s74, exec_lo
	v_cmpx_ne_u16_e32 0, v0
	s_cbranch_execz .LBB6_9418
; %bb.9409:                             ;   in Loop: Header=BB6_5830 Depth=4
	v_bfrev_b32_e32 v2, 1
	s_mov_b32 s75, exec_lo
	v_cmpx_ne_u16_e32 0x80, v0
	s_cbranch_execz .LBB6_9417
; %bb.9410:                             ;   in Loop: Header=BB6_5830 Depth=4
	v_and_b32_e32 v49, 0xffff, v0
	s_delay_alu instid0(VALU_DEP_1) | instskip(SKIP_1) | instid1(VALU_DEP_2)
	v_and_b32_e32 v2, 0x7c, v49
	v_and_b32_e32 v1, 3, v49
	v_cmp_ne_u32_e32 vcc_lo, 0x7c, v2
                                        ; implicit-def: $vgpr2
	s_and_saveexec_b32 s13, vcc_lo
	s_delay_alu instid0(SALU_CYCLE_1)
	s_xor_b32 s13, exec_lo, s13
	s_cbranch_execz .LBB6_9414
; %bb.9411:                             ;   in Loop: Header=BB6_5830 Depth=4
	v_bfe_u32 v2, v49, 2, 5
	s_mov_b32 s76, exec_lo
	s_delay_alu instid0(VALU_DEP_1)
	v_cmpx_eq_u32_e32 0, v2
	s_cbranch_execz .LBB6_9413
; %bb.9412:                             ;   in Loop: Header=BB6_5830 Depth=4
	v_clz_i32_u32_e32 v1, v1
	s_delay_alu instid0(VALU_DEP_1) | instskip(SKIP_1) | instid1(VALU_DEP_2)
	v_min_u32_e32 v2, 32, v1
	v_mov_b32_e32 v1, v113
	v_subrev_nc_u32_e32 v49, 29, v2
	v_sub_nc_u32_e32 v2, 30, v2
	s_delay_alu instid0(VALU_DEP_2) | instskip(NEXT) | instid1(VALU_DEP_1)
	v_lshlrev_b64_e32 v[0:1], v49, v[0:1]
	v_and_b32_e32 v1, 3, v0
.LBB6_9413:                             ;   in Loop: Header=BB6_5830 Depth=4
	s_or_b32 exec_lo, exec_lo, s76
	v_lshlrev_b32_e32 v0, 16, v14
	s_delay_alu instid0(VALU_DEP_1) | instskip(NEXT) | instid1(VALU_DEP_1)
	v_and_b32_e32 v0, 0x80000000, v0
	v_lshl_add_u32 v0, v2, 23, v0
	s_delay_alu instid0(VALU_DEP_1) | instskip(NEXT) | instid1(VALU_DEP_1)
	v_lshl_or_b32 v0, v1, 21, v0
                                        ; implicit-def: $vgpr1
	v_add_nc_u32_e32 v2, 0x38000000, v0
.LBB6_9414:                             ;   in Loop: Header=BB6_5830 Depth=4
	s_and_not1_saveexec_b32 s76, s13
; %bb.9415:                             ;   in Loop: Header=BB6_5830 Depth=4
	v_cmp_lt_i16_e64 s13, -1, v14
	v_mov_b32_e32 v0, 0x7f800000
	v_cmp_eq_u32_e32 vcc_lo, 0, v1
	s_delay_alu instid0(VALU_DEP_2) | instskip(NEXT) | instid1(VALU_DEP_1)
	v_cndmask_b32_e64 v0, 0xff800000, v0, s13
	v_cndmask_b32_e32 v2, 0x7f800001, v0, vcc_lo
; %bb.9416:                             ;   in Loop: Header=BB6_5830 Depth=4
	s_or_b32 exec_lo, exec_lo, s76
.LBB6_9417:                             ;   in Loop: Header=BB6_5830 Depth=4
	s_delay_alu instid0(SALU_CYCLE_1)
	s_or_b32 exec_lo, exec_lo, s75
.LBB6_9418:                             ;   in Loop: Header=BB6_5830 Depth=4
	s_delay_alu instid0(SALU_CYCLE_1) | instskip(NEXT) | instid1(VALU_DEP_1)
	s_or_b32 exec_lo, exec_lo, s74
	v_dual_add_f32 v2, v3, v2 :: v_dual_mov_b32 v47, v113
	v_mov_b32_e32 v1, v113
                                        ; implicit-def: $vgpr49
	s_mov_b32 s13, exec_lo
	s_delay_alu instid0(VALU_DEP_2) | instskip(SKIP_2) | instid1(VALU_DEP_3)
	v_and_b32_e32 v46, 0x7f800000, v2
	v_and_b32_e32 v0, 0x7fffff, v2
	v_lshrrev_b32_e32 v3, 24, v2
	v_cmpx_ne_u64_e32 0x7f800000, v[46:47]
	s_xor_b32 s74, exec_lo, s13
	s_cbranch_execz .LBB6_9432
; %bb.9419:                             ;   in Loop: Header=BB6_5830 Depth=4
	v_and_b32_e32 v46, 0x7fffffff, v2
	v_mov_b32_e32 v47, v113
	v_and_b32_e32 v65, 0x80, v3
                                        ; implicit-def: $vgpr49
	s_mov_b32 s13, exec_lo
	s_delay_alu instid0(VALU_DEP_2)
	v_cmpx_gt_u64_e32 0x47600001, v[46:47]
	s_xor_b32 s75, exec_lo, s13
	s_cbranch_execz .LBB6_9429
; %bb.9420:                             ;   in Loop: Header=BB6_5830 Depth=4
	v_mov_b32_e32 v49, 0
	s_mov_b32 s76, exec_lo
	v_cmpx_ne_u32_e32 0, v2
	s_cbranch_execz .LBB6_9428
; %bb.9421:                             ;   in Loop: Header=BB6_5830 Depth=4
	v_bfe_u32 v49, v2, 23, 8
	v_or_b32_e32 v3, 0x800000, v0
	s_delay_alu instid0(VALU_DEP_2) | instskip(SKIP_2) | instid1(VALU_DEP_2)
	v_cmp_gt_u32_e64 s13, 0x72, v49
	v_sub_nc_u32_e32 v2, 0x71, v49
	v_cmp_eq_u32_e32 vcc_lo, 0, v49
	v_dual_cndmask_b32 v2, 0, v2, s13 :: v_dual_cndmask_b32 v0, v3, v0, vcc_lo
	s_delay_alu instid0(VALU_DEP_1) | instskip(NEXT) | instid1(VALU_DEP_1)
	v_cndmask_b32_e64 v69, v2, 0x70, vcc_lo
	v_dual_add_nc_u32 v2, 21, v69 :: v_dual_add_nc_u32 v80, 20, v69
	s_delay_alu instid0(VALU_DEP_1) | instskip(NEXT) | instid1(VALU_DEP_2)
	v_lshlrev_b64_e64 v[2:3], v2, -1
	v_lshlrev_b64_e64 v[46:47], v80, 1
	s_delay_alu instid0(VALU_DEP_2) | instskip(SKIP_1) | instid1(VALU_DEP_4)
	v_bfi_b32 v2, v2, 0, v0
	v_lshrrev_b64 v[0:1], v69, v[0:1]
	v_bfi_b32 v3, v3, 0, 0
	s_delay_alu instid0(VALU_DEP_1) | instskip(NEXT) | instid1(VALU_DEP_3)
	v_cmp_eq_u64_e64 s13, v[2:3], v[46:47]
	v_mov_b64_e32 v[2:3], v[0:1]
	s_and_saveexec_b32 s77, s13
; %bb.9422:                             ;   in Loop: Header=BB6_5830 Depth=4
	v_bfe_u32 v2, v0, 21, 1
	v_mov_b32_e32 v3, v113
	s_delay_alu instid0(VALU_DEP_1) | instskip(NEXT) | instid1(VALU_DEP_1)
	v_add_nc_u64_e32 v[2:3], v[0:1], v[2:3]
	v_add_nc_u64_e32 v[2:3], -1, v[2:3]
; %bb.9423:                             ;   in Loop: Header=BB6_5830 Depth=4
	s_or_b32 exec_lo, exec_lo, s77
	v_add_nc_u32_e32 v1, 0xffffff81, v49
	v_lshrrev_b32_e32 v3, 23, v0
	s_mov_b32 s13, exec_lo
	s_delay_alu instid0(VALU_DEP_2) | instskip(NEXT) | instid1(VALU_DEP_1)
	v_cndmask_b32_e64 v1, v1, 0xffffff82, vcc_lo
	v_add3_u32 v49, v69, v1, v3
	v_and_b32_e32 v1, 0x1fffff, v2
                                        ; implicit-def: $vgpr2
	s_delay_alu instid0(VALU_DEP_1) | instskip(SKIP_1) | instid1(VALU_DEP_2)
	v_dual_add_nc_u32 v3, 14, v49 :: v_dual_add_nc_u32 v0, v1, v0
	v_mov_b32_e32 v1, v113
	v_cmpx_ne_u32_e32 0, v3
	s_xor_b32 s13, exec_lo, s13
; %bb.9424:                             ;   in Loop: Header=BB6_5830 Depth=4
	s_delay_alu instid0(VALU_DEP_2) | instskip(SKIP_1) | instid1(VALU_DEP_1)
	v_cmp_lt_u64_e32 vcc_lo, 0xffffff, v[0:1]
	v_add_nc_u32_e32 v2, 15, v49
	v_cndmask_b32_e32 v2, v3, v2, vcc_lo
	v_cndmask_b32_e64 v3, 0, 1, vcc_lo
	s_delay_alu instid0(VALU_DEP_1)
	v_lshrrev_b64 v[0:1], v3, v[0:1]
; %bb.9425:                             ;   in Loop: Header=BB6_5830 Depth=4
	s_and_not1_saveexec_b32 s13, s13
; %bb.9426:                             ;   in Loop: Header=BB6_5830 Depth=4
	s_delay_alu instid0(VALU_DEP_1)
	v_bfe_u32 v2, v0, 23, 1
; %bb.9427:                             ;   in Loop: Header=BB6_5830 Depth=4
	s_or_b32 exec_lo, exec_lo, s13
	s_delay_alu instid0(VALU_DEP_2) | instskip(NEXT) | instid1(VALU_DEP_2)
	v_lshrrev_b64 v[0:1], 21, v[0:1]
	v_cmp_gt_i32_e32 vcc_lo, 32, v2
	v_min_i32_e32 v3, 31, v2
	v_cmp_eq_u32_e64 s13, 0, v2
	s_delay_alu instid0(VALU_DEP_2) | instskip(SKIP_1) | instid1(VALU_DEP_2)
	v_dual_cndmask_b32 v1, 0, v1, vcc_lo :: v_dual_lshlrev_b32 v3, 2, v3
	v_cndmask_b32_e32 v0, 3, v0, vcc_lo
	v_and_b32_e32 v3, 0xfc, v3
	s_delay_alu instid0(VALU_DEP_2) | instskip(NEXT) | instid1(VALU_DEP_2)
	v_cmp_eq_u64_e32 vcc_lo, 0, v[0:1]
	v_and_or_b32 v0, v0, 3, v3
	s_and_b32 s13, s13, vcc_lo
	s_delay_alu instid0(VALU_DEP_1) | instid1(SALU_CYCLE_1)
	v_cndmask_b32_e64 v0, v0, 0, s13
	s_delay_alu instid0(VALU_DEP_1)
	v_or_b32_e32 v49, v0, v65
.LBB6_9428:                             ;   in Loop: Header=BB6_5830 Depth=4
	s_or_b32 exec_lo, exec_lo, s76
                                        ; implicit-def: $vgpr65
.LBB6_9429:                             ;   in Loop: Header=BB6_5830 Depth=4
	s_and_not1_saveexec_b32 s13, s75
; %bb.9430:                             ;   in Loop: Header=BB6_5830 Depth=4
	v_or_b32_e32 v49, 0x7b, v65
; %bb.9431:                             ;   in Loop: Header=BB6_5830 Depth=4
	s_or_b32 exec_lo, exec_lo, s13
                                        ; implicit-def: $vgpr2
                                        ; implicit-def: $vgpr0_vgpr1
                                        ; implicit-def: $vgpr3
.LBB6_9432:                             ;   in Loop: Header=BB6_5830 Depth=4
	s_and_not1_saveexec_b32 s13, s74
	s_cbranch_execz .LBB6_9438
; %bb.9433:                             ;   in Loop: Header=BB6_5830 Depth=4
	s_mov_b32 s74, exec_lo
                                        ; implicit-def: $vgpr49
	v_cmpx_ne_u64_e32 0, v[0:1]
	s_xor_b32 s74, exec_lo, s74
; %bb.9434:                             ;   in Loop: Header=BB6_5830 Depth=4
	v_or_b32_e32 v49, 0x7f, v3
                                        ; implicit-def: $vgpr2
; %bb.9435:                             ;   in Loop: Header=BB6_5830 Depth=4
	s_and_not1_saveexec_b32 s74, s74
; %bb.9436:                             ;   in Loop: Header=BB6_5830 Depth=4
	v_cmp_lt_i32_e32 vcc_lo, -1, v2
	v_mov_b32_e32 v0, 0x7c
	s_delay_alu instid0(VALU_DEP_1)
	v_cndmask_b32_e32 v49, 0xfc, v0, vcc_lo
; %bb.9437:                             ;   in Loop: Header=BB6_5830 Depth=4
	s_or_b32 exec_lo, exec_lo, s74
.LBB6_9438:                             ;   in Loop: Header=BB6_5830 Depth=4
	s_delay_alu instid0(SALU_CYCLE_1) | instskip(SKIP_3) | instid1(VALU_DEP_2)
	s_or_b32 exec_lo, exec_lo, s13
	v_dual_mov_b32 v1, 0 :: v_dual_lshrrev_b32 v0, 16, v112
	v_mov_b32_e32 v2, 0
	s_mov_b32 s74, exec_lo
	v_and_b32_e32 v3, 0xff, v0
	s_delay_alu instid0(VALU_DEP_1)
	v_cmpx_ne_u16_e32 0, v3
	s_cbranch_execz .LBB6_9448
; %bb.9439:                             ;   in Loop: Header=BB6_5830 Depth=4
	v_bfrev_b32_e32 v2, 1
	s_mov_b32 s75, exec_lo
	v_cmpx_ne_u16_e32 0x80, v3
	s_cbranch_execz .LBB6_9447
; %bb.9440:                             ;   in Loop: Header=BB6_5830 Depth=4
	v_and_b32_e32 v2, 0x7c0000, v112
	v_bfe_u32 v3, v112, 16, 2
	s_delay_alu instid0(VALU_DEP_2) | instskip(SKIP_1) | instid1(SALU_CYCLE_1)
	v_cmp_ne_u32_e32 vcc_lo, 0x7c0000, v2
                                        ; implicit-def: $vgpr2
	s_and_saveexec_b32 s13, vcc_lo
	s_xor_b32 s13, exec_lo, s13
	s_cbranch_execz .LBB6_9444
; %bb.9441:                             ;   in Loop: Header=BB6_5830 Depth=4
	v_bfe_u32 v2, v112, 18, 5
	s_mov_b32 s76, exec_lo
	s_delay_alu instid0(VALU_DEP_1)
	v_cmpx_eq_u32_e32 0, v2
; %bb.9442:                             ;   in Loop: Header=BB6_5830 Depth=4
	v_clz_i32_u32_e32 v2, v3
	s_delay_alu instid0(VALU_DEP_1) | instskip(NEXT) | instid1(VALU_DEP_1)
	v_min_u32_e32 v2, 32, v2
	v_subrev_nc_u32_e32 v3, 29, v2
	v_sub_nc_u32_e32 v2, 30, v2
	s_delay_alu instid0(VALU_DEP_2) | instskip(NEXT) | instid1(VALU_DEP_1)
	v_lshlrev_b64_e32 v[46:47], v3, v[0:1]
	v_and_b32_e32 v3, 3, v46
; %bb.9443:                             ;   in Loop: Header=BB6_5830 Depth=4
	s_or_b32 exec_lo, exec_lo, s76
	v_lshlrev_b32_e32 v0, 24, v0
	s_delay_alu instid0(VALU_DEP_1) | instskip(NEXT) | instid1(VALU_DEP_1)
	v_and_b32_e32 v0, 0x80000000, v0
	v_lshl_add_u32 v0, v2, 23, v0
	s_delay_alu instid0(VALU_DEP_1) | instskip(NEXT) | instid1(VALU_DEP_1)
	v_lshl_or_b32 v0, v3, 21, v0
                                        ; implicit-def: $vgpr3
	v_add_nc_u32_e32 v2, 0x38000000, v0
                                        ; implicit-def: $vgpr0
.LBB6_9444:                             ;   in Loop: Header=BB6_5830 Depth=4
	s_and_not1_saveexec_b32 s76, s13
; %bb.9445:                             ;   in Loop: Header=BB6_5830 Depth=4
	v_bfe_i32 v0, v0, 0, 8
	v_cmp_eq_u32_e32 vcc_lo, 0, v3
	s_delay_alu instid0(VALU_DEP_2) | instskip(SKIP_1) | instid1(VALU_DEP_1)
	v_cmp_lt_i16_e64 s13, -1, v0
	v_mov_b32_e32 v0, 0x7f800000
	v_cndmask_b32_e64 v0, 0xff800000, v0, s13
	s_delay_alu instid0(VALU_DEP_1)
	v_cndmask_b32_e32 v2, 0x7f800001, v0, vcc_lo
; %bb.9446:                             ;   in Loop: Header=BB6_5830 Depth=4
	s_or_b32 exec_lo, exec_lo, s76
.LBB6_9447:                             ;   in Loop: Header=BB6_5830 Depth=4
	s_delay_alu instid0(SALU_CYCLE_1)
	s_or_b32 exec_lo, exec_lo, s75
.LBB6_9448:                             ;   in Loop: Header=BB6_5830 Depth=4
	s_delay_alu instid0(SALU_CYCLE_1) | instskip(SKIP_2) | instid1(VALU_DEP_1)
	s_or_b32 exec_lo, exec_lo, s74
	v_lshrrev_b32_e32 v0, 16, v14
	s_mov_b32 s74, exec_lo
	v_and_b32_e32 v3, 0xff, v0
	s_delay_alu instid0(VALU_DEP_1)
	v_cmpx_ne_u16_e32 0, v3
	s_cbranch_execz .LBB6_9458
; %bb.9449:                             ;   in Loop: Header=BB6_5830 Depth=4
	v_bfrev_b32_e32 v1, 1
	s_mov_b32 s75, exec_lo
	v_cmpx_ne_u16_e32 0x80, v3
	s_cbranch_execz .LBB6_9457
; %bb.9450:                             ;   in Loop: Header=BB6_5830 Depth=4
	v_and_b32_e32 v1, 0x7c0000, v14
	v_bfe_u32 v3, v14, 16, 2
	s_delay_alu instid0(VALU_DEP_2) | instskip(SKIP_1) | instid1(SALU_CYCLE_1)
	v_cmp_ne_u32_e32 vcc_lo, 0x7c0000, v1
                                        ; implicit-def: $vgpr1
	s_and_saveexec_b32 s13, vcc_lo
	s_xor_b32 s13, exec_lo, s13
	s_cbranch_execz .LBB6_9454
; %bb.9451:                             ;   in Loop: Header=BB6_5830 Depth=4
	v_bfe_u32 v1, v14, 18, 5
	s_mov_b32 s76, exec_lo
	s_delay_alu instid0(VALU_DEP_1)
	v_cmpx_eq_u32_e32 0, v1
; %bb.9452:                             ;   in Loop: Header=BB6_5830 Depth=4
	v_clz_i32_u32_e32 v1, v3
	s_delay_alu instid0(VALU_DEP_1) | instskip(NEXT) | instid1(VALU_DEP_1)
	v_min_u32_e32 v1, 32, v1
	v_subrev_nc_u32_e32 v3, 29, v1
	s_delay_alu instid0(VALU_DEP_1) | instskip(NEXT) | instid1(VALU_DEP_1)
	v_lshlrev_b64_e32 v[46:47], v3, v[0:1]
	v_dual_sub_nc_u32 v1, 30, v1 :: v_dual_bitop2_b32 v3, 3, v46 bitop3:0x40
; %bb.9453:                             ;   in Loop: Header=BB6_5830 Depth=4
	s_or_b32 exec_lo, exec_lo, s76
	v_lshlrev_b32_e32 v0, 24, v0
	s_delay_alu instid0(VALU_DEP_1) | instskip(NEXT) | instid1(VALU_DEP_1)
	v_and_b32_e32 v0, 0x80000000, v0
	v_lshl_add_u32 v0, v1, 23, v0
	s_delay_alu instid0(VALU_DEP_1) | instskip(NEXT) | instid1(VALU_DEP_1)
	v_lshl_or_b32 v0, v3, 21, v0
                                        ; implicit-def: $vgpr3
	v_add_nc_u32_e32 v1, 0x38000000, v0
                                        ; implicit-def: $vgpr0
.LBB6_9454:                             ;   in Loop: Header=BB6_5830 Depth=4
	s_and_not1_saveexec_b32 s76, s13
; %bb.9455:                             ;   in Loop: Header=BB6_5830 Depth=4
	v_bfe_i32 v0, v0, 0, 8
	v_cmp_eq_u32_e32 vcc_lo, 0, v3
	s_delay_alu instid0(VALU_DEP_2) | instskip(SKIP_1) | instid1(VALU_DEP_1)
	v_cmp_lt_i16_e64 s13, -1, v0
	v_mov_b32_e32 v0, 0x7f800000
	v_cndmask_b32_e64 v0, 0xff800000, v0, s13
	s_delay_alu instid0(VALU_DEP_1)
	v_cndmask_b32_e32 v1, 0x7f800001, v0, vcc_lo
; %bb.9456:                             ;   in Loop: Header=BB6_5830 Depth=4
	s_or_b32 exec_lo, exec_lo, s76
.LBB6_9457:                             ;   in Loop: Header=BB6_5830 Depth=4
	s_delay_alu instid0(SALU_CYCLE_1)
	s_or_b32 exec_lo, exec_lo, s75
.LBB6_9458:                             ;   in Loop: Header=BB6_5830 Depth=4
	s_delay_alu instid0(SALU_CYCLE_1) | instskip(NEXT) | instid1(VALU_DEP_1)
	s_or_b32 exec_lo, exec_lo, s74
	v_dual_add_f32 v2, v2, v1 :: v_dual_mov_b32 v47, v113
	v_mov_b32_e32 v1, v113
                                        ; implicit-def: $vgpr65
	s_mov_b32 s13, exec_lo
	s_delay_alu instid0(VALU_DEP_2) | instskip(SKIP_2) | instid1(VALU_DEP_3)
	v_and_b32_e32 v46, 0x7f800000, v2
	v_and_b32_e32 v0, 0x7fffff, v2
	v_lshrrev_b32_e32 v3, 24, v2
	v_cmpx_ne_u64_e32 0x7f800000, v[46:47]
	s_xor_b32 s74, exec_lo, s13
	s_cbranch_execz .LBB6_9472
; %bb.9459:                             ;   in Loop: Header=BB6_5830 Depth=4
	v_and_b32_e32 v46, 0x7fffffff, v2
	v_mov_b32_e32 v47, v113
	v_and_b32_e32 v69, 0x80, v3
                                        ; implicit-def: $vgpr65
	s_mov_b32 s13, exec_lo
	s_delay_alu instid0(VALU_DEP_2)
	v_cmpx_gt_u64_e32 0x47600001, v[46:47]
	s_xor_b32 s75, exec_lo, s13
	s_cbranch_execz .LBB6_9469
; %bb.9460:                             ;   in Loop: Header=BB6_5830 Depth=4
	v_mov_b32_e32 v65, 0
	s_mov_b32 s76, exec_lo
	v_cmpx_ne_u32_e32 0, v2
	s_cbranch_execz .LBB6_9468
; %bb.9461:                             ;   in Loop: Header=BB6_5830 Depth=4
	v_bfe_u32 v65, v2, 23, 8
	v_or_b32_e32 v3, 0x800000, v0
	s_delay_alu instid0(VALU_DEP_2) | instskip(SKIP_2) | instid1(VALU_DEP_2)
	v_cmp_gt_u32_e64 s13, 0x72, v65
	v_sub_nc_u32_e32 v2, 0x71, v65
	v_cmp_eq_u32_e32 vcc_lo, 0, v65
	v_dual_cndmask_b32 v2, 0, v2, s13 :: v_dual_cndmask_b32 v0, v3, v0, vcc_lo
	s_delay_alu instid0(VALU_DEP_1) | instskip(NEXT) | instid1(VALU_DEP_1)
	v_cndmask_b32_e64 v80, v2, 0x70, vcc_lo
	v_dual_add_nc_u32 v2, 21, v80 :: v_dual_add_nc_u32 v83, 20, v80
	s_delay_alu instid0(VALU_DEP_1) | instskip(NEXT) | instid1(VALU_DEP_2)
	v_lshlrev_b64_e64 v[2:3], v2, -1
	v_lshlrev_b64_e64 v[46:47], v83, 1
	s_delay_alu instid0(VALU_DEP_2) | instskip(SKIP_1) | instid1(VALU_DEP_4)
	v_bfi_b32 v2, v2, 0, v0
	v_lshrrev_b64 v[0:1], v80, v[0:1]
	v_bfi_b32 v3, v3, 0, 0
	s_delay_alu instid0(VALU_DEP_1) | instskip(NEXT) | instid1(VALU_DEP_3)
	v_cmp_eq_u64_e64 s13, v[2:3], v[46:47]
	v_mov_b64_e32 v[2:3], v[0:1]
	s_and_saveexec_b32 s77, s13
; %bb.9462:                             ;   in Loop: Header=BB6_5830 Depth=4
	v_bfe_u32 v2, v0, 21, 1
	v_mov_b32_e32 v3, v113
	s_delay_alu instid0(VALU_DEP_1) | instskip(NEXT) | instid1(VALU_DEP_1)
	v_add_nc_u64_e32 v[2:3], v[0:1], v[2:3]
	v_add_nc_u64_e32 v[2:3], -1, v[2:3]
; %bb.9463:                             ;   in Loop: Header=BB6_5830 Depth=4
	s_or_b32 exec_lo, exec_lo, s77
	v_add_nc_u32_e32 v1, 0xffffff81, v65
	v_lshrrev_b32_e32 v3, 23, v0
	s_mov_b32 s13, exec_lo
	s_delay_alu instid0(VALU_DEP_2) | instskip(NEXT) | instid1(VALU_DEP_1)
	v_cndmask_b32_e64 v1, v1, 0xffffff82, vcc_lo
	v_add3_u32 v65, v80, v1, v3
	v_and_b32_e32 v1, 0x1fffff, v2
                                        ; implicit-def: $vgpr2
	s_delay_alu instid0(VALU_DEP_1) | instskip(SKIP_1) | instid1(VALU_DEP_2)
	v_dual_add_nc_u32 v3, 14, v65 :: v_dual_add_nc_u32 v0, v1, v0
	v_mov_b32_e32 v1, v113
	v_cmpx_ne_u32_e32 0, v3
	s_xor_b32 s13, exec_lo, s13
; %bb.9464:                             ;   in Loop: Header=BB6_5830 Depth=4
	s_delay_alu instid0(VALU_DEP_2) | instskip(SKIP_1) | instid1(VALU_DEP_1)
	v_cmp_lt_u64_e32 vcc_lo, 0xffffff, v[0:1]
	v_add_nc_u32_e32 v2, 15, v65
	v_cndmask_b32_e32 v2, v3, v2, vcc_lo
	v_cndmask_b32_e64 v3, 0, 1, vcc_lo
	s_delay_alu instid0(VALU_DEP_1)
	v_lshrrev_b64 v[0:1], v3, v[0:1]
; %bb.9465:                             ;   in Loop: Header=BB6_5830 Depth=4
	s_and_not1_saveexec_b32 s13, s13
; %bb.9466:                             ;   in Loop: Header=BB6_5830 Depth=4
	s_delay_alu instid0(VALU_DEP_1)
	v_bfe_u32 v2, v0, 23, 1
; %bb.9467:                             ;   in Loop: Header=BB6_5830 Depth=4
	s_or_b32 exec_lo, exec_lo, s13
	s_delay_alu instid0(VALU_DEP_2) | instskip(NEXT) | instid1(VALU_DEP_2)
	v_lshrrev_b64 v[0:1], 21, v[0:1]
	v_cmp_gt_i32_e32 vcc_lo, 32, v2
	v_min_i32_e32 v3, 31, v2
	v_cmp_eq_u32_e64 s13, 0, v2
	s_delay_alu instid0(VALU_DEP_2) | instskip(SKIP_1) | instid1(VALU_DEP_2)
	v_dual_cndmask_b32 v1, 0, v1, vcc_lo :: v_dual_lshlrev_b32 v3, 2, v3
	v_cndmask_b32_e32 v0, 3, v0, vcc_lo
	v_and_b32_e32 v3, 0xfc, v3
	s_delay_alu instid0(VALU_DEP_2) | instskip(NEXT) | instid1(VALU_DEP_2)
	v_cmp_eq_u64_e32 vcc_lo, 0, v[0:1]
	v_and_or_b32 v0, v0, 3, v3
	s_and_b32 s13, s13, vcc_lo
	s_delay_alu instid0(VALU_DEP_1) | instid1(SALU_CYCLE_1)
	v_cndmask_b32_e64 v0, v0, 0, s13
	s_delay_alu instid0(VALU_DEP_1)
	v_or_b32_e32 v65, v0, v69
.LBB6_9468:                             ;   in Loop: Header=BB6_5830 Depth=4
	s_or_b32 exec_lo, exec_lo, s76
                                        ; implicit-def: $vgpr69
.LBB6_9469:                             ;   in Loop: Header=BB6_5830 Depth=4
	s_and_not1_saveexec_b32 s13, s75
; %bb.9470:                             ;   in Loop: Header=BB6_5830 Depth=4
	v_or_b32_e32 v65, 0x7b, v69
; %bb.9471:                             ;   in Loop: Header=BB6_5830 Depth=4
	s_or_b32 exec_lo, exec_lo, s13
                                        ; implicit-def: $vgpr2
                                        ; implicit-def: $vgpr0_vgpr1
                                        ; implicit-def: $vgpr3
.LBB6_9472:                             ;   in Loop: Header=BB6_5830 Depth=4
	s_and_not1_saveexec_b32 s13, s74
	s_cbranch_execz .LBB6_9478
; %bb.9473:                             ;   in Loop: Header=BB6_5830 Depth=4
	s_mov_b32 s74, exec_lo
                                        ; implicit-def: $vgpr65
	v_cmpx_ne_u64_e32 0, v[0:1]
	s_xor_b32 s74, exec_lo, s74
; %bb.9474:                             ;   in Loop: Header=BB6_5830 Depth=4
	v_or_b32_e32 v65, 0x7f, v3
                                        ; implicit-def: $vgpr2
; %bb.9475:                             ;   in Loop: Header=BB6_5830 Depth=4
	s_and_not1_saveexec_b32 s74, s74
; %bb.9476:                             ;   in Loop: Header=BB6_5830 Depth=4
	v_cmp_lt_i32_e32 vcc_lo, -1, v2
	v_mov_b32_e32 v0, 0x7c
	s_delay_alu instid0(VALU_DEP_1)
	v_cndmask_b32_e32 v65, 0xfc, v0, vcc_lo
; %bb.9477:                             ;   in Loop: Header=BB6_5830 Depth=4
	s_or_b32 exec_lo, exec_lo, s74
.LBB6_9478:                             ;   in Loop: Header=BB6_5830 Depth=4
	s_delay_alu instid0(SALU_CYCLE_1)
	s_or_b32 exec_lo, exec_lo, s13
	v_dual_mov_b32 v1, 0 :: v_dual_mov_b32 v2, 0
	s_mov_b32 s74, exec_lo
	v_cmpx_lt_u32_e32 0xffffff, v112
	s_cbranch_execz .LBB6_9488
; %bb.9479:                             ;   in Loop: Header=BB6_5830 Depth=4
	v_lshrrev_b32_e32 v0, 24, v112
	v_bfrev_b32_e32 v2, 1
	s_mov_b32 s75, exec_lo
	s_delay_alu instid0(VALU_DEP_2)
	v_cmpx_ne_u32_e32 0x80, v0
	s_cbranch_execz .LBB6_9487
; %bb.9480:                             ;   in Loop: Header=BB6_5830 Depth=4
	v_and_b32_e32 v2, 0x7c000000, v112
	v_bfe_u32 v3, v112, 24, 2
	s_delay_alu instid0(VALU_DEP_2) | instskip(SKIP_1) | instid1(SALU_CYCLE_1)
	v_cmp_ne_u32_e32 vcc_lo, 0x7c000000, v2
                                        ; implicit-def: $vgpr2
	s_and_saveexec_b32 s13, vcc_lo
	s_xor_b32 s13, exec_lo, s13
	s_cbranch_execz .LBB6_9484
; %bb.9481:                             ;   in Loop: Header=BB6_5830 Depth=4
	v_bfe_u32 v2, v112, 26, 5
	s_mov_b32 s76, exec_lo
	s_delay_alu instid0(VALU_DEP_1)
	v_cmpx_eq_u32_e32 0, v2
; %bb.9482:                             ;   in Loop: Header=BB6_5830 Depth=4
	v_clz_i32_u32_e32 v2, v3
	s_delay_alu instid0(VALU_DEP_1) | instskip(NEXT) | instid1(VALU_DEP_1)
	v_min_u32_e32 v2, 32, v2
	v_subrev_nc_u32_e32 v3, 29, v2
	v_sub_nc_u32_e32 v2, 30, v2
	s_delay_alu instid0(VALU_DEP_2) | instskip(NEXT) | instid1(VALU_DEP_1)
	v_lshlrev_b64_e32 v[46:47], v3, v[0:1]
	v_and_b32_e32 v3, 3, v46
; %bb.9483:                             ;   in Loop: Header=BB6_5830 Depth=4
	s_or_b32 exec_lo, exec_lo, s76
	v_and_b32_e32 v0, 0x80000000, v112
	s_delay_alu instid0(VALU_DEP_1) | instskip(NEXT) | instid1(VALU_DEP_1)
	v_lshl_add_u32 v0, v2, 23, v0
	v_lshl_or_b32 v0, v3, 21, v0
                                        ; implicit-def: $vgpr3
	s_delay_alu instid0(VALU_DEP_1)
	v_add_nc_u32_e32 v2, 0x38000000, v0
.LBB6_9484:                             ;   in Loop: Header=BB6_5830 Depth=4
	s_and_not1_saveexec_b32 s76, s13
; %bb.9485:                             ;   in Loop: Header=BB6_5830 Depth=4
	v_cmp_lt_i32_e64 s13, -1, v112
	v_mov_b32_e32 v0, 0x7f800000
	v_cmp_eq_u32_e32 vcc_lo, 0, v3
	s_delay_alu instid0(VALU_DEP_2) | instskip(NEXT) | instid1(VALU_DEP_1)
	v_cndmask_b32_e64 v0, 0xff800000, v0, s13
	v_cndmask_b32_e32 v2, 0x7f800001, v0, vcc_lo
; %bb.9486:                             ;   in Loop: Header=BB6_5830 Depth=4
	s_or_b32 exec_lo, exec_lo, s76
.LBB6_9487:                             ;   in Loop: Header=BB6_5830 Depth=4
	s_delay_alu instid0(SALU_CYCLE_1)
	s_or_b32 exec_lo, exec_lo, s75
.LBB6_9488:                             ;   in Loop: Header=BB6_5830 Depth=4
	s_delay_alu instid0(SALU_CYCLE_1) | instskip(NEXT) | instid1(SALU_CYCLE_1)
	s_or_b32 exec_lo, exec_lo, s74
	s_mov_b32 s74, exec_lo
	v_cmpx_lt_u32_e32 0xffffff, v14
	s_cbranch_execz .LBB6_9498
; %bb.9489:                             ;   in Loop: Header=BB6_5830 Depth=4
	v_lshrrev_b32_e32 v0, 24, v14
	v_bfrev_b32_e32 v1, 1
	s_mov_b32 s75, exec_lo
	s_delay_alu instid0(VALU_DEP_2)
	v_cmpx_ne_u32_e32 0x80, v0
	s_cbranch_execz .LBB6_9497
; %bb.9490:                             ;   in Loop: Header=BB6_5830 Depth=4
	v_and_b32_e32 v1, 0x7c000000, v14
	v_bfe_u32 v3, v14, 24, 2
	s_delay_alu instid0(VALU_DEP_2) | instskip(SKIP_1) | instid1(SALU_CYCLE_1)
	v_cmp_ne_u32_e32 vcc_lo, 0x7c000000, v1
                                        ; implicit-def: $vgpr1
	s_and_saveexec_b32 s13, vcc_lo
	s_xor_b32 s13, exec_lo, s13
	s_cbranch_execz .LBB6_9494
; %bb.9491:                             ;   in Loop: Header=BB6_5830 Depth=4
	v_bfe_u32 v1, v14, 26, 5
	s_mov_b32 s76, exec_lo
	s_delay_alu instid0(VALU_DEP_1)
	v_cmpx_eq_u32_e32 0, v1
; %bb.9492:                             ;   in Loop: Header=BB6_5830 Depth=4
	v_clz_i32_u32_e32 v1, v3
	s_delay_alu instid0(VALU_DEP_1) | instskip(NEXT) | instid1(VALU_DEP_1)
	v_min_u32_e32 v3, 32, v1
	v_subrev_nc_u32_e32 v1, 29, v3
	s_delay_alu instid0(VALU_DEP_1) | instskip(NEXT) | instid1(VALU_DEP_1)
	v_lshlrev_b64_e32 v[0:1], v1, v[0:1]
	v_dual_sub_nc_u32 v1, 30, v3 :: v_dual_bitop2_b32 v3, 3, v0 bitop3:0x40
; %bb.9493:                             ;   in Loop: Header=BB6_5830 Depth=4
	s_or_b32 exec_lo, exec_lo, s76
	v_and_b32_e32 v0, 0x80000000, v14
	s_delay_alu instid0(VALU_DEP_1) | instskip(NEXT) | instid1(VALU_DEP_1)
	v_lshl_add_u32 v0, v1, 23, v0
	v_lshl_or_b32 v0, v3, 21, v0
                                        ; implicit-def: $vgpr3
	s_delay_alu instid0(VALU_DEP_1)
	v_add_nc_u32_e32 v1, 0x38000000, v0
.LBB6_9494:                             ;   in Loop: Header=BB6_5830 Depth=4
	s_and_not1_saveexec_b32 s76, s13
; %bb.9495:                             ;   in Loop: Header=BB6_5830 Depth=4
	v_cmp_lt_i32_e64 s13, -1, v14
	v_mov_b32_e32 v0, 0x7f800000
	v_cmp_eq_u32_e32 vcc_lo, 0, v3
	s_delay_alu instid0(VALU_DEP_2) | instskip(NEXT) | instid1(VALU_DEP_1)
	v_cndmask_b32_e64 v0, 0xff800000, v0, s13
	v_cndmask_b32_e32 v1, 0x7f800001, v0, vcc_lo
; %bb.9496:                             ;   in Loop: Header=BB6_5830 Depth=4
	s_or_b32 exec_lo, exec_lo, s76
.LBB6_9497:                             ;   in Loop: Header=BB6_5830 Depth=4
	s_delay_alu instid0(SALU_CYCLE_1)
	s_or_b32 exec_lo, exec_lo, s75
.LBB6_9498:                             ;   in Loop: Header=BB6_5830 Depth=4
	s_delay_alu instid0(SALU_CYCLE_1) | instskip(NEXT) | instid1(VALU_DEP_1)
	s_or_b32 exec_lo, exec_lo, s74
	v_dual_add_f32 v0, v2, v1 :: v_dual_mov_b32 v3, v113
                                        ; implicit-def: $vgpr69
	s_mov_b32 s13, exec_lo
	s_delay_alu instid0(VALU_DEP_1) | instskip(SKIP_2) | instid1(VALU_DEP_3)
	v_and_b32_e32 v2, 0x7f800000, v0
	v_and_b32_e32 v112, 0x7fffff, v0
	v_lshrrev_b32_e32 v1, 24, v0
	v_cmpx_ne_u64_e32 0x7f800000, v[2:3]
	s_xor_b32 s74, exec_lo, s13
	s_cbranch_execz .LBB6_9512
; %bb.9499:                             ;   in Loop: Header=BB6_5830 Depth=4
	v_and_b32_e32 v2, 0x7fffffff, v0
	v_mov_b32_e32 v3, v113
	v_and_b32_e32 v80, 0x80, v1
                                        ; implicit-def: $vgpr69
	s_mov_b32 s13, exec_lo
	s_delay_alu instid0(VALU_DEP_2)
	v_cmpx_gt_u64_e32 0x47600001, v[2:3]
	s_xor_b32 s75, exec_lo, s13
	s_cbranch_execz .LBB6_9509
; %bb.9500:                             ;   in Loop: Header=BB6_5830 Depth=4
	v_mov_b32_e32 v69, 0
	s_mov_b32 s76, exec_lo
	v_cmpx_ne_u32_e32 0, v0
	s_cbranch_execz .LBB6_9508
; %bb.9501:                             ;   in Loop: Header=BB6_5830 Depth=4
	v_bfe_u32 v69, v0, 23, 8
	v_or_b32_e32 v1, 0x800000, v112
	s_delay_alu instid0(VALU_DEP_2) | instskip(SKIP_2) | instid1(VALU_DEP_2)
	v_cmp_gt_u32_e64 s13, 0x72, v69
	v_sub_nc_u32_e32 v0, 0x71, v69
	v_cmp_eq_u32_e32 vcc_lo, 0, v69
	v_cndmask_b32_e64 v0, 0, v0, s13
	s_delay_alu instid0(VALU_DEP_1) | instskip(SKIP_1) | instid1(VALU_DEP_2)
	v_cndmask_b32_e64 v83, v0, 0x70, vcc_lo
	v_cndmask_b32_e32 v0, v1, v112, vcc_lo
	v_dual_mov_b32 v1, v113 :: v_dual_add_nc_u32 v2, 21, v83
	v_add_nc_u32_e32 v87, 20, v83
	s_delay_alu instid0(VALU_DEP_2) | instskip(NEXT) | instid1(VALU_DEP_2)
	v_lshlrev_b64_e64 v[2:3], v2, -1
	v_lshlrev_b64_e64 v[46:47], v87, 1
	s_delay_alu instid0(VALU_DEP_2) | instskip(SKIP_1) | instid1(VALU_DEP_4)
	v_bfi_b32 v2, v2, 0, v0
	v_lshrrev_b64 v[0:1], v83, v[0:1]
	v_bfi_b32 v3, v3, 0, 0
	s_delay_alu instid0(VALU_DEP_1) | instskip(NEXT) | instid1(VALU_DEP_3)
	v_cmp_eq_u64_e64 s13, v[2:3], v[46:47]
	v_mov_b64_e32 v[2:3], v[0:1]
	s_and_saveexec_b32 s77, s13
; %bb.9502:                             ;   in Loop: Header=BB6_5830 Depth=4
	v_bfe_u32 v2, v0, 21, 1
	v_mov_b32_e32 v3, v113
	s_delay_alu instid0(VALU_DEP_1) | instskip(NEXT) | instid1(VALU_DEP_1)
	v_add_nc_u64_e32 v[2:3], v[0:1], v[2:3]
	v_add_nc_u64_e32 v[2:3], -1, v[2:3]
; %bb.9503:                             ;   in Loop: Header=BB6_5830 Depth=4
	s_or_b32 exec_lo, exec_lo, s77
	v_add_nc_u32_e32 v1, 0xffffff81, v69
	s_delay_alu instid0(VALU_DEP_2) | instskip(SKIP_2) | instid1(VALU_DEP_3)
	v_and_b32_e32 v2, 0x1fffff, v2
	v_lshrrev_b32_e32 v3, 23, v0
	s_mov_b32 s13, exec_lo
	v_cndmask_b32_e64 v1, v1, 0xffffff82, vcc_lo
	s_delay_alu instid0(VALU_DEP_3) | instskip(NEXT) | instid1(VALU_DEP_2)
	v_add_nc_u32_e32 v112, v2, v0
                                        ; implicit-def: $vgpr2
	v_add3_u32 v69, v83, v1, v3
                                        ; implicit-def: $vgpr0_vgpr1
	s_delay_alu instid0(VALU_DEP_1) | instskip(NEXT) | instid1(VALU_DEP_1)
	v_add_nc_u32_e32 v3, 14, v69
	v_cmpx_ne_u32_e32 0, v3
	s_xor_b32 s13, exec_lo, s13
; %bb.9504:                             ;   in Loop: Header=BB6_5830 Depth=4
	v_cmp_lt_u64_e32 vcc_lo, 0xffffff, v[112:113]
	v_add_nc_u32_e32 v0, 15, v69
	s_delay_alu instid0(VALU_DEP_1) | instskip(SKIP_1) | instid1(VALU_DEP_1)
	v_cndmask_b32_e32 v2, v3, v0, vcc_lo
	v_cndmask_b32_e64 v0, 0, 1, vcc_lo
	v_lshrrev_b64 v[0:1], v0, v[112:113]
; %bb.9505:                             ;   in Loop: Header=BB6_5830 Depth=4
	s_and_not1_saveexec_b32 s13, s13
; %bb.9506:                             ;   in Loop: Header=BB6_5830 Depth=4
	v_mov_b64_e32 v[0:1], v[112:113]
	v_bfe_u32 v2, v112, 23, 1
; %bb.9507:                             ;   in Loop: Header=BB6_5830 Depth=4
	s_or_b32 exec_lo, exec_lo, s13
	s_delay_alu instid0(VALU_DEP_2) | instskip(NEXT) | instid1(VALU_DEP_2)
	v_lshrrev_b64 v[0:1], 21, v[0:1]
	v_cmp_gt_i32_e32 vcc_lo, 32, v2
	v_min_i32_e32 v3, 31, v2
	v_cmp_eq_u32_e64 s13, 0, v2
	s_delay_alu instid0(VALU_DEP_2) | instskip(SKIP_1) | instid1(VALU_DEP_2)
	v_dual_cndmask_b32 v1, 0, v1, vcc_lo :: v_dual_lshlrev_b32 v3, 2, v3
	v_cndmask_b32_e32 v0, 3, v0, vcc_lo
	v_and_b32_e32 v3, 0xfc, v3
	s_delay_alu instid0(VALU_DEP_2) | instskip(NEXT) | instid1(VALU_DEP_2)
	v_cmp_eq_u64_e32 vcc_lo, 0, v[0:1]
	v_and_or_b32 v0, v0, 3, v3
	s_and_b32 s13, s13, vcc_lo
	s_delay_alu instid0(VALU_DEP_1) | instid1(SALU_CYCLE_1)
	v_cndmask_b32_e64 v0, v0, 0, s13
	s_delay_alu instid0(VALU_DEP_1)
	v_or_b32_e32 v69, v0, v80
.LBB6_9508:                             ;   in Loop: Header=BB6_5830 Depth=4
	s_or_b32 exec_lo, exec_lo, s76
                                        ; implicit-def: $vgpr80
.LBB6_9509:                             ;   in Loop: Header=BB6_5830 Depth=4
	s_and_not1_saveexec_b32 s13, s75
; %bb.9510:                             ;   in Loop: Header=BB6_5830 Depth=4
	v_or_b32_e32 v69, 0x7b, v80
; %bb.9511:                             ;   in Loop: Header=BB6_5830 Depth=4
	s_or_b32 exec_lo, exec_lo, s13
                                        ; implicit-def: $vgpr0
                                        ; implicit-def: $vgpr1
.LBB6_9512:                             ;   in Loop: Header=BB6_5830 Depth=4
	s_and_not1_saveexec_b32 s13, s74
	s_cbranch_execz .LBB6_9518
; %bb.9513:                             ;   in Loop: Header=BB6_5830 Depth=4
	s_mov_b32 s74, exec_lo
                                        ; implicit-def: $vgpr69
	v_cmpx_ne_u64_e32 0, v[112:113]
	s_xor_b32 s74, exec_lo, s74
; %bb.9514:                             ;   in Loop: Header=BB6_5830 Depth=4
	v_or_b32_e32 v69, 0x7f, v1
                                        ; implicit-def: $vgpr0
; %bb.9515:                             ;   in Loop: Header=BB6_5830 Depth=4
	s_and_not1_saveexec_b32 s74, s74
; %bb.9516:                             ;   in Loop: Header=BB6_5830 Depth=4
	v_cmp_lt_i32_e32 vcc_lo, -1, v0
	v_mov_b32_e32 v0, 0x7c
	s_delay_alu instid0(VALU_DEP_1)
	v_cndmask_b32_e32 v69, 0xfc, v0, vcc_lo
; %bb.9517:                             ;   in Loop: Header=BB6_5830 Depth=4
	s_or_b32 exec_lo, exec_lo, s74
.LBB6_9518:                             ;   in Loop: Header=BB6_5830 Depth=4
	s_delay_alu instid0(SALU_CYCLE_1) | instskip(SKIP_4) | instid1(VALU_DEP_1)
	s_or_b32 exec_lo, exec_lo, s13
	v_lshlrev_b32_e32 v0, 24, v68
	v_lshlrev_b32_e32 v1, 16, v64
	v_lshl_or_b32 v52, v52, 8, v36
	s_mov_b32 s74, exec_lo
	v_or3_b32 v112, v1, v0, v52
	v_dual_mov_b32 v1, 0 :: v_dual_mov_b32 v0, 0
	v_cmpx_ne_u32_e32 0, v36
	s_cbranch_execz .LBB6_9528
; %bb.9519:                             ;   in Loop: Header=BB6_5830 Depth=4
	v_bfrev_b32_e32 v0, 1
	s_mov_b32 s75, exec_lo
	v_cmpx_ne_u32_e32 0x80, v36
	s_cbranch_execz .LBB6_9527
; %bb.9520:                             ;   in Loop: Header=BB6_5830 Depth=4
	v_and_b32_e32 v0, 0x7c, v36
	v_and_b32_e32 v2, 3, v36
	s_delay_alu instid0(VALU_DEP_2) | instskip(SKIP_1) | instid1(SALU_CYCLE_1)
	v_cmp_ne_u32_e32 vcc_lo, 0x7c, v0
                                        ; implicit-def: $vgpr0
	s_and_saveexec_b32 s13, vcc_lo
	s_xor_b32 s13, exec_lo, s13
	s_cbranch_execz .LBB6_9524
; %bb.9521:                             ;   in Loop: Header=BB6_5830 Depth=4
	v_bfe_u32 v0, v36, 2, 5
	s_mov_b32 s76, exec_lo
	s_delay_alu instid0(VALU_DEP_1)
	v_cmpx_eq_u32_e32 0, v0
; %bb.9522:                             ;   in Loop: Header=BB6_5830 Depth=4
	v_clz_i32_u32_e32 v0, v2
	s_delay_alu instid0(VALU_DEP_1) | instskip(NEXT) | instid1(VALU_DEP_1)
	v_min_u32_e32 v0, 32, v0
	v_subrev_nc_u32_e32 v2, 29, v0
	s_delay_alu instid0(VALU_DEP_1) | instskip(NEXT) | instid1(VALU_DEP_1)
	v_lshlrev_b64_e32 v[2:3], v2, v[112:113]
	v_dual_sub_nc_u32 v0, 30, v0 :: v_dual_bitop2_b32 v2, 3, v2 bitop3:0x40
; %bb.9523:                             ;   in Loop: Header=BB6_5830 Depth=4
	s_or_b32 exec_lo, exec_lo, s76
	v_lshlrev_b32_e32 v3, 24, v36
                                        ; implicit-def: $vgpr36
	s_delay_alu instid0(VALU_DEP_1) | instskip(NEXT) | instid1(VALU_DEP_1)
	v_and_b32_e32 v3, 0x80000000, v3
	v_lshl_add_u32 v0, v0, 23, v3
	s_delay_alu instid0(VALU_DEP_1) | instskip(NEXT) | instid1(VALU_DEP_1)
	v_lshl_or_b32 v0, v2, 21, v0
                                        ; implicit-def: $vgpr2
	v_add_nc_u32_e32 v0, 0x38000000, v0
.LBB6_9524:                             ;   in Loop: Header=BB6_5830 Depth=4
	s_and_not1_saveexec_b32 s76, s13
; %bb.9525:                             ;   in Loop: Header=BB6_5830 Depth=4
	v_and_b32_e32 v0, 0x80, v36
	v_cmp_eq_u32_e32 vcc_lo, 0, v2
	s_delay_alu instid0(VALU_DEP_2) | instskip(SKIP_1) | instid1(VALU_DEP_1)
	v_cmp_eq_u32_e64 s13, 0, v0
	v_mov_b32_e32 v0, 0x7f800000
	v_cndmask_b32_e64 v0, 0xff800000, v0, s13
	s_delay_alu instid0(VALU_DEP_1)
	v_cndmask_b32_e32 v0, 0x7f800001, v0, vcc_lo
; %bb.9526:                             ;   in Loop: Header=BB6_5830 Depth=4
	s_or_b32 exec_lo, exec_lo, s76
.LBB6_9527:                             ;   in Loop: Header=BB6_5830 Depth=4
	s_delay_alu instid0(SALU_CYCLE_1)
	s_or_b32 exec_lo, exec_lo, s75
.LBB6_9528:                             ;   in Loop: Header=BB6_5830 Depth=4
	s_delay_alu instid0(SALU_CYCLE_1) | instskip(SKIP_2) | instid1(VALU_DEP_1)
	s_or_b32 exec_lo, exec_lo, s74
	v_and_b32_e32 v2, 0xff, v15
	s_mov_b32 s74, exec_lo
	v_cmpx_ne_u16_e32 0, v2
	s_cbranch_execz .LBB6_9538
; %bb.9529:                             ;   in Loop: Header=BB6_5830 Depth=4
	v_bfrev_b32_e32 v1, 1
	s_mov_b32 s75, exec_lo
	v_cmpx_ne_u16_e32 0x80, v2
	s_cbranch_execz .LBB6_9537
; %bb.9530:                             ;   in Loop: Header=BB6_5830 Depth=4
	v_and_b32_e32 v1, 0x7c, v15
	v_and_b32_e32 v2, 3, v15
	s_delay_alu instid0(VALU_DEP_2) | instskip(SKIP_1) | instid1(SALU_CYCLE_1)
	v_cmp_ne_u32_e32 vcc_lo, 0x7c, v1
                                        ; implicit-def: $vgpr1
	s_and_saveexec_b32 s13, vcc_lo
	s_xor_b32 s13, exec_lo, s13
	s_cbranch_execz .LBB6_9534
; %bb.9531:                             ;   in Loop: Header=BB6_5830 Depth=4
	v_bfe_u32 v1, v15, 2, 5
	s_mov_b32 s76, exec_lo
	s_delay_alu instid0(VALU_DEP_1)
	v_cmpx_eq_u32_e32 0, v1
; %bb.9532:                             ;   in Loop: Header=BB6_5830 Depth=4
	v_clz_i32_u32_e32 v1, v2
	v_dual_mov_b32 v2, v15 :: v_dual_mov_b32 v3, v113
	s_delay_alu instid0(VALU_DEP_2) | instskip(NEXT) | instid1(VALU_DEP_1)
	v_min_u32_e32 v1, 32, v1
	v_subrev_nc_u32_e32 v36, 29, v1
	s_delay_alu instid0(VALU_DEP_1) | instskip(NEXT) | instid1(VALU_DEP_1)
	v_lshlrev_b64_e32 v[2:3], v36, v[2:3]
	v_dual_sub_nc_u32 v1, 30, v1 :: v_dual_bitop2_b32 v2, 3, v2 bitop3:0x40
; %bb.9533:                             ;   in Loop: Header=BB6_5830 Depth=4
	s_or_b32 exec_lo, exec_lo, s76
	v_lshlrev_b32_e32 v3, 24, v15
	s_delay_alu instid0(VALU_DEP_1) | instskip(NEXT) | instid1(VALU_DEP_1)
	v_and_b32_e32 v3, 0x80000000, v3
	v_lshl_add_u32 v1, v1, 23, v3
	s_delay_alu instid0(VALU_DEP_1) | instskip(NEXT) | instid1(VALU_DEP_1)
	v_lshl_or_b32 v1, v2, 21, v1
                                        ; implicit-def: $vgpr2
	v_add_nc_u32_e32 v1, 0x38000000, v1
.LBB6_9534:                             ;   in Loop: Header=BB6_5830 Depth=4
	s_and_not1_saveexec_b32 s76, s13
; %bb.9535:                             ;   in Loop: Header=BB6_5830 Depth=4
	v_bfe_i32 v1, v15, 0, 8
	v_cmp_eq_u32_e32 vcc_lo, 0, v2
	s_delay_alu instid0(VALU_DEP_2) | instskip(SKIP_1) | instid1(VALU_DEP_1)
	v_cmp_lt_i16_e64 s13, -1, v1
	v_mov_b32_e32 v1, 0x7f800000
	v_cndmask_b32_e64 v1, 0xff800000, v1, s13
	s_delay_alu instid0(VALU_DEP_1)
	v_cndmask_b32_e32 v1, 0x7f800001, v1, vcc_lo
; %bb.9536:                             ;   in Loop: Header=BB6_5830 Depth=4
	s_or_b32 exec_lo, exec_lo, s76
.LBB6_9537:                             ;   in Loop: Header=BB6_5830 Depth=4
	s_delay_alu instid0(SALU_CYCLE_1)
	s_or_b32 exec_lo, exec_lo, s75
.LBB6_9538:                             ;   in Loop: Header=BB6_5830 Depth=4
	s_delay_alu instid0(SALU_CYCLE_1) | instskip(NEXT) | instid1(VALU_DEP_1)
	s_or_b32 exec_lo, exec_lo, s74
	v_dual_add_f32 v2, v0, v1 :: v_dual_mov_b32 v47, v113
	v_mov_b32_e32 v1, v113
                                        ; implicit-def: $vgpr36
	s_mov_b32 s13, exec_lo
	s_delay_alu instid0(VALU_DEP_2) | instskip(SKIP_2) | instid1(VALU_DEP_3)
	v_and_b32_e32 v46, 0x7f800000, v2
	v_and_b32_e32 v0, 0x7fffff, v2
	v_lshrrev_b32_e32 v3, 24, v2
	v_cmpx_ne_u64_e32 0x7f800000, v[46:47]
	s_xor_b32 s74, exec_lo, s13
	s_cbranch_execz .LBB6_9552
; %bb.9539:                             ;   in Loop: Header=BB6_5830 Depth=4
	v_and_b32_e32 v46, 0x7fffffff, v2
	v_mov_b32_e32 v47, v113
	v_and_b32_e32 v64, 0x80, v3
                                        ; implicit-def: $vgpr36
	s_mov_b32 s13, exec_lo
	s_delay_alu instid0(VALU_DEP_2)
	v_cmpx_gt_u64_e32 0x47600001, v[46:47]
	s_xor_b32 s75, exec_lo, s13
	s_cbranch_execz .LBB6_9549
; %bb.9540:                             ;   in Loop: Header=BB6_5830 Depth=4
	v_mov_b32_e32 v36, 0
	s_mov_b32 s76, exec_lo
	v_cmpx_ne_u32_e32 0, v2
	s_cbranch_execz .LBB6_9548
; %bb.9541:                             ;   in Loop: Header=BB6_5830 Depth=4
	v_bfe_u32 v36, v2, 23, 8
	v_or_b32_e32 v3, 0x800000, v0
	s_delay_alu instid0(VALU_DEP_2) | instskip(SKIP_2) | instid1(VALU_DEP_2)
	v_cmp_gt_u32_e64 s13, 0x72, v36
	v_sub_nc_u32_e32 v2, 0x71, v36
	v_cmp_eq_u32_e32 vcc_lo, 0, v36
	v_dual_cndmask_b32 v2, 0, v2, s13 :: v_dual_cndmask_b32 v0, v3, v0, vcc_lo
	s_delay_alu instid0(VALU_DEP_1) | instskip(NEXT) | instid1(VALU_DEP_1)
	v_cndmask_b32_e64 v68, v2, 0x70, vcc_lo
	v_dual_add_nc_u32 v2, 21, v68 :: v_dual_add_nc_u32 v80, 20, v68
	s_delay_alu instid0(VALU_DEP_1) | instskip(NEXT) | instid1(VALU_DEP_2)
	v_lshlrev_b64_e64 v[2:3], v2, -1
	v_lshlrev_b64_e64 v[46:47], v80, 1
	s_delay_alu instid0(VALU_DEP_2) | instskip(SKIP_1) | instid1(VALU_DEP_4)
	v_bfi_b32 v2, v2, 0, v0
	v_lshrrev_b64 v[0:1], v68, v[0:1]
	v_bfi_b32 v3, v3, 0, 0
	s_delay_alu instid0(VALU_DEP_1) | instskip(NEXT) | instid1(VALU_DEP_3)
	v_cmp_eq_u64_e64 s13, v[2:3], v[46:47]
	v_mov_b64_e32 v[2:3], v[0:1]
	s_and_saveexec_b32 s77, s13
; %bb.9542:                             ;   in Loop: Header=BB6_5830 Depth=4
	v_bfe_u32 v2, v0, 21, 1
	v_mov_b32_e32 v3, v113
	s_delay_alu instid0(VALU_DEP_1) | instskip(NEXT) | instid1(VALU_DEP_1)
	v_add_nc_u64_e32 v[2:3], v[0:1], v[2:3]
	v_add_nc_u64_e32 v[2:3], -1, v[2:3]
; %bb.9543:                             ;   in Loop: Header=BB6_5830 Depth=4
	s_or_b32 exec_lo, exec_lo, s77
	v_add_nc_u32_e32 v1, 0xffffff81, v36
	v_lshrrev_b32_e32 v3, 23, v0
	s_mov_b32 s13, exec_lo
	s_delay_alu instid0(VALU_DEP_2) | instskip(NEXT) | instid1(VALU_DEP_1)
	v_cndmask_b32_e64 v1, v1, 0xffffff82, vcc_lo
	v_add3_u32 v36, v68, v1, v3
	v_and_b32_e32 v1, 0x1fffff, v2
                                        ; implicit-def: $vgpr2
	s_delay_alu instid0(VALU_DEP_2) | instskip(NEXT) | instid1(VALU_DEP_2)
	v_add_nc_u32_e32 v3, 14, v36
	v_add_nc_u32_e32 v0, v1, v0
	v_mov_b32_e32 v1, v113
	s_delay_alu instid0(VALU_DEP_3)
	v_cmpx_ne_u32_e32 0, v3
	s_xor_b32 s13, exec_lo, s13
; %bb.9544:                             ;   in Loop: Header=BB6_5830 Depth=4
	s_delay_alu instid0(VALU_DEP_2) | instskip(SKIP_1) | instid1(VALU_DEP_1)
	v_cmp_lt_u64_e32 vcc_lo, 0xffffff, v[0:1]
	v_add_nc_u32_e32 v2, 15, v36
	v_cndmask_b32_e32 v2, v3, v2, vcc_lo
	v_cndmask_b32_e64 v3, 0, 1, vcc_lo
	s_delay_alu instid0(VALU_DEP_1)
	v_lshrrev_b64 v[0:1], v3, v[0:1]
; %bb.9545:                             ;   in Loop: Header=BB6_5830 Depth=4
	s_and_not1_saveexec_b32 s13, s13
; %bb.9546:                             ;   in Loop: Header=BB6_5830 Depth=4
	s_delay_alu instid0(VALU_DEP_1)
	v_bfe_u32 v2, v0, 23, 1
; %bb.9547:                             ;   in Loop: Header=BB6_5830 Depth=4
	s_or_b32 exec_lo, exec_lo, s13
	s_delay_alu instid0(VALU_DEP_2) | instskip(NEXT) | instid1(VALU_DEP_2)
	v_lshrrev_b64 v[0:1], 21, v[0:1]
	v_cmp_gt_i32_e32 vcc_lo, 32, v2
	v_min_i32_e32 v3, 31, v2
	v_cmp_eq_u32_e64 s13, 0, v2
	s_delay_alu instid0(VALU_DEP_2) | instskip(SKIP_1) | instid1(VALU_DEP_2)
	v_dual_cndmask_b32 v1, 0, v1, vcc_lo :: v_dual_lshlrev_b32 v3, 2, v3
	v_cndmask_b32_e32 v0, 3, v0, vcc_lo
	v_and_b32_e32 v3, 0xfc, v3
	s_delay_alu instid0(VALU_DEP_2) | instskip(NEXT) | instid1(VALU_DEP_2)
	v_cmp_eq_u64_e32 vcc_lo, 0, v[0:1]
	v_and_or_b32 v0, v0, 3, v3
	s_and_b32 s13, s13, vcc_lo
	s_delay_alu instid0(VALU_DEP_1) | instid1(SALU_CYCLE_1)
	v_cndmask_b32_e64 v0, v0, 0, s13
	s_delay_alu instid0(VALU_DEP_1)
	v_or_b32_e32 v36, v0, v64
.LBB6_9548:                             ;   in Loop: Header=BB6_5830 Depth=4
	s_or_b32 exec_lo, exec_lo, s76
                                        ; implicit-def: $vgpr64
.LBB6_9549:                             ;   in Loop: Header=BB6_5830 Depth=4
	s_and_not1_saveexec_b32 s13, s75
; %bb.9550:                             ;   in Loop: Header=BB6_5830 Depth=4
	v_or_b32_e32 v36, 0x7b, v64
; %bb.9551:                             ;   in Loop: Header=BB6_5830 Depth=4
	s_or_b32 exec_lo, exec_lo, s13
                                        ; implicit-def: $vgpr2
                                        ; implicit-def: $vgpr0_vgpr1
                                        ; implicit-def: $vgpr3
.LBB6_9552:                             ;   in Loop: Header=BB6_5830 Depth=4
	s_and_not1_saveexec_b32 s13, s74
	s_cbranch_execz .LBB6_9558
; %bb.9553:                             ;   in Loop: Header=BB6_5830 Depth=4
	s_mov_b32 s74, exec_lo
                                        ; implicit-def: $vgpr36
	v_cmpx_ne_u64_e32 0, v[0:1]
	s_xor_b32 s74, exec_lo, s74
; %bb.9554:                             ;   in Loop: Header=BB6_5830 Depth=4
	v_or_b32_e32 v36, 0x7f, v3
                                        ; implicit-def: $vgpr2
; %bb.9555:                             ;   in Loop: Header=BB6_5830 Depth=4
	s_and_not1_saveexec_b32 s74, s74
; %bb.9556:                             ;   in Loop: Header=BB6_5830 Depth=4
	v_cmp_lt_i32_e32 vcc_lo, -1, v2
	v_mov_b32_e32 v0, 0x7c
	s_delay_alu instid0(VALU_DEP_1)
	v_cndmask_b32_e32 v36, 0xfc, v0, vcc_lo
; %bb.9557:                             ;   in Loop: Header=BB6_5830 Depth=4
	s_or_b32 exec_lo, exec_lo, s74
.LBB6_9558:                             ;   in Loop: Header=BB6_5830 Depth=4
	s_delay_alu instid0(SALU_CYCLE_1) | instskip(SKIP_3) | instid1(VALU_DEP_2)
	s_or_b32 exec_lo, exec_lo, s13
	v_lshrrev_b16 v0, 8, v52
	v_dual_mov_b32 v2, 0 :: v_dual_mov_b32 v3, 0
	s_mov_b32 s74, exec_lo
	v_cmpx_ne_u16_e32 0, v0
	s_cbranch_execz .LBB6_9568
; %bb.9559:                             ;   in Loop: Header=BB6_5830 Depth=4
	v_bfrev_b32_e32 v3, 1
	s_mov_b32 s75, exec_lo
	v_cmpx_ne_u16_e32 0x80, v0
	s_cbranch_execz .LBB6_9567
; %bb.9560:                             ;   in Loop: Header=BB6_5830 Depth=4
	v_and_b32_e32 v64, 0xffff, v0
	s_delay_alu instid0(VALU_DEP_1) | instskip(SKIP_1) | instid1(VALU_DEP_2)
	v_and_b32_e32 v3, 0x7c, v64
	v_and_b32_e32 v1, 3, v64
	v_cmp_ne_u32_e32 vcc_lo, 0x7c, v3
                                        ; implicit-def: $vgpr3
	s_and_saveexec_b32 s13, vcc_lo
	s_delay_alu instid0(SALU_CYCLE_1)
	s_xor_b32 s13, exec_lo, s13
	s_cbranch_execz .LBB6_9564
; %bb.9561:                             ;   in Loop: Header=BB6_5830 Depth=4
	v_bfe_u32 v3, v64, 2, 5
	s_mov_b32 s76, exec_lo
	s_delay_alu instid0(VALU_DEP_1)
	v_cmpx_eq_u32_e32 0, v3
	s_cbranch_execz .LBB6_9563
; %bb.9562:                             ;   in Loop: Header=BB6_5830 Depth=4
	v_clz_i32_u32_e32 v1, v1
	s_delay_alu instid0(VALU_DEP_1) | instskip(SKIP_1) | instid1(VALU_DEP_2)
	v_min_u32_e32 v3, 32, v1
	v_mov_b32_e32 v1, v113
	v_subrev_nc_u32_e32 v64, 29, v3
	v_sub_nc_u32_e32 v3, 30, v3
	s_delay_alu instid0(VALU_DEP_2) | instskip(NEXT) | instid1(VALU_DEP_1)
	v_lshlrev_b64_e32 v[0:1], v64, v[0:1]
	v_and_b32_e32 v1, 3, v0
.LBB6_9563:                             ;   in Loop: Header=BB6_5830 Depth=4
	s_or_b32 exec_lo, exec_lo, s76
	v_lshlrev_b32_e32 v0, 16, v52
                                        ; implicit-def: $vgpr52
	s_delay_alu instid0(VALU_DEP_1) | instskip(NEXT) | instid1(VALU_DEP_1)
	v_and_b32_e32 v0, 0x80000000, v0
	v_lshl_add_u32 v0, v3, 23, v0
	s_delay_alu instid0(VALU_DEP_1) | instskip(NEXT) | instid1(VALU_DEP_1)
	v_lshl_or_b32 v0, v1, 21, v0
                                        ; implicit-def: $vgpr1
	v_add_nc_u32_e32 v3, 0x38000000, v0
.LBB6_9564:                             ;   in Loop: Header=BB6_5830 Depth=4
	s_and_not1_saveexec_b32 s76, s13
; %bb.9565:                             ;   in Loop: Header=BB6_5830 Depth=4
	v_cmp_lt_i16_e64 s13, -1, v52
	v_mov_b32_e32 v0, 0x7f800000
	v_cmp_eq_u32_e32 vcc_lo, 0, v1
	s_delay_alu instid0(VALU_DEP_2) | instskip(NEXT) | instid1(VALU_DEP_1)
	v_cndmask_b32_e64 v0, 0xff800000, v0, s13
	v_cndmask_b32_e32 v3, 0x7f800001, v0, vcc_lo
; %bb.9566:                             ;   in Loop: Header=BB6_5830 Depth=4
	s_or_b32 exec_lo, exec_lo, s76
.LBB6_9567:                             ;   in Loop: Header=BB6_5830 Depth=4
	s_delay_alu instid0(SALU_CYCLE_1)
	s_or_b32 exec_lo, exec_lo, s75
.LBB6_9568:                             ;   in Loop: Header=BB6_5830 Depth=4
	s_delay_alu instid0(SALU_CYCLE_1) | instskip(SKIP_2) | instid1(VALU_DEP_1)
	s_or_b32 exec_lo, exec_lo, s74
	v_lshrrev_b16 v0, 8, v15
	s_mov_b32 s74, exec_lo
	v_cmpx_ne_u16_e32 0, v0
	s_cbranch_execz .LBB6_9578
; %bb.9569:                             ;   in Loop: Header=BB6_5830 Depth=4
	v_bfrev_b32_e32 v2, 1
	s_mov_b32 s75, exec_lo
	v_cmpx_ne_u16_e32 0x80, v0
	s_cbranch_execz .LBB6_9577
; %bb.9570:                             ;   in Loop: Header=BB6_5830 Depth=4
	v_and_b32_e32 v52, 0xffff, v0
	s_delay_alu instid0(VALU_DEP_1) | instskip(SKIP_1) | instid1(VALU_DEP_2)
	v_and_b32_e32 v2, 0x7c, v52
	v_and_b32_e32 v1, 3, v52
	v_cmp_ne_u32_e32 vcc_lo, 0x7c, v2
                                        ; implicit-def: $vgpr2
	s_and_saveexec_b32 s13, vcc_lo
	s_delay_alu instid0(SALU_CYCLE_1)
	s_xor_b32 s13, exec_lo, s13
	s_cbranch_execz .LBB6_9574
; %bb.9571:                             ;   in Loop: Header=BB6_5830 Depth=4
	v_bfe_u32 v2, v52, 2, 5
	s_mov_b32 s76, exec_lo
	s_delay_alu instid0(VALU_DEP_1)
	v_cmpx_eq_u32_e32 0, v2
	s_cbranch_execz .LBB6_9573
; %bb.9572:                             ;   in Loop: Header=BB6_5830 Depth=4
	v_clz_i32_u32_e32 v1, v1
	s_delay_alu instid0(VALU_DEP_1) | instskip(SKIP_1) | instid1(VALU_DEP_2)
	v_min_u32_e32 v2, 32, v1
	v_mov_b32_e32 v1, v113
	v_subrev_nc_u32_e32 v52, 29, v2
	v_sub_nc_u32_e32 v2, 30, v2
	s_delay_alu instid0(VALU_DEP_2) | instskip(NEXT) | instid1(VALU_DEP_1)
	v_lshlrev_b64_e32 v[0:1], v52, v[0:1]
	v_and_b32_e32 v1, 3, v0
.LBB6_9573:                             ;   in Loop: Header=BB6_5830 Depth=4
	s_or_b32 exec_lo, exec_lo, s76
	v_lshlrev_b32_e32 v0, 16, v15
	s_delay_alu instid0(VALU_DEP_1) | instskip(NEXT) | instid1(VALU_DEP_1)
	v_and_b32_e32 v0, 0x80000000, v0
	v_lshl_add_u32 v0, v2, 23, v0
	s_delay_alu instid0(VALU_DEP_1) | instskip(NEXT) | instid1(VALU_DEP_1)
	v_lshl_or_b32 v0, v1, 21, v0
                                        ; implicit-def: $vgpr1
	v_add_nc_u32_e32 v2, 0x38000000, v0
.LBB6_9574:                             ;   in Loop: Header=BB6_5830 Depth=4
	s_and_not1_saveexec_b32 s76, s13
; %bb.9575:                             ;   in Loop: Header=BB6_5830 Depth=4
	v_cmp_lt_i16_e64 s13, -1, v15
	v_mov_b32_e32 v0, 0x7f800000
	v_cmp_eq_u32_e32 vcc_lo, 0, v1
	s_delay_alu instid0(VALU_DEP_2) | instskip(NEXT) | instid1(VALU_DEP_1)
	v_cndmask_b32_e64 v0, 0xff800000, v0, s13
	v_cndmask_b32_e32 v2, 0x7f800001, v0, vcc_lo
; %bb.9576:                             ;   in Loop: Header=BB6_5830 Depth=4
	s_or_b32 exec_lo, exec_lo, s76
.LBB6_9577:                             ;   in Loop: Header=BB6_5830 Depth=4
	s_delay_alu instid0(SALU_CYCLE_1)
	s_or_b32 exec_lo, exec_lo, s75
.LBB6_9578:                             ;   in Loop: Header=BB6_5830 Depth=4
	s_delay_alu instid0(SALU_CYCLE_1) | instskip(NEXT) | instid1(VALU_DEP_1)
	s_or_b32 exec_lo, exec_lo, s74
	v_dual_add_f32 v2, v3, v2 :: v_dual_mov_b32 v47, v113
	v_mov_b32_e32 v1, v113
                                        ; implicit-def: $vgpr52
	s_mov_b32 s13, exec_lo
	s_delay_alu instid0(VALU_DEP_2) | instskip(SKIP_2) | instid1(VALU_DEP_3)
	v_and_b32_e32 v46, 0x7f800000, v2
	v_and_b32_e32 v0, 0x7fffff, v2
	v_lshrrev_b32_e32 v3, 24, v2
	v_cmpx_ne_u64_e32 0x7f800000, v[46:47]
	s_xor_b32 s74, exec_lo, s13
	s_cbranch_execz .LBB6_9592
; %bb.9579:                             ;   in Loop: Header=BB6_5830 Depth=4
	v_and_b32_e32 v46, 0x7fffffff, v2
	v_mov_b32_e32 v47, v113
	v_and_b32_e32 v64, 0x80, v3
                                        ; implicit-def: $vgpr52
	s_mov_b32 s13, exec_lo
	s_delay_alu instid0(VALU_DEP_2)
	v_cmpx_gt_u64_e32 0x47600001, v[46:47]
	s_xor_b32 s75, exec_lo, s13
	s_cbranch_execz .LBB6_9589
; %bb.9580:                             ;   in Loop: Header=BB6_5830 Depth=4
	v_mov_b32_e32 v52, 0
	s_mov_b32 s76, exec_lo
	v_cmpx_ne_u32_e32 0, v2
	s_cbranch_execz .LBB6_9588
; %bb.9581:                             ;   in Loop: Header=BB6_5830 Depth=4
	v_bfe_u32 v52, v2, 23, 8
	v_or_b32_e32 v3, 0x800000, v0
	s_delay_alu instid0(VALU_DEP_2) | instskip(SKIP_2) | instid1(VALU_DEP_2)
	v_cmp_gt_u32_e64 s13, 0x72, v52
	v_sub_nc_u32_e32 v2, 0x71, v52
	v_cmp_eq_u32_e32 vcc_lo, 0, v52
	v_dual_cndmask_b32 v2, 0, v2, s13 :: v_dual_cndmask_b32 v0, v3, v0, vcc_lo
	s_delay_alu instid0(VALU_DEP_1) | instskip(NEXT) | instid1(VALU_DEP_1)
	v_cndmask_b32_e64 v68, v2, 0x70, vcc_lo
	v_dual_add_nc_u32 v2, 21, v68 :: v_dual_add_nc_u32 v80, 20, v68
	s_delay_alu instid0(VALU_DEP_1) | instskip(NEXT) | instid1(VALU_DEP_2)
	v_lshlrev_b64_e64 v[2:3], v2, -1
	v_lshlrev_b64_e64 v[46:47], v80, 1
	s_delay_alu instid0(VALU_DEP_2) | instskip(SKIP_1) | instid1(VALU_DEP_4)
	v_bfi_b32 v2, v2, 0, v0
	v_lshrrev_b64 v[0:1], v68, v[0:1]
	v_bfi_b32 v3, v3, 0, 0
	s_delay_alu instid0(VALU_DEP_1) | instskip(NEXT) | instid1(VALU_DEP_3)
	v_cmp_eq_u64_e64 s13, v[2:3], v[46:47]
	v_mov_b64_e32 v[2:3], v[0:1]
	s_and_saveexec_b32 s77, s13
; %bb.9582:                             ;   in Loop: Header=BB6_5830 Depth=4
	v_bfe_u32 v2, v0, 21, 1
	v_mov_b32_e32 v3, v113
	s_delay_alu instid0(VALU_DEP_1) | instskip(NEXT) | instid1(VALU_DEP_1)
	v_add_nc_u64_e32 v[2:3], v[0:1], v[2:3]
	v_add_nc_u64_e32 v[2:3], -1, v[2:3]
; %bb.9583:                             ;   in Loop: Header=BB6_5830 Depth=4
	s_or_b32 exec_lo, exec_lo, s77
	v_add_nc_u32_e32 v1, 0xffffff81, v52
	v_lshrrev_b32_e32 v3, 23, v0
	s_mov_b32 s13, exec_lo
	s_delay_alu instid0(VALU_DEP_2) | instskip(NEXT) | instid1(VALU_DEP_1)
	v_cndmask_b32_e64 v1, v1, 0xffffff82, vcc_lo
	v_add3_u32 v52, v68, v1, v3
	v_and_b32_e32 v1, 0x1fffff, v2
                                        ; implicit-def: $vgpr2
	s_delay_alu instid0(VALU_DEP_2) | instskip(NEXT) | instid1(VALU_DEP_2)
	v_add_nc_u32_e32 v3, 14, v52
	v_add_nc_u32_e32 v0, v1, v0
	v_mov_b32_e32 v1, v113
	s_delay_alu instid0(VALU_DEP_3)
	v_cmpx_ne_u32_e32 0, v3
	s_xor_b32 s13, exec_lo, s13
; %bb.9584:                             ;   in Loop: Header=BB6_5830 Depth=4
	s_delay_alu instid0(VALU_DEP_2) | instskip(SKIP_1) | instid1(VALU_DEP_1)
	v_cmp_lt_u64_e32 vcc_lo, 0xffffff, v[0:1]
	v_add_nc_u32_e32 v2, 15, v52
	v_cndmask_b32_e32 v2, v3, v2, vcc_lo
	v_cndmask_b32_e64 v3, 0, 1, vcc_lo
	s_delay_alu instid0(VALU_DEP_1)
	v_lshrrev_b64 v[0:1], v3, v[0:1]
; %bb.9585:                             ;   in Loop: Header=BB6_5830 Depth=4
	s_and_not1_saveexec_b32 s13, s13
; %bb.9586:                             ;   in Loop: Header=BB6_5830 Depth=4
	s_delay_alu instid0(VALU_DEP_1)
	v_bfe_u32 v2, v0, 23, 1
; %bb.9587:                             ;   in Loop: Header=BB6_5830 Depth=4
	s_or_b32 exec_lo, exec_lo, s13
	s_delay_alu instid0(VALU_DEP_2) | instskip(NEXT) | instid1(VALU_DEP_2)
	v_lshrrev_b64 v[0:1], 21, v[0:1]
	v_cmp_gt_i32_e32 vcc_lo, 32, v2
	v_min_i32_e32 v3, 31, v2
	v_cmp_eq_u32_e64 s13, 0, v2
	s_delay_alu instid0(VALU_DEP_2) | instskip(SKIP_1) | instid1(VALU_DEP_2)
	v_dual_cndmask_b32 v1, 0, v1, vcc_lo :: v_dual_lshlrev_b32 v3, 2, v3
	v_cndmask_b32_e32 v0, 3, v0, vcc_lo
	v_and_b32_e32 v3, 0xfc, v3
	s_delay_alu instid0(VALU_DEP_2) | instskip(NEXT) | instid1(VALU_DEP_2)
	v_cmp_eq_u64_e32 vcc_lo, 0, v[0:1]
	v_and_or_b32 v0, v0, 3, v3
	s_and_b32 s13, s13, vcc_lo
	s_delay_alu instid0(VALU_DEP_1) | instid1(SALU_CYCLE_1)
	v_cndmask_b32_e64 v0, v0, 0, s13
	s_delay_alu instid0(VALU_DEP_1)
	v_or_b32_e32 v52, v0, v64
.LBB6_9588:                             ;   in Loop: Header=BB6_5830 Depth=4
	s_or_b32 exec_lo, exec_lo, s76
                                        ; implicit-def: $vgpr64
.LBB6_9589:                             ;   in Loop: Header=BB6_5830 Depth=4
	s_and_not1_saveexec_b32 s13, s75
; %bb.9590:                             ;   in Loop: Header=BB6_5830 Depth=4
	v_or_b32_e32 v52, 0x7b, v64
; %bb.9591:                             ;   in Loop: Header=BB6_5830 Depth=4
	s_or_b32 exec_lo, exec_lo, s13
                                        ; implicit-def: $vgpr2
                                        ; implicit-def: $vgpr0_vgpr1
                                        ; implicit-def: $vgpr3
.LBB6_9592:                             ;   in Loop: Header=BB6_5830 Depth=4
	s_and_not1_saveexec_b32 s13, s74
	s_cbranch_execz .LBB6_9598
; %bb.9593:                             ;   in Loop: Header=BB6_5830 Depth=4
	s_mov_b32 s74, exec_lo
                                        ; implicit-def: $vgpr52
	v_cmpx_ne_u64_e32 0, v[0:1]
	s_xor_b32 s74, exec_lo, s74
; %bb.9594:                             ;   in Loop: Header=BB6_5830 Depth=4
	v_or_b32_e32 v52, 0x7f, v3
                                        ; implicit-def: $vgpr2
; %bb.9595:                             ;   in Loop: Header=BB6_5830 Depth=4
	s_and_not1_saveexec_b32 s74, s74
; %bb.9596:                             ;   in Loop: Header=BB6_5830 Depth=4
	v_cmp_lt_i32_e32 vcc_lo, -1, v2
	v_mov_b32_e32 v0, 0x7c
	s_delay_alu instid0(VALU_DEP_1)
	v_cndmask_b32_e32 v52, 0xfc, v0, vcc_lo
; %bb.9597:                             ;   in Loop: Header=BB6_5830 Depth=4
	s_or_b32 exec_lo, exec_lo, s74
.LBB6_9598:                             ;   in Loop: Header=BB6_5830 Depth=4
	s_delay_alu instid0(SALU_CYCLE_1) | instskip(SKIP_3) | instid1(VALU_DEP_2)
	s_or_b32 exec_lo, exec_lo, s13
	v_dual_mov_b32 v1, 0 :: v_dual_lshrrev_b32 v0, 16, v112
	v_mov_b32_e32 v2, 0
	s_mov_b32 s74, exec_lo
	v_and_b32_e32 v3, 0xff, v0
	s_delay_alu instid0(VALU_DEP_1)
	v_cmpx_ne_u16_e32 0, v3
	s_cbranch_execz .LBB6_9608
; %bb.9599:                             ;   in Loop: Header=BB6_5830 Depth=4
	v_bfrev_b32_e32 v2, 1
	s_mov_b32 s75, exec_lo
	v_cmpx_ne_u16_e32 0x80, v3
	s_cbranch_execz .LBB6_9607
; %bb.9600:                             ;   in Loop: Header=BB6_5830 Depth=4
	v_and_b32_e32 v2, 0x7c0000, v112
	v_bfe_u32 v3, v112, 16, 2
	s_delay_alu instid0(VALU_DEP_2) | instskip(SKIP_1) | instid1(SALU_CYCLE_1)
	v_cmp_ne_u32_e32 vcc_lo, 0x7c0000, v2
                                        ; implicit-def: $vgpr2
	s_and_saveexec_b32 s13, vcc_lo
	s_xor_b32 s13, exec_lo, s13
	s_cbranch_execz .LBB6_9604
; %bb.9601:                             ;   in Loop: Header=BB6_5830 Depth=4
	v_bfe_u32 v2, v112, 18, 5
	s_mov_b32 s76, exec_lo
	s_delay_alu instid0(VALU_DEP_1)
	v_cmpx_eq_u32_e32 0, v2
; %bb.9602:                             ;   in Loop: Header=BB6_5830 Depth=4
	v_clz_i32_u32_e32 v2, v3
	s_delay_alu instid0(VALU_DEP_1) | instskip(NEXT) | instid1(VALU_DEP_1)
	v_min_u32_e32 v2, 32, v2
	v_subrev_nc_u32_e32 v3, 29, v2
	v_sub_nc_u32_e32 v2, 30, v2
	s_delay_alu instid0(VALU_DEP_2) | instskip(NEXT) | instid1(VALU_DEP_1)
	v_lshlrev_b64_e32 v[46:47], v3, v[0:1]
	v_and_b32_e32 v3, 3, v46
; %bb.9603:                             ;   in Loop: Header=BB6_5830 Depth=4
	s_or_b32 exec_lo, exec_lo, s76
	v_lshlrev_b32_e32 v0, 24, v0
	s_delay_alu instid0(VALU_DEP_1) | instskip(NEXT) | instid1(VALU_DEP_1)
	v_and_b32_e32 v0, 0x80000000, v0
	v_lshl_add_u32 v0, v2, 23, v0
	s_delay_alu instid0(VALU_DEP_1) | instskip(NEXT) | instid1(VALU_DEP_1)
	v_lshl_or_b32 v0, v3, 21, v0
                                        ; implicit-def: $vgpr3
	v_add_nc_u32_e32 v2, 0x38000000, v0
                                        ; implicit-def: $vgpr0
.LBB6_9604:                             ;   in Loop: Header=BB6_5830 Depth=4
	s_and_not1_saveexec_b32 s76, s13
; %bb.9605:                             ;   in Loop: Header=BB6_5830 Depth=4
	v_bfe_i32 v0, v0, 0, 8
	v_cmp_eq_u32_e32 vcc_lo, 0, v3
	s_delay_alu instid0(VALU_DEP_2) | instskip(SKIP_1) | instid1(VALU_DEP_1)
	v_cmp_lt_i16_e64 s13, -1, v0
	v_mov_b32_e32 v0, 0x7f800000
	v_cndmask_b32_e64 v0, 0xff800000, v0, s13
	s_delay_alu instid0(VALU_DEP_1)
	v_cndmask_b32_e32 v2, 0x7f800001, v0, vcc_lo
; %bb.9606:                             ;   in Loop: Header=BB6_5830 Depth=4
	s_or_b32 exec_lo, exec_lo, s76
.LBB6_9607:                             ;   in Loop: Header=BB6_5830 Depth=4
	s_delay_alu instid0(SALU_CYCLE_1)
	s_or_b32 exec_lo, exec_lo, s75
.LBB6_9608:                             ;   in Loop: Header=BB6_5830 Depth=4
	s_delay_alu instid0(SALU_CYCLE_1) | instskip(SKIP_2) | instid1(VALU_DEP_1)
	s_or_b32 exec_lo, exec_lo, s74
	v_lshrrev_b32_e32 v0, 16, v15
	s_mov_b32 s74, exec_lo
	v_and_b32_e32 v3, 0xff, v0
	s_delay_alu instid0(VALU_DEP_1)
	v_cmpx_ne_u16_e32 0, v3
	s_cbranch_execz .LBB6_9618
; %bb.9609:                             ;   in Loop: Header=BB6_5830 Depth=4
	v_bfrev_b32_e32 v1, 1
	s_mov_b32 s75, exec_lo
	v_cmpx_ne_u16_e32 0x80, v3
	s_cbranch_execz .LBB6_9617
; %bb.9610:                             ;   in Loop: Header=BB6_5830 Depth=4
	v_and_b32_e32 v1, 0x7c0000, v15
	v_bfe_u32 v3, v15, 16, 2
	s_delay_alu instid0(VALU_DEP_2) | instskip(SKIP_1) | instid1(SALU_CYCLE_1)
	v_cmp_ne_u32_e32 vcc_lo, 0x7c0000, v1
                                        ; implicit-def: $vgpr1
	s_and_saveexec_b32 s13, vcc_lo
	s_xor_b32 s13, exec_lo, s13
	s_cbranch_execz .LBB6_9614
; %bb.9611:                             ;   in Loop: Header=BB6_5830 Depth=4
	v_bfe_u32 v1, v15, 18, 5
	s_mov_b32 s76, exec_lo
	s_delay_alu instid0(VALU_DEP_1)
	v_cmpx_eq_u32_e32 0, v1
; %bb.9612:                             ;   in Loop: Header=BB6_5830 Depth=4
	v_clz_i32_u32_e32 v1, v3
	s_delay_alu instid0(VALU_DEP_1) | instskip(NEXT) | instid1(VALU_DEP_1)
	v_min_u32_e32 v1, 32, v1
	v_subrev_nc_u32_e32 v3, 29, v1
	s_delay_alu instid0(VALU_DEP_1) | instskip(NEXT) | instid1(VALU_DEP_1)
	v_lshlrev_b64_e32 v[46:47], v3, v[0:1]
	v_dual_sub_nc_u32 v1, 30, v1 :: v_dual_bitop2_b32 v3, 3, v46 bitop3:0x40
; %bb.9613:                             ;   in Loop: Header=BB6_5830 Depth=4
	s_or_b32 exec_lo, exec_lo, s76
	v_lshlrev_b32_e32 v0, 24, v0
	s_delay_alu instid0(VALU_DEP_1) | instskip(NEXT) | instid1(VALU_DEP_1)
	v_and_b32_e32 v0, 0x80000000, v0
	v_lshl_add_u32 v0, v1, 23, v0
	s_delay_alu instid0(VALU_DEP_1) | instskip(NEXT) | instid1(VALU_DEP_1)
	v_lshl_or_b32 v0, v3, 21, v0
                                        ; implicit-def: $vgpr3
	v_add_nc_u32_e32 v1, 0x38000000, v0
                                        ; implicit-def: $vgpr0
.LBB6_9614:                             ;   in Loop: Header=BB6_5830 Depth=4
	s_and_not1_saveexec_b32 s76, s13
; %bb.9615:                             ;   in Loop: Header=BB6_5830 Depth=4
	v_bfe_i32 v0, v0, 0, 8
	v_cmp_eq_u32_e32 vcc_lo, 0, v3
	s_delay_alu instid0(VALU_DEP_2) | instskip(SKIP_1) | instid1(VALU_DEP_1)
	v_cmp_lt_i16_e64 s13, -1, v0
	v_mov_b32_e32 v0, 0x7f800000
	v_cndmask_b32_e64 v0, 0xff800000, v0, s13
	s_delay_alu instid0(VALU_DEP_1)
	v_cndmask_b32_e32 v1, 0x7f800001, v0, vcc_lo
; %bb.9616:                             ;   in Loop: Header=BB6_5830 Depth=4
	s_or_b32 exec_lo, exec_lo, s76
.LBB6_9617:                             ;   in Loop: Header=BB6_5830 Depth=4
	s_delay_alu instid0(SALU_CYCLE_1)
	s_or_b32 exec_lo, exec_lo, s75
.LBB6_9618:                             ;   in Loop: Header=BB6_5830 Depth=4
	s_delay_alu instid0(SALU_CYCLE_1) | instskip(NEXT) | instid1(VALU_DEP_1)
	s_or_b32 exec_lo, exec_lo, s74
	v_dual_add_f32 v2, v2, v1 :: v_dual_mov_b32 v47, v113
	v_mov_b32_e32 v1, v113
                                        ; implicit-def: $vgpr64
	s_mov_b32 s13, exec_lo
	s_delay_alu instid0(VALU_DEP_2) | instskip(SKIP_2) | instid1(VALU_DEP_3)
	v_and_b32_e32 v46, 0x7f800000, v2
	v_and_b32_e32 v0, 0x7fffff, v2
	v_lshrrev_b32_e32 v3, 24, v2
	v_cmpx_ne_u64_e32 0x7f800000, v[46:47]
	s_xor_b32 s74, exec_lo, s13
	s_cbranch_execz .LBB6_9632
; %bb.9619:                             ;   in Loop: Header=BB6_5830 Depth=4
	v_and_b32_e32 v46, 0x7fffffff, v2
	v_mov_b32_e32 v47, v113
	v_and_b32_e32 v68, 0x80, v3
                                        ; implicit-def: $vgpr64
	s_mov_b32 s13, exec_lo
	s_delay_alu instid0(VALU_DEP_2)
	v_cmpx_gt_u64_e32 0x47600001, v[46:47]
	s_xor_b32 s75, exec_lo, s13
	s_cbranch_execz .LBB6_9629
; %bb.9620:                             ;   in Loop: Header=BB6_5830 Depth=4
	v_mov_b32_e32 v64, 0
	s_mov_b32 s76, exec_lo
	v_cmpx_ne_u32_e32 0, v2
	s_cbranch_execz .LBB6_9628
; %bb.9621:                             ;   in Loop: Header=BB6_5830 Depth=4
	v_bfe_u32 v64, v2, 23, 8
	v_or_b32_e32 v3, 0x800000, v0
	s_delay_alu instid0(VALU_DEP_2) | instskip(SKIP_2) | instid1(VALU_DEP_2)
	v_cmp_gt_u32_e64 s13, 0x72, v64
	v_sub_nc_u32_e32 v2, 0x71, v64
	v_cmp_eq_u32_e32 vcc_lo, 0, v64
	v_dual_cndmask_b32 v2, 0, v2, s13 :: v_dual_cndmask_b32 v0, v3, v0, vcc_lo
	s_delay_alu instid0(VALU_DEP_1) | instskip(NEXT) | instid1(VALU_DEP_1)
	v_cndmask_b32_e64 v80, v2, 0x70, vcc_lo
	v_dual_add_nc_u32 v2, 21, v80 :: v_dual_add_nc_u32 v83, 20, v80
	s_delay_alu instid0(VALU_DEP_1) | instskip(NEXT) | instid1(VALU_DEP_2)
	v_lshlrev_b64_e64 v[2:3], v2, -1
	v_lshlrev_b64_e64 v[46:47], v83, 1
	s_delay_alu instid0(VALU_DEP_2) | instskip(SKIP_1) | instid1(VALU_DEP_4)
	v_bfi_b32 v2, v2, 0, v0
	v_lshrrev_b64 v[0:1], v80, v[0:1]
	v_bfi_b32 v3, v3, 0, 0
	s_delay_alu instid0(VALU_DEP_1) | instskip(NEXT) | instid1(VALU_DEP_3)
	v_cmp_eq_u64_e64 s13, v[2:3], v[46:47]
	v_mov_b64_e32 v[2:3], v[0:1]
	s_and_saveexec_b32 s77, s13
; %bb.9622:                             ;   in Loop: Header=BB6_5830 Depth=4
	v_bfe_u32 v2, v0, 21, 1
	v_mov_b32_e32 v3, v113
	s_delay_alu instid0(VALU_DEP_1) | instskip(NEXT) | instid1(VALU_DEP_1)
	v_add_nc_u64_e32 v[2:3], v[0:1], v[2:3]
	v_add_nc_u64_e32 v[2:3], -1, v[2:3]
; %bb.9623:                             ;   in Loop: Header=BB6_5830 Depth=4
	s_or_b32 exec_lo, exec_lo, s77
	v_add_nc_u32_e32 v1, 0xffffff81, v64
	v_lshrrev_b32_e32 v3, 23, v0
	s_mov_b32 s13, exec_lo
	s_delay_alu instid0(VALU_DEP_2) | instskip(NEXT) | instid1(VALU_DEP_1)
	v_cndmask_b32_e64 v1, v1, 0xffffff82, vcc_lo
	v_add3_u32 v64, v80, v1, v3
	v_and_b32_e32 v1, 0x1fffff, v2
                                        ; implicit-def: $vgpr2
	s_delay_alu instid0(VALU_DEP_2) | instskip(NEXT) | instid1(VALU_DEP_2)
	v_add_nc_u32_e32 v3, 14, v64
	v_add_nc_u32_e32 v0, v1, v0
	v_mov_b32_e32 v1, v113
	s_delay_alu instid0(VALU_DEP_3)
	v_cmpx_ne_u32_e32 0, v3
	s_xor_b32 s13, exec_lo, s13
; %bb.9624:                             ;   in Loop: Header=BB6_5830 Depth=4
	s_delay_alu instid0(VALU_DEP_2) | instskip(SKIP_1) | instid1(VALU_DEP_1)
	v_cmp_lt_u64_e32 vcc_lo, 0xffffff, v[0:1]
	v_add_nc_u32_e32 v2, 15, v64
	v_cndmask_b32_e32 v2, v3, v2, vcc_lo
	v_cndmask_b32_e64 v3, 0, 1, vcc_lo
	s_delay_alu instid0(VALU_DEP_1)
	v_lshrrev_b64 v[0:1], v3, v[0:1]
; %bb.9625:                             ;   in Loop: Header=BB6_5830 Depth=4
	s_and_not1_saveexec_b32 s13, s13
; %bb.9626:                             ;   in Loop: Header=BB6_5830 Depth=4
	s_delay_alu instid0(VALU_DEP_1)
	v_bfe_u32 v2, v0, 23, 1
; %bb.9627:                             ;   in Loop: Header=BB6_5830 Depth=4
	s_or_b32 exec_lo, exec_lo, s13
	s_delay_alu instid0(VALU_DEP_2) | instskip(NEXT) | instid1(VALU_DEP_2)
	v_lshrrev_b64 v[0:1], 21, v[0:1]
	v_cmp_gt_i32_e32 vcc_lo, 32, v2
	v_min_i32_e32 v3, 31, v2
	v_cmp_eq_u32_e64 s13, 0, v2
	s_delay_alu instid0(VALU_DEP_2) | instskip(SKIP_1) | instid1(VALU_DEP_2)
	v_dual_cndmask_b32 v1, 0, v1, vcc_lo :: v_dual_lshlrev_b32 v3, 2, v3
	v_cndmask_b32_e32 v0, 3, v0, vcc_lo
	v_and_b32_e32 v3, 0xfc, v3
	s_delay_alu instid0(VALU_DEP_2) | instskip(NEXT) | instid1(VALU_DEP_2)
	v_cmp_eq_u64_e32 vcc_lo, 0, v[0:1]
	v_and_or_b32 v0, v0, 3, v3
	s_and_b32 s13, s13, vcc_lo
	s_delay_alu instid0(VALU_DEP_1) | instid1(SALU_CYCLE_1)
	v_cndmask_b32_e64 v0, v0, 0, s13
	s_delay_alu instid0(VALU_DEP_1)
	v_or_b32_e32 v64, v0, v68
.LBB6_9628:                             ;   in Loop: Header=BB6_5830 Depth=4
	s_or_b32 exec_lo, exec_lo, s76
                                        ; implicit-def: $vgpr68
.LBB6_9629:                             ;   in Loop: Header=BB6_5830 Depth=4
	s_and_not1_saveexec_b32 s13, s75
; %bb.9630:                             ;   in Loop: Header=BB6_5830 Depth=4
	v_or_b32_e32 v64, 0x7b, v68
; %bb.9631:                             ;   in Loop: Header=BB6_5830 Depth=4
	s_or_b32 exec_lo, exec_lo, s13
                                        ; implicit-def: $vgpr2
                                        ; implicit-def: $vgpr0_vgpr1
                                        ; implicit-def: $vgpr3
.LBB6_9632:                             ;   in Loop: Header=BB6_5830 Depth=4
	s_and_not1_saveexec_b32 s13, s74
	s_cbranch_execz .LBB6_9638
; %bb.9633:                             ;   in Loop: Header=BB6_5830 Depth=4
	s_mov_b32 s74, exec_lo
                                        ; implicit-def: $vgpr64
	v_cmpx_ne_u64_e32 0, v[0:1]
	s_xor_b32 s74, exec_lo, s74
; %bb.9634:                             ;   in Loop: Header=BB6_5830 Depth=4
	v_or_b32_e32 v64, 0x7f, v3
                                        ; implicit-def: $vgpr2
; %bb.9635:                             ;   in Loop: Header=BB6_5830 Depth=4
	s_and_not1_saveexec_b32 s74, s74
; %bb.9636:                             ;   in Loop: Header=BB6_5830 Depth=4
	v_cmp_lt_i32_e32 vcc_lo, -1, v2
	v_mov_b32_e32 v0, 0x7c
	s_delay_alu instid0(VALU_DEP_1)
	v_cndmask_b32_e32 v64, 0xfc, v0, vcc_lo
; %bb.9637:                             ;   in Loop: Header=BB6_5830 Depth=4
	s_or_b32 exec_lo, exec_lo, s74
.LBB6_9638:                             ;   in Loop: Header=BB6_5830 Depth=4
	s_delay_alu instid0(SALU_CYCLE_1)
	s_or_b32 exec_lo, exec_lo, s13
	v_dual_mov_b32 v1, 0 :: v_dual_mov_b32 v2, 0
	s_mov_b32 s74, exec_lo
	v_cmpx_lt_u32_e32 0xffffff, v112
	s_cbranch_execz .LBB6_9648
; %bb.9639:                             ;   in Loop: Header=BB6_5830 Depth=4
	v_lshrrev_b32_e32 v0, 24, v112
	v_bfrev_b32_e32 v2, 1
	s_mov_b32 s75, exec_lo
	s_delay_alu instid0(VALU_DEP_2)
	v_cmpx_ne_u32_e32 0x80, v0
	s_cbranch_execz .LBB6_9647
; %bb.9640:                             ;   in Loop: Header=BB6_5830 Depth=4
	v_and_b32_e32 v2, 0x7c000000, v112
	v_bfe_u32 v3, v112, 24, 2
	s_delay_alu instid0(VALU_DEP_2) | instskip(SKIP_1) | instid1(SALU_CYCLE_1)
	v_cmp_ne_u32_e32 vcc_lo, 0x7c000000, v2
                                        ; implicit-def: $vgpr2
	s_and_saveexec_b32 s13, vcc_lo
	s_xor_b32 s13, exec_lo, s13
	s_cbranch_execz .LBB6_9644
; %bb.9641:                             ;   in Loop: Header=BB6_5830 Depth=4
	v_bfe_u32 v2, v112, 26, 5
	s_mov_b32 s76, exec_lo
	s_delay_alu instid0(VALU_DEP_1)
	v_cmpx_eq_u32_e32 0, v2
; %bb.9642:                             ;   in Loop: Header=BB6_5830 Depth=4
	v_clz_i32_u32_e32 v2, v3
	s_delay_alu instid0(VALU_DEP_1) | instskip(NEXT) | instid1(VALU_DEP_1)
	v_min_u32_e32 v2, 32, v2
	v_subrev_nc_u32_e32 v3, 29, v2
	v_sub_nc_u32_e32 v2, 30, v2
	s_delay_alu instid0(VALU_DEP_2) | instskip(NEXT) | instid1(VALU_DEP_1)
	v_lshlrev_b64_e32 v[46:47], v3, v[0:1]
	v_and_b32_e32 v3, 3, v46
; %bb.9643:                             ;   in Loop: Header=BB6_5830 Depth=4
	s_or_b32 exec_lo, exec_lo, s76
	v_and_b32_e32 v0, 0x80000000, v112
	s_delay_alu instid0(VALU_DEP_1) | instskip(NEXT) | instid1(VALU_DEP_1)
	v_lshl_add_u32 v0, v2, 23, v0
	v_lshl_or_b32 v0, v3, 21, v0
                                        ; implicit-def: $vgpr3
	s_delay_alu instid0(VALU_DEP_1)
	v_add_nc_u32_e32 v2, 0x38000000, v0
.LBB6_9644:                             ;   in Loop: Header=BB6_5830 Depth=4
	s_and_not1_saveexec_b32 s76, s13
; %bb.9645:                             ;   in Loop: Header=BB6_5830 Depth=4
	v_cmp_lt_i32_e64 s13, -1, v112
	v_mov_b32_e32 v0, 0x7f800000
	v_cmp_eq_u32_e32 vcc_lo, 0, v3
	s_delay_alu instid0(VALU_DEP_2) | instskip(NEXT) | instid1(VALU_DEP_1)
	v_cndmask_b32_e64 v0, 0xff800000, v0, s13
	v_cndmask_b32_e32 v2, 0x7f800001, v0, vcc_lo
; %bb.9646:                             ;   in Loop: Header=BB6_5830 Depth=4
	s_or_b32 exec_lo, exec_lo, s76
.LBB6_9647:                             ;   in Loop: Header=BB6_5830 Depth=4
	s_delay_alu instid0(SALU_CYCLE_1)
	s_or_b32 exec_lo, exec_lo, s75
.LBB6_9648:                             ;   in Loop: Header=BB6_5830 Depth=4
	s_delay_alu instid0(SALU_CYCLE_1) | instskip(NEXT) | instid1(SALU_CYCLE_1)
	s_or_b32 exec_lo, exec_lo, s74
	s_mov_b32 s74, exec_lo
	v_cmpx_lt_u64_e64 s[22:23], v[14:15]
	s_cbranch_execz .LBB6_9658
; %bb.9649:                             ;   in Loop: Header=BB6_5830 Depth=4
	v_lshrrev_b32_e32 v0, 24, v15
	v_bfrev_b32_e32 v1, 1
	s_mov_b32 s75, exec_lo
	s_delay_alu instid0(VALU_DEP_2)
	v_cmpx_ne_u32_e32 0x80, v0
	s_cbranch_execz .LBB6_9657
; %bb.9650:                             ;   in Loop: Header=BB6_5830 Depth=4
	v_and_b32_e32 v1, 0x7c000000, v15
	v_bfe_u32 v3, v15, 24, 2
	s_delay_alu instid0(VALU_DEP_2) | instskip(SKIP_1) | instid1(SALU_CYCLE_1)
	v_cmp_ne_u32_e32 vcc_lo, 0x7c000000, v1
                                        ; implicit-def: $vgpr1
	s_and_saveexec_b32 s13, vcc_lo
	s_xor_b32 s13, exec_lo, s13
	s_cbranch_execz .LBB6_9654
; %bb.9651:                             ;   in Loop: Header=BB6_5830 Depth=4
	v_bfe_u32 v1, v15, 26, 5
	s_mov_b32 s76, exec_lo
	s_delay_alu instid0(VALU_DEP_1)
	v_cmpx_eq_u32_e32 0, v1
; %bb.9652:                             ;   in Loop: Header=BB6_5830 Depth=4
	v_clz_i32_u32_e32 v1, v3
	s_delay_alu instid0(VALU_DEP_1) | instskip(NEXT) | instid1(VALU_DEP_1)
	v_min_u32_e32 v3, 32, v1
	v_subrev_nc_u32_e32 v1, 29, v3
	s_delay_alu instid0(VALU_DEP_1) | instskip(NEXT) | instid1(VALU_DEP_1)
	v_lshlrev_b64_e32 v[0:1], v1, v[0:1]
	v_dual_sub_nc_u32 v1, 30, v3 :: v_dual_bitop2_b32 v3, 3, v0 bitop3:0x40
; %bb.9653:                             ;   in Loop: Header=BB6_5830 Depth=4
	s_or_b32 exec_lo, exec_lo, s76
	v_and_b32_e32 v0, 0x80000000, v15
                                        ; implicit-def: $vgpr14_vgpr15
	s_delay_alu instid0(VALU_DEP_1) | instskip(NEXT) | instid1(VALU_DEP_1)
	v_lshl_add_u32 v0, v1, 23, v0
	v_lshl_or_b32 v0, v3, 21, v0
                                        ; implicit-def: $vgpr3
	s_delay_alu instid0(VALU_DEP_1)
	v_add_nc_u32_e32 v1, 0x38000000, v0
.LBB6_9654:                             ;   in Loop: Header=BB6_5830 Depth=4
	s_and_not1_saveexec_b32 s76, s13
; %bb.9655:                             ;   in Loop: Header=BB6_5830 Depth=4
	v_cmp_lt_i64_e64 s13, -1, v[14:15]
	v_mov_b32_e32 v0, 0x7f800000
	v_cmp_eq_u32_e32 vcc_lo, 0, v3
	s_delay_alu instid0(VALU_DEP_2) | instskip(NEXT) | instid1(VALU_DEP_1)
	v_cndmask_b32_e64 v0, 0xff800000, v0, s13
	v_cndmask_b32_e32 v1, 0x7f800001, v0, vcc_lo
; %bb.9656:                             ;   in Loop: Header=BB6_5830 Depth=4
	s_or_b32 exec_lo, exec_lo, s76
.LBB6_9657:                             ;   in Loop: Header=BB6_5830 Depth=4
	s_delay_alu instid0(SALU_CYCLE_1)
	s_or_b32 exec_lo, exec_lo, s75
.LBB6_9658:                             ;   in Loop: Header=BB6_5830 Depth=4
	s_delay_alu instid0(SALU_CYCLE_1) | instskip(NEXT) | instid1(VALU_DEP_1)
	s_or_b32 exec_lo, exec_lo, s74
	v_dual_add_f32 v0, v2, v1 :: v_dual_mov_b32 v3, v113
                                        ; implicit-def: $vgpr14
	s_mov_b32 s13, exec_lo
	s_delay_alu instid0(VALU_DEP_1) | instskip(SKIP_2) | instid1(VALU_DEP_3)
	v_and_b32_e32 v2, 0x7f800000, v0
	v_and_b32_e32 v112, 0x7fffff, v0
	v_lshrrev_b32_e32 v1, 24, v0
	v_cmpx_ne_u64_e32 0x7f800000, v[2:3]
	s_xor_b32 s74, exec_lo, s13
	s_cbranch_execz .LBB6_9672
; %bb.9659:                             ;   in Loop: Header=BB6_5830 Depth=4
	v_and_b32_e32 v2, 0x7fffffff, v0
	v_mov_b32_e32 v3, v113
	v_and_b32_e32 v15, 0x80, v1
                                        ; implicit-def: $vgpr14
	s_mov_b32 s13, exec_lo
	s_delay_alu instid0(VALU_DEP_2)
	v_cmpx_gt_u64_e32 0x47600001, v[2:3]
	s_xor_b32 s75, exec_lo, s13
	s_cbranch_execz .LBB6_9669
; %bb.9660:                             ;   in Loop: Header=BB6_5830 Depth=4
	v_mov_b32_e32 v14, 0
	s_mov_b32 s76, exec_lo
	v_cmpx_ne_u32_e32 0, v0
	s_cbranch_execz .LBB6_9668
; %bb.9661:                             ;   in Loop: Header=BB6_5830 Depth=4
	v_bfe_u32 v14, v0, 23, 8
	v_or_b32_e32 v1, 0x800000, v112
	s_delay_alu instid0(VALU_DEP_2) | instskip(SKIP_2) | instid1(VALU_DEP_2)
	v_cmp_gt_u32_e64 s13, 0x72, v14
	v_sub_nc_u32_e32 v0, 0x71, v14
	v_cmp_eq_u32_e32 vcc_lo, 0, v14
	v_cndmask_b32_e64 v0, 0, v0, s13
	s_delay_alu instid0(VALU_DEP_1) | instskip(SKIP_1) | instid1(VALU_DEP_2)
	v_cndmask_b32_e64 v68, v0, 0x70, vcc_lo
	v_cndmask_b32_e32 v0, v1, v112, vcc_lo
	v_dual_mov_b32 v1, v113 :: v_dual_add_nc_u32 v2, 21, v68
	v_add_nc_u32_e32 v80, 20, v68
	s_delay_alu instid0(VALU_DEP_2) | instskip(NEXT) | instid1(VALU_DEP_2)
	v_lshlrev_b64_e64 v[2:3], v2, -1
	v_lshlrev_b64_e64 v[46:47], v80, 1
	s_delay_alu instid0(VALU_DEP_2) | instskip(SKIP_1) | instid1(VALU_DEP_4)
	v_bfi_b32 v2, v2, 0, v0
	v_lshrrev_b64 v[0:1], v68, v[0:1]
	v_bfi_b32 v3, v3, 0, 0
	s_delay_alu instid0(VALU_DEP_1) | instskip(NEXT) | instid1(VALU_DEP_3)
	v_cmp_eq_u64_e64 s13, v[2:3], v[46:47]
	v_mov_b64_e32 v[2:3], v[0:1]
	s_and_saveexec_b32 s77, s13
; %bb.9662:                             ;   in Loop: Header=BB6_5830 Depth=4
	v_bfe_u32 v2, v0, 21, 1
	v_mov_b32_e32 v3, v113
	s_delay_alu instid0(VALU_DEP_1) | instskip(NEXT) | instid1(VALU_DEP_1)
	v_add_nc_u64_e32 v[2:3], v[0:1], v[2:3]
	v_add_nc_u64_e32 v[2:3], -1, v[2:3]
; %bb.9663:                             ;   in Loop: Header=BB6_5830 Depth=4
	s_or_b32 exec_lo, exec_lo, s77
	v_add_nc_u32_e32 v1, 0xffffff81, v14
	s_delay_alu instid0(VALU_DEP_2) | instskip(SKIP_2) | instid1(VALU_DEP_3)
	v_and_b32_e32 v2, 0x1fffff, v2
	v_lshrrev_b32_e32 v3, 23, v0
	s_mov_b32 s13, exec_lo
	v_cndmask_b32_e64 v1, v1, 0xffffff82, vcc_lo
	s_delay_alu instid0(VALU_DEP_3) | instskip(NEXT) | instid1(VALU_DEP_2)
	v_add_nc_u32_e32 v112, v2, v0
                                        ; implicit-def: $vgpr2
	v_add3_u32 v14, v68, v1, v3
                                        ; implicit-def: $vgpr0_vgpr1
	s_delay_alu instid0(VALU_DEP_1) | instskip(NEXT) | instid1(VALU_DEP_1)
	v_add_nc_u32_e32 v3, 14, v14
	v_cmpx_ne_u32_e32 0, v3
	s_xor_b32 s13, exec_lo, s13
; %bb.9664:                             ;   in Loop: Header=BB6_5830 Depth=4
	v_cmp_lt_u64_e32 vcc_lo, 0xffffff, v[112:113]
	v_add_nc_u32_e32 v0, 15, v14
	s_delay_alu instid0(VALU_DEP_1) | instskip(SKIP_1) | instid1(VALU_DEP_1)
	v_cndmask_b32_e32 v2, v3, v0, vcc_lo
	v_cndmask_b32_e64 v0, 0, 1, vcc_lo
	v_lshrrev_b64 v[0:1], v0, v[112:113]
; %bb.9665:                             ;   in Loop: Header=BB6_5830 Depth=4
	s_and_not1_saveexec_b32 s13, s13
; %bb.9666:                             ;   in Loop: Header=BB6_5830 Depth=4
	v_mov_b64_e32 v[0:1], v[112:113]
	v_bfe_u32 v2, v112, 23, 1
; %bb.9667:                             ;   in Loop: Header=BB6_5830 Depth=4
	s_or_b32 exec_lo, exec_lo, s13
	s_delay_alu instid0(VALU_DEP_2) | instskip(NEXT) | instid1(VALU_DEP_2)
	v_lshrrev_b64 v[0:1], 21, v[0:1]
	v_cmp_gt_i32_e32 vcc_lo, 32, v2
	v_min_i32_e32 v3, 31, v2
	v_cmp_eq_u32_e64 s13, 0, v2
	s_delay_alu instid0(VALU_DEP_2) | instskip(SKIP_1) | instid1(VALU_DEP_2)
	v_dual_cndmask_b32 v1, 0, v1, vcc_lo :: v_dual_lshlrev_b32 v3, 2, v3
	v_cndmask_b32_e32 v0, 3, v0, vcc_lo
	v_and_b32_e32 v3, 0xfc, v3
	s_delay_alu instid0(VALU_DEP_2) | instskip(NEXT) | instid1(VALU_DEP_2)
	v_cmp_eq_u64_e32 vcc_lo, 0, v[0:1]
	v_and_or_b32 v0, v0, 3, v3
	s_and_b32 s13, s13, vcc_lo
	s_delay_alu instid0(VALU_DEP_1) | instid1(SALU_CYCLE_1)
	v_cndmask_b32_e64 v0, v0, 0, s13
	s_delay_alu instid0(VALU_DEP_1)
	v_or_b32_e32 v14, v0, v15
.LBB6_9668:                             ;   in Loop: Header=BB6_5830 Depth=4
	s_or_b32 exec_lo, exec_lo, s76
                                        ; implicit-def: $vgpr15
.LBB6_9669:                             ;   in Loop: Header=BB6_5830 Depth=4
	s_and_not1_saveexec_b32 s13, s75
; %bb.9670:                             ;   in Loop: Header=BB6_5830 Depth=4
	v_or_b32_e32 v14, 0x7b, v15
; %bb.9671:                             ;   in Loop: Header=BB6_5830 Depth=4
	s_or_b32 exec_lo, exec_lo, s13
                                        ; implicit-def: $vgpr0
                                        ; implicit-def: $vgpr1
.LBB6_9672:                             ;   in Loop: Header=BB6_5830 Depth=4
	s_and_not1_saveexec_b32 s13, s74
	s_cbranch_execz .LBB6_9678
; %bb.9673:                             ;   in Loop: Header=BB6_5830 Depth=4
	s_mov_b32 s74, exec_lo
                                        ; implicit-def: $vgpr14
	v_cmpx_ne_u64_e32 0, v[112:113]
	s_xor_b32 s74, exec_lo, s74
; %bb.9674:                             ;   in Loop: Header=BB6_5830 Depth=4
	v_or_b32_e32 v14, 0x7f, v1
                                        ; implicit-def: $vgpr0
; %bb.9675:                             ;   in Loop: Header=BB6_5830 Depth=4
	s_and_not1_saveexec_b32 s74, s74
; %bb.9676:                             ;   in Loop: Header=BB6_5830 Depth=4
	v_cmp_lt_i32_e32 vcc_lo, -1, v0
	v_mov_b32_e32 v0, 0x7c
	s_delay_alu instid0(VALU_DEP_1)
	v_cndmask_b32_e32 v14, 0xfc, v0, vcc_lo
; %bb.9677:                             ;   in Loop: Header=BB6_5830 Depth=4
	s_or_b32 exec_lo, exec_lo, s74
.LBB6_9678:                             ;   in Loop: Header=BB6_5830 Depth=4
	s_delay_alu instid0(SALU_CYCLE_1) | instskip(SKIP_4) | instid1(VALU_DEP_1)
	s_or_b32 exec_lo, exec_lo, s13
	v_lshl_or_b32 v39, v39, 8, v31
	v_lshlrev_b32_e32 v0, 16, v51
	v_lshlrev_b32_e32 v1, 24, v55
	s_mov_b32 s74, exec_lo
	v_or3_b32 v112, v0, v1, v39
	v_dual_mov_b32 v0, 0 :: v_dual_mov_b32 v1, 0
	v_cmpx_ne_u32_e32 0, v31
	s_cbranch_execz .LBB6_9688
; %bb.9679:                             ;   in Loop: Header=BB6_5830 Depth=4
	v_bfrev_b32_e32 v1, 1
	s_mov_b32 s75, exec_lo
	v_cmpx_ne_u32_e32 0x80, v31
	s_cbranch_execz .LBB6_9687
; %bb.9680:                             ;   in Loop: Header=BB6_5830 Depth=4
	v_and_b32_e32 v1, 0x7c, v31
	v_and_b32_e32 v2, 3, v31
	s_delay_alu instid0(VALU_DEP_2) | instskip(SKIP_1) | instid1(SALU_CYCLE_1)
	v_cmp_ne_u32_e32 vcc_lo, 0x7c, v1
                                        ; implicit-def: $vgpr1
	s_and_saveexec_b32 s13, vcc_lo
	s_xor_b32 s13, exec_lo, s13
	s_cbranch_execz .LBB6_9684
; %bb.9681:                             ;   in Loop: Header=BB6_5830 Depth=4
	v_bfe_u32 v1, v31, 2, 5
	s_mov_b32 s76, exec_lo
	s_delay_alu instid0(VALU_DEP_1)
	v_cmpx_eq_u32_e32 0, v1
; %bb.9682:                             ;   in Loop: Header=BB6_5830 Depth=4
	v_clz_i32_u32_e32 v1, v2
	s_delay_alu instid0(VALU_DEP_1) | instskip(NEXT) | instid1(VALU_DEP_1)
	v_min_u32_e32 v1, 32, v1
	v_subrev_nc_u32_e32 v2, 29, v1
	s_delay_alu instid0(VALU_DEP_1) | instskip(NEXT) | instid1(VALU_DEP_1)
	v_lshlrev_b64_e32 v[2:3], v2, v[112:113]
	v_dual_sub_nc_u32 v1, 30, v1 :: v_dual_bitop2_b32 v2, 3, v2 bitop3:0x40
; %bb.9683:                             ;   in Loop: Header=BB6_5830 Depth=4
	s_or_b32 exec_lo, exec_lo, s76
	v_lshlrev_b32_e32 v3, 24, v31
                                        ; implicit-def: $vgpr31
	s_delay_alu instid0(VALU_DEP_1) | instskip(NEXT) | instid1(VALU_DEP_1)
	v_and_b32_e32 v3, 0x80000000, v3
	v_lshl_add_u32 v1, v1, 23, v3
	s_delay_alu instid0(VALU_DEP_1) | instskip(NEXT) | instid1(VALU_DEP_1)
	v_lshl_or_b32 v1, v2, 21, v1
                                        ; implicit-def: $vgpr2
	v_add_nc_u32_e32 v1, 0x38000000, v1
.LBB6_9684:                             ;   in Loop: Header=BB6_5830 Depth=4
	s_and_not1_saveexec_b32 s76, s13
; %bb.9685:                             ;   in Loop: Header=BB6_5830 Depth=4
	v_and_b32_e32 v1, 0x80, v31
	v_cmp_eq_u32_e32 vcc_lo, 0, v2
	s_delay_alu instid0(VALU_DEP_2) | instskip(SKIP_1) | instid1(VALU_DEP_1)
	v_cmp_eq_u32_e64 s13, 0, v1
	v_mov_b32_e32 v1, 0x7f800000
	v_cndmask_b32_e64 v1, 0xff800000, v1, s13
	s_delay_alu instid0(VALU_DEP_1)
	v_cndmask_b32_e32 v1, 0x7f800001, v1, vcc_lo
; %bb.9686:                             ;   in Loop: Header=BB6_5830 Depth=4
	s_or_b32 exec_lo, exec_lo, s76
.LBB6_9687:                             ;   in Loop: Header=BB6_5830 Depth=4
	s_delay_alu instid0(SALU_CYCLE_1)
	s_or_b32 exec_lo, exec_lo, s75
.LBB6_9688:                             ;   in Loop: Header=BB6_5830 Depth=4
	s_delay_alu instid0(SALU_CYCLE_1) | instskip(SKIP_3) | instid1(VALU_DEP_1)
	s_or_b32 exec_lo, exec_lo, s74
	s_wait_loadcnt 0x0
	v_and_b32_e32 v2, 0xff, v8
	s_mov_b32 s74, exec_lo
	v_cmpx_ne_u16_e32 0, v2
	s_cbranch_execz .LBB6_9698
; %bb.9689:                             ;   in Loop: Header=BB6_5830 Depth=4
	v_bfe_i32 v3, v8, 0, 8
	v_bfrev_b32_e32 v0, 1
	s_mov_b32 s75, exec_lo
	s_delay_alu instid0(VALU_DEP_2)
	v_cmpx_ne_u16_e32 0xff80, v3
	s_cbranch_execz .LBB6_9697
; %bb.9690:                             ;   in Loop: Header=BB6_5830 Depth=4
	v_and_b32_e32 v0, 0x7c, v8
	v_and_b32_e32 v2, 3, v8
	s_delay_alu instid0(VALU_DEP_2) | instskip(SKIP_1) | instid1(SALU_CYCLE_1)
	v_cmp_ne_u32_e32 vcc_lo, 0x7c, v0
                                        ; implicit-def: $vgpr0
	s_and_saveexec_b32 s13, vcc_lo
	s_xor_b32 s13, exec_lo, s13
	s_cbranch_execz .LBB6_9694
; %bb.9691:                             ;   in Loop: Header=BB6_5830 Depth=4
	v_bfe_u32 v0, v8, 2, 5
	s_mov_b32 s76, exec_lo
	s_delay_alu instid0(VALU_DEP_1)
	v_cmpx_eq_u32_e32 0, v0
; %bb.9692:                             ;   in Loop: Header=BB6_5830 Depth=4
	v_clz_i32_u32_e32 v0, v2
	s_delay_alu instid0(VALU_DEP_1) | instskip(NEXT) | instid1(VALU_DEP_1)
	v_min_u32_e32 v0, 32, v0
	v_subrev_nc_u32_e32 v2, 29, v0
	s_delay_alu instid0(VALU_DEP_1) | instskip(NEXT) | instid1(VALU_DEP_1)
	v_lshlrev_b64_e32 v[2:3], v2, v[8:9]
	v_dual_sub_nc_u32 v0, 30, v0 :: v_dual_bitop2_b32 v2, 3, v2 bitop3:0x40
; %bb.9693:                             ;   in Loop: Header=BB6_5830 Depth=4
	s_or_b32 exec_lo, exec_lo, s76
	v_lshlrev_b32_e32 v3, 24, v8
	s_delay_alu instid0(VALU_DEP_1) | instskip(NEXT) | instid1(VALU_DEP_1)
	v_and_b32_e32 v3, 0x80000000, v3
	v_lshl_add_u32 v0, v0, 23, v3
                                        ; implicit-def: $vgpr3
	s_delay_alu instid0(VALU_DEP_1) | instskip(NEXT) | instid1(VALU_DEP_1)
	v_lshl_or_b32 v0, v2, 21, v0
                                        ; implicit-def: $vgpr2
	v_add_nc_u32_e32 v0, 0x38000000, v0
.LBB6_9694:                             ;   in Loop: Header=BB6_5830 Depth=4
	s_and_not1_saveexec_b32 s76, s13
; %bb.9695:                             ;   in Loop: Header=BB6_5830 Depth=4
	v_cmp_lt_i16_e64 s13, -1, v3
	v_mov_b32_e32 v0, 0x7f800000
	v_cmp_eq_u32_e32 vcc_lo, 0, v2
	s_delay_alu instid0(VALU_DEP_2) | instskip(NEXT) | instid1(VALU_DEP_1)
	v_cndmask_b32_e64 v0, 0xff800000, v0, s13
	v_cndmask_b32_e32 v0, 0x7f800001, v0, vcc_lo
; %bb.9696:                             ;   in Loop: Header=BB6_5830 Depth=4
	s_or_b32 exec_lo, exec_lo, s76
.LBB6_9697:                             ;   in Loop: Header=BB6_5830 Depth=4
	s_delay_alu instid0(SALU_CYCLE_1)
	s_or_b32 exec_lo, exec_lo, s75
.LBB6_9698:                             ;   in Loop: Header=BB6_5830 Depth=4
	s_delay_alu instid0(SALU_CYCLE_1) | instskip(NEXT) | instid1(VALU_DEP_1)
	s_or_b32 exec_lo, exec_lo, s74
	v_add_f32_e32 v2, v1, v0
	v_dual_mov_b32 v47, v113 :: v_dual_mov_b32 v1, v113
                                        ; implicit-def: $vgpr15
	s_mov_b32 s13, exec_lo
	s_delay_alu instid0(VALU_DEP_2) | instskip(SKIP_2) | instid1(VALU_DEP_3)
	v_and_b32_e32 v46, 0x7f800000, v2
	v_and_b32_e32 v0, 0x7fffff, v2
	v_lshrrev_b32_e32 v3, 24, v2
	v_cmpx_ne_u64_e32 0x7f800000, v[46:47]
	s_xor_b32 s74, exec_lo, s13
	s_cbranch_execz .LBB6_9712
; %bb.9699:                             ;   in Loop: Header=BB6_5830 Depth=4
	v_and_b32_e32 v46, 0x7fffffff, v2
	v_mov_b32_e32 v47, v113
	v_and_b32_e32 v31, 0x80, v3
                                        ; implicit-def: $vgpr15
	s_mov_b32 s13, exec_lo
	s_delay_alu instid0(VALU_DEP_2)
	v_cmpx_gt_u64_e32 0x47600001, v[46:47]
	s_xor_b32 s75, exec_lo, s13
	s_cbranch_execz .LBB6_9709
; %bb.9700:                             ;   in Loop: Header=BB6_5830 Depth=4
	v_mov_b32_e32 v15, 0
	s_mov_b32 s76, exec_lo
	v_cmpx_ne_u32_e32 0, v2
	s_cbranch_execz .LBB6_9708
; %bb.9701:                             ;   in Loop: Header=BB6_5830 Depth=4
	v_bfe_u32 v15, v2, 23, 8
	v_or_b32_e32 v3, 0x800000, v0
	s_delay_alu instid0(VALU_DEP_2) | instskip(SKIP_2) | instid1(VALU_DEP_2)
	v_cmp_gt_u32_e64 s13, 0x72, v15
	v_sub_nc_u32_e32 v2, 0x71, v15
	v_cmp_eq_u32_e32 vcc_lo, 0, v15
	v_dual_cndmask_b32 v2, 0, v2, s13 :: v_dual_cndmask_b32 v0, v3, v0, vcc_lo
	s_delay_alu instid0(VALU_DEP_1) | instskip(NEXT) | instid1(VALU_DEP_1)
	v_cndmask_b32_e64 v51, v2, 0x70, vcc_lo
	v_dual_add_nc_u32 v2, 21, v51 :: v_dual_add_nc_u32 v55, 20, v51
	s_delay_alu instid0(VALU_DEP_1) | instskip(NEXT) | instid1(VALU_DEP_2)
	v_lshlrev_b64_e64 v[2:3], v2, -1
	v_lshlrev_b64_e64 v[46:47], v55, 1
	s_delay_alu instid0(VALU_DEP_2) | instskip(SKIP_1) | instid1(VALU_DEP_4)
	v_bfi_b32 v2, v2, 0, v0
	v_lshrrev_b64 v[0:1], v51, v[0:1]
	v_bfi_b32 v3, v3, 0, 0
	s_delay_alu instid0(VALU_DEP_1) | instskip(NEXT) | instid1(VALU_DEP_3)
	v_cmp_eq_u64_e64 s13, v[2:3], v[46:47]
	v_mov_b64_e32 v[2:3], v[0:1]
	s_and_saveexec_b32 s77, s13
; %bb.9702:                             ;   in Loop: Header=BB6_5830 Depth=4
	v_bfe_u32 v2, v0, 21, 1
	v_mov_b32_e32 v3, v113
	s_delay_alu instid0(VALU_DEP_1) | instskip(NEXT) | instid1(VALU_DEP_1)
	v_add_nc_u64_e32 v[2:3], v[0:1], v[2:3]
	v_add_nc_u64_e32 v[2:3], -1, v[2:3]
; %bb.9703:                             ;   in Loop: Header=BB6_5830 Depth=4
	s_or_b32 exec_lo, exec_lo, s77
	v_add_nc_u32_e32 v1, 0xffffff81, v15
	v_lshrrev_b32_e32 v3, 23, v0
	s_mov_b32 s13, exec_lo
	s_delay_alu instid0(VALU_DEP_2) | instskip(NEXT) | instid1(VALU_DEP_1)
	v_cndmask_b32_e64 v1, v1, 0xffffff82, vcc_lo
	v_add3_u32 v15, v51, v1, v3
	v_and_b32_e32 v1, 0x1fffff, v2
                                        ; implicit-def: $vgpr2
	s_delay_alu instid0(VALU_DEP_1) | instskip(SKIP_1) | instid1(VALU_DEP_2)
	v_dual_add_nc_u32 v3, 14, v15 :: v_dual_add_nc_u32 v0, v1, v0
	v_mov_b32_e32 v1, v113
	v_cmpx_ne_u32_e32 0, v3
	s_xor_b32 s13, exec_lo, s13
; %bb.9704:                             ;   in Loop: Header=BB6_5830 Depth=4
	s_delay_alu instid0(VALU_DEP_2) | instskip(SKIP_1) | instid1(VALU_DEP_1)
	v_cmp_lt_u64_e32 vcc_lo, 0xffffff, v[0:1]
	v_add_nc_u32_e32 v2, 15, v15
	v_cndmask_b32_e32 v2, v3, v2, vcc_lo
	v_cndmask_b32_e64 v3, 0, 1, vcc_lo
	s_delay_alu instid0(VALU_DEP_1)
	v_lshrrev_b64 v[0:1], v3, v[0:1]
; %bb.9705:                             ;   in Loop: Header=BB6_5830 Depth=4
	s_and_not1_saveexec_b32 s13, s13
; %bb.9706:                             ;   in Loop: Header=BB6_5830 Depth=4
	s_delay_alu instid0(VALU_DEP_1)
	v_bfe_u32 v2, v0, 23, 1
; %bb.9707:                             ;   in Loop: Header=BB6_5830 Depth=4
	s_or_b32 exec_lo, exec_lo, s13
	s_delay_alu instid0(VALU_DEP_2) | instskip(NEXT) | instid1(VALU_DEP_2)
	v_lshrrev_b64 v[0:1], 21, v[0:1]
	v_cmp_gt_i32_e32 vcc_lo, 32, v2
	v_min_i32_e32 v3, 31, v2
	v_cmp_eq_u32_e64 s13, 0, v2
	s_delay_alu instid0(VALU_DEP_2) | instskip(SKIP_1) | instid1(VALU_DEP_2)
	v_dual_cndmask_b32 v1, 0, v1, vcc_lo :: v_dual_lshlrev_b32 v3, 2, v3
	v_cndmask_b32_e32 v0, 3, v0, vcc_lo
	v_and_b32_e32 v3, 0xfc, v3
	s_delay_alu instid0(VALU_DEP_2) | instskip(NEXT) | instid1(VALU_DEP_2)
	v_cmp_eq_u64_e32 vcc_lo, 0, v[0:1]
	v_and_or_b32 v0, v0, 3, v3
	s_and_b32 s13, s13, vcc_lo
	s_delay_alu instid0(VALU_DEP_1) | instid1(SALU_CYCLE_1)
	v_cndmask_b32_e64 v0, v0, 0, s13
	s_delay_alu instid0(VALU_DEP_1)
	v_or_b32_e32 v15, v0, v31
.LBB6_9708:                             ;   in Loop: Header=BB6_5830 Depth=4
	s_or_b32 exec_lo, exec_lo, s76
                                        ; implicit-def: $vgpr31
.LBB6_9709:                             ;   in Loop: Header=BB6_5830 Depth=4
	s_and_not1_saveexec_b32 s13, s75
; %bb.9710:                             ;   in Loop: Header=BB6_5830 Depth=4
	v_or_b32_e32 v15, 0x7b, v31
; %bb.9711:                             ;   in Loop: Header=BB6_5830 Depth=4
	s_or_b32 exec_lo, exec_lo, s13
                                        ; implicit-def: $vgpr2
                                        ; implicit-def: $vgpr0_vgpr1
                                        ; implicit-def: $vgpr3
.LBB6_9712:                             ;   in Loop: Header=BB6_5830 Depth=4
	s_and_not1_saveexec_b32 s13, s74
	s_cbranch_execz .LBB6_9718
; %bb.9713:                             ;   in Loop: Header=BB6_5830 Depth=4
	s_mov_b32 s74, exec_lo
                                        ; implicit-def: $vgpr15
	v_cmpx_ne_u64_e32 0, v[0:1]
	s_xor_b32 s74, exec_lo, s74
; %bb.9714:                             ;   in Loop: Header=BB6_5830 Depth=4
	v_or_b32_e32 v15, 0x7f, v3
                                        ; implicit-def: $vgpr2
; %bb.9715:                             ;   in Loop: Header=BB6_5830 Depth=4
	s_and_not1_saveexec_b32 s74, s74
; %bb.9716:                             ;   in Loop: Header=BB6_5830 Depth=4
	v_cmp_lt_i32_e32 vcc_lo, -1, v2
	v_mov_b32_e32 v0, 0x7c
	s_delay_alu instid0(VALU_DEP_1)
	v_cndmask_b32_e32 v15, 0xfc, v0, vcc_lo
; %bb.9717:                             ;   in Loop: Header=BB6_5830 Depth=4
	s_or_b32 exec_lo, exec_lo, s74
.LBB6_9718:                             ;   in Loop: Header=BB6_5830 Depth=4
	s_delay_alu instid0(SALU_CYCLE_1) | instskip(SKIP_3) | instid1(VALU_DEP_2)
	s_or_b32 exec_lo, exec_lo, s13
	v_lshrrev_b16 v0, 8, v39
	v_dual_mov_b32 v2, 0 :: v_dual_mov_b32 v3, 0
	s_mov_b32 s74, exec_lo
	v_cmpx_ne_u16_e32 0, v0
	s_cbranch_execz .LBB6_9728
; %bb.9719:                             ;   in Loop: Header=BB6_5830 Depth=4
	v_bfrev_b32_e32 v3, 1
	s_mov_b32 s75, exec_lo
	v_cmpx_ne_u16_e32 0x80, v0
	s_cbranch_execz .LBB6_9727
; %bb.9720:                             ;   in Loop: Header=BB6_5830 Depth=4
	v_and_b32_e32 v31, 0xffff, v0
	s_delay_alu instid0(VALU_DEP_1) | instskip(SKIP_1) | instid1(VALU_DEP_2)
	v_and_b32_e32 v3, 0x7c, v31
	v_and_b32_e32 v1, 3, v31
	v_cmp_ne_u32_e32 vcc_lo, 0x7c, v3
                                        ; implicit-def: $vgpr3
	s_and_saveexec_b32 s13, vcc_lo
	s_delay_alu instid0(SALU_CYCLE_1)
	s_xor_b32 s13, exec_lo, s13
	s_cbranch_execz .LBB6_9724
; %bb.9721:                             ;   in Loop: Header=BB6_5830 Depth=4
	v_bfe_u32 v3, v31, 2, 5
	s_mov_b32 s76, exec_lo
	s_delay_alu instid0(VALU_DEP_1)
	v_cmpx_eq_u32_e32 0, v3
	s_cbranch_execz .LBB6_9723
; %bb.9722:                             ;   in Loop: Header=BB6_5830 Depth=4
	v_clz_i32_u32_e32 v1, v1
	s_delay_alu instid0(VALU_DEP_1) | instskip(SKIP_1) | instid1(VALU_DEP_2)
	v_min_u32_e32 v3, 32, v1
	v_mov_b32_e32 v1, v113
	v_subrev_nc_u32_e32 v31, 29, v3
	v_sub_nc_u32_e32 v3, 30, v3
	s_delay_alu instid0(VALU_DEP_2) | instskip(NEXT) | instid1(VALU_DEP_1)
	v_lshlrev_b64_e32 v[0:1], v31, v[0:1]
	v_and_b32_e32 v1, 3, v0
.LBB6_9723:                             ;   in Loop: Header=BB6_5830 Depth=4
	s_or_b32 exec_lo, exec_lo, s76
	v_lshlrev_b32_e32 v0, 16, v39
                                        ; implicit-def: $vgpr39
	s_delay_alu instid0(VALU_DEP_1) | instskip(NEXT) | instid1(VALU_DEP_1)
	v_and_b32_e32 v0, 0x80000000, v0
	v_lshl_add_u32 v0, v3, 23, v0
	s_delay_alu instid0(VALU_DEP_1) | instskip(NEXT) | instid1(VALU_DEP_1)
	v_lshl_or_b32 v0, v1, 21, v0
                                        ; implicit-def: $vgpr1
	v_add_nc_u32_e32 v3, 0x38000000, v0
.LBB6_9724:                             ;   in Loop: Header=BB6_5830 Depth=4
	s_and_not1_saveexec_b32 s76, s13
; %bb.9725:                             ;   in Loop: Header=BB6_5830 Depth=4
	v_cmp_lt_i16_e64 s13, -1, v39
	v_mov_b32_e32 v0, 0x7f800000
	v_cmp_eq_u32_e32 vcc_lo, 0, v1
	s_delay_alu instid0(VALU_DEP_2) | instskip(NEXT) | instid1(VALU_DEP_1)
	v_cndmask_b32_e64 v0, 0xff800000, v0, s13
	v_cndmask_b32_e32 v3, 0x7f800001, v0, vcc_lo
; %bb.9726:                             ;   in Loop: Header=BB6_5830 Depth=4
	s_or_b32 exec_lo, exec_lo, s76
.LBB6_9727:                             ;   in Loop: Header=BB6_5830 Depth=4
	s_delay_alu instid0(SALU_CYCLE_1)
	s_or_b32 exec_lo, exec_lo, s75
.LBB6_9728:                             ;   in Loop: Header=BB6_5830 Depth=4
	s_delay_alu instid0(SALU_CYCLE_1) | instskip(SKIP_2) | instid1(VALU_DEP_1)
	s_or_b32 exec_lo, exec_lo, s74
	v_lshrrev_b16 v0, 8, v8
	s_mov_b32 s74, exec_lo
	v_cmpx_ne_u16_e32 0, v0
	s_cbranch_execz .LBB6_9738
; %bb.9729:                             ;   in Loop: Header=BB6_5830 Depth=4
	v_bfrev_b32_e32 v2, 1
	s_mov_b32 s75, exec_lo
	v_cmpx_ne_u16_e32 0x80, v0
	s_cbranch_execz .LBB6_9737
; %bb.9730:                             ;   in Loop: Header=BB6_5830 Depth=4
	v_and_b32_e32 v31, 0xffff, v0
	s_delay_alu instid0(VALU_DEP_1) | instskip(SKIP_1) | instid1(VALU_DEP_2)
	v_and_b32_e32 v2, 0x7c, v31
	v_and_b32_e32 v1, 3, v31
	v_cmp_ne_u32_e32 vcc_lo, 0x7c, v2
                                        ; implicit-def: $vgpr2
	s_and_saveexec_b32 s13, vcc_lo
	s_delay_alu instid0(SALU_CYCLE_1)
	s_xor_b32 s13, exec_lo, s13
	s_cbranch_execz .LBB6_9734
; %bb.9731:                             ;   in Loop: Header=BB6_5830 Depth=4
	v_bfe_u32 v2, v31, 2, 5
	s_mov_b32 s76, exec_lo
	s_delay_alu instid0(VALU_DEP_1)
	v_cmpx_eq_u32_e32 0, v2
	s_cbranch_execz .LBB6_9733
; %bb.9732:                             ;   in Loop: Header=BB6_5830 Depth=4
	v_clz_i32_u32_e32 v1, v1
	s_delay_alu instid0(VALU_DEP_1) | instskip(SKIP_1) | instid1(VALU_DEP_2)
	v_min_u32_e32 v2, 32, v1
	v_mov_b32_e32 v1, v113
	v_subrev_nc_u32_e32 v31, 29, v2
	v_sub_nc_u32_e32 v2, 30, v2
	s_delay_alu instid0(VALU_DEP_2) | instskip(NEXT) | instid1(VALU_DEP_1)
	v_lshlrev_b64_e32 v[0:1], v31, v[0:1]
	v_and_b32_e32 v1, 3, v0
.LBB6_9733:                             ;   in Loop: Header=BB6_5830 Depth=4
	s_or_b32 exec_lo, exec_lo, s76
	v_lshlrev_b32_e32 v0, 16, v8
	s_delay_alu instid0(VALU_DEP_1) | instskip(NEXT) | instid1(VALU_DEP_1)
	v_and_b32_e32 v0, 0x80000000, v0
	v_lshl_add_u32 v0, v2, 23, v0
	s_delay_alu instid0(VALU_DEP_1) | instskip(NEXT) | instid1(VALU_DEP_1)
	v_lshl_or_b32 v0, v1, 21, v0
                                        ; implicit-def: $vgpr1
	v_add_nc_u32_e32 v2, 0x38000000, v0
.LBB6_9734:                             ;   in Loop: Header=BB6_5830 Depth=4
	s_and_not1_saveexec_b32 s76, s13
; %bb.9735:                             ;   in Loop: Header=BB6_5830 Depth=4
	v_cmp_lt_i16_e64 s13, -1, v8
	v_mov_b32_e32 v0, 0x7f800000
	v_cmp_eq_u32_e32 vcc_lo, 0, v1
	s_delay_alu instid0(VALU_DEP_2) | instskip(NEXT) | instid1(VALU_DEP_1)
	v_cndmask_b32_e64 v0, 0xff800000, v0, s13
	v_cndmask_b32_e32 v2, 0x7f800001, v0, vcc_lo
; %bb.9736:                             ;   in Loop: Header=BB6_5830 Depth=4
	s_or_b32 exec_lo, exec_lo, s76
.LBB6_9737:                             ;   in Loop: Header=BB6_5830 Depth=4
	s_delay_alu instid0(SALU_CYCLE_1)
	s_or_b32 exec_lo, exec_lo, s75
.LBB6_9738:                             ;   in Loop: Header=BB6_5830 Depth=4
	s_delay_alu instid0(SALU_CYCLE_1) | instskip(NEXT) | instid1(VALU_DEP_1)
	s_or_b32 exec_lo, exec_lo, s74
	v_dual_add_f32 v2, v3, v2 :: v_dual_mov_b32 v47, v113
	v_mov_b32_e32 v1, v113
                                        ; implicit-def: $vgpr31
	s_mov_b32 s13, exec_lo
	s_delay_alu instid0(VALU_DEP_2) | instskip(SKIP_2) | instid1(VALU_DEP_3)
	v_and_b32_e32 v46, 0x7f800000, v2
	v_and_b32_e32 v0, 0x7fffff, v2
	v_lshrrev_b32_e32 v3, 24, v2
	v_cmpx_ne_u64_e32 0x7f800000, v[46:47]
	s_xor_b32 s74, exec_lo, s13
	s_cbranch_execz .LBB6_9752
; %bb.9739:                             ;   in Loop: Header=BB6_5830 Depth=4
	v_and_b32_e32 v46, 0x7fffffff, v2
	v_mov_b32_e32 v47, v113
	v_and_b32_e32 v39, 0x80, v3
                                        ; implicit-def: $vgpr31
	s_mov_b32 s13, exec_lo
	s_delay_alu instid0(VALU_DEP_2)
	v_cmpx_gt_u64_e32 0x47600001, v[46:47]
	s_xor_b32 s75, exec_lo, s13
	s_cbranch_execz .LBB6_9749
; %bb.9740:                             ;   in Loop: Header=BB6_5830 Depth=4
	v_mov_b32_e32 v31, 0
	s_mov_b32 s76, exec_lo
	v_cmpx_ne_u32_e32 0, v2
	s_cbranch_execz .LBB6_9748
; %bb.9741:                             ;   in Loop: Header=BB6_5830 Depth=4
	v_bfe_u32 v31, v2, 23, 8
	v_or_b32_e32 v3, 0x800000, v0
	s_delay_alu instid0(VALU_DEP_2) | instskip(SKIP_2) | instid1(VALU_DEP_2)
	v_cmp_gt_u32_e64 s13, 0x72, v31
	v_sub_nc_u32_e32 v2, 0x71, v31
	v_cmp_eq_u32_e32 vcc_lo, 0, v31
	v_dual_cndmask_b32 v2, 0, v2, s13 :: v_dual_cndmask_b32 v0, v3, v0, vcc_lo
	s_delay_alu instid0(VALU_DEP_1) | instskip(NEXT) | instid1(VALU_DEP_1)
	v_cndmask_b32_e64 v51, v2, 0x70, vcc_lo
	v_dual_add_nc_u32 v2, 21, v51 :: v_dual_add_nc_u32 v55, 20, v51
	s_delay_alu instid0(VALU_DEP_1) | instskip(NEXT) | instid1(VALU_DEP_2)
	v_lshlrev_b64_e64 v[2:3], v2, -1
	v_lshlrev_b64_e64 v[46:47], v55, 1
	s_delay_alu instid0(VALU_DEP_2) | instskip(SKIP_1) | instid1(VALU_DEP_4)
	v_bfi_b32 v2, v2, 0, v0
	v_lshrrev_b64 v[0:1], v51, v[0:1]
	v_bfi_b32 v3, v3, 0, 0
	s_delay_alu instid0(VALU_DEP_1) | instskip(NEXT) | instid1(VALU_DEP_3)
	v_cmp_eq_u64_e64 s13, v[2:3], v[46:47]
	v_mov_b64_e32 v[2:3], v[0:1]
	s_and_saveexec_b32 s77, s13
; %bb.9742:                             ;   in Loop: Header=BB6_5830 Depth=4
	v_bfe_u32 v2, v0, 21, 1
	v_mov_b32_e32 v3, v113
	s_delay_alu instid0(VALU_DEP_1) | instskip(NEXT) | instid1(VALU_DEP_1)
	v_add_nc_u64_e32 v[2:3], v[0:1], v[2:3]
	v_add_nc_u64_e32 v[2:3], -1, v[2:3]
; %bb.9743:                             ;   in Loop: Header=BB6_5830 Depth=4
	s_or_b32 exec_lo, exec_lo, s77
	v_add_nc_u32_e32 v1, 0xffffff81, v31
	v_lshrrev_b32_e32 v3, 23, v0
	s_mov_b32 s13, exec_lo
	s_delay_alu instid0(VALU_DEP_2) | instskip(NEXT) | instid1(VALU_DEP_1)
	v_cndmask_b32_e64 v1, v1, 0xffffff82, vcc_lo
	v_add3_u32 v31, v51, v1, v3
	v_and_b32_e32 v1, 0x1fffff, v2
                                        ; implicit-def: $vgpr2
	s_delay_alu instid0(VALU_DEP_1) | instskip(SKIP_1) | instid1(VALU_DEP_2)
	v_dual_add_nc_u32 v3, 14, v31 :: v_dual_add_nc_u32 v0, v1, v0
	v_mov_b32_e32 v1, v113
	v_cmpx_ne_u32_e32 0, v3
	s_xor_b32 s13, exec_lo, s13
; %bb.9744:                             ;   in Loop: Header=BB6_5830 Depth=4
	s_delay_alu instid0(VALU_DEP_2) | instskip(SKIP_1) | instid1(VALU_DEP_1)
	v_cmp_lt_u64_e32 vcc_lo, 0xffffff, v[0:1]
	v_add_nc_u32_e32 v2, 15, v31
	v_cndmask_b32_e32 v2, v3, v2, vcc_lo
	v_cndmask_b32_e64 v3, 0, 1, vcc_lo
	s_delay_alu instid0(VALU_DEP_1)
	v_lshrrev_b64 v[0:1], v3, v[0:1]
; %bb.9745:                             ;   in Loop: Header=BB6_5830 Depth=4
	s_and_not1_saveexec_b32 s13, s13
; %bb.9746:                             ;   in Loop: Header=BB6_5830 Depth=4
	s_delay_alu instid0(VALU_DEP_1)
	v_bfe_u32 v2, v0, 23, 1
; %bb.9747:                             ;   in Loop: Header=BB6_5830 Depth=4
	s_or_b32 exec_lo, exec_lo, s13
	s_delay_alu instid0(VALU_DEP_2) | instskip(NEXT) | instid1(VALU_DEP_2)
	v_lshrrev_b64 v[0:1], 21, v[0:1]
	v_cmp_gt_i32_e32 vcc_lo, 32, v2
	v_min_i32_e32 v3, 31, v2
	v_cmp_eq_u32_e64 s13, 0, v2
	s_delay_alu instid0(VALU_DEP_2) | instskip(SKIP_1) | instid1(VALU_DEP_2)
	v_dual_cndmask_b32 v1, 0, v1, vcc_lo :: v_dual_lshlrev_b32 v3, 2, v3
	v_cndmask_b32_e32 v0, 3, v0, vcc_lo
	v_and_b32_e32 v3, 0xfc, v3
	s_delay_alu instid0(VALU_DEP_2) | instskip(NEXT) | instid1(VALU_DEP_2)
	v_cmp_eq_u64_e32 vcc_lo, 0, v[0:1]
	v_and_or_b32 v0, v0, 3, v3
	s_and_b32 s13, s13, vcc_lo
	s_delay_alu instid0(VALU_DEP_1) | instid1(SALU_CYCLE_1)
	v_cndmask_b32_e64 v0, v0, 0, s13
	s_delay_alu instid0(VALU_DEP_1)
	v_or_b32_e32 v31, v0, v39
.LBB6_9748:                             ;   in Loop: Header=BB6_5830 Depth=4
	s_or_b32 exec_lo, exec_lo, s76
                                        ; implicit-def: $vgpr39
.LBB6_9749:                             ;   in Loop: Header=BB6_5830 Depth=4
	s_and_not1_saveexec_b32 s13, s75
; %bb.9750:                             ;   in Loop: Header=BB6_5830 Depth=4
	v_or_b32_e32 v31, 0x7b, v39
; %bb.9751:                             ;   in Loop: Header=BB6_5830 Depth=4
	s_or_b32 exec_lo, exec_lo, s13
                                        ; implicit-def: $vgpr2
                                        ; implicit-def: $vgpr0_vgpr1
                                        ; implicit-def: $vgpr3
.LBB6_9752:                             ;   in Loop: Header=BB6_5830 Depth=4
	s_and_not1_saveexec_b32 s13, s74
	s_cbranch_execz .LBB6_9758
; %bb.9753:                             ;   in Loop: Header=BB6_5830 Depth=4
	s_mov_b32 s74, exec_lo
                                        ; implicit-def: $vgpr31
	v_cmpx_ne_u64_e32 0, v[0:1]
	s_xor_b32 s74, exec_lo, s74
; %bb.9754:                             ;   in Loop: Header=BB6_5830 Depth=4
	v_or_b32_e32 v31, 0x7f, v3
                                        ; implicit-def: $vgpr2
; %bb.9755:                             ;   in Loop: Header=BB6_5830 Depth=4
	s_and_not1_saveexec_b32 s74, s74
; %bb.9756:                             ;   in Loop: Header=BB6_5830 Depth=4
	v_cmp_lt_i32_e32 vcc_lo, -1, v2
	v_mov_b32_e32 v0, 0x7c
	s_delay_alu instid0(VALU_DEP_1)
	v_cndmask_b32_e32 v31, 0xfc, v0, vcc_lo
; %bb.9757:                             ;   in Loop: Header=BB6_5830 Depth=4
	s_or_b32 exec_lo, exec_lo, s74
.LBB6_9758:                             ;   in Loop: Header=BB6_5830 Depth=4
	s_delay_alu instid0(SALU_CYCLE_1) | instskip(SKIP_3) | instid1(VALU_DEP_2)
	s_or_b32 exec_lo, exec_lo, s13
	v_dual_mov_b32 v1, 0 :: v_dual_lshrrev_b32 v0, 16, v112
	v_mov_b32_e32 v2, 0
	s_mov_b32 s74, exec_lo
	v_and_b32_e32 v3, 0xff, v0
	s_delay_alu instid0(VALU_DEP_1)
	v_cmpx_ne_u16_e32 0, v3
	s_cbranch_execz .LBB6_9768
; %bb.9759:                             ;   in Loop: Header=BB6_5830 Depth=4
	v_bfrev_b32_e32 v2, 1
	s_mov_b32 s75, exec_lo
	v_cmpx_ne_u16_e32 0x80, v3
	s_cbranch_execz .LBB6_9767
; %bb.9760:                             ;   in Loop: Header=BB6_5830 Depth=4
	v_and_b32_e32 v2, 0x7c0000, v112
	v_bfe_u32 v3, v112, 16, 2
	s_delay_alu instid0(VALU_DEP_2) | instskip(SKIP_1) | instid1(SALU_CYCLE_1)
	v_cmp_ne_u32_e32 vcc_lo, 0x7c0000, v2
                                        ; implicit-def: $vgpr2
	s_and_saveexec_b32 s13, vcc_lo
	s_xor_b32 s13, exec_lo, s13
	s_cbranch_execz .LBB6_9764
; %bb.9761:                             ;   in Loop: Header=BB6_5830 Depth=4
	v_bfe_u32 v2, v112, 18, 5
	s_mov_b32 s76, exec_lo
	s_delay_alu instid0(VALU_DEP_1)
	v_cmpx_eq_u32_e32 0, v2
; %bb.9762:                             ;   in Loop: Header=BB6_5830 Depth=4
	v_clz_i32_u32_e32 v2, v3
	s_delay_alu instid0(VALU_DEP_1) | instskip(NEXT) | instid1(VALU_DEP_1)
	v_min_u32_e32 v2, 32, v2
	v_subrev_nc_u32_e32 v3, 29, v2
	v_sub_nc_u32_e32 v2, 30, v2
	s_delay_alu instid0(VALU_DEP_2) | instskip(NEXT) | instid1(VALU_DEP_1)
	v_lshlrev_b64_e32 v[46:47], v3, v[0:1]
	v_and_b32_e32 v3, 3, v46
; %bb.9763:                             ;   in Loop: Header=BB6_5830 Depth=4
	s_or_b32 exec_lo, exec_lo, s76
	v_lshlrev_b32_e32 v0, 24, v0
	s_delay_alu instid0(VALU_DEP_1) | instskip(NEXT) | instid1(VALU_DEP_1)
	v_and_b32_e32 v0, 0x80000000, v0
	v_lshl_add_u32 v0, v2, 23, v0
	s_delay_alu instid0(VALU_DEP_1) | instskip(NEXT) | instid1(VALU_DEP_1)
	v_lshl_or_b32 v0, v3, 21, v0
                                        ; implicit-def: $vgpr3
	v_add_nc_u32_e32 v2, 0x38000000, v0
                                        ; implicit-def: $vgpr0
.LBB6_9764:                             ;   in Loop: Header=BB6_5830 Depth=4
	s_and_not1_saveexec_b32 s76, s13
; %bb.9765:                             ;   in Loop: Header=BB6_5830 Depth=4
	v_bfe_i32 v0, v0, 0, 8
	v_cmp_eq_u32_e32 vcc_lo, 0, v3
	s_delay_alu instid0(VALU_DEP_2) | instskip(SKIP_1) | instid1(VALU_DEP_1)
	v_cmp_lt_i16_e64 s13, -1, v0
	v_mov_b32_e32 v0, 0x7f800000
	v_cndmask_b32_e64 v0, 0xff800000, v0, s13
	s_delay_alu instid0(VALU_DEP_1)
	v_cndmask_b32_e32 v2, 0x7f800001, v0, vcc_lo
; %bb.9766:                             ;   in Loop: Header=BB6_5830 Depth=4
	s_or_b32 exec_lo, exec_lo, s76
.LBB6_9767:                             ;   in Loop: Header=BB6_5830 Depth=4
	s_delay_alu instid0(SALU_CYCLE_1)
	s_or_b32 exec_lo, exec_lo, s75
.LBB6_9768:                             ;   in Loop: Header=BB6_5830 Depth=4
	s_delay_alu instid0(SALU_CYCLE_1) | instskip(SKIP_2) | instid1(VALU_DEP_1)
	s_or_b32 exec_lo, exec_lo, s74
	v_lshrrev_b32_e32 v0, 16, v8
	s_mov_b32 s74, exec_lo
	v_and_b32_e32 v3, 0xff, v0
	s_delay_alu instid0(VALU_DEP_1)
	v_cmpx_ne_u16_e32 0, v3
	s_cbranch_execz .LBB6_9778
; %bb.9769:                             ;   in Loop: Header=BB6_5830 Depth=4
	v_bfrev_b32_e32 v1, 1
	s_mov_b32 s75, exec_lo
	v_cmpx_ne_u16_e32 0x80, v3
	s_cbranch_execz .LBB6_9777
; %bb.9770:                             ;   in Loop: Header=BB6_5830 Depth=4
	v_and_b32_e32 v1, 0x7c0000, v8
	v_bfe_u32 v3, v8, 16, 2
	s_delay_alu instid0(VALU_DEP_2) | instskip(SKIP_1) | instid1(SALU_CYCLE_1)
	v_cmp_ne_u32_e32 vcc_lo, 0x7c0000, v1
                                        ; implicit-def: $vgpr1
	s_and_saveexec_b32 s13, vcc_lo
	s_xor_b32 s13, exec_lo, s13
	s_cbranch_execz .LBB6_9774
; %bb.9771:                             ;   in Loop: Header=BB6_5830 Depth=4
	v_bfe_u32 v1, v8, 18, 5
	s_mov_b32 s76, exec_lo
	s_delay_alu instid0(VALU_DEP_1)
	v_cmpx_eq_u32_e32 0, v1
; %bb.9772:                             ;   in Loop: Header=BB6_5830 Depth=4
	v_clz_i32_u32_e32 v1, v3
	s_delay_alu instid0(VALU_DEP_1) | instskip(NEXT) | instid1(VALU_DEP_1)
	v_min_u32_e32 v1, 32, v1
	v_subrev_nc_u32_e32 v3, 29, v1
	s_delay_alu instid0(VALU_DEP_1) | instskip(NEXT) | instid1(VALU_DEP_1)
	v_lshlrev_b64_e32 v[46:47], v3, v[0:1]
	v_dual_sub_nc_u32 v1, 30, v1 :: v_dual_bitop2_b32 v3, 3, v46 bitop3:0x40
; %bb.9773:                             ;   in Loop: Header=BB6_5830 Depth=4
	s_or_b32 exec_lo, exec_lo, s76
	v_lshlrev_b32_e32 v0, 24, v0
	s_delay_alu instid0(VALU_DEP_1) | instskip(NEXT) | instid1(VALU_DEP_1)
	v_and_b32_e32 v0, 0x80000000, v0
	v_lshl_add_u32 v0, v1, 23, v0
	s_delay_alu instid0(VALU_DEP_1) | instskip(NEXT) | instid1(VALU_DEP_1)
	v_lshl_or_b32 v0, v3, 21, v0
                                        ; implicit-def: $vgpr3
	v_add_nc_u32_e32 v1, 0x38000000, v0
                                        ; implicit-def: $vgpr0
.LBB6_9774:                             ;   in Loop: Header=BB6_5830 Depth=4
	s_and_not1_saveexec_b32 s76, s13
; %bb.9775:                             ;   in Loop: Header=BB6_5830 Depth=4
	v_bfe_i32 v0, v0, 0, 8
	v_cmp_eq_u32_e32 vcc_lo, 0, v3
	s_delay_alu instid0(VALU_DEP_2) | instskip(SKIP_1) | instid1(VALU_DEP_1)
	v_cmp_lt_i16_e64 s13, -1, v0
	v_mov_b32_e32 v0, 0x7f800000
	v_cndmask_b32_e64 v0, 0xff800000, v0, s13
	s_delay_alu instid0(VALU_DEP_1)
	v_cndmask_b32_e32 v1, 0x7f800001, v0, vcc_lo
; %bb.9776:                             ;   in Loop: Header=BB6_5830 Depth=4
	s_or_b32 exec_lo, exec_lo, s76
.LBB6_9777:                             ;   in Loop: Header=BB6_5830 Depth=4
	s_delay_alu instid0(SALU_CYCLE_1)
	s_or_b32 exec_lo, exec_lo, s75
.LBB6_9778:                             ;   in Loop: Header=BB6_5830 Depth=4
	s_delay_alu instid0(SALU_CYCLE_1) | instskip(NEXT) | instid1(VALU_DEP_1)
	s_or_b32 exec_lo, exec_lo, s74
	v_dual_add_f32 v2, v2, v1 :: v_dual_mov_b32 v47, v113
	v_mov_b32_e32 v1, v113
                                        ; implicit-def: $vgpr39
	s_mov_b32 s13, exec_lo
	s_delay_alu instid0(VALU_DEP_2) | instskip(SKIP_2) | instid1(VALU_DEP_3)
	v_and_b32_e32 v46, 0x7f800000, v2
	v_and_b32_e32 v0, 0x7fffff, v2
	v_lshrrev_b32_e32 v3, 24, v2
	v_cmpx_ne_u64_e32 0x7f800000, v[46:47]
	s_xor_b32 s74, exec_lo, s13
	s_cbranch_execz .LBB6_9792
; %bb.9779:                             ;   in Loop: Header=BB6_5830 Depth=4
	v_and_b32_e32 v46, 0x7fffffff, v2
	v_mov_b32_e32 v47, v113
	v_and_b32_e32 v51, 0x80, v3
                                        ; implicit-def: $vgpr39
	s_mov_b32 s13, exec_lo
	s_delay_alu instid0(VALU_DEP_2)
	v_cmpx_gt_u64_e32 0x47600001, v[46:47]
	s_xor_b32 s75, exec_lo, s13
	s_cbranch_execz .LBB6_9789
; %bb.9780:                             ;   in Loop: Header=BB6_5830 Depth=4
	v_mov_b32_e32 v39, 0
	s_mov_b32 s76, exec_lo
	v_cmpx_ne_u32_e32 0, v2
	s_cbranch_execz .LBB6_9788
; %bb.9781:                             ;   in Loop: Header=BB6_5830 Depth=4
	v_bfe_u32 v39, v2, 23, 8
	v_or_b32_e32 v3, 0x800000, v0
	s_delay_alu instid0(VALU_DEP_2) | instskip(SKIP_2) | instid1(VALU_DEP_2)
	v_cmp_gt_u32_e64 s13, 0x72, v39
	v_sub_nc_u32_e32 v2, 0x71, v39
	v_cmp_eq_u32_e32 vcc_lo, 0, v39
	v_dual_cndmask_b32 v2, 0, v2, s13 :: v_dual_cndmask_b32 v0, v3, v0, vcc_lo
	s_delay_alu instid0(VALU_DEP_1) | instskip(NEXT) | instid1(VALU_DEP_1)
	v_cndmask_b32_e64 v55, v2, 0x70, vcc_lo
	v_dual_add_nc_u32 v2, 21, v55 :: v_dual_add_nc_u32 v68, 20, v55
	s_delay_alu instid0(VALU_DEP_1) | instskip(NEXT) | instid1(VALU_DEP_2)
	v_lshlrev_b64_e64 v[2:3], v2, -1
	v_lshlrev_b64_e64 v[46:47], v68, 1
	s_delay_alu instid0(VALU_DEP_2) | instskip(SKIP_1) | instid1(VALU_DEP_4)
	v_bfi_b32 v2, v2, 0, v0
	v_lshrrev_b64 v[0:1], v55, v[0:1]
	v_bfi_b32 v3, v3, 0, 0
	s_delay_alu instid0(VALU_DEP_1) | instskip(NEXT) | instid1(VALU_DEP_3)
	v_cmp_eq_u64_e64 s13, v[2:3], v[46:47]
	v_mov_b64_e32 v[2:3], v[0:1]
	s_and_saveexec_b32 s77, s13
; %bb.9782:                             ;   in Loop: Header=BB6_5830 Depth=4
	v_bfe_u32 v2, v0, 21, 1
	v_mov_b32_e32 v3, v113
	s_delay_alu instid0(VALU_DEP_1) | instskip(NEXT) | instid1(VALU_DEP_1)
	v_add_nc_u64_e32 v[2:3], v[0:1], v[2:3]
	v_add_nc_u64_e32 v[2:3], -1, v[2:3]
; %bb.9783:                             ;   in Loop: Header=BB6_5830 Depth=4
	s_or_b32 exec_lo, exec_lo, s77
	v_add_nc_u32_e32 v1, 0xffffff81, v39
	v_lshrrev_b32_e32 v3, 23, v0
	s_mov_b32 s13, exec_lo
	s_delay_alu instid0(VALU_DEP_2) | instskip(NEXT) | instid1(VALU_DEP_1)
	v_cndmask_b32_e64 v1, v1, 0xffffff82, vcc_lo
	v_add3_u32 v39, v55, v1, v3
	v_and_b32_e32 v1, 0x1fffff, v2
                                        ; implicit-def: $vgpr2
	s_delay_alu instid0(VALU_DEP_1) | instskip(SKIP_1) | instid1(VALU_DEP_2)
	v_dual_add_nc_u32 v3, 14, v39 :: v_dual_add_nc_u32 v0, v1, v0
	v_mov_b32_e32 v1, v113
	v_cmpx_ne_u32_e32 0, v3
	s_xor_b32 s13, exec_lo, s13
; %bb.9784:                             ;   in Loop: Header=BB6_5830 Depth=4
	s_delay_alu instid0(VALU_DEP_2) | instskip(SKIP_1) | instid1(VALU_DEP_1)
	v_cmp_lt_u64_e32 vcc_lo, 0xffffff, v[0:1]
	v_add_nc_u32_e32 v2, 15, v39
	v_cndmask_b32_e32 v2, v3, v2, vcc_lo
	v_cndmask_b32_e64 v3, 0, 1, vcc_lo
	s_delay_alu instid0(VALU_DEP_1)
	v_lshrrev_b64 v[0:1], v3, v[0:1]
; %bb.9785:                             ;   in Loop: Header=BB6_5830 Depth=4
	s_and_not1_saveexec_b32 s13, s13
; %bb.9786:                             ;   in Loop: Header=BB6_5830 Depth=4
	s_delay_alu instid0(VALU_DEP_1)
	v_bfe_u32 v2, v0, 23, 1
; %bb.9787:                             ;   in Loop: Header=BB6_5830 Depth=4
	s_or_b32 exec_lo, exec_lo, s13
	s_delay_alu instid0(VALU_DEP_2) | instskip(NEXT) | instid1(VALU_DEP_2)
	v_lshrrev_b64 v[0:1], 21, v[0:1]
	v_cmp_gt_i32_e32 vcc_lo, 32, v2
	v_min_i32_e32 v3, 31, v2
	v_cmp_eq_u32_e64 s13, 0, v2
	s_delay_alu instid0(VALU_DEP_2) | instskip(SKIP_1) | instid1(VALU_DEP_2)
	v_dual_cndmask_b32 v1, 0, v1, vcc_lo :: v_dual_lshlrev_b32 v3, 2, v3
	v_cndmask_b32_e32 v0, 3, v0, vcc_lo
	v_and_b32_e32 v3, 0xfc, v3
	s_delay_alu instid0(VALU_DEP_2) | instskip(NEXT) | instid1(VALU_DEP_2)
	v_cmp_eq_u64_e32 vcc_lo, 0, v[0:1]
	v_and_or_b32 v0, v0, 3, v3
	s_and_b32 s13, s13, vcc_lo
	s_delay_alu instid0(VALU_DEP_1) | instid1(SALU_CYCLE_1)
	v_cndmask_b32_e64 v0, v0, 0, s13
	s_delay_alu instid0(VALU_DEP_1)
	v_or_b32_e32 v39, v0, v51
.LBB6_9788:                             ;   in Loop: Header=BB6_5830 Depth=4
	s_or_b32 exec_lo, exec_lo, s76
                                        ; implicit-def: $vgpr51
.LBB6_9789:                             ;   in Loop: Header=BB6_5830 Depth=4
	s_and_not1_saveexec_b32 s13, s75
; %bb.9790:                             ;   in Loop: Header=BB6_5830 Depth=4
	v_or_b32_e32 v39, 0x7b, v51
; %bb.9791:                             ;   in Loop: Header=BB6_5830 Depth=4
	s_or_b32 exec_lo, exec_lo, s13
                                        ; implicit-def: $vgpr2
                                        ; implicit-def: $vgpr0_vgpr1
                                        ; implicit-def: $vgpr3
.LBB6_9792:                             ;   in Loop: Header=BB6_5830 Depth=4
	s_and_not1_saveexec_b32 s13, s74
	s_cbranch_execz .LBB6_9798
; %bb.9793:                             ;   in Loop: Header=BB6_5830 Depth=4
	s_mov_b32 s74, exec_lo
                                        ; implicit-def: $vgpr39
	v_cmpx_ne_u64_e32 0, v[0:1]
	s_xor_b32 s74, exec_lo, s74
; %bb.9794:                             ;   in Loop: Header=BB6_5830 Depth=4
	v_or_b32_e32 v39, 0x7f, v3
                                        ; implicit-def: $vgpr2
; %bb.9795:                             ;   in Loop: Header=BB6_5830 Depth=4
	s_and_not1_saveexec_b32 s74, s74
; %bb.9796:                             ;   in Loop: Header=BB6_5830 Depth=4
	v_cmp_lt_i32_e32 vcc_lo, -1, v2
	v_mov_b32_e32 v0, 0x7c
	s_delay_alu instid0(VALU_DEP_1)
	v_cndmask_b32_e32 v39, 0xfc, v0, vcc_lo
; %bb.9797:                             ;   in Loop: Header=BB6_5830 Depth=4
	s_or_b32 exec_lo, exec_lo, s74
.LBB6_9798:                             ;   in Loop: Header=BB6_5830 Depth=4
	s_delay_alu instid0(SALU_CYCLE_1)
	s_or_b32 exec_lo, exec_lo, s13
	v_dual_mov_b32 v1, 0 :: v_dual_mov_b32 v2, 0
	s_mov_b32 s74, exec_lo
	v_cmpx_lt_u32_e32 0xffffff, v112
	s_cbranch_execz .LBB6_9808
; %bb.9799:                             ;   in Loop: Header=BB6_5830 Depth=4
	v_lshrrev_b32_e32 v0, 24, v112
	v_bfrev_b32_e32 v2, 1
	s_mov_b32 s75, exec_lo
	s_delay_alu instid0(VALU_DEP_2)
	v_cmpx_ne_u32_e32 0x80, v0
	s_cbranch_execz .LBB6_9807
; %bb.9800:                             ;   in Loop: Header=BB6_5830 Depth=4
	v_and_b32_e32 v2, 0x7c000000, v112
	v_bfe_u32 v3, v112, 24, 2
	s_delay_alu instid0(VALU_DEP_2) | instskip(SKIP_1) | instid1(SALU_CYCLE_1)
	v_cmp_ne_u32_e32 vcc_lo, 0x7c000000, v2
                                        ; implicit-def: $vgpr2
	s_and_saveexec_b32 s13, vcc_lo
	s_xor_b32 s13, exec_lo, s13
	s_cbranch_execz .LBB6_9804
; %bb.9801:                             ;   in Loop: Header=BB6_5830 Depth=4
	v_bfe_u32 v2, v112, 26, 5
	s_mov_b32 s76, exec_lo
	s_delay_alu instid0(VALU_DEP_1)
	v_cmpx_eq_u32_e32 0, v2
; %bb.9802:                             ;   in Loop: Header=BB6_5830 Depth=4
	v_clz_i32_u32_e32 v2, v3
	s_delay_alu instid0(VALU_DEP_1) | instskip(NEXT) | instid1(VALU_DEP_1)
	v_min_u32_e32 v2, 32, v2
	v_subrev_nc_u32_e32 v3, 29, v2
	v_sub_nc_u32_e32 v2, 30, v2
	s_delay_alu instid0(VALU_DEP_2) | instskip(NEXT) | instid1(VALU_DEP_1)
	v_lshlrev_b64_e32 v[46:47], v3, v[0:1]
	v_and_b32_e32 v3, 3, v46
; %bb.9803:                             ;   in Loop: Header=BB6_5830 Depth=4
	s_or_b32 exec_lo, exec_lo, s76
	v_and_b32_e32 v0, 0x80000000, v112
	s_delay_alu instid0(VALU_DEP_1) | instskip(NEXT) | instid1(VALU_DEP_1)
	v_lshl_add_u32 v0, v2, 23, v0
	v_lshl_or_b32 v0, v3, 21, v0
                                        ; implicit-def: $vgpr3
	s_delay_alu instid0(VALU_DEP_1)
	v_add_nc_u32_e32 v2, 0x38000000, v0
.LBB6_9804:                             ;   in Loop: Header=BB6_5830 Depth=4
	s_and_not1_saveexec_b32 s76, s13
; %bb.9805:                             ;   in Loop: Header=BB6_5830 Depth=4
	v_cmp_lt_i32_e64 s13, -1, v112
	v_mov_b32_e32 v0, 0x7f800000
	v_cmp_eq_u32_e32 vcc_lo, 0, v3
	s_delay_alu instid0(VALU_DEP_2) | instskip(NEXT) | instid1(VALU_DEP_1)
	v_cndmask_b32_e64 v0, 0xff800000, v0, s13
	v_cndmask_b32_e32 v2, 0x7f800001, v0, vcc_lo
; %bb.9806:                             ;   in Loop: Header=BB6_5830 Depth=4
	s_or_b32 exec_lo, exec_lo, s76
.LBB6_9807:                             ;   in Loop: Header=BB6_5830 Depth=4
	s_delay_alu instid0(SALU_CYCLE_1)
	s_or_b32 exec_lo, exec_lo, s75
.LBB6_9808:                             ;   in Loop: Header=BB6_5830 Depth=4
	s_delay_alu instid0(SALU_CYCLE_1) | instskip(NEXT) | instid1(SALU_CYCLE_1)
	s_or_b32 exec_lo, exec_lo, s74
	s_mov_b32 s74, exec_lo
	v_cmpx_lt_u32_e32 0xffffff, v8
	s_cbranch_execz .LBB6_9818
; %bb.9809:                             ;   in Loop: Header=BB6_5830 Depth=4
	v_lshrrev_b32_e32 v0, 24, v8
	v_bfrev_b32_e32 v1, 1
	s_mov_b32 s75, exec_lo
	s_delay_alu instid0(VALU_DEP_2)
	v_cmpx_ne_u32_e32 0x80, v0
	s_cbranch_execz .LBB6_9817
; %bb.9810:                             ;   in Loop: Header=BB6_5830 Depth=4
	v_and_b32_e32 v1, 0x7c000000, v8
	v_bfe_u32 v3, v8, 24, 2
	s_delay_alu instid0(VALU_DEP_2) | instskip(SKIP_1) | instid1(SALU_CYCLE_1)
	v_cmp_ne_u32_e32 vcc_lo, 0x7c000000, v1
                                        ; implicit-def: $vgpr1
	s_and_saveexec_b32 s13, vcc_lo
	s_xor_b32 s13, exec_lo, s13
	s_cbranch_execz .LBB6_9814
; %bb.9811:                             ;   in Loop: Header=BB6_5830 Depth=4
	v_bfe_u32 v1, v8, 26, 5
	s_mov_b32 s76, exec_lo
	s_delay_alu instid0(VALU_DEP_1)
	v_cmpx_eq_u32_e32 0, v1
; %bb.9812:                             ;   in Loop: Header=BB6_5830 Depth=4
	v_clz_i32_u32_e32 v1, v3
	s_delay_alu instid0(VALU_DEP_1) | instskip(NEXT) | instid1(VALU_DEP_1)
	v_min_u32_e32 v3, 32, v1
	v_subrev_nc_u32_e32 v1, 29, v3
	s_delay_alu instid0(VALU_DEP_1) | instskip(NEXT) | instid1(VALU_DEP_1)
	v_lshlrev_b64_e32 v[0:1], v1, v[0:1]
	v_dual_sub_nc_u32 v1, 30, v3 :: v_dual_bitop2_b32 v3, 3, v0 bitop3:0x40
; %bb.9813:                             ;   in Loop: Header=BB6_5830 Depth=4
	s_or_b32 exec_lo, exec_lo, s76
	v_and_b32_e32 v0, 0x80000000, v8
	s_delay_alu instid0(VALU_DEP_1) | instskip(NEXT) | instid1(VALU_DEP_1)
	v_lshl_add_u32 v0, v1, 23, v0
	v_lshl_or_b32 v0, v3, 21, v0
                                        ; implicit-def: $vgpr3
	s_delay_alu instid0(VALU_DEP_1)
	v_add_nc_u32_e32 v1, 0x38000000, v0
.LBB6_9814:                             ;   in Loop: Header=BB6_5830 Depth=4
	s_and_not1_saveexec_b32 s76, s13
; %bb.9815:                             ;   in Loop: Header=BB6_5830 Depth=4
	v_cmp_lt_i32_e64 s13, -1, v8
	v_mov_b32_e32 v0, 0x7f800000
	v_cmp_eq_u32_e32 vcc_lo, 0, v3
	s_delay_alu instid0(VALU_DEP_2) | instskip(NEXT) | instid1(VALU_DEP_1)
	v_cndmask_b32_e64 v0, 0xff800000, v0, s13
	v_cndmask_b32_e32 v1, 0x7f800001, v0, vcc_lo
; %bb.9816:                             ;   in Loop: Header=BB6_5830 Depth=4
	s_or_b32 exec_lo, exec_lo, s76
.LBB6_9817:                             ;   in Loop: Header=BB6_5830 Depth=4
	s_delay_alu instid0(SALU_CYCLE_1)
	s_or_b32 exec_lo, exec_lo, s75
.LBB6_9818:                             ;   in Loop: Header=BB6_5830 Depth=4
	s_delay_alu instid0(SALU_CYCLE_1) | instskip(NEXT) | instid1(VALU_DEP_1)
	s_or_b32 exec_lo, exec_lo, s74
	v_dual_add_f32 v0, v2, v1 :: v_dual_mov_b32 v3, v113
                                        ; implicit-def: $vgpr51
	s_mov_b32 s13, exec_lo
	s_delay_alu instid0(VALU_DEP_1) | instskip(SKIP_2) | instid1(VALU_DEP_3)
	v_and_b32_e32 v2, 0x7f800000, v0
	v_and_b32_e32 v112, 0x7fffff, v0
	v_lshrrev_b32_e32 v1, 24, v0
	v_cmpx_ne_u64_e32 0x7f800000, v[2:3]
	s_xor_b32 s74, exec_lo, s13
	s_cbranch_execz .LBB6_9832
; %bb.9819:                             ;   in Loop: Header=BB6_5830 Depth=4
	v_and_b32_e32 v2, 0x7fffffff, v0
	v_mov_b32_e32 v3, v113
	v_and_b32_e32 v55, 0x80, v1
                                        ; implicit-def: $vgpr51
	s_mov_b32 s13, exec_lo
	s_delay_alu instid0(VALU_DEP_2)
	v_cmpx_gt_u64_e32 0x47600001, v[2:3]
	s_xor_b32 s75, exec_lo, s13
	s_cbranch_execz .LBB6_9829
; %bb.9820:                             ;   in Loop: Header=BB6_5830 Depth=4
	v_mov_b32_e32 v51, 0
	s_mov_b32 s76, exec_lo
	v_cmpx_ne_u32_e32 0, v0
	s_cbranch_execz .LBB6_9828
; %bb.9821:                             ;   in Loop: Header=BB6_5830 Depth=4
	v_bfe_u32 v51, v0, 23, 8
	v_or_b32_e32 v1, 0x800000, v112
	s_delay_alu instid0(VALU_DEP_2) | instskip(SKIP_2) | instid1(VALU_DEP_2)
	v_cmp_gt_u32_e64 s13, 0x72, v51
	v_sub_nc_u32_e32 v0, 0x71, v51
	v_cmp_eq_u32_e32 vcc_lo, 0, v51
	v_cndmask_b32_e64 v0, 0, v0, s13
	s_delay_alu instid0(VALU_DEP_1) | instskip(SKIP_1) | instid1(VALU_DEP_2)
	v_cndmask_b32_e64 v68, v0, 0x70, vcc_lo
	v_cndmask_b32_e32 v0, v1, v112, vcc_lo
	v_dual_mov_b32 v1, v113 :: v_dual_add_nc_u32 v2, 21, v68
	v_add_nc_u32_e32 v80, 20, v68
	s_delay_alu instid0(VALU_DEP_2) | instskip(NEXT) | instid1(VALU_DEP_2)
	v_lshlrev_b64_e64 v[2:3], v2, -1
	v_lshlrev_b64_e64 v[46:47], v80, 1
	s_delay_alu instid0(VALU_DEP_2) | instskip(SKIP_1) | instid1(VALU_DEP_4)
	v_bfi_b32 v2, v2, 0, v0
	v_lshrrev_b64 v[0:1], v68, v[0:1]
	v_bfi_b32 v3, v3, 0, 0
	s_delay_alu instid0(VALU_DEP_1) | instskip(NEXT) | instid1(VALU_DEP_3)
	v_cmp_eq_u64_e64 s13, v[2:3], v[46:47]
	v_mov_b64_e32 v[2:3], v[0:1]
	s_and_saveexec_b32 s77, s13
; %bb.9822:                             ;   in Loop: Header=BB6_5830 Depth=4
	v_bfe_u32 v2, v0, 21, 1
	v_mov_b32_e32 v3, v113
	s_delay_alu instid0(VALU_DEP_1) | instskip(NEXT) | instid1(VALU_DEP_1)
	v_add_nc_u64_e32 v[2:3], v[0:1], v[2:3]
	v_add_nc_u64_e32 v[2:3], -1, v[2:3]
; %bb.9823:                             ;   in Loop: Header=BB6_5830 Depth=4
	s_or_b32 exec_lo, exec_lo, s77
	v_add_nc_u32_e32 v1, 0xffffff81, v51
	s_delay_alu instid0(VALU_DEP_2) | instskip(SKIP_2) | instid1(VALU_DEP_3)
	v_and_b32_e32 v2, 0x1fffff, v2
	v_lshrrev_b32_e32 v3, 23, v0
	s_mov_b32 s13, exec_lo
	v_cndmask_b32_e64 v1, v1, 0xffffff82, vcc_lo
	s_delay_alu instid0(VALU_DEP_3) | instskip(NEXT) | instid1(VALU_DEP_2)
	v_add_nc_u32_e32 v112, v2, v0
                                        ; implicit-def: $vgpr2
	v_add3_u32 v51, v68, v1, v3
                                        ; implicit-def: $vgpr0_vgpr1
	s_delay_alu instid0(VALU_DEP_1) | instskip(NEXT) | instid1(VALU_DEP_1)
	v_add_nc_u32_e32 v3, 14, v51
	v_cmpx_ne_u32_e32 0, v3
	s_xor_b32 s13, exec_lo, s13
; %bb.9824:                             ;   in Loop: Header=BB6_5830 Depth=4
	v_cmp_lt_u64_e32 vcc_lo, 0xffffff, v[112:113]
	v_add_nc_u32_e32 v0, 15, v51
	s_delay_alu instid0(VALU_DEP_1) | instskip(SKIP_1) | instid1(VALU_DEP_1)
	v_cndmask_b32_e32 v2, v3, v0, vcc_lo
	v_cndmask_b32_e64 v0, 0, 1, vcc_lo
	v_lshrrev_b64 v[0:1], v0, v[112:113]
; %bb.9825:                             ;   in Loop: Header=BB6_5830 Depth=4
	s_and_not1_saveexec_b32 s13, s13
; %bb.9826:                             ;   in Loop: Header=BB6_5830 Depth=4
	v_mov_b64_e32 v[0:1], v[112:113]
	v_bfe_u32 v2, v112, 23, 1
; %bb.9827:                             ;   in Loop: Header=BB6_5830 Depth=4
	s_or_b32 exec_lo, exec_lo, s13
	s_delay_alu instid0(VALU_DEP_2) | instskip(NEXT) | instid1(VALU_DEP_2)
	v_lshrrev_b64 v[0:1], 21, v[0:1]
	v_cmp_gt_i32_e32 vcc_lo, 32, v2
	v_min_i32_e32 v3, 31, v2
	v_cmp_eq_u32_e64 s13, 0, v2
	s_delay_alu instid0(VALU_DEP_2) | instskip(SKIP_1) | instid1(VALU_DEP_2)
	v_dual_cndmask_b32 v1, 0, v1, vcc_lo :: v_dual_lshlrev_b32 v3, 2, v3
	v_cndmask_b32_e32 v0, 3, v0, vcc_lo
	v_and_b32_e32 v3, 0xfc, v3
	s_delay_alu instid0(VALU_DEP_2) | instskip(NEXT) | instid1(VALU_DEP_2)
	v_cmp_eq_u64_e32 vcc_lo, 0, v[0:1]
	v_and_or_b32 v0, v0, 3, v3
	s_and_b32 s13, s13, vcc_lo
	s_delay_alu instid0(VALU_DEP_1) | instid1(SALU_CYCLE_1)
	v_cndmask_b32_e64 v0, v0, 0, s13
	s_delay_alu instid0(VALU_DEP_1)
	v_or_b32_e32 v51, v0, v55
.LBB6_9828:                             ;   in Loop: Header=BB6_5830 Depth=4
	s_or_b32 exec_lo, exec_lo, s76
                                        ; implicit-def: $vgpr55
.LBB6_9829:                             ;   in Loop: Header=BB6_5830 Depth=4
	s_and_not1_saveexec_b32 s13, s75
; %bb.9830:                             ;   in Loop: Header=BB6_5830 Depth=4
	v_or_b32_e32 v51, 0x7b, v55
; %bb.9831:                             ;   in Loop: Header=BB6_5830 Depth=4
	s_or_b32 exec_lo, exec_lo, s13
                                        ; implicit-def: $vgpr0
                                        ; implicit-def: $vgpr1
.LBB6_9832:                             ;   in Loop: Header=BB6_5830 Depth=4
	s_and_not1_saveexec_b32 s13, s74
	s_cbranch_execz .LBB6_9838
; %bb.9833:                             ;   in Loop: Header=BB6_5830 Depth=4
	s_mov_b32 s74, exec_lo
                                        ; implicit-def: $vgpr51
	v_cmpx_ne_u64_e32 0, v[112:113]
	s_xor_b32 s74, exec_lo, s74
; %bb.9834:                             ;   in Loop: Header=BB6_5830 Depth=4
	v_or_b32_e32 v51, 0x7f, v1
                                        ; implicit-def: $vgpr0
; %bb.9835:                             ;   in Loop: Header=BB6_5830 Depth=4
	s_and_not1_saveexec_b32 s74, s74
; %bb.9836:                             ;   in Loop: Header=BB6_5830 Depth=4
	v_cmp_lt_i32_e32 vcc_lo, -1, v0
	v_mov_b32_e32 v0, 0x7c
	s_delay_alu instid0(VALU_DEP_1)
	v_cndmask_b32_e32 v51, 0xfc, v0, vcc_lo
; %bb.9837:                             ;   in Loop: Header=BB6_5830 Depth=4
	s_or_b32 exec_lo, exec_lo, s74
.LBB6_9838:                             ;   in Loop: Header=BB6_5830 Depth=4
	s_delay_alu instid0(SALU_CYCLE_1) | instskip(SKIP_4) | instid1(VALU_DEP_1)
	s_or_b32 exec_lo, exec_lo, s13
	v_lshl_or_b32 v35, v35, 8, v28
	v_lshlrev_b32_e32 v0, 16, v38
	v_lshlrev_b32_e32 v1, 24, v50
	s_mov_b32 s74, exec_lo
	v_or3_b32 v112, v0, v1, v35
	v_dual_mov_b32 v1, 0 :: v_dual_mov_b32 v0, 0
	v_cmpx_ne_u32_e32 0, v28
	s_cbranch_execz .LBB6_9848
; %bb.9839:                             ;   in Loop: Header=BB6_5830 Depth=4
	v_bfrev_b32_e32 v0, 1
	s_mov_b32 s75, exec_lo
	v_cmpx_ne_u32_e32 0x80, v28
	s_cbranch_execz .LBB6_9847
; %bb.9840:                             ;   in Loop: Header=BB6_5830 Depth=4
	v_and_b32_e32 v0, 0x7c, v28
	v_and_b32_e32 v2, 3, v28
	s_delay_alu instid0(VALU_DEP_2) | instskip(SKIP_1) | instid1(SALU_CYCLE_1)
	v_cmp_ne_u32_e32 vcc_lo, 0x7c, v0
                                        ; implicit-def: $vgpr0
	s_and_saveexec_b32 s13, vcc_lo
	s_xor_b32 s13, exec_lo, s13
	s_cbranch_execz .LBB6_9844
; %bb.9841:                             ;   in Loop: Header=BB6_5830 Depth=4
	v_bfe_u32 v0, v28, 2, 5
	s_mov_b32 s76, exec_lo
	s_delay_alu instid0(VALU_DEP_1)
	v_cmpx_eq_u32_e32 0, v0
; %bb.9842:                             ;   in Loop: Header=BB6_5830 Depth=4
	v_clz_i32_u32_e32 v0, v2
	s_delay_alu instid0(VALU_DEP_1) | instskip(NEXT) | instid1(VALU_DEP_1)
	v_min_u32_e32 v0, 32, v0
	v_subrev_nc_u32_e32 v2, 29, v0
	s_delay_alu instid0(VALU_DEP_1) | instskip(NEXT) | instid1(VALU_DEP_1)
	v_lshlrev_b64_e32 v[2:3], v2, v[112:113]
	v_dual_sub_nc_u32 v0, 30, v0 :: v_dual_bitop2_b32 v2, 3, v2 bitop3:0x40
; %bb.9843:                             ;   in Loop: Header=BB6_5830 Depth=4
	s_or_b32 exec_lo, exec_lo, s76
	v_lshlrev_b32_e32 v3, 24, v28
                                        ; implicit-def: $vgpr28
	s_delay_alu instid0(VALU_DEP_1) | instskip(NEXT) | instid1(VALU_DEP_1)
	v_and_b32_e32 v3, 0x80000000, v3
	v_lshl_add_u32 v0, v0, 23, v3
	s_delay_alu instid0(VALU_DEP_1) | instskip(NEXT) | instid1(VALU_DEP_1)
	v_lshl_or_b32 v0, v2, 21, v0
                                        ; implicit-def: $vgpr2
	v_add_nc_u32_e32 v0, 0x38000000, v0
.LBB6_9844:                             ;   in Loop: Header=BB6_5830 Depth=4
	s_and_not1_saveexec_b32 s76, s13
; %bb.9845:                             ;   in Loop: Header=BB6_5830 Depth=4
	v_and_b32_e32 v0, 0x80, v28
	v_cmp_eq_u32_e32 vcc_lo, 0, v2
	s_delay_alu instid0(VALU_DEP_2) | instskip(SKIP_1) | instid1(VALU_DEP_1)
	v_cmp_eq_u32_e64 s13, 0, v0
	v_mov_b32_e32 v0, 0x7f800000
	v_cndmask_b32_e64 v0, 0xff800000, v0, s13
	s_delay_alu instid0(VALU_DEP_1)
	v_cndmask_b32_e32 v0, 0x7f800001, v0, vcc_lo
; %bb.9846:                             ;   in Loop: Header=BB6_5830 Depth=4
	s_or_b32 exec_lo, exec_lo, s76
.LBB6_9847:                             ;   in Loop: Header=BB6_5830 Depth=4
	s_delay_alu instid0(SALU_CYCLE_1)
	s_or_b32 exec_lo, exec_lo, s75
.LBB6_9848:                             ;   in Loop: Header=BB6_5830 Depth=4
	s_delay_alu instid0(SALU_CYCLE_1) | instskip(SKIP_2) | instid1(VALU_DEP_1)
	s_or_b32 exec_lo, exec_lo, s74
	v_and_b32_e32 v2, 0xff, v9
	s_mov_b32 s74, exec_lo
	v_cmpx_ne_u16_e32 0, v2
	s_cbranch_execz .LBB6_9858
; %bb.9849:                             ;   in Loop: Header=BB6_5830 Depth=4
	v_bfrev_b32_e32 v1, 1
	s_mov_b32 s75, exec_lo
	v_cmpx_ne_u16_e32 0x80, v2
	s_cbranch_execz .LBB6_9857
; %bb.9850:                             ;   in Loop: Header=BB6_5830 Depth=4
	v_and_b32_e32 v1, 0x7c, v9
	v_and_b32_e32 v2, 3, v9
	s_delay_alu instid0(VALU_DEP_2) | instskip(SKIP_1) | instid1(SALU_CYCLE_1)
	v_cmp_ne_u32_e32 vcc_lo, 0x7c, v1
                                        ; implicit-def: $vgpr1
	s_and_saveexec_b32 s13, vcc_lo
	s_xor_b32 s13, exec_lo, s13
	s_cbranch_execz .LBB6_9854
; %bb.9851:                             ;   in Loop: Header=BB6_5830 Depth=4
	v_bfe_u32 v1, v9, 2, 5
	s_mov_b32 s76, exec_lo
	s_delay_alu instid0(VALU_DEP_1)
	v_cmpx_eq_u32_e32 0, v1
; %bb.9852:                             ;   in Loop: Header=BB6_5830 Depth=4
	v_clz_i32_u32_e32 v1, v2
	v_dual_mov_b32 v2, v9 :: v_dual_mov_b32 v3, v113
	s_delay_alu instid0(VALU_DEP_2) | instskip(NEXT) | instid1(VALU_DEP_1)
	v_min_u32_e32 v1, 32, v1
	v_subrev_nc_u32_e32 v28, 29, v1
	s_delay_alu instid0(VALU_DEP_1) | instskip(NEXT) | instid1(VALU_DEP_1)
	v_lshlrev_b64_e32 v[2:3], v28, v[2:3]
	v_dual_sub_nc_u32 v1, 30, v1 :: v_dual_bitop2_b32 v2, 3, v2 bitop3:0x40
; %bb.9853:                             ;   in Loop: Header=BB6_5830 Depth=4
	s_or_b32 exec_lo, exec_lo, s76
	v_lshlrev_b32_e32 v3, 24, v9
	s_delay_alu instid0(VALU_DEP_1) | instskip(NEXT) | instid1(VALU_DEP_1)
	v_and_b32_e32 v3, 0x80000000, v3
	v_lshl_add_u32 v1, v1, 23, v3
	s_delay_alu instid0(VALU_DEP_1) | instskip(NEXT) | instid1(VALU_DEP_1)
	v_lshl_or_b32 v1, v2, 21, v1
                                        ; implicit-def: $vgpr2
	v_add_nc_u32_e32 v1, 0x38000000, v1
.LBB6_9854:                             ;   in Loop: Header=BB6_5830 Depth=4
	s_and_not1_saveexec_b32 s76, s13
; %bb.9855:                             ;   in Loop: Header=BB6_5830 Depth=4
	v_bfe_i32 v1, v9, 0, 8
	v_cmp_eq_u32_e32 vcc_lo, 0, v2
	s_delay_alu instid0(VALU_DEP_2) | instskip(SKIP_1) | instid1(VALU_DEP_1)
	v_cmp_lt_i16_e64 s13, -1, v1
	v_mov_b32_e32 v1, 0x7f800000
	v_cndmask_b32_e64 v1, 0xff800000, v1, s13
	s_delay_alu instid0(VALU_DEP_1)
	v_cndmask_b32_e32 v1, 0x7f800001, v1, vcc_lo
; %bb.9856:                             ;   in Loop: Header=BB6_5830 Depth=4
	s_or_b32 exec_lo, exec_lo, s76
.LBB6_9857:                             ;   in Loop: Header=BB6_5830 Depth=4
	s_delay_alu instid0(SALU_CYCLE_1)
	s_or_b32 exec_lo, exec_lo, s75
.LBB6_9858:                             ;   in Loop: Header=BB6_5830 Depth=4
	s_delay_alu instid0(SALU_CYCLE_1) | instskip(NEXT) | instid1(VALU_DEP_1)
	s_or_b32 exec_lo, exec_lo, s74
	v_dual_add_f32 v2, v0, v1 :: v_dual_mov_b32 v47, v113
	v_mov_b32_e32 v1, v113
                                        ; implicit-def: $vgpr28
	s_mov_b32 s13, exec_lo
	s_delay_alu instid0(VALU_DEP_2) | instskip(SKIP_2) | instid1(VALU_DEP_3)
	v_and_b32_e32 v46, 0x7f800000, v2
	v_and_b32_e32 v0, 0x7fffff, v2
	v_lshrrev_b32_e32 v3, 24, v2
	v_cmpx_ne_u64_e32 0x7f800000, v[46:47]
	s_xor_b32 s74, exec_lo, s13
	s_cbranch_execz .LBB6_9872
; %bb.9859:                             ;   in Loop: Header=BB6_5830 Depth=4
	v_and_b32_e32 v46, 0x7fffffff, v2
	v_mov_b32_e32 v47, v113
	v_and_b32_e32 v38, 0x80, v3
                                        ; implicit-def: $vgpr28
	s_mov_b32 s13, exec_lo
	s_delay_alu instid0(VALU_DEP_2)
	v_cmpx_gt_u64_e32 0x47600001, v[46:47]
	s_xor_b32 s75, exec_lo, s13
	s_cbranch_execz .LBB6_9869
; %bb.9860:                             ;   in Loop: Header=BB6_5830 Depth=4
	v_mov_b32_e32 v28, 0
	s_mov_b32 s76, exec_lo
	v_cmpx_ne_u32_e32 0, v2
	s_cbranch_execz .LBB6_9868
; %bb.9861:                             ;   in Loop: Header=BB6_5830 Depth=4
	v_bfe_u32 v28, v2, 23, 8
	v_or_b32_e32 v3, 0x800000, v0
	s_delay_alu instid0(VALU_DEP_2) | instskip(SKIP_2) | instid1(VALU_DEP_2)
	v_cmp_gt_u32_e64 s13, 0x72, v28
	v_sub_nc_u32_e32 v2, 0x71, v28
	v_cmp_eq_u32_e32 vcc_lo, 0, v28
	v_dual_cndmask_b32 v2, 0, v2, s13 :: v_dual_cndmask_b32 v0, v3, v0, vcc_lo
	s_delay_alu instid0(VALU_DEP_1) | instskip(NEXT) | instid1(VALU_DEP_1)
	v_cndmask_b32_e64 v50, v2, 0x70, vcc_lo
	v_dual_add_nc_u32 v2, 21, v50 :: v_dual_add_nc_u32 v55, 20, v50
	s_delay_alu instid0(VALU_DEP_1) | instskip(NEXT) | instid1(VALU_DEP_2)
	v_lshlrev_b64_e64 v[2:3], v2, -1
	v_lshlrev_b64_e64 v[46:47], v55, 1
	s_delay_alu instid0(VALU_DEP_2) | instskip(SKIP_1) | instid1(VALU_DEP_4)
	v_bfi_b32 v2, v2, 0, v0
	v_lshrrev_b64 v[0:1], v50, v[0:1]
	v_bfi_b32 v3, v3, 0, 0
	s_delay_alu instid0(VALU_DEP_1) | instskip(NEXT) | instid1(VALU_DEP_3)
	v_cmp_eq_u64_e64 s13, v[2:3], v[46:47]
	v_mov_b64_e32 v[2:3], v[0:1]
	s_and_saveexec_b32 s77, s13
; %bb.9862:                             ;   in Loop: Header=BB6_5830 Depth=4
	v_bfe_u32 v2, v0, 21, 1
	v_mov_b32_e32 v3, v113
	s_delay_alu instid0(VALU_DEP_1) | instskip(NEXT) | instid1(VALU_DEP_1)
	v_add_nc_u64_e32 v[2:3], v[0:1], v[2:3]
	v_add_nc_u64_e32 v[2:3], -1, v[2:3]
; %bb.9863:                             ;   in Loop: Header=BB6_5830 Depth=4
	s_or_b32 exec_lo, exec_lo, s77
	v_add_nc_u32_e32 v1, 0xffffff81, v28
	v_lshrrev_b32_e32 v3, 23, v0
	s_mov_b32 s13, exec_lo
	s_delay_alu instid0(VALU_DEP_2) | instskip(NEXT) | instid1(VALU_DEP_1)
	v_cndmask_b32_e64 v1, v1, 0xffffff82, vcc_lo
	v_add3_u32 v28, v50, v1, v3
	v_and_b32_e32 v1, 0x1fffff, v2
                                        ; implicit-def: $vgpr2
	s_delay_alu instid0(VALU_DEP_2) | instskip(NEXT) | instid1(VALU_DEP_2)
	v_add_nc_u32_e32 v3, 14, v28
	v_add_nc_u32_e32 v0, v1, v0
	v_mov_b32_e32 v1, v113
	s_delay_alu instid0(VALU_DEP_3)
	v_cmpx_ne_u32_e32 0, v3
	s_xor_b32 s13, exec_lo, s13
; %bb.9864:                             ;   in Loop: Header=BB6_5830 Depth=4
	s_delay_alu instid0(VALU_DEP_2) | instskip(SKIP_1) | instid1(VALU_DEP_1)
	v_cmp_lt_u64_e32 vcc_lo, 0xffffff, v[0:1]
	v_add_nc_u32_e32 v2, 15, v28
	v_cndmask_b32_e32 v2, v3, v2, vcc_lo
	v_cndmask_b32_e64 v3, 0, 1, vcc_lo
	s_delay_alu instid0(VALU_DEP_1)
	v_lshrrev_b64 v[0:1], v3, v[0:1]
; %bb.9865:                             ;   in Loop: Header=BB6_5830 Depth=4
	s_and_not1_saveexec_b32 s13, s13
; %bb.9866:                             ;   in Loop: Header=BB6_5830 Depth=4
	s_delay_alu instid0(VALU_DEP_1)
	v_bfe_u32 v2, v0, 23, 1
; %bb.9867:                             ;   in Loop: Header=BB6_5830 Depth=4
	s_or_b32 exec_lo, exec_lo, s13
	s_delay_alu instid0(VALU_DEP_2) | instskip(NEXT) | instid1(VALU_DEP_2)
	v_lshrrev_b64 v[0:1], 21, v[0:1]
	v_cmp_gt_i32_e32 vcc_lo, 32, v2
	v_min_i32_e32 v3, 31, v2
	v_cmp_eq_u32_e64 s13, 0, v2
	s_delay_alu instid0(VALU_DEP_2) | instskip(SKIP_1) | instid1(VALU_DEP_2)
	v_dual_cndmask_b32 v1, 0, v1, vcc_lo :: v_dual_lshlrev_b32 v3, 2, v3
	v_cndmask_b32_e32 v0, 3, v0, vcc_lo
	v_and_b32_e32 v3, 0xfc, v3
	s_delay_alu instid0(VALU_DEP_2) | instskip(NEXT) | instid1(VALU_DEP_2)
	v_cmp_eq_u64_e32 vcc_lo, 0, v[0:1]
	v_and_or_b32 v0, v0, 3, v3
	s_and_b32 s13, s13, vcc_lo
	s_delay_alu instid0(VALU_DEP_1) | instid1(SALU_CYCLE_1)
	v_cndmask_b32_e64 v0, v0, 0, s13
	s_delay_alu instid0(VALU_DEP_1)
	v_or_b32_e32 v28, v0, v38
.LBB6_9868:                             ;   in Loop: Header=BB6_5830 Depth=4
	s_or_b32 exec_lo, exec_lo, s76
                                        ; implicit-def: $vgpr38
.LBB6_9869:                             ;   in Loop: Header=BB6_5830 Depth=4
	s_and_not1_saveexec_b32 s13, s75
; %bb.9870:                             ;   in Loop: Header=BB6_5830 Depth=4
	v_or_b32_e32 v28, 0x7b, v38
; %bb.9871:                             ;   in Loop: Header=BB6_5830 Depth=4
	s_or_b32 exec_lo, exec_lo, s13
                                        ; implicit-def: $vgpr2
                                        ; implicit-def: $vgpr0_vgpr1
                                        ; implicit-def: $vgpr3
.LBB6_9872:                             ;   in Loop: Header=BB6_5830 Depth=4
	s_and_not1_saveexec_b32 s13, s74
	s_cbranch_execz .LBB6_9878
; %bb.9873:                             ;   in Loop: Header=BB6_5830 Depth=4
	s_mov_b32 s74, exec_lo
                                        ; implicit-def: $vgpr28
	v_cmpx_ne_u64_e32 0, v[0:1]
	s_xor_b32 s74, exec_lo, s74
; %bb.9874:                             ;   in Loop: Header=BB6_5830 Depth=4
	v_or_b32_e32 v28, 0x7f, v3
                                        ; implicit-def: $vgpr2
; %bb.9875:                             ;   in Loop: Header=BB6_5830 Depth=4
	s_and_not1_saveexec_b32 s74, s74
; %bb.9876:                             ;   in Loop: Header=BB6_5830 Depth=4
	v_cmp_lt_i32_e32 vcc_lo, -1, v2
	v_mov_b32_e32 v0, 0x7c
	s_delay_alu instid0(VALU_DEP_1)
	v_cndmask_b32_e32 v28, 0xfc, v0, vcc_lo
; %bb.9877:                             ;   in Loop: Header=BB6_5830 Depth=4
	s_or_b32 exec_lo, exec_lo, s74
.LBB6_9878:                             ;   in Loop: Header=BB6_5830 Depth=4
	s_delay_alu instid0(SALU_CYCLE_1) | instskip(SKIP_3) | instid1(VALU_DEP_2)
	s_or_b32 exec_lo, exec_lo, s13
	v_lshrrev_b16 v0, 8, v35
	v_dual_mov_b32 v2, 0 :: v_dual_mov_b32 v3, 0
	s_mov_b32 s74, exec_lo
	v_cmpx_ne_u16_e32 0, v0
	s_cbranch_execz .LBB6_9888
; %bb.9879:                             ;   in Loop: Header=BB6_5830 Depth=4
	v_bfrev_b32_e32 v3, 1
	s_mov_b32 s75, exec_lo
	v_cmpx_ne_u16_e32 0x80, v0
	s_cbranch_execz .LBB6_9887
; %bb.9880:                             ;   in Loop: Header=BB6_5830 Depth=4
	v_and_b32_e32 v38, 0xffff, v0
	s_delay_alu instid0(VALU_DEP_1) | instskip(SKIP_1) | instid1(VALU_DEP_2)
	v_and_b32_e32 v3, 0x7c, v38
	v_and_b32_e32 v1, 3, v38
	v_cmp_ne_u32_e32 vcc_lo, 0x7c, v3
                                        ; implicit-def: $vgpr3
	s_and_saveexec_b32 s13, vcc_lo
	s_delay_alu instid0(SALU_CYCLE_1)
	s_xor_b32 s13, exec_lo, s13
	s_cbranch_execz .LBB6_9884
; %bb.9881:                             ;   in Loop: Header=BB6_5830 Depth=4
	v_bfe_u32 v3, v38, 2, 5
	s_mov_b32 s76, exec_lo
	s_delay_alu instid0(VALU_DEP_1)
	v_cmpx_eq_u32_e32 0, v3
	s_cbranch_execz .LBB6_9883
; %bb.9882:                             ;   in Loop: Header=BB6_5830 Depth=4
	v_clz_i32_u32_e32 v1, v1
	s_delay_alu instid0(VALU_DEP_1) | instskip(SKIP_1) | instid1(VALU_DEP_2)
	v_min_u32_e32 v3, 32, v1
	v_mov_b32_e32 v1, v113
	v_subrev_nc_u32_e32 v38, 29, v3
	v_sub_nc_u32_e32 v3, 30, v3
	s_delay_alu instid0(VALU_DEP_2) | instskip(NEXT) | instid1(VALU_DEP_1)
	v_lshlrev_b64_e32 v[0:1], v38, v[0:1]
	v_and_b32_e32 v1, 3, v0
.LBB6_9883:                             ;   in Loop: Header=BB6_5830 Depth=4
	s_or_b32 exec_lo, exec_lo, s76
	v_lshlrev_b32_e32 v0, 16, v35
                                        ; implicit-def: $vgpr35
	s_delay_alu instid0(VALU_DEP_1) | instskip(NEXT) | instid1(VALU_DEP_1)
	v_and_b32_e32 v0, 0x80000000, v0
	v_lshl_add_u32 v0, v3, 23, v0
	s_delay_alu instid0(VALU_DEP_1) | instskip(NEXT) | instid1(VALU_DEP_1)
	v_lshl_or_b32 v0, v1, 21, v0
                                        ; implicit-def: $vgpr1
	v_add_nc_u32_e32 v3, 0x38000000, v0
.LBB6_9884:                             ;   in Loop: Header=BB6_5830 Depth=4
	s_and_not1_saveexec_b32 s76, s13
; %bb.9885:                             ;   in Loop: Header=BB6_5830 Depth=4
	v_cmp_lt_i16_e64 s13, -1, v35
	v_mov_b32_e32 v0, 0x7f800000
	v_cmp_eq_u32_e32 vcc_lo, 0, v1
	s_delay_alu instid0(VALU_DEP_2) | instskip(NEXT) | instid1(VALU_DEP_1)
	v_cndmask_b32_e64 v0, 0xff800000, v0, s13
	v_cndmask_b32_e32 v3, 0x7f800001, v0, vcc_lo
; %bb.9886:                             ;   in Loop: Header=BB6_5830 Depth=4
	s_or_b32 exec_lo, exec_lo, s76
.LBB6_9887:                             ;   in Loop: Header=BB6_5830 Depth=4
	s_delay_alu instid0(SALU_CYCLE_1)
	s_or_b32 exec_lo, exec_lo, s75
.LBB6_9888:                             ;   in Loop: Header=BB6_5830 Depth=4
	s_delay_alu instid0(SALU_CYCLE_1) | instskip(SKIP_2) | instid1(VALU_DEP_1)
	s_or_b32 exec_lo, exec_lo, s74
	v_lshrrev_b16 v0, 8, v9
	s_mov_b32 s74, exec_lo
	v_cmpx_ne_u16_e32 0, v0
	s_cbranch_execz .LBB6_9898
; %bb.9889:                             ;   in Loop: Header=BB6_5830 Depth=4
	v_bfrev_b32_e32 v2, 1
	s_mov_b32 s75, exec_lo
	v_cmpx_ne_u16_e32 0x80, v0
	s_cbranch_execz .LBB6_9897
; %bb.9890:                             ;   in Loop: Header=BB6_5830 Depth=4
	v_and_b32_e32 v35, 0xffff, v0
	s_delay_alu instid0(VALU_DEP_1) | instskip(SKIP_1) | instid1(VALU_DEP_2)
	v_and_b32_e32 v2, 0x7c, v35
	v_and_b32_e32 v1, 3, v35
	v_cmp_ne_u32_e32 vcc_lo, 0x7c, v2
                                        ; implicit-def: $vgpr2
	s_and_saveexec_b32 s13, vcc_lo
	s_delay_alu instid0(SALU_CYCLE_1)
	s_xor_b32 s13, exec_lo, s13
	s_cbranch_execz .LBB6_9894
; %bb.9891:                             ;   in Loop: Header=BB6_5830 Depth=4
	v_bfe_u32 v2, v35, 2, 5
	s_mov_b32 s76, exec_lo
	s_delay_alu instid0(VALU_DEP_1)
	v_cmpx_eq_u32_e32 0, v2
	s_cbranch_execz .LBB6_9893
; %bb.9892:                             ;   in Loop: Header=BB6_5830 Depth=4
	v_clz_i32_u32_e32 v1, v1
	s_delay_alu instid0(VALU_DEP_1) | instskip(SKIP_1) | instid1(VALU_DEP_2)
	v_min_u32_e32 v2, 32, v1
	v_mov_b32_e32 v1, v113
	v_subrev_nc_u32_e32 v35, 29, v2
	v_sub_nc_u32_e32 v2, 30, v2
	s_delay_alu instid0(VALU_DEP_2) | instskip(NEXT) | instid1(VALU_DEP_1)
	v_lshlrev_b64_e32 v[0:1], v35, v[0:1]
	v_and_b32_e32 v1, 3, v0
.LBB6_9893:                             ;   in Loop: Header=BB6_5830 Depth=4
	s_or_b32 exec_lo, exec_lo, s76
	v_lshlrev_b32_e32 v0, 16, v9
	s_delay_alu instid0(VALU_DEP_1) | instskip(NEXT) | instid1(VALU_DEP_1)
	v_and_b32_e32 v0, 0x80000000, v0
	v_lshl_add_u32 v0, v2, 23, v0
	s_delay_alu instid0(VALU_DEP_1) | instskip(NEXT) | instid1(VALU_DEP_1)
	v_lshl_or_b32 v0, v1, 21, v0
                                        ; implicit-def: $vgpr1
	v_add_nc_u32_e32 v2, 0x38000000, v0
.LBB6_9894:                             ;   in Loop: Header=BB6_5830 Depth=4
	s_and_not1_saveexec_b32 s76, s13
; %bb.9895:                             ;   in Loop: Header=BB6_5830 Depth=4
	v_cmp_lt_i16_e64 s13, -1, v9
	v_mov_b32_e32 v0, 0x7f800000
	v_cmp_eq_u32_e32 vcc_lo, 0, v1
	s_delay_alu instid0(VALU_DEP_2) | instskip(NEXT) | instid1(VALU_DEP_1)
	v_cndmask_b32_e64 v0, 0xff800000, v0, s13
	v_cndmask_b32_e32 v2, 0x7f800001, v0, vcc_lo
; %bb.9896:                             ;   in Loop: Header=BB6_5830 Depth=4
	s_or_b32 exec_lo, exec_lo, s76
.LBB6_9897:                             ;   in Loop: Header=BB6_5830 Depth=4
	s_delay_alu instid0(SALU_CYCLE_1)
	s_or_b32 exec_lo, exec_lo, s75
.LBB6_9898:                             ;   in Loop: Header=BB6_5830 Depth=4
	s_delay_alu instid0(SALU_CYCLE_1) | instskip(NEXT) | instid1(VALU_DEP_1)
	s_or_b32 exec_lo, exec_lo, s74
	v_dual_add_f32 v2, v3, v2 :: v_dual_mov_b32 v47, v113
	v_mov_b32_e32 v1, v113
                                        ; implicit-def: $vgpr35
	s_mov_b32 s13, exec_lo
	s_delay_alu instid0(VALU_DEP_2) | instskip(SKIP_2) | instid1(VALU_DEP_3)
	v_and_b32_e32 v46, 0x7f800000, v2
	v_and_b32_e32 v0, 0x7fffff, v2
	v_lshrrev_b32_e32 v3, 24, v2
	v_cmpx_ne_u64_e32 0x7f800000, v[46:47]
	s_xor_b32 s74, exec_lo, s13
	s_cbranch_execz .LBB6_9912
; %bb.9899:                             ;   in Loop: Header=BB6_5830 Depth=4
	v_and_b32_e32 v46, 0x7fffffff, v2
	v_mov_b32_e32 v47, v113
	v_and_b32_e32 v38, 0x80, v3
                                        ; implicit-def: $vgpr35
	s_mov_b32 s13, exec_lo
	s_delay_alu instid0(VALU_DEP_2)
	v_cmpx_gt_u64_e32 0x47600001, v[46:47]
	s_xor_b32 s75, exec_lo, s13
	s_cbranch_execz .LBB6_9909
; %bb.9900:                             ;   in Loop: Header=BB6_5830 Depth=4
	v_mov_b32_e32 v35, 0
	s_mov_b32 s76, exec_lo
	v_cmpx_ne_u32_e32 0, v2
	s_cbranch_execz .LBB6_9908
; %bb.9901:                             ;   in Loop: Header=BB6_5830 Depth=4
	v_bfe_u32 v35, v2, 23, 8
	v_or_b32_e32 v3, 0x800000, v0
	s_delay_alu instid0(VALU_DEP_2) | instskip(SKIP_2) | instid1(VALU_DEP_2)
	v_cmp_gt_u32_e64 s13, 0x72, v35
	v_sub_nc_u32_e32 v2, 0x71, v35
	v_cmp_eq_u32_e32 vcc_lo, 0, v35
	v_dual_cndmask_b32 v2, 0, v2, s13 :: v_dual_cndmask_b32 v0, v3, v0, vcc_lo
	s_delay_alu instid0(VALU_DEP_1) | instskip(NEXT) | instid1(VALU_DEP_1)
	v_cndmask_b32_e64 v50, v2, 0x70, vcc_lo
	v_dual_add_nc_u32 v2, 21, v50 :: v_dual_add_nc_u32 v55, 20, v50
	s_delay_alu instid0(VALU_DEP_1) | instskip(NEXT) | instid1(VALU_DEP_2)
	v_lshlrev_b64_e64 v[2:3], v2, -1
	v_lshlrev_b64_e64 v[46:47], v55, 1
	s_delay_alu instid0(VALU_DEP_2) | instskip(SKIP_1) | instid1(VALU_DEP_4)
	v_bfi_b32 v2, v2, 0, v0
	v_lshrrev_b64 v[0:1], v50, v[0:1]
	v_bfi_b32 v3, v3, 0, 0
	s_delay_alu instid0(VALU_DEP_1) | instskip(NEXT) | instid1(VALU_DEP_3)
	v_cmp_eq_u64_e64 s13, v[2:3], v[46:47]
	v_mov_b64_e32 v[2:3], v[0:1]
	s_and_saveexec_b32 s77, s13
; %bb.9902:                             ;   in Loop: Header=BB6_5830 Depth=4
	v_bfe_u32 v2, v0, 21, 1
	v_mov_b32_e32 v3, v113
	s_delay_alu instid0(VALU_DEP_1) | instskip(NEXT) | instid1(VALU_DEP_1)
	v_add_nc_u64_e32 v[2:3], v[0:1], v[2:3]
	v_add_nc_u64_e32 v[2:3], -1, v[2:3]
; %bb.9903:                             ;   in Loop: Header=BB6_5830 Depth=4
	s_or_b32 exec_lo, exec_lo, s77
	v_add_nc_u32_e32 v1, 0xffffff81, v35
	v_lshrrev_b32_e32 v3, 23, v0
	s_mov_b32 s13, exec_lo
	s_delay_alu instid0(VALU_DEP_2) | instskip(NEXT) | instid1(VALU_DEP_1)
	v_cndmask_b32_e64 v1, v1, 0xffffff82, vcc_lo
	v_add3_u32 v35, v50, v1, v3
	v_and_b32_e32 v1, 0x1fffff, v2
                                        ; implicit-def: $vgpr2
	s_delay_alu instid0(VALU_DEP_1) | instskip(SKIP_1) | instid1(VALU_DEP_2)
	v_dual_add_nc_u32 v3, 14, v35 :: v_dual_add_nc_u32 v0, v1, v0
	v_mov_b32_e32 v1, v113
	v_cmpx_ne_u32_e32 0, v3
	s_xor_b32 s13, exec_lo, s13
; %bb.9904:                             ;   in Loop: Header=BB6_5830 Depth=4
	s_delay_alu instid0(VALU_DEP_2) | instskip(SKIP_1) | instid1(VALU_DEP_1)
	v_cmp_lt_u64_e32 vcc_lo, 0xffffff, v[0:1]
	v_add_nc_u32_e32 v2, 15, v35
	v_cndmask_b32_e32 v2, v3, v2, vcc_lo
	v_cndmask_b32_e64 v3, 0, 1, vcc_lo
	s_delay_alu instid0(VALU_DEP_1)
	v_lshrrev_b64 v[0:1], v3, v[0:1]
; %bb.9905:                             ;   in Loop: Header=BB6_5830 Depth=4
	s_and_not1_saveexec_b32 s13, s13
; %bb.9906:                             ;   in Loop: Header=BB6_5830 Depth=4
	s_delay_alu instid0(VALU_DEP_1)
	v_bfe_u32 v2, v0, 23, 1
; %bb.9907:                             ;   in Loop: Header=BB6_5830 Depth=4
	s_or_b32 exec_lo, exec_lo, s13
	s_delay_alu instid0(VALU_DEP_2) | instskip(NEXT) | instid1(VALU_DEP_2)
	v_lshrrev_b64 v[0:1], 21, v[0:1]
	v_cmp_gt_i32_e32 vcc_lo, 32, v2
	v_min_i32_e32 v3, 31, v2
	v_cmp_eq_u32_e64 s13, 0, v2
	s_delay_alu instid0(VALU_DEP_2) | instskip(SKIP_1) | instid1(VALU_DEP_2)
	v_dual_cndmask_b32 v1, 0, v1, vcc_lo :: v_dual_lshlrev_b32 v3, 2, v3
	v_cndmask_b32_e32 v0, 3, v0, vcc_lo
	v_and_b32_e32 v3, 0xfc, v3
	s_delay_alu instid0(VALU_DEP_2) | instskip(NEXT) | instid1(VALU_DEP_2)
	v_cmp_eq_u64_e32 vcc_lo, 0, v[0:1]
	v_and_or_b32 v0, v0, 3, v3
	s_and_b32 s13, s13, vcc_lo
	s_delay_alu instid0(VALU_DEP_1) | instid1(SALU_CYCLE_1)
	v_cndmask_b32_e64 v0, v0, 0, s13
	s_delay_alu instid0(VALU_DEP_1)
	v_or_b32_e32 v35, v0, v38
.LBB6_9908:                             ;   in Loop: Header=BB6_5830 Depth=4
	s_or_b32 exec_lo, exec_lo, s76
                                        ; implicit-def: $vgpr38
.LBB6_9909:                             ;   in Loop: Header=BB6_5830 Depth=4
	s_and_not1_saveexec_b32 s13, s75
; %bb.9910:                             ;   in Loop: Header=BB6_5830 Depth=4
	v_or_b32_e32 v35, 0x7b, v38
; %bb.9911:                             ;   in Loop: Header=BB6_5830 Depth=4
	s_or_b32 exec_lo, exec_lo, s13
                                        ; implicit-def: $vgpr2
                                        ; implicit-def: $vgpr0_vgpr1
                                        ; implicit-def: $vgpr3
.LBB6_9912:                             ;   in Loop: Header=BB6_5830 Depth=4
	s_and_not1_saveexec_b32 s13, s74
	s_cbranch_execz .LBB6_9918
; %bb.9913:                             ;   in Loop: Header=BB6_5830 Depth=4
	s_mov_b32 s74, exec_lo
                                        ; implicit-def: $vgpr35
	v_cmpx_ne_u64_e32 0, v[0:1]
	s_xor_b32 s74, exec_lo, s74
; %bb.9914:                             ;   in Loop: Header=BB6_5830 Depth=4
	v_or_b32_e32 v35, 0x7f, v3
                                        ; implicit-def: $vgpr2
; %bb.9915:                             ;   in Loop: Header=BB6_5830 Depth=4
	s_and_not1_saveexec_b32 s74, s74
; %bb.9916:                             ;   in Loop: Header=BB6_5830 Depth=4
	v_cmp_lt_i32_e32 vcc_lo, -1, v2
	v_mov_b32_e32 v0, 0x7c
	s_delay_alu instid0(VALU_DEP_1)
	v_cndmask_b32_e32 v35, 0xfc, v0, vcc_lo
; %bb.9917:                             ;   in Loop: Header=BB6_5830 Depth=4
	s_or_b32 exec_lo, exec_lo, s74
.LBB6_9918:                             ;   in Loop: Header=BB6_5830 Depth=4
	s_delay_alu instid0(SALU_CYCLE_1) | instskip(SKIP_3) | instid1(VALU_DEP_2)
	s_or_b32 exec_lo, exec_lo, s13
	v_dual_mov_b32 v1, 0 :: v_dual_lshrrev_b32 v0, 16, v112
	v_mov_b32_e32 v2, 0
	s_mov_b32 s74, exec_lo
	v_and_b32_e32 v3, 0xff, v0
	s_delay_alu instid0(VALU_DEP_1)
	v_cmpx_ne_u16_e32 0, v3
	s_cbranch_execz .LBB6_9928
; %bb.9919:                             ;   in Loop: Header=BB6_5830 Depth=4
	v_bfrev_b32_e32 v2, 1
	s_mov_b32 s75, exec_lo
	v_cmpx_ne_u16_e32 0x80, v3
	s_cbranch_execz .LBB6_9927
; %bb.9920:                             ;   in Loop: Header=BB6_5830 Depth=4
	v_and_b32_e32 v2, 0x7c0000, v112
	v_bfe_u32 v3, v112, 16, 2
	s_delay_alu instid0(VALU_DEP_2) | instskip(SKIP_1) | instid1(SALU_CYCLE_1)
	v_cmp_ne_u32_e32 vcc_lo, 0x7c0000, v2
                                        ; implicit-def: $vgpr2
	s_and_saveexec_b32 s13, vcc_lo
	s_xor_b32 s13, exec_lo, s13
	s_cbranch_execz .LBB6_9924
; %bb.9921:                             ;   in Loop: Header=BB6_5830 Depth=4
	v_bfe_u32 v2, v112, 18, 5
	s_mov_b32 s76, exec_lo
	s_delay_alu instid0(VALU_DEP_1)
	v_cmpx_eq_u32_e32 0, v2
; %bb.9922:                             ;   in Loop: Header=BB6_5830 Depth=4
	v_clz_i32_u32_e32 v2, v3
	s_delay_alu instid0(VALU_DEP_1) | instskip(NEXT) | instid1(VALU_DEP_1)
	v_min_u32_e32 v2, 32, v2
	v_subrev_nc_u32_e32 v3, 29, v2
	v_sub_nc_u32_e32 v2, 30, v2
	s_delay_alu instid0(VALU_DEP_2) | instskip(NEXT) | instid1(VALU_DEP_1)
	v_lshlrev_b64_e32 v[46:47], v3, v[0:1]
	v_and_b32_e32 v3, 3, v46
; %bb.9923:                             ;   in Loop: Header=BB6_5830 Depth=4
	s_or_b32 exec_lo, exec_lo, s76
	v_lshlrev_b32_e32 v0, 24, v0
	s_delay_alu instid0(VALU_DEP_1) | instskip(NEXT) | instid1(VALU_DEP_1)
	v_and_b32_e32 v0, 0x80000000, v0
	v_lshl_add_u32 v0, v2, 23, v0
	s_delay_alu instid0(VALU_DEP_1) | instskip(NEXT) | instid1(VALU_DEP_1)
	v_lshl_or_b32 v0, v3, 21, v0
                                        ; implicit-def: $vgpr3
	v_add_nc_u32_e32 v2, 0x38000000, v0
                                        ; implicit-def: $vgpr0
.LBB6_9924:                             ;   in Loop: Header=BB6_5830 Depth=4
	s_and_not1_saveexec_b32 s76, s13
; %bb.9925:                             ;   in Loop: Header=BB6_5830 Depth=4
	v_bfe_i32 v0, v0, 0, 8
	v_cmp_eq_u32_e32 vcc_lo, 0, v3
	s_delay_alu instid0(VALU_DEP_2) | instskip(SKIP_1) | instid1(VALU_DEP_1)
	v_cmp_lt_i16_e64 s13, -1, v0
	v_mov_b32_e32 v0, 0x7f800000
	v_cndmask_b32_e64 v0, 0xff800000, v0, s13
	s_delay_alu instid0(VALU_DEP_1)
	v_cndmask_b32_e32 v2, 0x7f800001, v0, vcc_lo
; %bb.9926:                             ;   in Loop: Header=BB6_5830 Depth=4
	s_or_b32 exec_lo, exec_lo, s76
.LBB6_9927:                             ;   in Loop: Header=BB6_5830 Depth=4
	s_delay_alu instid0(SALU_CYCLE_1)
	s_or_b32 exec_lo, exec_lo, s75
.LBB6_9928:                             ;   in Loop: Header=BB6_5830 Depth=4
	s_delay_alu instid0(SALU_CYCLE_1) | instskip(SKIP_2) | instid1(VALU_DEP_1)
	s_or_b32 exec_lo, exec_lo, s74
	v_lshrrev_b32_e32 v0, 16, v9
	s_mov_b32 s74, exec_lo
	v_and_b32_e32 v3, 0xff, v0
	s_delay_alu instid0(VALU_DEP_1)
	v_cmpx_ne_u16_e32 0, v3
	s_cbranch_execz .LBB6_9938
; %bb.9929:                             ;   in Loop: Header=BB6_5830 Depth=4
	v_bfrev_b32_e32 v1, 1
	s_mov_b32 s75, exec_lo
	v_cmpx_ne_u16_e32 0x80, v3
	s_cbranch_execz .LBB6_9937
; %bb.9930:                             ;   in Loop: Header=BB6_5830 Depth=4
	v_and_b32_e32 v1, 0x7c0000, v9
	v_bfe_u32 v3, v9, 16, 2
	s_delay_alu instid0(VALU_DEP_2) | instskip(SKIP_1) | instid1(SALU_CYCLE_1)
	v_cmp_ne_u32_e32 vcc_lo, 0x7c0000, v1
                                        ; implicit-def: $vgpr1
	s_and_saveexec_b32 s13, vcc_lo
	s_xor_b32 s13, exec_lo, s13
	s_cbranch_execz .LBB6_9934
; %bb.9931:                             ;   in Loop: Header=BB6_5830 Depth=4
	v_bfe_u32 v1, v9, 18, 5
	s_mov_b32 s76, exec_lo
	s_delay_alu instid0(VALU_DEP_1)
	v_cmpx_eq_u32_e32 0, v1
; %bb.9932:                             ;   in Loop: Header=BB6_5830 Depth=4
	v_clz_i32_u32_e32 v1, v3
	s_delay_alu instid0(VALU_DEP_1) | instskip(NEXT) | instid1(VALU_DEP_1)
	v_min_u32_e32 v1, 32, v1
	v_subrev_nc_u32_e32 v3, 29, v1
	s_delay_alu instid0(VALU_DEP_1) | instskip(NEXT) | instid1(VALU_DEP_1)
	v_lshlrev_b64_e32 v[46:47], v3, v[0:1]
	v_dual_sub_nc_u32 v1, 30, v1 :: v_dual_bitop2_b32 v3, 3, v46 bitop3:0x40
; %bb.9933:                             ;   in Loop: Header=BB6_5830 Depth=4
	s_or_b32 exec_lo, exec_lo, s76
	v_lshlrev_b32_e32 v0, 24, v0
	s_delay_alu instid0(VALU_DEP_1) | instskip(NEXT) | instid1(VALU_DEP_1)
	v_and_b32_e32 v0, 0x80000000, v0
	v_lshl_add_u32 v0, v1, 23, v0
	s_delay_alu instid0(VALU_DEP_1) | instskip(NEXT) | instid1(VALU_DEP_1)
	v_lshl_or_b32 v0, v3, 21, v0
                                        ; implicit-def: $vgpr3
	v_add_nc_u32_e32 v1, 0x38000000, v0
                                        ; implicit-def: $vgpr0
.LBB6_9934:                             ;   in Loop: Header=BB6_5830 Depth=4
	s_and_not1_saveexec_b32 s76, s13
; %bb.9935:                             ;   in Loop: Header=BB6_5830 Depth=4
	v_bfe_i32 v0, v0, 0, 8
	v_cmp_eq_u32_e32 vcc_lo, 0, v3
	s_delay_alu instid0(VALU_DEP_2) | instskip(SKIP_1) | instid1(VALU_DEP_1)
	v_cmp_lt_i16_e64 s13, -1, v0
	v_mov_b32_e32 v0, 0x7f800000
	v_cndmask_b32_e64 v0, 0xff800000, v0, s13
	s_delay_alu instid0(VALU_DEP_1)
	v_cndmask_b32_e32 v1, 0x7f800001, v0, vcc_lo
; %bb.9936:                             ;   in Loop: Header=BB6_5830 Depth=4
	s_or_b32 exec_lo, exec_lo, s76
.LBB6_9937:                             ;   in Loop: Header=BB6_5830 Depth=4
	s_delay_alu instid0(SALU_CYCLE_1)
	s_or_b32 exec_lo, exec_lo, s75
.LBB6_9938:                             ;   in Loop: Header=BB6_5830 Depth=4
	s_delay_alu instid0(SALU_CYCLE_1) | instskip(NEXT) | instid1(VALU_DEP_1)
	s_or_b32 exec_lo, exec_lo, s74
	v_dual_add_f32 v2, v2, v1 :: v_dual_mov_b32 v47, v113
	v_mov_b32_e32 v1, v113
                                        ; implicit-def: $vgpr38
	s_mov_b32 s13, exec_lo
	s_delay_alu instid0(VALU_DEP_2) | instskip(SKIP_2) | instid1(VALU_DEP_3)
	v_and_b32_e32 v46, 0x7f800000, v2
	v_and_b32_e32 v0, 0x7fffff, v2
	v_lshrrev_b32_e32 v3, 24, v2
	v_cmpx_ne_u64_e32 0x7f800000, v[46:47]
	s_xor_b32 s74, exec_lo, s13
	s_cbranch_execz .LBB6_9952
; %bb.9939:                             ;   in Loop: Header=BB6_5830 Depth=4
	v_and_b32_e32 v46, 0x7fffffff, v2
	v_mov_b32_e32 v47, v113
	v_and_b32_e32 v50, 0x80, v3
                                        ; implicit-def: $vgpr38
	s_mov_b32 s13, exec_lo
	s_delay_alu instid0(VALU_DEP_2)
	v_cmpx_gt_u64_e32 0x47600001, v[46:47]
	s_xor_b32 s75, exec_lo, s13
	s_cbranch_execz .LBB6_9949
; %bb.9940:                             ;   in Loop: Header=BB6_5830 Depth=4
	v_mov_b32_e32 v38, 0
	s_mov_b32 s76, exec_lo
	v_cmpx_ne_u32_e32 0, v2
	s_cbranch_execz .LBB6_9948
; %bb.9941:                             ;   in Loop: Header=BB6_5830 Depth=4
	v_bfe_u32 v38, v2, 23, 8
	v_or_b32_e32 v3, 0x800000, v0
	s_delay_alu instid0(VALU_DEP_2) | instskip(SKIP_2) | instid1(VALU_DEP_2)
	v_cmp_gt_u32_e64 s13, 0x72, v38
	v_sub_nc_u32_e32 v2, 0x71, v38
	v_cmp_eq_u32_e32 vcc_lo, 0, v38
	v_dual_cndmask_b32 v2, 0, v2, s13 :: v_dual_cndmask_b32 v0, v3, v0, vcc_lo
	s_delay_alu instid0(VALU_DEP_1) | instskip(NEXT) | instid1(VALU_DEP_1)
	v_cndmask_b32_e64 v55, v2, 0x70, vcc_lo
	v_dual_add_nc_u32 v2, 21, v55 :: v_dual_add_nc_u32 v68, 20, v55
	s_delay_alu instid0(VALU_DEP_1) | instskip(NEXT) | instid1(VALU_DEP_2)
	v_lshlrev_b64_e64 v[2:3], v2, -1
	v_lshlrev_b64_e64 v[46:47], v68, 1
	s_delay_alu instid0(VALU_DEP_2) | instskip(SKIP_1) | instid1(VALU_DEP_4)
	v_bfi_b32 v2, v2, 0, v0
	v_lshrrev_b64 v[0:1], v55, v[0:1]
	v_bfi_b32 v3, v3, 0, 0
	s_delay_alu instid0(VALU_DEP_1) | instskip(NEXT) | instid1(VALU_DEP_3)
	v_cmp_eq_u64_e64 s13, v[2:3], v[46:47]
	v_mov_b64_e32 v[2:3], v[0:1]
	s_and_saveexec_b32 s77, s13
; %bb.9942:                             ;   in Loop: Header=BB6_5830 Depth=4
	v_bfe_u32 v2, v0, 21, 1
	v_mov_b32_e32 v3, v113
	s_delay_alu instid0(VALU_DEP_1) | instskip(NEXT) | instid1(VALU_DEP_1)
	v_add_nc_u64_e32 v[2:3], v[0:1], v[2:3]
	v_add_nc_u64_e32 v[2:3], -1, v[2:3]
; %bb.9943:                             ;   in Loop: Header=BB6_5830 Depth=4
	s_or_b32 exec_lo, exec_lo, s77
	v_add_nc_u32_e32 v1, 0xffffff81, v38
	v_lshrrev_b32_e32 v3, 23, v0
	s_mov_b32 s13, exec_lo
	s_delay_alu instid0(VALU_DEP_2) | instskip(NEXT) | instid1(VALU_DEP_1)
	v_cndmask_b32_e64 v1, v1, 0xffffff82, vcc_lo
	v_add3_u32 v38, v55, v1, v3
	v_and_b32_e32 v1, 0x1fffff, v2
                                        ; implicit-def: $vgpr2
	s_delay_alu instid0(VALU_DEP_1) | instskip(SKIP_1) | instid1(VALU_DEP_2)
	v_dual_add_nc_u32 v3, 14, v38 :: v_dual_add_nc_u32 v0, v1, v0
	v_mov_b32_e32 v1, v113
	v_cmpx_ne_u32_e32 0, v3
	s_xor_b32 s13, exec_lo, s13
; %bb.9944:                             ;   in Loop: Header=BB6_5830 Depth=4
	s_delay_alu instid0(VALU_DEP_2) | instskip(SKIP_1) | instid1(VALU_DEP_1)
	v_cmp_lt_u64_e32 vcc_lo, 0xffffff, v[0:1]
	v_add_nc_u32_e32 v2, 15, v38
	v_cndmask_b32_e32 v2, v3, v2, vcc_lo
	v_cndmask_b32_e64 v3, 0, 1, vcc_lo
	s_delay_alu instid0(VALU_DEP_1)
	v_lshrrev_b64 v[0:1], v3, v[0:1]
; %bb.9945:                             ;   in Loop: Header=BB6_5830 Depth=4
	s_and_not1_saveexec_b32 s13, s13
; %bb.9946:                             ;   in Loop: Header=BB6_5830 Depth=4
	s_delay_alu instid0(VALU_DEP_1)
	v_bfe_u32 v2, v0, 23, 1
; %bb.9947:                             ;   in Loop: Header=BB6_5830 Depth=4
	s_or_b32 exec_lo, exec_lo, s13
	s_delay_alu instid0(VALU_DEP_2) | instskip(NEXT) | instid1(VALU_DEP_2)
	v_lshrrev_b64 v[0:1], 21, v[0:1]
	v_cmp_gt_i32_e32 vcc_lo, 32, v2
	v_min_i32_e32 v3, 31, v2
	v_cmp_eq_u32_e64 s13, 0, v2
	s_delay_alu instid0(VALU_DEP_2) | instskip(SKIP_1) | instid1(VALU_DEP_2)
	v_dual_cndmask_b32 v1, 0, v1, vcc_lo :: v_dual_lshlrev_b32 v3, 2, v3
	v_cndmask_b32_e32 v0, 3, v0, vcc_lo
	v_and_b32_e32 v3, 0xfc, v3
	s_delay_alu instid0(VALU_DEP_2) | instskip(NEXT) | instid1(VALU_DEP_2)
	v_cmp_eq_u64_e32 vcc_lo, 0, v[0:1]
	v_and_or_b32 v0, v0, 3, v3
	s_and_b32 s13, s13, vcc_lo
	s_delay_alu instid0(VALU_DEP_1) | instid1(SALU_CYCLE_1)
	v_cndmask_b32_e64 v0, v0, 0, s13
	s_delay_alu instid0(VALU_DEP_1)
	v_or_b32_e32 v38, v0, v50
.LBB6_9948:                             ;   in Loop: Header=BB6_5830 Depth=4
	s_or_b32 exec_lo, exec_lo, s76
                                        ; implicit-def: $vgpr50
.LBB6_9949:                             ;   in Loop: Header=BB6_5830 Depth=4
	s_and_not1_saveexec_b32 s13, s75
; %bb.9950:                             ;   in Loop: Header=BB6_5830 Depth=4
	v_or_b32_e32 v38, 0x7b, v50
; %bb.9951:                             ;   in Loop: Header=BB6_5830 Depth=4
	s_or_b32 exec_lo, exec_lo, s13
                                        ; implicit-def: $vgpr2
                                        ; implicit-def: $vgpr0_vgpr1
                                        ; implicit-def: $vgpr3
.LBB6_9952:                             ;   in Loop: Header=BB6_5830 Depth=4
	s_and_not1_saveexec_b32 s13, s74
	s_cbranch_execz .LBB6_9958
; %bb.9953:                             ;   in Loop: Header=BB6_5830 Depth=4
	s_mov_b32 s74, exec_lo
                                        ; implicit-def: $vgpr38
	v_cmpx_ne_u64_e32 0, v[0:1]
	s_xor_b32 s74, exec_lo, s74
; %bb.9954:                             ;   in Loop: Header=BB6_5830 Depth=4
	v_or_b32_e32 v38, 0x7f, v3
                                        ; implicit-def: $vgpr2
; %bb.9955:                             ;   in Loop: Header=BB6_5830 Depth=4
	s_and_not1_saveexec_b32 s74, s74
; %bb.9956:                             ;   in Loop: Header=BB6_5830 Depth=4
	v_cmp_lt_i32_e32 vcc_lo, -1, v2
	v_mov_b32_e32 v0, 0x7c
	s_delay_alu instid0(VALU_DEP_1)
	v_cndmask_b32_e32 v38, 0xfc, v0, vcc_lo
; %bb.9957:                             ;   in Loop: Header=BB6_5830 Depth=4
	s_or_b32 exec_lo, exec_lo, s74
.LBB6_9958:                             ;   in Loop: Header=BB6_5830 Depth=4
	s_delay_alu instid0(SALU_CYCLE_1)
	s_or_b32 exec_lo, exec_lo, s13
	v_dual_mov_b32 v1, 0 :: v_dual_mov_b32 v2, 0
	s_mov_b32 s74, exec_lo
	v_cmpx_lt_u32_e32 0xffffff, v112
	s_cbranch_execz .LBB6_9968
; %bb.9959:                             ;   in Loop: Header=BB6_5830 Depth=4
	v_lshrrev_b32_e32 v0, 24, v112
	v_bfrev_b32_e32 v2, 1
	s_mov_b32 s75, exec_lo
	s_delay_alu instid0(VALU_DEP_2)
	v_cmpx_ne_u32_e32 0x80, v0
	s_cbranch_execz .LBB6_9967
; %bb.9960:                             ;   in Loop: Header=BB6_5830 Depth=4
	v_and_b32_e32 v2, 0x7c000000, v112
	v_bfe_u32 v3, v112, 24, 2
	s_delay_alu instid0(VALU_DEP_2) | instskip(SKIP_1) | instid1(SALU_CYCLE_1)
	v_cmp_ne_u32_e32 vcc_lo, 0x7c000000, v2
                                        ; implicit-def: $vgpr2
	s_and_saveexec_b32 s13, vcc_lo
	s_xor_b32 s13, exec_lo, s13
	s_cbranch_execz .LBB6_9964
; %bb.9961:                             ;   in Loop: Header=BB6_5830 Depth=4
	v_bfe_u32 v2, v112, 26, 5
	s_mov_b32 s76, exec_lo
	s_delay_alu instid0(VALU_DEP_1)
	v_cmpx_eq_u32_e32 0, v2
; %bb.9962:                             ;   in Loop: Header=BB6_5830 Depth=4
	v_clz_i32_u32_e32 v2, v3
	s_delay_alu instid0(VALU_DEP_1) | instskip(NEXT) | instid1(VALU_DEP_1)
	v_min_u32_e32 v2, 32, v2
	v_subrev_nc_u32_e32 v3, 29, v2
	v_sub_nc_u32_e32 v2, 30, v2
	s_delay_alu instid0(VALU_DEP_2) | instskip(NEXT) | instid1(VALU_DEP_1)
	v_lshlrev_b64_e32 v[46:47], v3, v[0:1]
	v_and_b32_e32 v3, 3, v46
; %bb.9963:                             ;   in Loop: Header=BB6_5830 Depth=4
	s_or_b32 exec_lo, exec_lo, s76
	v_and_b32_e32 v0, 0x80000000, v112
	s_delay_alu instid0(VALU_DEP_1) | instskip(NEXT) | instid1(VALU_DEP_1)
	v_lshl_add_u32 v0, v2, 23, v0
	v_lshl_or_b32 v0, v3, 21, v0
                                        ; implicit-def: $vgpr3
	s_delay_alu instid0(VALU_DEP_1)
	v_add_nc_u32_e32 v2, 0x38000000, v0
.LBB6_9964:                             ;   in Loop: Header=BB6_5830 Depth=4
	s_and_not1_saveexec_b32 s76, s13
; %bb.9965:                             ;   in Loop: Header=BB6_5830 Depth=4
	v_cmp_lt_i32_e64 s13, -1, v112
	v_mov_b32_e32 v0, 0x7f800000
	v_cmp_eq_u32_e32 vcc_lo, 0, v3
	s_delay_alu instid0(VALU_DEP_2) | instskip(NEXT) | instid1(VALU_DEP_1)
	v_cndmask_b32_e64 v0, 0xff800000, v0, s13
	v_cndmask_b32_e32 v2, 0x7f800001, v0, vcc_lo
; %bb.9966:                             ;   in Loop: Header=BB6_5830 Depth=4
	s_or_b32 exec_lo, exec_lo, s76
.LBB6_9967:                             ;   in Loop: Header=BB6_5830 Depth=4
	s_delay_alu instid0(SALU_CYCLE_1)
	s_or_b32 exec_lo, exec_lo, s75
.LBB6_9968:                             ;   in Loop: Header=BB6_5830 Depth=4
	s_delay_alu instid0(SALU_CYCLE_1) | instskip(NEXT) | instid1(SALU_CYCLE_1)
	s_or_b32 exec_lo, exec_lo, s74
	s_mov_b32 s74, exec_lo
	v_cmpx_lt_u64_e64 s[22:23], v[8:9]
	s_cbranch_execz .LBB6_9978
; %bb.9969:                             ;   in Loop: Header=BB6_5830 Depth=4
	v_lshrrev_b32_e32 v0, 24, v9
	v_bfrev_b32_e32 v1, 1
	s_mov_b32 s75, exec_lo
	s_delay_alu instid0(VALU_DEP_2)
	v_cmpx_ne_u32_e32 0x80, v0
	s_cbranch_execz .LBB6_9977
; %bb.9970:                             ;   in Loop: Header=BB6_5830 Depth=4
	v_and_b32_e32 v1, 0x7c000000, v9
	v_bfe_u32 v3, v9, 24, 2
	s_delay_alu instid0(VALU_DEP_2) | instskip(SKIP_1) | instid1(SALU_CYCLE_1)
	v_cmp_ne_u32_e32 vcc_lo, 0x7c000000, v1
                                        ; implicit-def: $vgpr1
	s_and_saveexec_b32 s13, vcc_lo
	s_xor_b32 s13, exec_lo, s13
	s_cbranch_execz .LBB6_9974
; %bb.9971:                             ;   in Loop: Header=BB6_5830 Depth=4
	v_bfe_u32 v1, v9, 26, 5
	s_mov_b32 s76, exec_lo
	s_delay_alu instid0(VALU_DEP_1)
	v_cmpx_eq_u32_e32 0, v1
; %bb.9972:                             ;   in Loop: Header=BB6_5830 Depth=4
	v_clz_i32_u32_e32 v1, v3
	s_delay_alu instid0(VALU_DEP_1) | instskip(NEXT) | instid1(VALU_DEP_1)
	v_min_u32_e32 v3, 32, v1
	v_subrev_nc_u32_e32 v1, 29, v3
	s_delay_alu instid0(VALU_DEP_1) | instskip(NEXT) | instid1(VALU_DEP_1)
	v_lshlrev_b64_e32 v[0:1], v1, v[0:1]
	v_dual_sub_nc_u32 v1, 30, v3 :: v_dual_bitop2_b32 v3, 3, v0 bitop3:0x40
; %bb.9973:                             ;   in Loop: Header=BB6_5830 Depth=4
	s_or_b32 exec_lo, exec_lo, s76
	v_and_b32_e32 v0, 0x80000000, v9
	s_delay_alu instid0(VALU_DEP_1) | instskip(NEXT) | instid1(VALU_DEP_1)
	v_lshl_add_u32 v0, v1, 23, v0
	v_lshl_or_b32 v0, v3, 21, v0
                                        ; implicit-def: $vgpr3
	s_delay_alu instid0(VALU_DEP_1)
	v_add_nc_u32_e32 v1, 0x38000000, v0
.LBB6_9974:                             ;   in Loop: Header=BB6_5830 Depth=4
	s_and_not1_saveexec_b32 s76, s13
; %bb.9975:                             ;   in Loop: Header=BB6_5830 Depth=4
	v_cmp_lt_i64_e64 s13, -1, v[8:9]
	v_mov_b32_e32 v0, 0x7f800000
	v_cmp_eq_u32_e32 vcc_lo, 0, v3
	s_delay_alu instid0(VALU_DEP_2) | instskip(NEXT) | instid1(VALU_DEP_1)
	v_cndmask_b32_e64 v0, 0xff800000, v0, s13
	v_cndmask_b32_e32 v1, 0x7f800001, v0, vcc_lo
; %bb.9976:                             ;   in Loop: Header=BB6_5830 Depth=4
	s_or_b32 exec_lo, exec_lo, s76
.LBB6_9977:                             ;   in Loop: Header=BB6_5830 Depth=4
	s_delay_alu instid0(SALU_CYCLE_1)
	s_or_b32 exec_lo, exec_lo, s75
.LBB6_9978:                             ;   in Loop: Header=BB6_5830 Depth=4
	s_delay_alu instid0(SALU_CYCLE_1) | instskip(NEXT) | instid1(VALU_DEP_1)
	s_or_b32 exec_lo, exec_lo, s74
	v_dual_add_f32 v0, v2, v1 :: v_dual_mov_b32 v3, v113
                                        ; implicit-def: $vgpr8
	s_mov_b32 s13, exec_lo
	s_delay_alu instid0(VALU_DEP_1) | instskip(SKIP_2) | instid1(VALU_DEP_3)
	v_and_b32_e32 v2, 0x7f800000, v0
	v_and_b32_e32 v112, 0x7fffff, v0
	v_lshrrev_b32_e32 v1, 24, v0
	v_cmpx_ne_u64_e32 0x7f800000, v[2:3]
	s_xor_b32 s74, exec_lo, s13
	s_cbranch_execz .LBB6_9992
; %bb.9979:                             ;   in Loop: Header=BB6_5830 Depth=4
	v_and_b32_e32 v2, 0x7fffffff, v0
	v_mov_b32_e32 v3, v113
	v_and_b32_e32 v9, 0x80, v1
                                        ; implicit-def: $vgpr8
	s_mov_b32 s13, exec_lo
	s_delay_alu instid0(VALU_DEP_2)
	v_cmpx_gt_u64_e32 0x47600001, v[2:3]
	s_xor_b32 s75, exec_lo, s13
	s_cbranch_execz .LBB6_9989
; %bb.9980:                             ;   in Loop: Header=BB6_5830 Depth=4
	v_mov_b32_e32 v8, 0
	s_mov_b32 s76, exec_lo
	v_cmpx_ne_u32_e32 0, v0
	s_cbranch_execz .LBB6_9988
; %bb.9981:                             ;   in Loop: Header=BB6_5830 Depth=4
	v_bfe_u32 v8, v0, 23, 8
	v_or_b32_e32 v1, 0x800000, v112
	s_delay_alu instid0(VALU_DEP_2) | instskip(SKIP_2) | instid1(VALU_DEP_2)
	v_cmp_gt_u32_e64 s13, 0x72, v8
	v_sub_nc_u32_e32 v0, 0x71, v8
	v_cmp_eq_u32_e32 vcc_lo, 0, v8
	v_cndmask_b32_e64 v0, 0, v0, s13
	s_delay_alu instid0(VALU_DEP_1) | instskip(SKIP_1) | instid1(VALU_DEP_2)
	v_cndmask_b32_e64 v50, v0, 0x70, vcc_lo
	v_cndmask_b32_e32 v0, v1, v112, vcc_lo
	v_dual_mov_b32 v1, v113 :: v_dual_add_nc_u32 v2, 21, v50
	v_add_nc_u32_e32 v55, 20, v50
	s_delay_alu instid0(VALU_DEP_2) | instskip(NEXT) | instid1(VALU_DEP_2)
	v_lshlrev_b64_e64 v[2:3], v2, -1
	v_lshlrev_b64_e64 v[46:47], v55, 1
	s_delay_alu instid0(VALU_DEP_2) | instskip(SKIP_1) | instid1(VALU_DEP_4)
	v_bfi_b32 v2, v2, 0, v0
	v_lshrrev_b64 v[0:1], v50, v[0:1]
	v_bfi_b32 v3, v3, 0, 0
	s_delay_alu instid0(VALU_DEP_1) | instskip(NEXT) | instid1(VALU_DEP_3)
	v_cmp_eq_u64_e64 s13, v[2:3], v[46:47]
	v_mov_b64_e32 v[2:3], v[0:1]
	s_and_saveexec_b32 s77, s13
; %bb.9982:                             ;   in Loop: Header=BB6_5830 Depth=4
	v_bfe_u32 v2, v0, 21, 1
	v_mov_b32_e32 v3, v113
	s_delay_alu instid0(VALU_DEP_1) | instskip(NEXT) | instid1(VALU_DEP_1)
	v_add_nc_u64_e32 v[2:3], v[0:1], v[2:3]
	v_add_nc_u64_e32 v[2:3], -1, v[2:3]
; %bb.9983:                             ;   in Loop: Header=BB6_5830 Depth=4
	s_or_b32 exec_lo, exec_lo, s77
	v_add_nc_u32_e32 v1, 0xffffff81, v8
	s_delay_alu instid0(VALU_DEP_2) | instskip(SKIP_2) | instid1(VALU_DEP_3)
	v_and_b32_e32 v2, 0x1fffff, v2
	v_lshrrev_b32_e32 v3, 23, v0
	s_mov_b32 s13, exec_lo
	v_cndmask_b32_e64 v1, v1, 0xffffff82, vcc_lo
	s_delay_alu instid0(VALU_DEP_3) | instskip(NEXT) | instid1(VALU_DEP_2)
	v_add_nc_u32_e32 v112, v2, v0
                                        ; implicit-def: $vgpr2
	v_add3_u32 v8, v50, v1, v3
                                        ; implicit-def: $vgpr0_vgpr1
	s_delay_alu instid0(VALU_DEP_1) | instskip(NEXT) | instid1(VALU_DEP_1)
	v_add_nc_u32_e32 v3, 14, v8
	v_cmpx_ne_u32_e32 0, v3
	s_xor_b32 s13, exec_lo, s13
; %bb.9984:                             ;   in Loop: Header=BB6_5830 Depth=4
	v_cmp_lt_u64_e32 vcc_lo, 0xffffff, v[112:113]
	v_add_nc_u32_e32 v0, 15, v8
	s_delay_alu instid0(VALU_DEP_1) | instskip(SKIP_1) | instid1(VALU_DEP_1)
	v_cndmask_b32_e32 v2, v3, v0, vcc_lo
	v_cndmask_b32_e64 v0, 0, 1, vcc_lo
	v_lshrrev_b64 v[0:1], v0, v[112:113]
; %bb.9985:                             ;   in Loop: Header=BB6_5830 Depth=4
	s_and_not1_saveexec_b32 s13, s13
; %bb.9986:                             ;   in Loop: Header=BB6_5830 Depth=4
	v_mov_b64_e32 v[0:1], v[112:113]
	v_bfe_u32 v2, v112, 23, 1
; %bb.9987:                             ;   in Loop: Header=BB6_5830 Depth=4
	s_or_b32 exec_lo, exec_lo, s13
	s_delay_alu instid0(VALU_DEP_2) | instskip(NEXT) | instid1(VALU_DEP_2)
	v_lshrrev_b64 v[0:1], 21, v[0:1]
	v_cmp_gt_i32_e32 vcc_lo, 32, v2
	v_min_i32_e32 v3, 31, v2
	v_cmp_eq_u32_e64 s13, 0, v2
	s_delay_alu instid0(VALU_DEP_2) | instskip(SKIP_1) | instid1(VALU_DEP_2)
	v_dual_cndmask_b32 v1, 0, v1, vcc_lo :: v_dual_lshlrev_b32 v3, 2, v3
	v_cndmask_b32_e32 v0, 3, v0, vcc_lo
	v_and_b32_e32 v3, 0xfc, v3
	s_delay_alu instid0(VALU_DEP_2) | instskip(NEXT) | instid1(VALU_DEP_2)
	v_cmp_eq_u64_e32 vcc_lo, 0, v[0:1]
	v_and_or_b32 v0, v0, 3, v3
	s_and_b32 s13, s13, vcc_lo
	s_delay_alu instid0(VALU_DEP_1) | instid1(SALU_CYCLE_1)
	v_cndmask_b32_e64 v0, v0, 0, s13
	s_delay_alu instid0(VALU_DEP_1)
	v_or_b32_e32 v8, v0, v9
.LBB6_9988:                             ;   in Loop: Header=BB6_5830 Depth=4
	s_or_b32 exec_lo, exec_lo, s76
                                        ; implicit-def: $vgpr9
.LBB6_9989:                             ;   in Loop: Header=BB6_5830 Depth=4
	s_and_not1_saveexec_b32 s13, s75
; %bb.9990:                             ;   in Loop: Header=BB6_5830 Depth=4
	v_or_b32_e32 v8, 0x7b, v9
; %bb.9991:                             ;   in Loop: Header=BB6_5830 Depth=4
	s_or_b32 exec_lo, exec_lo, s13
                                        ; implicit-def: $vgpr0
                                        ; implicit-def: $vgpr1
.LBB6_9992:                             ;   in Loop: Header=BB6_5830 Depth=4
	s_and_not1_saveexec_b32 s13, s74
	s_cbranch_execz .LBB6_9998
; %bb.9993:                             ;   in Loop: Header=BB6_5830 Depth=4
	s_mov_b32 s74, exec_lo
                                        ; implicit-def: $vgpr8
	v_cmpx_ne_u64_e32 0, v[112:113]
	s_xor_b32 s74, exec_lo, s74
; %bb.9994:                             ;   in Loop: Header=BB6_5830 Depth=4
	v_or_b32_e32 v8, 0x7f, v1
                                        ; implicit-def: $vgpr0
; %bb.9995:                             ;   in Loop: Header=BB6_5830 Depth=4
	s_and_not1_saveexec_b32 s74, s74
; %bb.9996:                             ;   in Loop: Header=BB6_5830 Depth=4
	v_cmp_lt_i32_e32 vcc_lo, -1, v0
	v_mov_b32_e32 v0, 0x7c
	s_delay_alu instid0(VALU_DEP_1)
	v_cndmask_b32_e32 v8, 0xfc, v0, vcc_lo
; %bb.9997:                             ;   in Loop: Header=BB6_5830 Depth=4
	s_or_b32 exec_lo, exec_lo, s74
.LBB6_9998:                             ;   in Loop: Header=BB6_5830 Depth=4
	s_delay_alu instid0(SALU_CYCLE_1) | instskip(SKIP_3) | instid1(VALU_DEP_1)
	s_or_b32 exec_lo, exec_lo, s13
	v_lshl_or_b32 v30, v30, 8, v25
	v_dual_lshlrev_b32 v0, 16, v34 :: v_dual_lshlrev_b32 v1, 24, v37
	s_mov_b32 s74, exec_lo
	v_or3_b32 v112, v0, v1, v30
	v_dual_mov_b32 v0, 0 :: v_dual_mov_b32 v1, 0
	v_cmpx_ne_u32_e32 0, v25
	s_cbranch_execz .LBB6_10008
; %bb.9999:                             ;   in Loop: Header=BB6_5830 Depth=4
	v_bfrev_b32_e32 v1, 1
	s_mov_b32 s75, exec_lo
	v_cmpx_ne_u32_e32 0x80, v25
	s_cbranch_execz .LBB6_10007
; %bb.10000:                            ;   in Loop: Header=BB6_5830 Depth=4
	v_and_b32_e32 v1, 0x7c, v25
	v_and_b32_e32 v2, 3, v25
	s_delay_alu instid0(VALU_DEP_2) | instskip(SKIP_1) | instid1(SALU_CYCLE_1)
	v_cmp_ne_u32_e32 vcc_lo, 0x7c, v1
                                        ; implicit-def: $vgpr1
	s_and_saveexec_b32 s13, vcc_lo
	s_xor_b32 s13, exec_lo, s13
	s_cbranch_execz .LBB6_10004
; %bb.10001:                            ;   in Loop: Header=BB6_5830 Depth=4
	v_bfe_u32 v1, v25, 2, 5
	s_mov_b32 s76, exec_lo
	s_delay_alu instid0(VALU_DEP_1)
	v_cmpx_eq_u32_e32 0, v1
; %bb.10002:                            ;   in Loop: Header=BB6_5830 Depth=4
	v_clz_i32_u32_e32 v1, v2
	s_delay_alu instid0(VALU_DEP_1) | instskip(NEXT) | instid1(VALU_DEP_1)
	v_min_u32_e32 v1, 32, v1
	v_subrev_nc_u32_e32 v2, 29, v1
	s_delay_alu instid0(VALU_DEP_1) | instskip(NEXT) | instid1(VALU_DEP_1)
	v_lshlrev_b64_e32 v[2:3], v2, v[112:113]
	v_dual_sub_nc_u32 v1, 30, v1 :: v_dual_bitop2_b32 v2, 3, v2 bitop3:0x40
; %bb.10003:                            ;   in Loop: Header=BB6_5830 Depth=4
	s_or_b32 exec_lo, exec_lo, s76
	v_lshlrev_b32_e32 v3, 24, v25
                                        ; implicit-def: $vgpr25
	s_delay_alu instid0(VALU_DEP_1) | instskip(NEXT) | instid1(VALU_DEP_1)
	v_and_b32_e32 v3, 0x80000000, v3
	v_lshl_add_u32 v1, v1, 23, v3
	s_delay_alu instid0(VALU_DEP_1) | instskip(NEXT) | instid1(VALU_DEP_1)
	v_lshl_or_b32 v1, v2, 21, v1
                                        ; implicit-def: $vgpr2
	v_add_nc_u32_e32 v1, 0x38000000, v1
.LBB6_10004:                            ;   in Loop: Header=BB6_5830 Depth=4
	s_and_not1_saveexec_b32 s76, s13
; %bb.10005:                            ;   in Loop: Header=BB6_5830 Depth=4
	v_and_b32_e32 v1, 0x80, v25
	v_cmp_eq_u32_e32 vcc_lo, 0, v2
	s_delay_alu instid0(VALU_DEP_2) | instskip(SKIP_1) | instid1(VALU_DEP_1)
	v_cmp_eq_u32_e64 s13, 0, v1
	v_mov_b32_e32 v1, 0x7f800000
	v_cndmask_b32_e64 v1, 0xff800000, v1, s13
	s_delay_alu instid0(VALU_DEP_1)
	v_cndmask_b32_e32 v1, 0x7f800001, v1, vcc_lo
; %bb.10006:                            ;   in Loop: Header=BB6_5830 Depth=4
	s_or_b32 exec_lo, exec_lo, s76
.LBB6_10007:                            ;   in Loop: Header=BB6_5830 Depth=4
	s_delay_alu instid0(SALU_CYCLE_1)
	s_or_b32 exec_lo, exec_lo, s75
.LBB6_10008:                            ;   in Loop: Header=BB6_5830 Depth=4
	s_delay_alu instid0(SALU_CYCLE_1) | instskip(SKIP_2) | instid1(VALU_DEP_1)
	s_or_b32 exec_lo, exec_lo, s74
	v_and_b32_e32 v2, 0xff, v10
	s_mov_b32 s74, exec_lo
	v_cmpx_ne_u16_e32 0, v2
	s_cbranch_execz .LBB6_10018
; %bb.10009:                            ;   in Loop: Header=BB6_5830 Depth=4
	v_bfe_i32 v3, v10, 0, 8
	v_bfrev_b32_e32 v0, 1
	s_mov_b32 s75, exec_lo
	s_delay_alu instid0(VALU_DEP_2)
	v_cmpx_ne_u16_e32 0xff80, v3
	s_cbranch_execz .LBB6_10017
; %bb.10010:                            ;   in Loop: Header=BB6_5830 Depth=4
	v_and_b32_e32 v0, 0x7c, v10
	v_and_b32_e32 v2, 3, v10
	s_delay_alu instid0(VALU_DEP_2) | instskip(SKIP_1) | instid1(SALU_CYCLE_1)
	v_cmp_ne_u32_e32 vcc_lo, 0x7c, v0
                                        ; implicit-def: $vgpr0
	s_and_saveexec_b32 s13, vcc_lo
	s_xor_b32 s13, exec_lo, s13
	s_cbranch_execz .LBB6_10014
; %bb.10011:                            ;   in Loop: Header=BB6_5830 Depth=4
	v_bfe_u32 v0, v10, 2, 5
	s_mov_b32 s76, exec_lo
	s_delay_alu instid0(VALU_DEP_1)
	v_cmpx_eq_u32_e32 0, v0
; %bb.10012:                            ;   in Loop: Header=BB6_5830 Depth=4
	v_clz_i32_u32_e32 v0, v2
	s_delay_alu instid0(VALU_DEP_1) | instskip(NEXT) | instid1(VALU_DEP_1)
	v_min_u32_e32 v0, 32, v0
	v_subrev_nc_u32_e32 v2, 29, v0
	s_delay_alu instid0(VALU_DEP_1) | instskip(NEXT) | instid1(VALU_DEP_1)
	v_lshlrev_b64_e32 v[2:3], v2, v[10:11]
	v_dual_sub_nc_u32 v0, 30, v0 :: v_dual_bitop2_b32 v2, 3, v2 bitop3:0x40
; %bb.10013:                            ;   in Loop: Header=BB6_5830 Depth=4
	s_or_b32 exec_lo, exec_lo, s76
	v_lshlrev_b32_e32 v3, 24, v10
	s_delay_alu instid0(VALU_DEP_1) | instskip(NEXT) | instid1(VALU_DEP_1)
	v_and_b32_e32 v3, 0x80000000, v3
	v_lshl_add_u32 v0, v0, 23, v3
                                        ; implicit-def: $vgpr3
	s_delay_alu instid0(VALU_DEP_1) | instskip(NEXT) | instid1(VALU_DEP_1)
	v_lshl_or_b32 v0, v2, 21, v0
                                        ; implicit-def: $vgpr2
	v_add_nc_u32_e32 v0, 0x38000000, v0
.LBB6_10014:                            ;   in Loop: Header=BB6_5830 Depth=4
	s_and_not1_saveexec_b32 s76, s13
; %bb.10015:                            ;   in Loop: Header=BB6_5830 Depth=4
	v_cmp_lt_i16_e64 s13, -1, v3
	v_mov_b32_e32 v0, 0x7f800000
	v_cmp_eq_u32_e32 vcc_lo, 0, v2
	s_delay_alu instid0(VALU_DEP_2) | instskip(NEXT) | instid1(VALU_DEP_1)
	v_cndmask_b32_e64 v0, 0xff800000, v0, s13
	v_cndmask_b32_e32 v0, 0x7f800001, v0, vcc_lo
; %bb.10016:                            ;   in Loop: Header=BB6_5830 Depth=4
	s_or_b32 exec_lo, exec_lo, s76
.LBB6_10017:                            ;   in Loop: Header=BB6_5830 Depth=4
	s_delay_alu instid0(SALU_CYCLE_1)
	s_or_b32 exec_lo, exec_lo, s75
.LBB6_10018:                            ;   in Loop: Header=BB6_5830 Depth=4
	s_delay_alu instid0(SALU_CYCLE_1) | instskip(NEXT) | instid1(VALU_DEP_1)
	s_or_b32 exec_lo, exec_lo, s74
	v_add_f32_e32 v2, v1, v0
	v_dual_mov_b32 v47, v113 :: v_dual_mov_b32 v1, v113
                                        ; implicit-def: $vgpr9
	s_mov_b32 s13, exec_lo
	s_delay_alu instid0(VALU_DEP_2) | instskip(SKIP_2) | instid1(VALU_DEP_3)
	v_and_b32_e32 v46, 0x7f800000, v2
	v_and_b32_e32 v0, 0x7fffff, v2
	v_lshrrev_b32_e32 v3, 24, v2
	v_cmpx_ne_u64_e32 0x7f800000, v[46:47]
	s_xor_b32 s74, exec_lo, s13
	s_cbranch_execz .LBB6_10032
; %bb.10019:                            ;   in Loop: Header=BB6_5830 Depth=4
	v_and_b32_e32 v46, 0x7fffffff, v2
	v_mov_b32_e32 v47, v113
	v_and_b32_e32 v25, 0x80, v3
                                        ; implicit-def: $vgpr9
	s_mov_b32 s13, exec_lo
	s_delay_alu instid0(VALU_DEP_2)
	v_cmpx_gt_u64_e32 0x47600001, v[46:47]
	s_xor_b32 s75, exec_lo, s13
	s_cbranch_execz .LBB6_10029
; %bb.10020:                            ;   in Loop: Header=BB6_5830 Depth=4
	v_mov_b32_e32 v9, 0
	s_mov_b32 s76, exec_lo
	v_cmpx_ne_u32_e32 0, v2
	s_cbranch_execz .LBB6_10028
; %bb.10021:                            ;   in Loop: Header=BB6_5830 Depth=4
	v_bfe_u32 v9, v2, 23, 8
	v_or_b32_e32 v3, 0x800000, v0
	s_delay_alu instid0(VALU_DEP_2) | instskip(SKIP_2) | instid1(VALU_DEP_2)
	v_cmp_gt_u32_e64 s13, 0x72, v9
	v_sub_nc_u32_e32 v2, 0x71, v9
	v_cmp_eq_u32_e32 vcc_lo, 0, v9
	v_dual_cndmask_b32 v2, 0, v2, s13 :: v_dual_cndmask_b32 v0, v3, v0, vcc_lo
	s_delay_alu instid0(VALU_DEP_1) | instskip(NEXT) | instid1(VALU_DEP_1)
	v_cndmask_b32_e64 v34, v2, 0x70, vcc_lo
	v_dual_add_nc_u32 v2, 21, v34 :: v_dual_add_nc_u32 v37, 20, v34
	s_delay_alu instid0(VALU_DEP_1) | instskip(NEXT) | instid1(VALU_DEP_2)
	v_lshlrev_b64_e64 v[2:3], v2, -1
	v_lshlrev_b64_e64 v[46:47], v37, 1
	s_delay_alu instid0(VALU_DEP_2) | instskip(SKIP_1) | instid1(VALU_DEP_4)
	v_bfi_b32 v2, v2, 0, v0
	v_lshrrev_b64 v[0:1], v34, v[0:1]
	v_bfi_b32 v3, v3, 0, 0
	s_delay_alu instid0(VALU_DEP_1) | instskip(NEXT) | instid1(VALU_DEP_3)
	v_cmp_eq_u64_e64 s13, v[2:3], v[46:47]
	v_mov_b64_e32 v[2:3], v[0:1]
	s_and_saveexec_b32 s77, s13
; %bb.10022:                            ;   in Loop: Header=BB6_5830 Depth=4
	v_bfe_u32 v2, v0, 21, 1
	v_mov_b32_e32 v3, v113
	s_delay_alu instid0(VALU_DEP_1) | instskip(NEXT) | instid1(VALU_DEP_1)
	v_add_nc_u64_e32 v[2:3], v[0:1], v[2:3]
	v_add_nc_u64_e32 v[2:3], -1, v[2:3]
; %bb.10023:                            ;   in Loop: Header=BB6_5830 Depth=4
	s_or_b32 exec_lo, exec_lo, s77
	v_add_nc_u32_e32 v1, 0xffffff81, v9
	v_lshrrev_b32_e32 v3, 23, v0
	s_mov_b32 s13, exec_lo
	s_delay_alu instid0(VALU_DEP_2) | instskip(NEXT) | instid1(VALU_DEP_1)
	v_cndmask_b32_e64 v1, v1, 0xffffff82, vcc_lo
	v_add3_u32 v9, v34, v1, v3
	v_and_b32_e32 v1, 0x1fffff, v2
                                        ; implicit-def: $vgpr2
	s_delay_alu instid0(VALU_DEP_1) | instskip(SKIP_1) | instid1(VALU_DEP_2)
	v_dual_add_nc_u32 v3, 14, v9 :: v_dual_add_nc_u32 v0, v1, v0
	v_mov_b32_e32 v1, v113
	v_cmpx_ne_u32_e32 0, v3
	s_xor_b32 s13, exec_lo, s13
; %bb.10024:                            ;   in Loop: Header=BB6_5830 Depth=4
	s_delay_alu instid0(VALU_DEP_2) | instskip(SKIP_1) | instid1(VALU_DEP_1)
	v_cmp_lt_u64_e32 vcc_lo, 0xffffff, v[0:1]
	v_add_nc_u32_e32 v2, 15, v9
	v_cndmask_b32_e32 v2, v3, v2, vcc_lo
	v_cndmask_b32_e64 v3, 0, 1, vcc_lo
	s_delay_alu instid0(VALU_DEP_1)
	v_lshrrev_b64 v[0:1], v3, v[0:1]
; %bb.10025:                            ;   in Loop: Header=BB6_5830 Depth=4
	s_and_not1_saveexec_b32 s13, s13
; %bb.10026:                            ;   in Loop: Header=BB6_5830 Depth=4
	s_delay_alu instid0(VALU_DEP_1)
	v_bfe_u32 v2, v0, 23, 1
; %bb.10027:                            ;   in Loop: Header=BB6_5830 Depth=4
	s_or_b32 exec_lo, exec_lo, s13
	s_delay_alu instid0(VALU_DEP_2) | instskip(NEXT) | instid1(VALU_DEP_2)
	v_lshrrev_b64 v[0:1], 21, v[0:1]
	v_cmp_gt_i32_e32 vcc_lo, 32, v2
	v_min_i32_e32 v3, 31, v2
	v_cmp_eq_u32_e64 s13, 0, v2
	s_delay_alu instid0(VALU_DEP_2) | instskip(SKIP_1) | instid1(VALU_DEP_2)
	v_dual_cndmask_b32 v1, 0, v1, vcc_lo :: v_dual_lshlrev_b32 v3, 2, v3
	v_cndmask_b32_e32 v0, 3, v0, vcc_lo
	v_and_b32_e32 v3, 0xfc, v3
	s_delay_alu instid0(VALU_DEP_2) | instskip(NEXT) | instid1(VALU_DEP_2)
	v_cmp_eq_u64_e32 vcc_lo, 0, v[0:1]
	v_and_or_b32 v0, v0, 3, v3
	s_and_b32 s13, s13, vcc_lo
	s_delay_alu instid0(VALU_DEP_1) | instid1(SALU_CYCLE_1)
	v_cndmask_b32_e64 v0, v0, 0, s13
	s_delay_alu instid0(VALU_DEP_1)
	v_or_b32_e32 v9, v0, v25
.LBB6_10028:                            ;   in Loop: Header=BB6_5830 Depth=4
	s_or_b32 exec_lo, exec_lo, s76
                                        ; implicit-def: $vgpr25
.LBB6_10029:                            ;   in Loop: Header=BB6_5830 Depth=4
	s_and_not1_saveexec_b32 s13, s75
; %bb.10030:                            ;   in Loop: Header=BB6_5830 Depth=4
	v_or_b32_e32 v9, 0x7b, v25
; %bb.10031:                            ;   in Loop: Header=BB6_5830 Depth=4
	s_or_b32 exec_lo, exec_lo, s13
                                        ; implicit-def: $vgpr2
                                        ; implicit-def: $vgpr0_vgpr1
                                        ; implicit-def: $vgpr3
.LBB6_10032:                            ;   in Loop: Header=BB6_5830 Depth=4
	s_and_not1_saveexec_b32 s13, s74
	s_cbranch_execz .LBB6_10038
; %bb.10033:                            ;   in Loop: Header=BB6_5830 Depth=4
	s_mov_b32 s74, exec_lo
                                        ; implicit-def: $vgpr9
	v_cmpx_ne_u64_e32 0, v[0:1]
	s_xor_b32 s74, exec_lo, s74
; %bb.10034:                            ;   in Loop: Header=BB6_5830 Depth=4
	v_or_b32_e32 v9, 0x7f, v3
                                        ; implicit-def: $vgpr2
; %bb.10035:                            ;   in Loop: Header=BB6_5830 Depth=4
	s_and_not1_saveexec_b32 s74, s74
; %bb.10036:                            ;   in Loop: Header=BB6_5830 Depth=4
	v_cmp_lt_i32_e32 vcc_lo, -1, v2
	v_mov_b32_e32 v0, 0x7c
	s_delay_alu instid0(VALU_DEP_1)
	v_cndmask_b32_e32 v9, 0xfc, v0, vcc_lo
; %bb.10037:                            ;   in Loop: Header=BB6_5830 Depth=4
	s_or_b32 exec_lo, exec_lo, s74
.LBB6_10038:                            ;   in Loop: Header=BB6_5830 Depth=4
	s_delay_alu instid0(SALU_CYCLE_1) | instskip(SKIP_3) | instid1(VALU_DEP_2)
	s_or_b32 exec_lo, exec_lo, s13
	v_lshrrev_b16 v0, 8, v30
	v_dual_mov_b32 v2, 0 :: v_dual_mov_b32 v3, 0
	s_mov_b32 s74, exec_lo
	v_cmpx_ne_u16_e32 0, v0
	s_cbranch_execz .LBB6_10048
; %bb.10039:                            ;   in Loop: Header=BB6_5830 Depth=4
	v_bfrev_b32_e32 v3, 1
	s_mov_b32 s75, exec_lo
	v_cmpx_ne_u16_e32 0x80, v0
	s_cbranch_execz .LBB6_10047
; %bb.10040:                            ;   in Loop: Header=BB6_5830 Depth=4
	v_and_b32_e32 v25, 0xffff, v0
	s_delay_alu instid0(VALU_DEP_1) | instskip(SKIP_1) | instid1(VALU_DEP_2)
	v_and_b32_e32 v3, 0x7c, v25
	v_and_b32_e32 v1, 3, v25
	v_cmp_ne_u32_e32 vcc_lo, 0x7c, v3
                                        ; implicit-def: $vgpr3
	s_and_saveexec_b32 s13, vcc_lo
	s_delay_alu instid0(SALU_CYCLE_1)
	s_xor_b32 s13, exec_lo, s13
	s_cbranch_execz .LBB6_10044
; %bb.10041:                            ;   in Loop: Header=BB6_5830 Depth=4
	v_bfe_u32 v3, v25, 2, 5
	s_mov_b32 s76, exec_lo
	s_delay_alu instid0(VALU_DEP_1)
	v_cmpx_eq_u32_e32 0, v3
	s_cbranch_execz .LBB6_10043
; %bb.10042:                            ;   in Loop: Header=BB6_5830 Depth=4
	v_clz_i32_u32_e32 v1, v1
	s_delay_alu instid0(VALU_DEP_1) | instskip(SKIP_1) | instid1(VALU_DEP_2)
	v_min_u32_e32 v3, 32, v1
	v_mov_b32_e32 v1, v113
	v_subrev_nc_u32_e32 v25, 29, v3
	v_sub_nc_u32_e32 v3, 30, v3
	s_delay_alu instid0(VALU_DEP_2) | instskip(NEXT) | instid1(VALU_DEP_1)
	v_lshlrev_b64_e32 v[0:1], v25, v[0:1]
	v_and_b32_e32 v1, 3, v0
.LBB6_10043:                            ;   in Loop: Header=BB6_5830 Depth=4
	s_or_b32 exec_lo, exec_lo, s76
	v_lshlrev_b32_e32 v0, 16, v30
                                        ; implicit-def: $vgpr30
	s_delay_alu instid0(VALU_DEP_1) | instskip(NEXT) | instid1(VALU_DEP_1)
	v_and_b32_e32 v0, 0x80000000, v0
	v_lshl_add_u32 v0, v3, 23, v0
	s_delay_alu instid0(VALU_DEP_1) | instskip(NEXT) | instid1(VALU_DEP_1)
	v_lshl_or_b32 v0, v1, 21, v0
                                        ; implicit-def: $vgpr1
	v_add_nc_u32_e32 v3, 0x38000000, v0
.LBB6_10044:                            ;   in Loop: Header=BB6_5830 Depth=4
	s_and_not1_saveexec_b32 s76, s13
; %bb.10045:                            ;   in Loop: Header=BB6_5830 Depth=4
	v_cmp_lt_i16_e64 s13, -1, v30
	v_mov_b32_e32 v0, 0x7f800000
	v_cmp_eq_u32_e32 vcc_lo, 0, v1
	s_delay_alu instid0(VALU_DEP_2) | instskip(NEXT) | instid1(VALU_DEP_1)
	v_cndmask_b32_e64 v0, 0xff800000, v0, s13
	v_cndmask_b32_e32 v3, 0x7f800001, v0, vcc_lo
; %bb.10046:                            ;   in Loop: Header=BB6_5830 Depth=4
	s_or_b32 exec_lo, exec_lo, s76
.LBB6_10047:                            ;   in Loop: Header=BB6_5830 Depth=4
	s_delay_alu instid0(SALU_CYCLE_1)
	s_or_b32 exec_lo, exec_lo, s75
.LBB6_10048:                            ;   in Loop: Header=BB6_5830 Depth=4
	s_delay_alu instid0(SALU_CYCLE_1) | instskip(SKIP_2) | instid1(VALU_DEP_1)
	s_or_b32 exec_lo, exec_lo, s74
	v_lshrrev_b16 v0, 8, v10
	s_mov_b32 s74, exec_lo
	v_cmpx_ne_u16_e32 0, v0
	s_cbranch_execz .LBB6_10058
; %bb.10049:                            ;   in Loop: Header=BB6_5830 Depth=4
	v_bfrev_b32_e32 v2, 1
	s_mov_b32 s75, exec_lo
	v_cmpx_ne_u16_e32 0x80, v0
	s_cbranch_execz .LBB6_10057
; %bb.10050:                            ;   in Loop: Header=BB6_5830 Depth=4
	v_and_b32_e32 v25, 0xffff, v0
	s_delay_alu instid0(VALU_DEP_1) | instskip(SKIP_1) | instid1(VALU_DEP_2)
	v_and_b32_e32 v2, 0x7c, v25
	v_and_b32_e32 v1, 3, v25
	v_cmp_ne_u32_e32 vcc_lo, 0x7c, v2
                                        ; implicit-def: $vgpr2
	s_and_saveexec_b32 s13, vcc_lo
	s_delay_alu instid0(SALU_CYCLE_1)
	s_xor_b32 s13, exec_lo, s13
	s_cbranch_execz .LBB6_10054
; %bb.10051:                            ;   in Loop: Header=BB6_5830 Depth=4
	v_bfe_u32 v2, v25, 2, 5
	s_mov_b32 s76, exec_lo
	s_delay_alu instid0(VALU_DEP_1)
	v_cmpx_eq_u32_e32 0, v2
	s_cbranch_execz .LBB6_10053
; %bb.10052:                            ;   in Loop: Header=BB6_5830 Depth=4
	v_clz_i32_u32_e32 v1, v1
	s_delay_alu instid0(VALU_DEP_1) | instskip(SKIP_1) | instid1(VALU_DEP_2)
	v_min_u32_e32 v2, 32, v1
	v_mov_b32_e32 v1, v113
	v_subrev_nc_u32_e32 v25, 29, v2
	v_sub_nc_u32_e32 v2, 30, v2
	s_delay_alu instid0(VALU_DEP_2) | instskip(NEXT) | instid1(VALU_DEP_1)
	v_lshlrev_b64_e32 v[0:1], v25, v[0:1]
	v_and_b32_e32 v1, 3, v0
.LBB6_10053:                            ;   in Loop: Header=BB6_5830 Depth=4
	s_or_b32 exec_lo, exec_lo, s76
	v_lshlrev_b32_e32 v0, 16, v10
	s_delay_alu instid0(VALU_DEP_1) | instskip(NEXT) | instid1(VALU_DEP_1)
	v_and_b32_e32 v0, 0x80000000, v0
	v_lshl_add_u32 v0, v2, 23, v0
	s_delay_alu instid0(VALU_DEP_1) | instskip(NEXT) | instid1(VALU_DEP_1)
	v_lshl_or_b32 v0, v1, 21, v0
                                        ; implicit-def: $vgpr1
	v_add_nc_u32_e32 v2, 0x38000000, v0
.LBB6_10054:                            ;   in Loop: Header=BB6_5830 Depth=4
	s_and_not1_saveexec_b32 s76, s13
; %bb.10055:                            ;   in Loop: Header=BB6_5830 Depth=4
	v_cmp_lt_i16_e64 s13, -1, v10
	v_mov_b32_e32 v0, 0x7f800000
	v_cmp_eq_u32_e32 vcc_lo, 0, v1
	s_delay_alu instid0(VALU_DEP_2) | instskip(NEXT) | instid1(VALU_DEP_1)
	v_cndmask_b32_e64 v0, 0xff800000, v0, s13
	v_cndmask_b32_e32 v2, 0x7f800001, v0, vcc_lo
; %bb.10056:                            ;   in Loop: Header=BB6_5830 Depth=4
	s_or_b32 exec_lo, exec_lo, s76
.LBB6_10057:                            ;   in Loop: Header=BB6_5830 Depth=4
	s_delay_alu instid0(SALU_CYCLE_1)
	s_or_b32 exec_lo, exec_lo, s75
.LBB6_10058:                            ;   in Loop: Header=BB6_5830 Depth=4
	s_delay_alu instid0(SALU_CYCLE_1) | instskip(NEXT) | instid1(VALU_DEP_1)
	s_or_b32 exec_lo, exec_lo, s74
	v_dual_add_f32 v2, v3, v2 :: v_dual_mov_b32 v47, v113
	v_mov_b32_e32 v1, v113
                                        ; implicit-def: $vgpr25
	s_mov_b32 s13, exec_lo
	s_delay_alu instid0(VALU_DEP_2) | instskip(SKIP_2) | instid1(VALU_DEP_3)
	v_and_b32_e32 v46, 0x7f800000, v2
	v_and_b32_e32 v0, 0x7fffff, v2
	v_lshrrev_b32_e32 v3, 24, v2
	v_cmpx_ne_u64_e32 0x7f800000, v[46:47]
	s_xor_b32 s74, exec_lo, s13
	s_cbranch_execz .LBB6_10072
; %bb.10059:                            ;   in Loop: Header=BB6_5830 Depth=4
	v_and_b32_e32 v46, 0x7fffffff, v2
	v_mov_b32_e32 v47, v113
	v_and_b32_e32 v30, 0x80, v3
                                        ; implicit-def: $vgpr25
	s_mov_b32 s13, exec_lo
	s_delay_alu instid0(VALU_DEP_2)
	v_cmpx_gt_u64_e32 0x47600001, v[46:47]
	s_xor_b32 s75, exec_lo, s13
	s_cbranch_execz .LBB6_10069
; %bb.10060:                            ;   in Loop: Header=BB6_5830 Depth=4
	v_mov_b32_e32 v25, 0
	s_mov_b32 s76, exec_lo
	v_cmpx_ne_u32_e32 0, v2
	s_cbranch_execz .LBB6_10068
; %bb.10061:                            ;   in Loop: Header=BB6_5830 Depth=4
	v_bfe_u32 v25, v2, 23, 8
	v_or_b32_e32 v3, 0x800000, v0
	s_delay_alu instid0(VALU_DEP_2) | instskip(SKIP_2) | instid1(VALU_DEP_2)
	v_cmp_gt_u32_e64 s13, 0x72, v25
	v_sub_nc_u32_e32 v2, 0x71, v25
	v_cmp_eq_u32_e32 vcc_lo, 0, v25
	v_dual_cndmask_b32 v2, 0, v2, s13 :: v_dual_cndmask_b32 v0, v3, v0, vcc_lo
	s_delay_alu instid0(VALU_DEP_1) | instskip(NEXT) | instid1(VALU_DEP_1)
	v_cndmask_b32_e64 v34, v2, 0x70, vcc_lo
	v_dual_add_nc_u32 v2, 21, v34 :: v_dual_add_nc_u32 v37, 20, v34
	s_delay_alu instid0(VALU_DEP_1) | instskip(NEXT) | instid1(VALU_DEP_2)
	v_lshlrev_b64_e64 v[2:3], v2, -1
	v_lshlrev_b64_e64 v[46:47], v37, 1
	s_delay_alu instid0(VALU_DEP_2) | instskip(SKIP_1) | instid1(VALU_DEP_4)
	v_bfi_b32 v2, v2, 0, v0
	v_lshrrev_b64 v[0:1], v34, v[0:1]
	v_bfi_b32 v3, v3, 0, 0
	s_delay_alu instid0(VALU_DEP_1) | instskip(NEXT) | instid1(VALU_DEP_3)
	v_cmp_eq_u64_e64 s13, v[2:3], v[46:47]
	v_mov_b64_e32 v[2:3], v[0:1]
	s_and_saveexec_b32 s77, s13
; %bb.10062:                            ;   in Loop: Header=BB6_5830 Depth=4
	v_bfe_u32 v2, v0, 21, 1
	v_mov_b32_e32 v3, v113
	s_delay_alu instid0(VALU_DEP_1) | instskip(NEXT) | instid1(VALU_DEP_1)
	v_add_nc_u64_e32 v[2:3], v[0:1], v[2:3]
	v_add_nc_u64_e32 v[2:3], -1, v[2:3]
; %bb.10063:                            ;   in Loop: Header=BB6_5830 Depth=4
	s_or_b32 exec_lo, exec_lo, s77
	v_add_nc_u32_e32 v1, 0xffffff81, v25
	v_lshrrev_b32_e32 v3, 23, v0
	s_mov_b32 s13, exec_lo
	s_delay_alu instid0(VALU_DEP_2) | instskip(NEXT) | instid1(VALU_DEP_1)
	v_cndmask_b32_e64 v1, v1, 0xffffff82, vcc_lo
	v_add3_u32 v25, v34, v1, v3
	v_and_b32_e32 v1, 0x1fffff, v2
                                        ; implicit-def: $vgpr2
	s_delay_alu instid0(VALU_DEP_1) | instskip(SKIP_1) | instid1(VALU_DEP_2)
	v_dual_add_nc_u32 v3, 14, v25 :: v_dual_add_nc_u32 v0, v1, v0
	v_mov_b32_e32 v1, v113
	v_cmpx_ne_u32_e32 0, v3
	s_xor_b32 s13, exec_lo, s13
; %bb.10064:                            ;   in Loop: Header=BB6_5830 Depth=4
	s_delay_alu instid0(VALU_DEP_2) | instskip(SKIP_1) | instid1(VALU_DEP_1)
	v_cmp_lt_u64_e32 vcc_lo, 0xffffff, v[0:1]
	v_add_nc_u32_e32 v2, 15, v25
	v_cndmask_b32_e32 v2, v3, v2, vcc_lo
	v_cndmask_b32_e64 v3, 0, 1, vcc_lo
	s_delay_alu instid0(VALU_DEP_1)
	v_lshrrev_b64 v[0:1], v3, v[0:1]
; %bb.10065:                            ;   in Loop: Header=BB6_5830 Depth=4
	s_and_not1_saveexec_b32 s13, s13
; %bb.10066:                            ;   in Loop: Header=BB6_5830 Depth=4
	s_delay_alu instid0(VALU_DEP_1)
	v_bfe_u32 v2, v0, 23, 1
; %bb.10067:                            ;   in Loop: Header=BB6_5830 Depth=4
	s_or_b32 exec_lo, exec_lo, s13
	s_delay_alu instid0(VALU_DEP_2) | instskip(NEXT) | instid1(VALU_DEP_2)
	v_lshrrev_b64 v[0:1], 21, v[0:1]
	v_cmp_gt_i32_e32 vcc_lo, 32, v2
	v_min_i32_e32 v3, 31, v2
	v_cmp_eq_u32_e64 s13, 0, v2
	s_delay_alu instid0(VALU_DEP_2) | instskip(SKIP_1) | instid1(VALU_DEP_2)
	v_dual_cndmask_b32 v1, 0, v1, vcc_lo :: v_dual_lshlrev_b32 v3, 2, v3
	v_cndmask_b32_e32 v0, 3, v0, vcc_lo
	v_and_b32_e32 v3, 0xfc, v3
	s_delay_alu instid0(VALU_DEP_2) | instskip(NEXT) | instid1(VALU_DEP_2)
	v_cmp_eq_u64_e32 vcc_lo, 0, v[0:1]
	v_and_or_b32 v0, v0, 3, v3
	s_and_b32 s13, s13, vcc_lo
	s_delay_alu instid0(VALU_DEP_1) | instid1(SALU_CYCLE_1)
	v_cndmask_b32_e64 v0, v0, 0, s13
	s_delay_alu instid0(VALU_DEP_1)
	v_or_b32_e32 v25, v0, v30
.LBB6_10068:                            ;   in Loop: Header=BB6_5830 Depth=4
	s_or_b32 exec_lo, exec_lo, s76
                                        ; implicit-def: $vgpr30
.LBB6_10069:                            ;   in Loop: Header=BB6_5830 Depth=4
	s_and_not1_saveexec_b32 s13, s75
; %bb.10070:                            ;   in Loop: Header=BB6_5830 Depth=4
	v_or_b32_e32 v25, 0x7b, v30
; %bb.10071:                            ;   in Loop: Header=BB6_5830 Depth=4
	s_or_b32 exec_lo, exec_lo, s13
                                        ; implicit-def: $vgpr2
                                        ; implicit-def: $vgpr0_vgpr1
                                        ; implicit-def: $vgpr3
.LBB6_10072:                            ;   in Loop: Header=BB6_5830 Depth=4
	s_and_not1_saveexec_b32 s13, s74
	s_cbranch_execz .LBB6_10078
; %bb.10073:                            ;   in Loop: Header=BB6_5830 Depth=4
	s_mov_b32 s74, exec_lo
                                        ; implicit-def: $vgpr25
	v_cmpx_ne_u64_e32 0, v[0:1]
	s_xor_b32 s74, exec_lo, s74
; %bb.10074:                            ;   in Loop: Header=BB6_5830 Depth=4
	v_or_b32_e32 v25, 0x7f, v3
                                        ; implicit-def: $vgpr2
; %bb.10075:                            ;   in Loop: Header=BB6_5830 Depth=4
	s_and_not1_saveexec_b32 s74, s74
; %bb.10076:                            ;   in Loop: Header=BB6_5830 Depth=4
	v_cmp_lt_i32_e32 vcc_lo, -1, v2
	v_mov_b32_e32 v0, 0x7c
	s_delay_alu instid0(VALU_DEP_1)
	v_cndmask_b32_e32 v25, 0xfc, v0, vcc_lo
; %bb.10077:                            ;   in Loop: Header=BB6_5830 Depth=4
	s_or_b32 exec_lo, exec_lo, s74
.LBB6_10078:                            ;   in Loop: Header=BB6_5830 Depth=4
	s_delay_alu instid0(SALU_CYCLE_1) | instskip(SKIP_3) | instid1(VALU_DEP_2)
	s_or_b32 exec_lo, exec_lo, s13
	v_dual_mov_b32 v1, 0 :: v_dual_lshrrev_b32 v0, 16, v112
	v_mov_b32_e32 v2, 0
	s_mov_b32 s74, exec_lo
	v_and_b32_e32 v3, 0xff, v0
	s_delay_alu instid0(VALU_DEP_1)
	v_cmpx_ne_u16_e32 0, v3
	s_cbranch_execz .LBB6_10088
; %bb.10079:                            ;   in Loop: Header=BB6_5830 Depth=4
	v_bfrev_b32_e32 v2, 1
	s_mov_b32 s75, exec_lo
	v_cmpx_ne_u16_e32 0x80, v3
	s_cbranch_execz .LBB6_10087
; %bb.10080:                            ;   in Loop: Header=BB6_5830 Depth=4
	v_and_b32_e32 v2, 0x7c0000, v112
	v_bfe_u32 v3, v112, 16, 2
	s_delay_alu instid0(VALU_DEP_2) | instskip(SKIP_1) | instid1(SALU_CYCLE_1)
	v_cmp_ne_u32_e32 vcc_lo, 0x7c0000, v2
                                        ; implicit-def: $vgpr2
	s_and_saveexec_b32 s13, vcc_lo
	s_xor_b32 s13, exec_lo, s13
	s_cbranch_execz .LBB6_10084
; %bb.10081:                            ;   in Loop: Header=BB6_5830 Depth=4
	v_bfe_u32 v2, v112, 18, 5
	s_mov_b32 s76, exec_lo
	s_delay_alu instid0(VALU_DEP_1)
	v_cmpx_eq_u32_e32 0, v2
; %bb.10082:                            ;   in Loop: Header=BB6_5830 Depth=4
	v_clz_i32_u32_e32 v2, v3
	s_delay_alu instid0(VALU_DEP_1) | instskip(NEXT) | instid1(VALU_DEP_1)
	v_min_u32_e32 v2, 32, v2
	v_subrev_nc_u32_e32 v3, 29, v2
	v_sub_nc_u32_e32 v2, 30, v2
	s_delay_alu instid0(VALU_DEP_2) | instskip(NEXT) | instid1(VALU_DEP_1)
	v_lshlrev_b64_e32 v[46:47], v3, v[0:1]
	v_and_b32_e32 v3, 3, v46
; %bb.10083:                            ;   in Loop: Header=BB6_5830 Depth=4
	s_or_b32 exec_lo, exec_lo, s76
	v_lshlrev_b32_e32 v0, 24, v0
	s_delay_alu instid0(VALU_DEP_1) | instskip(NEXT) | instid1(VALU_DEP_1)
	v_and_b32_e32 v0, 0x80000000, v0
	v_lshl_add_u32 v0, v2, 23, v0
	s_delay_alu instid0(VALU_DEP_1) | instskip(NEXT) | instid1(VALU_DEP_1)
	v_lshl_or_b32 v0, v3, 21, v0
                                        ; implicit-def: $vgpr3
	v_add_nc_u32_e32 v2, 0x38000000, v0
                                        ; implicit-def: $vgpr0
.LBB6_10084:                            ;   in Loop: Header=BB6_5830 Depth=4
	s_and_not1_saveexec_b32 s76, s13
; %bb.10085:                            ;   in Loop: Header=BB6_5830 Depth=4
	v_bfe_i32 v0, v0, 0, 8
	v_cmp_eq_u32_e32 vcc_lo, 0, v3
	s_delay_alu instid0(VALU_DEP_2) | instskip(SKIP_1) | instid1(VALU_DEP_1)
	v_cmp_lt_i16_e64 s13, -1, v0
	v_mov_b32_e32 v0, 0x7f800000
	v_cndmask_b32_e64 v0, 0xff800000, v0, s13
	s_delay_alu instid0(VALU_DEP_1)
	v_cndmask_b32_e32 v2, 0x7f800001, v0, vcc_lo
; %bb.10086:                            ;   in Loop: Header=BB6_5830 Depth=4
	s_or_b32 exec_lo, exec_lo, s76
.LBB6_10087:                            ;   in Loop: Header=BB6_5830 Depth=4
	s_delay_alu instid0(SALU_CYCLE_1)
	s_or_b32 exec_lo, exec_lo, s75
.LBB6_10088:                            ;   in Loop: Header=BB6_5830 Depth=4
	s_delay_alu instid0(SALU_CYCLE_1) | instskip(SKIP_2) | instid1(VALU_DEP_1)
	s_or_b32 exec_lo, exec_lo, s74
	v_lshrrev_b32_e32 v0, 16, v10
	s_mov_b32 s74, exec_lo
	v_and_b32_e32 v3, 0xff, v0
	s_delay_alu instid0(VALU_DEP_1)
	v_cmpx_ne_u16_e32 0, v3
	s_cbranch_execz .LBB6_10098
; %bb.10089:                            ;   in Loop: Header=BB6_5830 Depth=4
	v_bfrev_b32_e32 v1, 1
	s_mov_b32 s75, exec_lo
	v_cmpx_ne_u16_e32 0x80, v3
	s_cbranch_execz .LBB6_10097
; %bb.10090:                            ;   in Loop: Header=BB6_5830 Depth=4
	v_and_b32_e32 v1, 0x7c0000, v10
	v_bfe_u32 v3, v10, 16, 2
	s_delay_alu instid0(VALU_DEP_2) | instskip(SKIP_1) | instid1(SALU_CYCLE_1)
	v_cmp_ne_u32_e32 vcc_lo, 0x7c0000, v1
                                        ; implicit-def: $vgpr1
	s_and_saveexec_b32 s13, vcc_lo
	s_xor_b32 s13, exec_lo, s13
	s_cbranch_execz .LBB6_10094
; %bb.10091:                            ;   in Loop: Header=BB6_5830 Depth=4
	v_bfe_u32 v1, v10, 18, 5
	s_mov_b32 s76, exec_lo
	s_delay_alu instid0(VALU_DEP_1)
	v_cmpx_eq_u32_e32 0, v1
; %bb.10092:                            ;   in Loop: Header=BB6_5830 Depth=4
	v_clz_i32_u32_e32 v1, v3
	s_delay_alu instid0(VALU_DEP_1) | instskip(NEXT) | instid1(VALU_DEP_1)
	v_min_u32_e32 v1, 32, v1
	v_subrev_nc_u32_e32 v3, 29, v1
	s_delay_alu instid0(VALU_DEP_1) | instskip(NEXT) | instid1(VALU_DEP_1)
	v_lshlrev_b64_e32 v[46:47], v3, v[0:1]
	v_dual_sub_nc_u32 v1, 30, v1 :: v_dual_bitop2_b32 v3, 3, v46 bitop3:0x40
; %bb.10093:                            ;   in Loop: Header=BB6_5830 Depth=4
	s_or_b32 exec_lo, exec_lo, s76
	v_lshlrev_b32_e32 v0, 24, v0
	s_delay_alu instid0(VALU_DEP_1) | instskip(NEXT) | instid1(VALU_DEP_1)
	v_and_b32_e32 v0, 0x80000000, v0
	v_lshl_add_u32 v0, v1, 23, v0
	s_delay_alu instid0(VALU_DEP_1) | instskip(NEXT) | instid1(VALU_DEP_1)
	v_lshl_or_b32 v0, v3, 21, v0
                                        ; implicit-def: $vgpr3
	v_add_nc_u32_e32 v1, 0x38000000, v0
                                        ; implicit-def: $vgpr0
.LBB6_10094:                            ;   in Loop: Header=BB6_5830 Depth=4
	s_and_not1_saveexec_b32 s76, s13
; %bb.10095:                            ;   in Loop: Header=BB6_5830 Depth=4
	v_bfe_i32 v0, v0, 0, 8
	v_cmp_eq_u32_e32 vcc_lo, 0, v3
	s_delay_alu instid0(VALU_DEP_2) | instskip(SKIP_1) | instid1(VALU_DEP_1)
	v_cmp_lt_i16_e64 s13, -1, v0
	v_mov_b32_e32 v0, 0x7f800000
	v_cndmask_b32_e64 v0, 0xff800000, v0, s13
	s_delay_alu instid0(VALU_DEP_1)
	v_cndmask_b32_e32 v1, 0x7f800001, v0, vcc_lo
; %bb.10096:                            ;   in Loop: Header=BB6_5830 Depth=4
	s_or_b32 exec_lo, exec_lo, s76
.LBB6_10097:                            ;   in Loop: Header=BB6_5830 Depth=4
	s_delay_alu instid0(SALU_CYCLE_1)
	s_or_b32 exec_lo, exec_lo, s75
.LBB6_10098:                            ;   in Loop: Header=BB6_5830 Depth=4
	s_delay_alu instid0(SALU_CYCLE_1) | instskip(NEXT) | instid1(VALU_DEP_1)
	s_or_b32 exec_lo, exec_lo, s74
	v_dual_add_f32 v2, v2, v1 :: v_dual_mov_b32 v47, v113
	v_mov_b32_e32 v1, v113
                                        ; implicit-def: $vgpr30
	s_mov_b32 s13, exec_lo
	s_delay_alu instid0(VALU_DEP_2) | instskip(SKIP_2) | instid1(VALU_DEP_3)
	v_and_b32_e32 v46, 0x7f800000, v2
	v_and_b32_e32 v0, 0x7fffff, v2
	v_lshrrev_b32_e32 v3, 24, v2
	v_cmpx_ne_u64_e32 0x7f800000, v[46:47]
	s_xor_b32 s74, exec_lo, s13
	s_cbranch_execz .LBB6_10112
; %bb.10099:                            ;   in Loop: Header=BB6_5830 Depth=4
	v_and_b32_e32 v46, 0x7fffffff, v2
	v_mov_b32_e32 v47, v113
	v_and_b32_e32 v34, 0x80, v3
                                        ; implicit-def: $vgpr30
	s_mov_b32 s13, exec_lo
	s_delay_alu instid0(VALU_DEP_2)
	v_cmpx_gt_u64_e32 0x47600001, v[46:47]
	s_xor_b32 s75, exec_lo, s13
	s_cbranch_execz .LBB6_10109
; %bb.10100:                            ;   in Loop: Header=BB6_5830 Depth=4
	v_mov_b32_e32 v30, 0
	s_mov_b32 s76, exec_lo
	v_cmpx_ne_u32_e32 0, v2
	s_cbranch_execz .LBB6_10108
; %bb.10101:                            ;   in Loop: Header=BB6_5830 Depth=4
	v_bfe_u32 v30, v2, 23, 8
	v_or_b32_e32 v3, 0x800000, v0
	s_delay_alu instid0(VALU_DEP_2) | instskip(SKIP_2) | instid1(VALU_DEP_2)
	v_cmp_gt_u32_e64 s13, 0x72, v30
	v_sub_nc_u32_e32 v2, 0x71, v30
	v_cmp_eq_u32_e32 vcc_lo, 0, v30
	v_dual_cndmask_b32 v2, 0, v2, s13 :: v_dual_cndmask_b32 v0, v3, v0, vcc_lo
	s_delay_alu instid0(VALU_DEP_1) | instskip(NEXT) | instid1(VALU_DEP_1)
	v_cndmask_b32_e64 v37, v2, 0x70, vcc_lo
	v_dual_add_nc_u32 v2, 21, v37 :: v_dual_add_nc_u32 v50, 20, v37
	s_delay_alu instid0(VALU_DEP_1) | instskip(NEXT) | instid1(VALU_DEP_2)
	v_lshlrev_b64_e64 v[2:3], v2, -1
	v_lshlrev_b64_e64 v[46:47], v50, 1
	s_delay_alu instid0(VALU_DEP_2) | instskip(SKIP_1) | instid1(VALU_DEP_4)
	v_bfi_b32 v2, v2, 0, v0
	v_lshrrev_b64 v[0:1], v37, v[0:1]
	v_bfi_b32 v3, v3, 0, 0
	s_delay_alu instid0(VALU_DEP_1) | instskip(NEXT) | instid1(VALU_DEP_3)
	v_cmp_eq_u64_e64 s13, v[2:3], v[46:47]
	v_mov_b64_e32 v[2:3], v[0:1]
	s_and_saveexec_b32 s77, s13
; %bb.10102:                            ;   in Loop: Header=BB6_5830 Depth=4
	v_bfe_u32 v2, v0, 21, 1
	v_mov_b32_e32 v3, v113
	s_delay_alu instid0(VALU_DEP_1) | instskip(NEXT) | instid1(VALU_DEP_1)
	v_add_nc_u64_e32 v[2:3], v[0:1], v[2:3]
	v_add_nc_u64_e32 v[2:3], -1, v[2:3]
; %bb.10103:                            ;   in Loop: Header=BB6_5830 Depth=4
	s_or_b32 exec_lo, exec_lo, s77
	v_add_nc_u32_e32 v1, 0xffffff81, v30
	v_lshrrev_b32_e32 v3, 23, v0
	s_mov_b32 s13, exec_lo
	s_delay_alu instid0(VALU_DEP_2) | instskip(NEXT) | instid1(VALU_DEP_1)
	v_cndmask_b32_e64 v1, v1, 0xffffff82, vcc_lo
	v_add3_u32 v30, v37, v1, v3
	v_and_b32_e32 v1, 0x1fffff, v2
                                        ; implicit-def: $vgpr2
	s_delay_alu instid0(VALU_DEP_1) | instskip(SKIP_1) | instid1(VALU_DEP_2)
	v_dual_add_nc_u32 v3, 14, v30 :: v_dual_add_nc_u32 v0, v1, v0
	v_mov_b32_e32 v1, v113
	v_cmpx_ne_u32_e32 0, v3
	s_xor_b32 s13, exec_lo, s13
; %bb.10104:                            ;   in Loop: Header=BB6_5830 Depth=4
	s_delay_alu instid0(VALU_DEP_2) | instskip(SKIP_1) | instid1(VALU_DEP_1)
	v_cmp_lt_u64_e32 vcc_lo, 0xffffff, v[0:1]
	v_add_nc_u32_e32 v2, 15, v30
	v_cndmask_b32_e32 v2, v3, v2, vcc_lo
	v_cndmask_b32_e64 v3, 0, 1, vcc_lo
	s_delay_alu instid0(VALU_DEP_1)
	v_lshrrev_b64 v[0:1], v3, v[0:1]
; %bb.10105:                            ;   in Loop: Header=BB6_5830 Depth=4
	s_and_not1_saveexec_b32 s13, s13
; %bb.10106:                            ;   in Loop: Header=BB6_5830 Depth=4
	s_delay_alu instid0(VALU_DEP_1)
	v_bfe_u32 v2, v0, 23, 1
; %bb.10107:                            ;   in Loop: Header=BB6_5830 Depth=4
	s_or_b32 exec_lo, exec_lo, s13
	s_delay_alu instid0(VALU_DEP_2) | instskip(NEXT) | instid1(VALU_DEP_2)
	v_lshrrev_b64 v[0:1], 21, v[0:1]
	v_cmp_gt_i32_e32 vcc_lo, 32, v2
	v_min_i32_e32 v3, 31, v2
	v_cmp_eq_u32_e64 s13, 0, v2
	s_delay_alu instid0(VALU_DEP_2) | instskip(SKIP_1) | instid1(VALU_DEP_2)
	v_dual_cndmask_b32 v1, 0, v1, vcc_lo :: v_dual_lshlrev_b32 v3, 2, v3
	v_cndmask_b32_e32 v0, 3, v0, vcc_lo
	v_and_b32_e32 v3, 0xfc, v3
	s_delay_alu instid0(VALU_DEP_2) | instskip(NEXT) | instid1(VALU_DEP_2)
	v_cmp_eq_u64_e32 vcc_lo, 0, v[0:1]
	v_and_or_b32 v0, v0, 3, v3
	s_and_b32 s13, s13, vcc_lo
	s_delay_alu instid0(VALU_DEP_1) | instid1(SALU_CYCLE_1)
	v_cndmask_b32_e64 v0, v0, 0, s13
	s_delay_alu instid0(VALU_DEP_1)
	v_or_b32_e32 v30, v0, v34
.LBB6_10108:                            ;   in Loop: Header=BB6_5830 Depth=4
	s_or_b32 exec_lo, exec_lo, s76
                                        ; implicit-def: $vgpr34
.LBB6_10109:                            ;   in Loop: Header=BB6_5830 Depth=4
	s_and_not1_saveexec_b32 s13, s75
; %bb.10110:                            ;   in Loop: Header=BB6_5830 Depth=4
	v_or_b32_e32 v30, 0x7b, v34
; %bb.10111:                            ;   in Loop: Header=BB6_5830 Depth=4
	s_or_b32 exec_lo, exec_lo, s13
                                        ; implicit-def: $vgpr2
                                        ; implicit-def: $vgpr0_vgpr1
                                        ; implicit-def: $vgpr3
.LBB6_10112:                            ;   in Loop: Header=BB6_5830 Depth=4
	s_and_not1_saveexec_b32 s13, s74
	s_cbranch_execz .LBB6_10118
; %bb.10113:                            ;   in Loop: Header=BB6_5830 Depth=4
	s_mov_b32 s74, exec_lo
                                        ; implicit-def: $vgpr30
	v_cmpx_ne_u64_e32 0, v[0:1]
	s_xor_b32 s74, exec_lo, s74
; %bb.10114:                            ;   in Loop: Header=BB6_5830 Depth=4
	v_or_b32_e32 v30, 0x7f, v3
                                        ; implicit-def: $vgpr2
; %bb.10115:                            ;   in Loop: Header=BB6_5830 Depth=4
	s_and_not1_saveexec_b32 s74, s74
; %bb.10116:                            ;   in Loop: Header=BB6_5830 Depth=4
	v_cmp_lt_i32_e32 vcc_lo, -1, v2
	v_mov_b32_e32 v0, 0x7c
	s_delay_alu instid0(VALU_DEP_1)
	v_cndmask_b32_e32 v30, 0xfc, v0, vcc_lo
; %bb.10117:                            ;   in Loop: Header=BB6_5830 Depth=4
	s_or_b32 exec_lo, exec_lo, s74
.LBB6_10118:                            ;   in Loop: Header=BB6_5830 Depth=4
	s_delay_alu instid0(SALU_CYCLE_1)
	s_or_b32 exec_lo, exec_lo, s13
	v_dual_mov_b32 v1, 0 :: v_dual_mov_b32 v2, 0
	s_mov_b32 s74, exec_lo
	v_cmpx_lt_u32_e32 0xffffff, v112
	s_cbranch_execz .LBB6_10128
; %bb.10119:                            ;   in Loop: Header=BB6_5830 Depth=4
	v_lshrrev_b32_e32 v0, 24, v112
	v_bfrev_b32_e32 v2, 1
	s_mov_b32 s75, exec_lo
	s_delay_alu instid0(VALU_DEP_2)
	v_cmpx_ne_u32_e32 0x80, v0
	s_cbranch_execz .LBB6_10127
; %bb.10120:                            ;   in Loop: Header=BB6_5830 Depth=4
	v_and_b32_e32 v2, 0x7c000000, v112
	v_bfe_u32 v3, v112, 24, 2
	s_delay_alu instid0(VALU_DEP_2) | instskip(SKIP_1) | instid1(SALU_CYCLE_1)
	v_cmp_ne_u32_e32 vcc_lo, 0x7c000000, v2
                                        ; implicit-def: $vgpr2
	s_and_saveexec_b32 s13, vcc_lo
	s_xor_b32 s13, exec_lo, s13
	s_cbranch_execz .LBB6_10124
; %bb.10121:                            ;   in Loop: Header=BB6_5830 Depth=4
	v_bfe_u32 v2, v112, 26, 5
	s_mov_b32 s76, exec_lo
	s_delay_alu instid0(VALU_DEP_1)
	v_cmpx_eq_u32_e32 0, v2
; %bb.10122:                            ;   in Loop: Header=BB6_5830 Depth=4
	v_clz_i32_u32_e32 v2, v3
	s_delay_alu instid0(VALU_DEP_1) | instskip(NEXT) | instid1(VALU_DEP_1)
	v_min_u32_e32 v2, 32, v2
	v_subrev_nc_u32_e32 v3, 29, v2
	v_sub_nc_u32_e32 v2, 30, v2
	s_delay_alu instid0(VALU_DEP_2) | instskip(NEXT) | instid1(VALU_DEP_1)
	v_lshlrev_b64_e32 v[46:47], v3, v[0:1]
	v_and_b32_e32 v3, 3, v46
; %bb.10123:                            ;   in Loop: Header=BB6_5830 Depth=4
	s_or_b32 exec_lo, exec_lo, s76
	v_and_b32_e32 v0, 0x80000000, v112
	s_delay_alu instid0(VALU_DEP_1) | instskip(NEXT) | instid1(VALU_DEP_1)
	v_lshl_add_u32 v0, v2, 23, v0
	v_lshl_or_b32 v0, v3, 21, v0
                                        ; implicit-def: $vgpr3
	s_delay_alu instid0(VALU_DEP_1)
	v_add_nc_u32_e32 v2, 0x38000000, v0
.LBB6_10124:                            ;   in Loop: Header=BB6_5830 Depth=4
	s_and_not1_saveexec_b32 s76, s13
; %bb.10125:                            ;   in Loop: Header=BB6_5830 Depth=4
	v_cmp_lt_i32_e64 s13, -1, v112
	v_mov_b32_e32 v0, 0x7f800000
	v_cmp_eq_u32_e32 vcc_lo, 0, v3
	s_delay_alu instid0(VALU_DEP_2) | instskip(NEXT) | instid1(VALU_DEP_1)
	v_cndmask_b32_e64 v0, 0xff800000, v0, s13
	v_cndmask_b32_e32 v2, 0x7f800001, v0, vcc_lo
; %bb.10126:                            ;   in Loop: Header=BB6_5830 Depth=4
	s_or_b32 exec_lo, exec_lo, s76
.LBB6_10127:                            ;   in Loop: Header=BB6_5830 Depth=4
	s_delay_alu instid0(SALU_CYCLE_1)
	s_or_b32 exec_lo, exec_lo, s75
.LBB6_10128:                            ;   in Loop: Header=BB6_5830 Depth=4
	s_delay_alu instid0(SALU_CYCLE_1) | instskip(NEXT) | instid1(SALU_CYCLE_1)
	s_or_b32 exec_lo, exec_lo, s74
	s_mov_b32 s74, exec_lo
	v_cmpx_lt_u32_e32 0xffffff, v10
	s_cbranch_execz .LBB6_10138
; %bb.10129:                            ;   in Loop: Header=BB6_5830 Depth=4
	v_lshrrev_b32_e32 v0, 24, v10
	v_bfrev_b32_e32 v1, 1
	s_mov_b32 s75, exec_lo
	s_delay_alu instid0(VALU_DEP_2)
	v_cmpx_ne_u32_e32 0x80, v0
	s_cbranch_execz .LBB6_10137
; %bb.10130:                            ;   in Loop: Header=BB6_5830 Depth=4
	v_and_b32_e32 v1, 0x7c000000, v10
	v_bfe_u32 v3, v10, 24, 2
	s_delay_alu instid0(VALU_DEP_2) | instskip(SKIP_1) | instid1(SALU_CYCLE_1)
	v_cmp_ne_u32_e32 vcc_lo, 0x7c000000, v1
                                        ; implicit-def: $vgpr1
	s_and_saveexec_b32 s13, vcc_lo
	s_xor_b32 s13, exec_lo, s13
	s_cbranch_execz .LBB6_10134
; %bb.10131:                            ;   in Loop: Header=BB6_5830 Depth=4
	v_bfe_u32 v1, v10, 26, 5
	s_mov_b32 s76, exec_lo
	s_delay_alu instid0(VALU_DEP_1)
	v_cmpx_eq_u32_e32 0, v1
; %bb.10132:                            ;   in Loop: Header=BB6_5830 Depth=4
	v_clz_i32_u32_e32 v1, v3
	s_delay_alu instid0(VALU_DEP_1) | instskip(NEXT) | instid1(VALU_DEP_1)
	v_min_u32_e32 v3, 32, v1
	v_subrev_nc_u32_e32 v1, 29, v3
	s_delay_alu instid0(VALU_DEP_1) | instskip(NEXT) | instid1(VALU_DEP_1)
	v_lshlrev_b64_e32 v[0:1], v1, v[0:1]
	v_dual_sub_nc_u32 v1, 30, v3 :: v_dual_bitop2_b32 v3, 3, v0 bitop3:0x40
; %bb.10133:                            ;   in Loop: Header=BB6_5830 Depth=4
	s_or_b32 exec_lo, exec_lo, s76
	v_and_b32_e32 v0, 0x80000000, v10
	s_delay_alu instid0(VALU_DEP_1) | instskip(NEXT) | instid1(VALU_DEP_1)
	v_lshl_add_u32 v0, v1, 23, v0
	v_lshl_or_b32 v0, v3, 21, v0
                                        ; implicit-def: $vgpr3
	s_delay_alu instid0(VALU_DEP_1)
	v_add_nc_u32_e32 v1, 0x38000000, v0
.LBB6_10134:                            ;   in Loop: Header=BB6_5830 Depth=4
	s_and_not1_saveexec_b32 s76, s13
; %bb.10135:                            ;   in Loop: Header=BB6_5830 Depth=4
	v_cmp_lt_i32_e64 s13, -1, v10
	v_mov_b32_e32 v0, 0x7f800000
	v_cmp_eq_u32_e32 vcc_lo, 0, v3
	s_delay_alu instid0(VALU_DEP_2) | instskip(NEXT) | instid1(VALU_DEP_1)
	v_cndmask_b32_e64 v0, 0xff800000, v0, s13
	v_cndmask_b32_e32 v1, 0x7f800001, v0, vcc_lo
; %bb.10136:                            ;   in Loop: Header=BB6_5830 Depth=4
	s_or_b32 exec_lo, exec_lo, s76
.LBB6_10137:                            ;   in Loop: Header=BB6_5830 Depth=4
	s_delay_alu instid0(SALU_CYCLE_1)
	s_or_b32 exec_lo, exec_lo, s75
.LBB6_10138:                            ;   in Loop: Header=BB6_5830 Depth=4
	s_delay_alu instid0(SALU_CYCLE_1) | instskip(NEXT) | instid1(VALU_DEP_1)
	s_or_b32 exec_lo, exec_lo, s74
	v_dual_add_f32 v0, v2, v1 :: v_dual_mov_b32 v3, v113
                                        ; implicit-def: $vgpr34
	s_mov_b32 s13, exec_lo
	s_delay_alu instid0(VALU_DEP_1) | instskip(SKIP_2) | instid1(VALU_DEP_3)
	v_and_b32_e32 v2, 0x7f800000, v0
	v_and_b32_e32 v112, 0x7fffff, v0
	v_lshrrev_b32_e32 v1, 24, v0
	v_cmpx_ne_u64_e32 0x7f800000, v[2:3]
	s_xor_b32 s74, exec_lo, s13
	s_cbranch_execz .LBB6_10152
; %bb.10139:                            ;   in Loop: Header=BB6_5830 Depth=4
	v_and_b32_e32 v2, 0x7fffffff, v0
	v_mov_b32_e32 v3, v113
	v_and_b32_e32 v37, 0x80, v1
                                        ; implicit-def: $vgpr34
	s_mov_b32 s13, exec_lo
	s_delay_alu instid0(VALU_DEP_2)
	v_cmpx_gt_u64_e32 0x47600001, v[2:3]
	s_xor_b32 s75, exec_lo, s13
	s_cbranch_execz .LBB6_10149
; %bb.10140:                            ;   in Loop: Header=BB6_5830 Depth=4
	v_mov_b32_e32 v34, 0
	s_mov_b32 s76, exec_lo
	v_cmpx_ne_u32_e32 0, v0
	s_cbranch_execz .LBB6_10148
; %bb.10141:                            ;   in Loop: Header=BB6_5830 Depth=4
	v_bfe_u32 v34, v0, 23, 8
	v_or_b32_e32 v1, 0x800000, v112
	s_delay_alu instid0(VALU_DEP_2) | instskip(SKIP_2) | instid1(VALU_DEP_2)
	v_cmp_gt_u32_e64 s13, 0x72, v34
	v_sub_nc_u32_e32 v0, 0x71, v34
	v_cmp_eq_u32_e32 vcc_lo, 0, v34
	v_cndmask_b32_e64 v0, 0, v0, s13
	s_delay_alu instid0(VALU_DEP_1) | instskip(SKIP_1) | instid1(VALU_DEP_2)
	v_cndmask_b32_e64 v50, v0, 0x70, vcc_lo
	v_cndmask_b32_e32 v0, v1, v112, vcc_lo
	v_dual_mov_b32 v1, v113 :: v_dual_add_nc_u32 v2, 21, v50
	v_add_nc_u32_e32 v55, 20, v50
	s_delay_alu instid0(VALU_DEP_2) | instskip(NEXT) | instid1(VALU_DEP_2)
	v_lshlrev_b64_e64 v[2:3], v2, -1
	v_lshlrev_b64_e64 v[46:47], v55, 1
	s_delay_alu instid0(VALU_DEP_2) | instskip(SKIP_1) | instid1(VALU_DEP_4)
	v_bfi_b32 v2, v2, 0, v0
	v_lshrrev_b64 v[0:1], v50, v[0:1]
	v_bfi_b32 v3, v3, 0, 0
	s_delay_alu instid0(VALU_DEP_1) | instskip(NEXT) | instid1(VALU_DEP_3)
	v_cmp_eq_u64_e64 s13, v[2:3], v[46:47]
	v_mov_b64_e32 v[2:3], v[0:1]
	s_and_saveexec_b32 s77, s13
; %bb.10142:                            ;   in Loop: Header=BB6_5830 Depth=4
	v_bfe_u32 v2, v0, 21, 1
	v_mov_b32_e32 v3, v113
	s_delay_alu instid0(VALU_DEP_1) | instskip(NEXT) | instid1(VALU_DEP_1)
	v_add_nc_u64_e32 v[2:3], v[0:1], v[2:3]
	v_add_nc_u64_e32 v[2:3], -1, v[2:3]
; %bb.10143:                            ;   in Loop: Header=BB6_5830 Depth=4
	s_or_b32 exec_lo, exec_lo, s77
	v_add_nc_u32_e32 v1, 0xffffff81, v34
	s_delay_alu instid0(VALU_DEP_2) | instskip(SKIP_2) | instid1(VALU_DEP_3)
	v_and_b32_e32 v2, 0x1fffff, v2
	v_lshrrev_b32_e32 v3, 23, v0
	s_mov_b32 s13, exec_lo
	v_cndmask_b32_e64 v1, v1, 0xffffff82, vcc_lo
	s_delay_alu instid0(VALU_DEP_3) | instskip(NEXT) | instid1(VALU_DEP_2)
	v_add_nc_u32_e32 v112, v2, v0
                                        ; implicit-def: $vgpr2
	v_add3_u32 v34, v50, v1, v3
                                        ; implicit-def: $vgpr0_vgpr1
	s_delay_alu instid0(VALU_DEP_1) | instskip(NEXT) | instid1(VALU_DEP_1)
	v_add_nc_u32_e32 v3, 14, v34
	v_cmpx_ne_u32_e32 0, v3
	s_xor_b32 s13, exec_lo, s13
; %bb.10144:                            ;   in Loop: Header=BB6_5830 Depth=4
	v_cmp_lt_u64_e32 vcc_lo, 0xffffff, v[112:113]
	v_add_nc_u32_e32 v0, 15, v34
	s_delay_alu instid0(VALU_DEP_1) | instskip(SKIP_1) | instid1(VALU_DEP_1)
	v_cndmask_b32_e32 v2, v3, v0, vcc_lo
	v_cndmask_b32_e64 v0, 0, 1, vcc_lo
	v_lshrrev_b64 v[0:1], v0, v[112:113]
; %bb.10145:                            ;   in Loop: Header=BB6_5830 Depth=4
	s_and_not1_saveexec_b32 s13, s13
; %bb.10146:                            ;   in Loop: Header=BB6_5830 Depth=4
	v_mov_b64_e32 v[0:1], v[112:113]
	v_bfe_u32 v2, v112, 23, 1
; %bb.10147:                            ;   in Loop: Header=BB6_5830 Depth=4
	s_or_b32 exec_lo, exec_lo, s13
	s_delay_alu instid0(VALU_DEP_2) | instskip(NEXT) | instid1(VALU_DEP_2)
	v_lshrrev_b64 v[0:1], 21, v[0:1]
	v_cmp_gt_i32_e32 vcc_lo, 32, v2
	v_min_i32_e32 v3, 31, v2
	v_cmp_eq_u32_e64 s13, 0, v2
	s_delay_alu instid0(VALU_DEP_2) | instskip(SKIP_1) | instid1(VALU_DEP_2)
	v_dual_cndmask_b32 v1, 0, v1, vcc_lo :: v_dual_lshlrev_b32 v3, 2, v3
	v_cndmask_b32_e32 v0, 3, v0, vcc_lo
	v_and_b32_e32 v3, 0xfc, v3
	s_delay_alu instid0(VALU_DEP_2) | instskip(NEXT) | instid1(VALU_DEP_2)
	v_cmp_eq_u64_e32 vcc_lo, 0, v[0:1]
	v_and_or_b32 v0, v0, 3, v3
	s_and_b32 s13, s13, vcc_lo
	s_delay_alu instid0(VALU_DEP_1) | instid1(SALU_CYCLE_1)
	v_cndmask_b32_e64 v0, v0, 0, s13
	s_delay_alu instid0(VALU_DEP_1)
	v_or_b32_e32 v34, v0, v37
.LBB6_10148:                            ;   in Loop: Header=BB6_5830 Depth=4
	s_or_b32 exec_lo, exec_lo, s76
                                        ; implicit-def: $vgpr37
.LBB6_10149:                            ;   in Loop: Header=BB6_5830 Depth=4
	s_and_not1_saveexec_b32 s13, s75
; %bb.10150:                            ;   in Loop: Header=BB6_5830 Depth=4
	v_or_b32_e32 v34, 0x7b, v37
; %bb.10151:                            ;   in Loop: Header=BB6_5830 Depth=4
	s_or_b32 exec_lo, exec_lo, s13
                                        ; implicit-def: $vgpr0
                                        ; implicit-def: $vgpr1
.LBB6_10152:                            ;   in Loop: Header=BB6_5830 Depth=4
	s_and_not1_saveexec_b32 s13, s74
	s_cbranch_execz .LBB6_10158
; %bb.10153:                            ;   in Loop: Header=BB6_5830 Depth=4
	s_mov_b32 s74, exec_lo
                                        ; implicit-def: $vgpr34
	v_cmpx_ne_u64_e32 0, v[112:113]
	s_xor_b32 s74, exec_lo, s74
; %bb.10154:                            ;   in Loop: Header=BB6_5830 Depth=4
	v_or_b32_e32 v34, 0x7f, v1
                                        ; implicit-def: $vgpr0
; %bb.10155:                            ;   in Loop: Header=BB6_5830 Depth=4
	s_and_not1_saveexec_b32 s74, s74
; %bb.10156:                            ;   in Loop: Header=BB6_5830 Depth=4
	v_cmp_lt_i32_e32 vcc_lo, -1, v0
	v_mov_b32_e32 v0, 0x7c
	s_delay_alu instid0(VALU_DEP_1)
	v_cndmask_b32_e32 v34, 0xfc, v0, vcc_lo
; %bb.10157:                            ;   in Loop: Header=BB6_5830 Depth=4
	s_or_b32 exec_lo, exec_lo, s74
.LBB6_10158:                            ;   in Loop: Header=BB6_5830 Depth=4
	s_delay_alu instid0(SALU_CYCLE_1) | instskip(SKIP_4) | instid1(VALU_DEP_1)
	s_or_b32 exec_lo, exec_lo, s13
	v_lshlrev_b32_e32 v0, 24, v33
	v_lshlrev_b32_e32 v1, 16, v29
	v_lshl_or_b32 v26, v26, 8, v7
	s_mov_b32 s74, exec_lo
	v_or3_b32 v112, v1, v0, v26
	v_dual_mov_b32 v1, 0 :: v_dual_mov_b32 v0, 0
	v_cmpx_ne_u32_e32 0, v7
	s_cbranch_execz .LBB6_10168
; %bb.10159:                            ;   in Loop: Header=BB6_5830 Depth=4
	v_bfrev_b32_e32 v0, 1
	s_mov_b32 s75, exec_lo
	v_cmpx_ne_u32_e32 0x80, v7
	s_cbranch_execz .LBB6_10167
; %bb.10160:                            ;   in Loop: Header=BB6_5830 Depth=4
	v_and_b32_e32 v0, 0x7c, v7
	v_and_b32_e32 v2, 3, v7
	s_delay_alu instid0(VALU_DEP_2) | instskip(SKIP_1) | instid1(SALU_CYCLE_1)
	v_cmp_ne_u32_e32 vcc_lo, 0x7c, v0
                                        ; implicit-def: $vgpr0
	s_and_saveexec_b32 s13, vcc_lo
	s_xor_b32 s13, exec_lo, s13
	s_cbranch_execz .LBB6_10164
; %bb.10161:                            ;   in Loop: Header=BB6_5830 Depth=4
	v_bfe_u32 v0, v7, 2, 5
	s_mov_b32 s76, exec_lo
	s_delay_alu instid0(VALU_DEP_1)
	v_cmpx_eq_u32_e32 0, v0
; %bb.10162:                            ;   in Loop: Header=BB6_5830 Depth=4
	v_clz_i32_u32_e32 v0, v2
	s_delay_alu instid0(VALU_DEP_1) | instskip(NEXT) | instid1(VALU_DEP_1)
	v_min_u32_e32 v0, 32, v0
	v_subrev_nc_u32_e32 v2, 29, v0
	s_delay_alu instid0(VALU_DEP_1) | instskip(NEXT) | instid1(VALU_DEP_1)
	v_lshlrev_b64_e32 v[2:3], v2, v[112:113]
	v_dual_sub_nc_u32 v0, 30, v0 :: v_dual_bitop2_b32 v2, 3, v2 bitop3:0x40
; %bb.10163:                            ;   in Loop: Header=BB6_5830 Depth=4
	s_or_b32 exec_lo, exec_lo, s76
	v_lshlrev_b32_e32 v3, 24, v7
                                        ; implicit-def: $vgpr7
	s_delay_alu instid0(VALU_DEP_1) | instskip(NEXT) | instid1(VALU_DEP_1)
	v_and_b32_e32 v3, 0x80000000, v3
	v_lshl_add_u32 v0, v0, 23, v3
	s_delay_alu instid0(VALU_DEP_1) | instskip(NEXT) | instid1(VALU_DEP_1)
	v_lshl_or_b32 v0, v2, 21, v0
                                        ; implicit-def: $vgpr2
	v_add_nc_u32_e32 v0, 0x38000000, v0
.LBB6_10164:                            ;   in Loop: Header=BB6_5830 Depth=4
	s_and_not1_saveexec_b32 s76, s13
; %bb.10165:                            ;   in Loop: Header=BB6_5830 Depth=4
	v_and_b32_e32 v0, 0x80, v7
	v_cmp_eq_u32_e32 vcc_lo, 0, v2
	s_delay_alu instid0(VALU_DEP_2) | instskip(SKIP_1) | instid1(VALU_DEP_1)
	v_cmp_eq_u32_e64 s13, 0, v0
	v_mov_b32_e32 v0, 0x7f800000
	v_cndmask_b32_e64 v0, 0xff800000, v0, s13
	s_delay_alu instid0(VALU_DEP_1)
	v_cndmask_b32_e32 v0, 0x7f800001, v0, vcc_lo
; %bb.10166:                            ;   in Loop: Header=BB6_5830 Depth=4
	s_or_b32 exec_lo, exec_lo, s76
.LBB6_10167:                            ;   in Loop: Header=BB6_5830 Depth=4
	s_delay_alu instid0(SALU_CYCLE_1)
	s_or_b32 exec_lo, exec_lo, s75
.LBB6_10168:                            ;   in Loop: Header=BB6_5830 Depth=4
	s_delay_alu instid0(SALU_CYCLE_1) | instskip(SKIP_2) | instid1(VALU_DEP_1)
	s_or_b32 exec_lo, exec_lo, s74
	v_and_b32_e32 v2, 0xff, v11
	s_mov_b32 s74, exec_lo
	v_cmpx_ne_u16_e32 0, v2
	s_cbranch_execz .LBB6_10178
; %bb.10169:                            ;   in Loop: Header=BB6_5830 Depth=4
	v_bfrev_b32_e32 v1, 1
	s_mov_b32 s75, exec_lo
	v_cmpx_ne_u16_e32 0x80, v2
	s_cbranch_execz .LBB6_10177
; %bb.10170:                            ;   in Loop: Header=BB6_5830 Depth=4
	v_and_b32_e32 v1, 0x7c, v11
	v_and_b32_e32 v2, 3, v11
	s_delay_alu instid0(VALU_DEP_2) | instskip(SKIP_1) | instid1(SALU_CYCLE_1)
	v_cmp_ne_u32_e32 vcc_lo, 0x7c, v1
                                        ; implicit-def: $vgpr1
	s_and_saveexec_b32 s13, vcc_lo
	s_xor_b32 s13, exec_lo, s13
	s_cbranch_execz .LBB6_10174
; %bb.10171:                            ;   in Loop: Header=BB6_5830 Depth=4
	v_bfe_u32 v1, v11, 2, 5
	s_mov_b32 s76, exec_lo
	s_delay_alu instid0(VALU_DEP_1)
	v_cmpx_eq_u32_e32 0, v1
; %bb.10172:                            ;   in Loop: Header=BB6_5830 Depth=4
	v_clz_i32_u32_e32 v1, v2
	v_dual_mov_b32 v2, v11 :: v_dual_mov_b32 v3, v113
	s_delay_alu instid0(VALU_DEP_2) | instskip(NEXT) | instid1(VALU_DEP_1)
	v_min_u32_e32 v1, 32, v1
	v_subrev_nc_u32_e32 v7, 29, v1
	s_delay_alu instid0(VALU_DEP_1) | instskip(NEXT) | instid1(VALU_DEP_1)
	v_lshlrev_b64_e32 v[2:3], v7, v[2:3]
	v_dual_sub_nc_u32 v1, 30, v1 :: v_dual_bitop2_b32 v2, 3, v2 bitop3:0x40
; %bb.10173:                            ;   in Loop: Header=BB6_5830 Depth=4
	s_or_b32 exec_lo, exec_lo, s76
	v_lshlrev_b32_e32 v3, 24, v11
	s_delay_alu instid0(VALU_DEP_1) | instskip(NEXT) | instid1(VALU_DEP_1)
	v_and_b32_e32 v3, 0x80000000, v3
	v_lshl_add_u32 v1, v1, 23, v3
	s_delay_alu instid0(VALU_DEP_1) | instskip(NEXT) | instid1(VALU_DEP_1)
	v_lshl_or_b32 v1, v2, 21, v1
                                        ; implicit-def: $vgpr2
	v_add_nc_u32_e32 v1, 0x38000000, v1
.LBB6_10174:                            ;   in Loop: Header=BB6_5830 Depth=4
	s_and_not1_saveexec_b32 s76, s13
; %bb.10175:                            ;   in Loop: Header=BB6_5830 Depth=4
	v_bfe_i32 v1, v11, 0, 8
	v_cmp_eq_u32_e32 vcc_lo, 0, v2
	s_delay_alu instid0(VALU_DEP_2) | instskip(SKIP_1) | instid1(VALU_DEP_1)
	v_cmp_lt_i16_e64 s13, -1, v1
	v_mov_b32_e32 v1, 0x7f800000
	v_cndmask_b32_e64 v1, 0xff800000, v1, s13
	s_delay_alu instid0(VALU_DEP_1)
	v_cndmask_b32_e32 v1, 0x7f800001, v1, vcc_lo
; %bb.10176:                            ;   in Loop: Header=BB6_5830 Depth=4
	s_or_b32 exec_lo, exec_lo, s76
.LBB6_10177:                            ;   in Loop: Header=BB6_5830 Depth=4
	s_delay_alu instid0(SALU_CYCLE_1)
	s_or_b32 exec_lo, exec_lo, s75
.LBB6_10178:                            ;   in Loop: Header=BB6_5830 Depth=4
	s_delay_alu instid0(SALU_CYCLE_1) | instskip(NEXT) | instid1(VALU_DEP_1)
	s_or_b32 exec_lo, exec_lo, s74
	v_dual_add_f32 v2, v0, v1 :: v_dual_mov_b32 v47, v113
	v_mov_b32_e32 v1, v113
                                        ; implicit-def: $vgpr7
	s_mov_b32 s13, exec_lo
	s_delay_alu instid0(VALU_DEP_2) | instskip(SKIP_2) | instid1(VALU_DEP_3)
	v_and_b32_e32 v46, 0x7f800000, v2
	v_and_b32_e32 v0, 0x7fffff, v2
	v_lshrrev_b32_e32 v3, 24, v2
	v_cmpx_ne_u64_e32 0x7f800000, v[46:47]
	s_xor_b32 s74, exec_lo, s13
	s_cbranch_execz .LBB6_10192
; %bb.10179:                            ;   in Loop: Header=BB6_5830 Depth=4
	v_and_b32_e32 v46, 0x7fffffff, v2
	v_mov_b32_e32 v47, v113
	v_and_b32_e32 v29, 0x80, v3
                                        ; implicit-def: $vgpr7
	s_mov_b32 s13, exec_lo
	s_delay_alu instid0(VALU_DEP_2)
	v_cmpx_gt_u64_e32 0x47600001, v[46:47]
	s_xor_b32 s75, exec_lo, s13
	s_cbranch_execz .LBB6_10189
; %bb.10180:                            ;   in Loop: Header=BB6_5830 Depth=4
	v_mov_b32_e32 v7, 0
	s_mov_b32 s76, exec_lo
	v_cmpx_ne_u32_e32 0, v2
	s_cbranch_execz .LBB6_10188
; %bb.10181:                            ;   in Loop: Header=BB6_5830 Depth=4
	v_bfe_u32 v7, v2, 23, 8
	v_or_b32_e32 v3, 0x800000, v0
	s_delay_alu instid0(VALU_DEP_2) | instskip(SKIP_2) | instid1(VALU_DEP_2)
	v_cmp_gt_u32_e64 s13, 0x72, v7
	v_sub_nc_u32_e32 v2, 0x71, v7
	v_cmp_eq_u32_e32 vcc_lo, 0, v7
	v_dual_cndmask_b32 v2, 0, v2, s13 :: v_dual_cndmask_b32 v0, v3, v0, vcc_lo
	s_delay_alu instid0(VALU_DEP_1) | instskip(NEXT) | instid1(VALU_DEP_1)
	v_cndmask_b32_e64 v33, v2, 0x70, vcc_lo
	v_dual_add_nc_u32 v2, 21, v33 :: v_dual_add_nc_u32 v37, 20, v33
	s_delay_alu instid0(VALU_DEP_1) | instskip(NEXT) | instid1(VALU_DEP_2)
	v_lshlrev_b64_e64 v[2:3], v2, -1
	v_lshlrev_b64_e64 v[46:47], v37, 1
	s_delay_alu instid0(VALU_DEP_2) | instskip(SKIP_1) | instid1(VALU_DEP_4)
	v_bfi_b32 v2, v2, 0, v0
	v_lshrrev_b64 v[0:1], v33, v[0:1]
	v_bfi_b32 v3, v3, 0, 0
	s_delay_alu instid0(VALU_DEP_1) | instskip(NEXT) | instid1(VALU_DEP_3)
	v_cmp_eq_u64_e64 s13, v[2:3], v[46:47]
	v_mov_b64_e32 v[2:3], v[0:1]
	s_and_saveexec_b32 s77, s13
; %bb.10182:                            ;   in Loop: Header=BB6_5830 Depth=4
	v_bfe_u32 v2, v0, 21, 1
	v_mov_b32_e32 v3, v113
	s_delay_alu instid0(VALU_DEP_1) | instskip(NEXT) | instid1(VALU_DEP_1)
	v_add_nc_u64_e32 v[2:3], v[0:1], v[2:3]
	v_add_nc_u64_e32 v[2:3], -1, v[2:3]
; %bb.10183:                            ;   in Loop: Header=BB6_5830 Depth=4
	s_or_b32 exec_lo, exec_lo, s77
	v_add_nc_u32_e32 v1, 0xffffff81, v7
	v_lshrrev_b32_e32 v3, 23, v0
	s_mov_b32 s13, exec_lo
	s_delay_alu instid0(VALU_DEP_2) | instskip(NEXT) | instid1(VALU_DEP_1)
	v_cndmask_b32_e64 v1, v1, 0xffffff82, vcc_lo
	v_add3_u32 v7, v33, v1, v3
	v_and_b32_e32 v1, 0x1fffff, v2
                                        ; implicit-def: $vgpr2
	s_delay_alu instid0(VALU_DEP_1) | instskip(SKIP_1) | instid1(VALU_DEP_2)
	v_dual_add_nc_u32 v3, 14, v7 :: v_dual_add_nc_u32 v0, v1, v0
	v_mov_b32_e32 v1, v113
	v_cmpx_ne_u32_e32 0, v3
	s_xor_b32 s13, exec_lo, s13
; %bb.10184:                            ;   in Loop: Header=BB6_5830 Depth=4
	s_delay_alu instid0(VALU_DEP_2) | instskip(SKIP_1) | instid1(VALU_DEP_1)
	v_cmp_lt_u64_e32 vcc_lo, 0xffffff, v[0:1]
	v_add_nc_u32_e32 v2, 15, v7
	v_cndmask_b32_e32 v2, v3, v2, vcc_lo
	v_cndmask_b32_e64 v3, 0, 1, vcc_lo
	s_delay_alu instid0(VALU_DEP_1)
	v_lshrrev_b64 v[0:1], v3, v[0:1]
; %bb.10185:                            ;   in Loop: Header=BB6_5830 Depth=4
	s_and_not1_saveexec_b32 s13, s13
; %bb.10186:                            ;   in Loop: Header=BB6_5830 Depth=4
	s_delay_alu instid0(VALU_DEP_1)
	v_bfe_u32 v2, v0, 23, 1
; %bb.10187:                            ;   in Loop: Header=BB6_5830 Depth=4
	s_or_b32 exec_lo, exec_lo, s13
	s_delay_alu instid0(VALU_DEP_2) | instskip(NEXT) | instid1(VALU_DEP_2)
	v_lshrrev_b64 v[0:1], 21, v[0:1]
	v_cmp_gt_i32_e32 vcc_lo, 32, v2
	v_min_i32_e32 v3, 31, v2
	v_cmp_eq_u32_e64 s13, 0, v2
	s_delay_alu instid0(VALU_DEP_2) | instskip(SKIP_1) | instid1(VALU_DEP_2)
	v_dual_cndmask_b32 v1, 0, v1, vcc_lo :: v_dual_lshlrev_b32 v3, 2, v3
	v_cndmask_b32_e32 v0, 3, v0, vcc_lo
	v_and_b32_e32 v3, 0xfc, v3
	s_delay_alu instid0(VALU_DEP_2) | instskip(NEXT) | instid1(VALU_DEP_2)
	v_cmp_eq_u64_e32 vcc_lo, 0, v[0:1]
	v_and_or_b32 v0, v0, 3, v3
	s_and_b32 s13, s13, vcc_lo
	s_delay_alu instid0(VALU_DEP_1) | instid1(SALU_CYCLE_1)
	v_cndmask_b32_e64 v0, v0, 0, s13
	s_delay_alu instid0(VALU_DEP_1)
	v_or_b32_e32 v7, v0, v29
.LBB6_10188:                            ;   in Loop: Header=BB6_5830 Depth=4
	s_or_b32 exec_lo, exec_lo, s76
                                        ; implicit-def: $vgpr29
.LBB6_10189:                            ;   in Loop: Header=BB6_5830 Depth=4
	s_and_not1_saveexec_b32 s13, s75
; %bb.10190:                            ;   in Loop: Header=BB6_5830 Depth=4
	v_or_b32_e32 v7, 0x7b, v29
; %bb.10191:                            ;   in Loop: Header=BB6_5830 Depth=4
	s_or_b32 exec_lo, exec_lo, s13
                                        ; implicit-def: $vgpr2
                                        ; implicit-def: $vgpr0_vgpr1
                                        ; implicit-def: $vgpr3
.LBB6_10192:                            ;   in Loop: Header=BB6_5830 Depth=4
	s_and_not1_saveexec_b32 s13, s74
	s_cbranch_execz .LBB6_10198
; %bb.10193:                            ;   in Loop: Header=BB6_5830 Depth=4
	s_mov_b32 s74, exec_lo
                                        ; implicit-def: $vgpr7
	v_cmpx_ne_u64_e32 0, v[0:1]
	s_xor_b32 s74, exec_lo, s74
; %bb.10194:                            ;   in Loop: Header=BB6_5830 Depth=4
	v_or_b32_e32 v7, 0x7f, v3
                                        ; implicit-def: $vgpr2
; %bb.10195:                            ;   in Loop: Header=BB6_5830 Depth=4
	s_and_not1_saveexec_b32 s74, s74
; %bb.10196:                            ;   in Loop: Header=BB6_5830 Depth=4
	v_cmp_lt_i32_e32 vcc_lo, -1, v2
	v_mov_b32_e32 v0, 0x7c
	s_delay_alu instid0(VALU_DEP_1)
	v_cndmask_b32_e32 v7, 0xfc, v0, vcc_lo
; %bb.10197:                            ;   in Loop: Header=BB6_5830 Depth=4
	s_or_b32 exec_lo, exec_lo, s74
.LBB6_10198:                            ;   in Loop: Header=BB6_5830 Depth=4
	s_delay_alu instid0(SALU_CYCLE_1) | instskip(SKIP_3) | instid1(VALU_DEP_2)
	s_or_b32 exec_lo, exec_lo, s13
	v_lshrrev_b16 v0, 8, v26
	v_dual_mov_b32 v2, 0 :: v_dual_mov_b32 v3, 0
	s_mov_b32 s74, exec_lo
	v_cmpx_ne_u16_e32 0, v0
	s_cbranch_execz .LBB6_10208
; %bb.10199:                            ;   in Loop: Header=BB6_5830 Depth=4
	v_bfrev_b32_e32 v3, 1
	s_mov_b32 s75, exec_lo
	v_cmpx_ne_u16_e32 0x80, v0
	s_cbranch_execz .LBB6_10207
; %bb.10200:                            ;   in Loop: Header=BB6_5830 Depth=4
	v_and_b32_e32 v29, 0xffff, v0
	s_delay_alu instid0(VALU_DEP_1) | instskip(SKIP_1) | instid1(VALU_DEP_2)
	v_and_b32_e32 v3, 0x7c, v29
	v_and_b32_e32 v1, 3, v29
	v_cmp_ne_u32_e32 vcc_lo, 0x7c, v3
                                        ; implicit-def: $vgpr3
	s_and_saveexec_b32 s13, vcc_lo
	s_delay_alu instid0(SALU_CYCLE_1)
	s_xor_b32 s13, exec_lo, s13
	s_cbranch_execz .LBB6_10204
; %bb.10201:                            ;   in Loop: Header=BB6_5830 Depth=4
	v_bfe_u32 v3, v29, 2, 5
	s_mov_b32 s76, exec_lo
	s_delay_alu instid0(VALU_DEP_1)
	v_cmpx_eq_u32_e32 0, v3
	s_cbranch_execz .LBB6_10203
; %bb.10202:                            ;   in Loop: Header=BB6_5830 Depth=4
	v_clz_i32_u32_e32 v1, v1
	s_delay_alu instid0(VALU_DEP_1) | instskip(SKIP_1) | instid1(VALU_DEP_2)
	v_min_u32_e32 v3, 32, v1
	v_mov_b32_e32 v1, v113
	v_subrev_nc_u32_e32 v29, 29, v3
	v_sub_nc_u32_e32 v3, 30, v3
	s_delay_alu instid0(VALU_DEP_2) | instskip(NEXT) | instid1(VALU_DEP_1)
	v_lshlrev_b64_e32 v[0:1], v29, v[0:1]
	v_and_b32_e32 v1, 3, v0
.LBB6_10203:                            ;   in Loop: Header=BB6_5830 Depth=4
	s_or_b32 exec_lo, exec_lo, s76
	v_lshlrev_b32_e32 v0, 16, v26
                                        ; implicit-def: $vgpr26
	s_delay_alu instid0(VALU_DEP_1) | instskip(NEXT) | instid1(VALU_DEP_1)
	v_and_b32_e32 v0, 0x80000000, v0
	v_lshl_add_u32 v0, v3, 23, v0
	s_delay_alu instid0(VALU_DEP_1) | instskip(NEXT) | instid1(VALU_DEP_1)
	v_lshl_or_b32 v0, v1, 21, v0
                                        ; implicit-def: $vgpr1
	v_add_nc_u32_e32 v3, 0x38000000, v0
.LBB6_10204:                            ;   in Loop: Header=BB6_5830 Depth=4
	s_and_not1_saveexec_b32 s76, s13
; %bb.10205:                            ;   in Loop: Header=BB6_5830 Depth=4
	v_cmp_lt_i16_e64 s13, -1, v26
	v_mov_b32_e32 v0, 0x7f800000
	v_cmp_eq_u32_e32 vcc_lo, 0, v1
	s_delay_alu instid0(VALU_DEP_2) | instskip(NEXT) | instid1(VALU_DEP_1)
	v_cndmask_b32_e64 v0, 0xff800000, v0, s13
	v_cndmask_b32_e32 v3, 0x7f800001, v0, vcc_lo
; %bb.10206:                            ;   in Loop: Header=BB6_5830 Depth=4
	s_or_b32 exec_lo, exec_lo, s76
.LBB6_10207:                            ;   in Loop: Header=BB6_5830 Depth=4
	s_delay_alu instid0(SALU_CYCLE_1)
	s_or_b32 exec_lo, exec_lo, s75
.LBB6_10208:                            ;   in Loop: Header=BB6_5830 Depth=4
	s_delay_alu instid0(SALU_CYCLE_1) | instskip(SKIP_2) | instid1(VALU_DEP_1)
	s_or_b32 exec_lo, exec_lo, s74
	v_lshrrev_b16 v0, 8, v11
	s_mov_b32 s74, exec_lo
	v_cmpx_ne_u16_e32 0, v0
	s_cbranch_execz .LBB6_10218
; %bb.10209:                            ;   in Loop: Header=BB6_5830 Depth=4
	v_bfrev_b32_e32 v2, 1
	s_mov_b32 s75, exec_lo
	v_cmpx_ne_u16_e32 0x80, v0
	s_cbranch_execz .LBB6_10217
; %bb.10210:                            ;   in Loop: Header=BB6_5830 Depth=4
	v_and_b32_e32 v26, 0xffff, v0
	s_delay_alu instid0(VALU_DEP_1) | instskip(SKIP_1) | instid1(VALU_DEP_2)
	v_and_b32_e32 v2, 0x7c, v26
	v_and_b32_e32 v1, 3, v26
	v_cmp_ne_u32_e32 vcc_lo, 0x7c, v2
                                        ; implicit-def: $vgpr2
	s_and_saveexec_b32 s13, vcc_lo
	s_delay_alu instid0(SALU_CYCLE_1)
	s_xor_b32 s13, exec_lo, s13
	s_cbranch_execz .LBB6_10214
; %bb.10211:                            ;   in Loop: Header=BB6_5830 Depth=4
	v_bfe_u32 v2, v26, 2, 5
	s_mov_b32 s76, exec_lo
	s_delay_alu instid0(VALU_DEP_1)
	v_cmpx_eq_u32_e32 0, v2
	s_cbranch_execz .LBB6_10213
; %bb.10212:                            ;   in Loop: Header=BB6_5830 Depth=4
	v_clz_i32_u32_e32 v1, v1
	s_delay_alu instid0(VALU_DEP_1) | instskip(SKIP_1) | instid1(VALU_DEP_2)
	v_min_u32_e32 v2, 32, v1
	v_mov_b32_e32 v1, v113
	v_subrev_nc_u32_e32 v26, 29, v2
	v_sub_nc_u32_e32 v2, 30, v2
	s_delay_alu instid0(VALU_DEP_2) | instskip(NEXT) | instid1(VALU_DEP_1)
	v_lshlrev_b64_e32 v[0:1], v26, v[0:1]
	v_and_b32_e32 v1, 3, v0
.LBB6_10213:                            ;   in Loop: Header=BB6_5830 Depth=4
	s_or_b32 exec_lo, exec_lo, s76
	v_lshlrev_b32_e32 v0, 16, v11
	s_delay_alu instid0(VALU_DEP_1) | instskip(NEXT) | instid1(VALU_DEP_1)
	v_and_b32_e32 v0, 0x80000000, v0
	v_lshl_add_u32 v0, v2, 23, v0
	s_delay_alu instid0(VALU_DEP_1) | instskip(NEXT) | instid1(VALU_DEP_1)
	v_lshl_or_b32 v0, v1, 21, v0
                                        ; implicit-def: $vgpr1
	v_add_nc_u32_e32 v2, 0x38000000, v0
.LBB6_10214:                            ;   in Loop: Header=BB6_5830 Depth=4
	s_and_not1_saveexec_b32 s76, s13
; %bb.10215:                            ;   in Loop: Header=BB6_5830 Depth=4
	v_cmp_lt_i16_e64 s13, -1, v11
	v_mov_b32_e32 v0, 0x7f800000
	v_cmp_eq_u32_e32 vcc_lo, 0, v1
	s_delay_alu instid0(VALU_DEP_2) | instskip(NEXT) | instid1(VALU_DEP_1)
	v_cndmask_b32_e64 v0, 0xff800000, v0, s13
	v_cndmask_b32_e32 v2, 0x7f800001, v0, vcc_lo
; %bb.10216:                            ;   in Loop: Header=BB6_5830 Depth=4
	s_or_b32 exec_lo, exec_lo, s76
.LBB6_10217:                            ;   in Loop: Header=BB6_5830 Depth=4
	s_delay_alu instid0(SALU_CYCLE_1)
	s_or_b32 exec_lo, exec_lo, s75
.LBB6_10218:                            ;   in Loop: Header=BB6_5830 Depth=4
	s_delay_alu instid0(SALU_CYCLE_1) | instskip(NEXT) | instid1(VALU_DEP_1)
	s_or_b32 exec_lo, exec_lo, s74
	v_dual_add_f32 v2, v3, v2 :: v_dual_mov_b32 v47, v113
	v_mov_b32_e32 v1, v113
                                        ; implicit-def: $vgpr26
	s_mov_b32 s13, exec_lo
	s_delay_alu instid0(VALU_DEP_2) | instskip(SKIP_2) | instid1(VALU_DEP_3)
	v_and_b32_e32 v46, 0x7f800000, v2
	v_and_b32_e32 v0, 0x7fffff, v2
	v_lshrrev_b32_e32 v3, 24, v2
	v_cmpx_ne_u64_e32 0x7f800000, v[46:47]
	s_xor_b32 s74, exec_lo, s13
	s_cbranch_execz .LBB6_10232
; %bb.10219:                            ;   in Loop: Header=BB6_5830 Depth=4
	v_and_b32_e32 v46, 0x7fffffff, v2
	v_mov_b32_e32 v47, v113
	v_and_b32_e32 v29, 0x80, v3
                                        ; implicit-def: $vgpr26
	s_mov_b32 s13, exec_lo
	s_delay_alu instid0(VALU_DEP_2)
	v_cmpx_gt_u64_e32 0x47600001, v[46:47]
	s_xor_b32 s75, exec_lo, s13
	s_cbranch_execz .LBB6_10229
; %bb.10220:                            ;   in Loop: Header=BB6_5830 Depth=4
	v_mov_b32_e32 v26, 0
	s_mov_b32 s76, exec_lo
	v_cmpx_ne_u32_e32 0, v2
	s_cbranch_execz .LBB6_10228
; %bb.10221:                            ;   in Loop: Header=BB6_5830 Depth=4
	v_bfe_u32 v26, v2, 23, 8
	v_or_b32_e32 v3, 0x800000, v0
	s_delay_alu instid0(VALU_DEP_2) | instskip(SKIP_2) | instid1(VALU_DEP_2)
	v_cmp_gt_u32_e64 s13, 0x72, v26
	v_sub_nc_u32_e32 v2, 0x71, v26
	v_cmp_eq_u32_e32 vcc_lo, 0, v26
	v_dual_cndmask_b32 v2, 0, v2, s13 :: v_dual_cndmask_b32 v0, v3, v0, vcc_lo
	s_delay_alu instid0(VALU_DEP_1) | instskip(NEXT) | instid1(VALU_DEP_1)
	v_cndmask_b32_e64 v33, v2, 0x70, vcc_lo
	v_dual_add_nc_u32 v2, 21, v33 :: v_dual_add_nc_u32 v37, 20, v33
	s_delay_alu instid0(VALU_DEP_1) | instskip(NEXT) | instid1(VALU_DEP_2)
	v_lshlrev_b64_e64 v[2:3], v2, -1
	v_lshlrev_b64_e64 v[46:47], v37, 1
	s_delay_alu instid0(VALU_DEP_2) | instskip(SKIP_1) | instid1(VALU_DEP_4)
	v_bfi_b32 v2, v2, 0, v0
	v_lshrrev_b64 v[0:1], v33, v[0:1]
	v_bfi_b32 v3, v3, 0, 0
	s_delay_alu instid0(VALU_DEP_1) | instskip(NEXT) | instid1(VALU_DEP_3)
	v_cmp_eq_u64_e64 s13, v[2:3], v[46:47]
	v_mov_b64_e32 v[2:3], v[0:1]
	s_and_saveexec_b32 s77, s13
; %bb.10222:                            ;   in Loop: Header=BB6_5830 Depth=4
	v_bfe_u32 v2, v0, 21, 1
	v_mov_b32_e32 v3, v113
	s_delay_alu instid0(VALU_DEP_1) | instskip(NEXT) | instid1(VALU_DEP_1)
	v_add_nc_u64_e32 v[2:3], v[0:1], v[2:3]
	v_add_nc_u64_e32 v[2:3], -1, v[2:3]
; %bb.10223:                            ;   in Loop: Header=BB6_5830 Depth=4
	s_or_b32 exec_lo, exec_lo, s77
	v_add_nc_u32_e32 v1, 0xffffff81, v26
	v_lshrrev_b32_e32 v3, 23, v0
	s_mov_b32 s13, exec_lo
	s_delay_alu instid0(VALU_DEP_2) | instskip(NEXT) | instid1(VALU_DEP_1)
	v_cndmask_b32_e64 v1, v1, 0xffffff82, vcc_lo
	v_add3_u32 v26, v33, v1, v3
	v_and_b32_e32 v1, 0x1fffff, v2
                                        ; implicit-def: $vgpr2
	s_delay_alu instid0(VALU_DEP_1) | instskip(SKIP_1) | instid1(VALU_DEP_2)
	v_dual_add_nc_u32 v3, 14, v26 :: v_dual_add_nc_u32 v0, v1, v0
	v_mov_b32_e32 v1, v113
	v_cmpx_ne_u32_e32 0, v3
	s_xor_b32 s13, exec_lo, s13
; %bb.10224:                            ;   in Loop: Header=BB6_5830 Depth=4
	s_delay_alu instid0(VALU_DEP_2) | instskip(SKIP_1) | instid1(VALU_DEP_1)
	v_cmp_lt_u64_e32 vcc_lo, 0xffffff, v[0:1]
	v_add_nc_u32_e32 v2, 15, v26
	v_cndmask_b32_e32 v2, v3, v2, vcc_lo
	v_cndmask_b32_e64 v3, 0, 1, vcc_lo
	s_delay_alu instid0(VALU_DEP_1)
	v_lshrrev_b64 v[0:1], v3, v[0:1]
; %bb.10225:                            ;   in Loop: Header=BB6_5830 Depth=4
	s_and_not1_saveexec_b32 s13, s13
; %bb.10226:                            ;   in Loop: Header=BB6_5830 Depth=4
	s_delay_alu instid0(VALU_DEP_1)
	v_bfe_u32 v2, v0, 23, 1
; %bb.10227:                            ;   in Loop: Header=BB6_5830 Depth=4
	s_or_b32 exec_lo, exec_lo, s13
	s_delay_alu instid0(VALU_DEP_2) | instskip(NEXT) | instid1(VALU_DEP_2)
	v_lshrrev_b64 v[0:1], 21, v[0:1]
	v_cmp_gt_i32_e32 vcc_lo, 32, v2
	v_min_i32_e32 v3, 31, v2
	v_cmp_eq_u32_e64 s13, 0, v2
	s_delay_alu instid0(VALU_DEP_2) | instskip(SKIP_1) | instid1(VALU_DEP_2)
	v_dual_cndmask_b32 v1, 0, v1, vcc_lo :: v_dual_lshlrev_b32 v3, 2, v3
	v_cndmask_b32_e32 v0, 3, v0, vcc_lo
	v_and_b32_e32 v3, 0xfc, v3
	s_delay_alu instid0(VALU_DEP_2) | instskip(NEXT) | instid1(VALU_DEP_2)
	v_cmp_eq_u64_e32 vcc_lo, 0, v[0:1]
	v_and_or_b32 v0, v0, 3, v3
	s_and_b32 s13, s13, vcc_lo
	s_delay_alu instid0(VALU_DEP_1) | instid1(SALU_CYCLE_1)
	v_cndmask_b32_e64 v0, v0, 0, s13
	s_delay_alu instid0(VALU_DEP_1)
	v_or_b32_e32 v26, v0, v29
.LBB6_10228:                            ;   in Loop: Header=BB6_5830 Depth=4
	s_or_b32 exec_lo, exec_lo, s76
                                        ; implicit-def: $vgpr29
.LBB6_10229:                            ;   in Loop: Header=BB6_5830 Depth=4
	s_and_not1_saveexec_b32 s13, s75
; %bb.10230:                            ;   in Loop: Header=BB6_5830 Depth=4
	v_or_b32_e32 v26, 0x7b, v29
; %bb.10231:                            ;   in Loop: Header=BB6_5830 Depth=4
	s_or_b32 exec_lo, exec_lo, s13
                                        ; implicit-def: $vgpr2
                                        ; implicit-def: $vgpr0_vgpr1
                                        ; implicit-def: $vgpr3
.LBB6_10232:                            ;   in Loop: Header=BB6_5830 Depth=4
	s_and_not1_saveexec_b32 s13, s74
	s_cbranch_execz .LBB6_10238
; %bb.10233:                            ;   in Loop: Header=BB6_5830 Depth=4
	s_mov_b32 s74, exec_lo
                                        ; implicit-def: $vgpr26
	v_cmpx_ne_u64_e32 0, v[0:1]
	s_xor_b32 s74, exec_lo, s74
; %bb.10234:                            ;   in Loop: Header=BB6_5830 Depth=4
	v_or_b32_e32 v26, 0x7f, v3
                                        ; implicit-def: $vgpr2
; %bb.10235:                            ;   in Loop: Header=BB6_5830 Depth=4
	s_and_not1_saveexec_b32 s74, s74
; %bb.10236:                            ;   in Loop: Header=BB6_5830 Depth=4
	v_cmp_lt_i32_e32 vcc_lo, -1, v2
	v_mov_b32_e32 v0, 0x7c
	s_delay_alu instid0(VALU_DEP_1)
	v_cndmask_b32_e32 v26, 0xfc, v0, vcc_lo
; %bb.10237:                            ;   in Loop: Header=BB6_5830 Depth=4
	s_or_b32 exec_lo, exec_lo, s74
.LBB6_10238:                            ;   in Loop: Header=BB6_5830 Depth=4
	s_delay_alu instid0(SALU_CYCLE_1) | instskip(SKIP_3) | instid1(VALU_DEP_2)
	s_or_b32 exec_lo, exec_lo, s13
	v_dual_mov_b32 v1, 0 :: v_dual_lshrrev_b32 v0, 16, v112
	v_mov_b32_e32 v2, 0
	s_mov_b32 s74, exec_lo
	v_and_b32_e32 v3, 0xff, v0
	s_delay_alu instid0(VALU_DEP_1)
	v_cmpx_ne_u16_e32 0, v3
	s_cbranch_execz .LBB6_10248
; %bb.10239:                            ;   in Loop: Header=BB6_5830 Depth=4
	v_bfrev_b32_e32 v2, 1
	s_mov_b32 s75, exec_lo
	v_cmpx_ne_u16_e32 0x80, v3
	s_cbranch_execz .LBB6_10247
; %bb.10240:                            ;   in Loop: Header=BB6_5830 Depth=4
	v_and_b32_e32 v2, 0x7c0000, v112
	v_bfe_u32 v3, v112, 16, 2
	s_delay_alu instid0(VALU_DEP_2) | instskip(SKIP_1) | instid1(SALU_CYCLE_1)
	v_cmp_ne_u32_e32 vcc_lo, 0x7c0000, v2
                                        ; implicit-def: $vgpr2
	s_and_saveexec_b32 s13, vcc_lo
	s_xor_b32 s13, exec_lo, s13
	s_cbranch_execz .LBB6_10244
; %bb.10241:                            ;   in Loop: Header=BB6_5830 Depth=4
	v_bfe_u32 v2, v112, 18, 5
	s_mov_b32 s76, exec_lo
	s_delay_alu instid0(VALU_DEP_1)
	v_cmpx_eq_u32_e32 0, v2
; %bb.10242:                            ;   in Loop: Header=BB6_5830 Depth=4
	v_clz_i32_u32_e32 v2, v3
	s_delay_alu instid0(VALU_DEP_1) | instskip(NEXT) | instid1(VALU_DEP_1)
	v_min_u32_e32 v2, 32, v2
	v_subrev_nc_u32_e32 v3, 29, v2
	v_sub_nc_u32_e32 v2, 30, v2
	s_delay_alu instid0(VALU_DEP_2) | instskip(NEXT) | instid1(VALU_DEP_1)
	v_lshlrev_b64_e32 v[46:47], v3, v[0:1]
	v_and_b32_e32 v3, 3, v46
; %bb.10243:                            ;   in Loop: Header=BB6_5830 Depth=4
	s_or_b32 exec_lo, exec_lo, s76
	v_lshlrev_b32_e32 v0, 24, v0
	s_delay_alu instid0(VALU_DEP_1) | instskip(NEXT) | instid1(VALU_DEP_1)
	v_and_b32_e32 v0, 0x80000000, v0
	v_lshl_add_u32 v0, v2, 23, v0
	s_delay_alu instid0(VALU_DEP_1) | instskip(NEXT) | instid1(VALU_DEP_1)
	v_lshl_or_b32 v0, v3, 21, v0
                                        ; implicit-def: $vgpr3
	v_add_nc_u32_e32 v2, 0x38000000, v0
                                        ; implicit-def: $vgpr0
.LBB6_10244:                            ;   in Loop: Header=BB6_5830 Depth=4
	s_and_not1_saveexec_b32 s76, s13
; %bb.10245:                            ;   in Loop: Header=BB6_5830 Depth=4
	v_bfe_i32 v0, v0, 0, 8
	v_cmp_eq_u32_e32 vcc_lo, 0, v3
	s_delay_alu instid0(VALU_DEP_2) | instskip(SKIP_1) | instid1(VALU_DEP_1)
	v_cmp_lt_i16_e64 s13, -1, v0
	v_mov_b32_e32 v0, 0x7f800000
	v_cndmask_b32_e64 v0, 0xff800000, v0, s13
	s_delay_alu instid0(VALU_DEP_1)
	v_cndmask_b32_e32 v2, 0x7f800001, v0, vcc_lo
; %bb.10246:                            ;   in Loop: Header=BB6_5830 Depth=4
	s_or_b32 exec_lo, exec_lo, s76
.LBB6_10247:                            ;   in Loop: Header=BB6_5830 Depth=4
	s_delay_alu instid0(SALU_CYCLE_1)
	s_or_b32 exec_lo, exec_lo, s75
.LBB6_10248:                            ;   in Loop: Header=BB6_5830 Depth=4
	s_delay_alu instid0(SALU_CYCLE_1) | instskip(SKIP_2) | instid1(VALU_DEP_1)
	s_or_b32 exec_lo, exec_lo, s74
	v_lshrrev_b32_e32 v0, 16, v11
	s_mov_b32 s74, exec_lo
	v_and_b32_e32 v3, 0xff, v0
	s_delay_alu instid0(VALU_DEP_1)
	v_cmpx_ne_u16_e32 0, v3
	s_cbranch_execz .LBB6_10258
; %bb.10249:                            ;   in Loop: Header=BB6_5830 Depth=4
	v_bfrev_b32_e32 v1, 1
	s_mov_b32 s75, exec_lo
	v_cmpx_ne_u16_e32 0x80, v3
	s_cbranch_execz .LBB6_10257
; %bb.10250:                            ;   in Loop: Header=BB6_5830 Depth=4
	v_and_b32_e32 v1, 0x7c0000, v11
	v_bfe_u32 v3, v11, 16, 2
	s_delay_alu instid0(VALU_DEP_2) | instskip(SKIP_1) | instid1(SALU_CYCLE_1)
	v_cmp_ne_u32_e32 vcc_lo, 0x7c0000, v1
                                        ; implicit-def: $vgpr1
	s_and_saveexec_b32 s13, vcc_lo
	s_xor_b32 s13, exec_lo, s13
	s_cbranch_execz .LBB6_10254
; %bb.10251:                            ;   in Loop: Header=BB6_5830 Depth=4
	v_bfe_u32 v1, v11, 18, 5
	s_mov_b32 s76, exec_lo
	s_delay_alu instid0(VALU_DEP_1)
	v_cmpx_eq_u32_e32 0, v1
; %bb.10252:                            ;   in Loop: Header=BB6_5830 Depth=4
	v_clz_i32_u32_e32 v1, v3
	s_delay_alu instid0(VALU_DEP_1) | instskip(NEXT) | instid1(VALU_DEP_1)
	v_min_u32_e32 v1, 32, v1
	v_subrev_nc_u32_e32 v3, 29, v1
	s_delay_alu instid0(VALU_DEP_1) | instskip(NEXT) | instid1(VALU_DEP_1)
	v_lshlrev_b64_e32 v[46:47], v3, v[0:1]
	v_dual_sub_nc_u32 v1, 30, v1 :: v_dual_bitop2_b32 v3, 3, v46 bitop3:0x40
; %bb.10253:                            ;   in Loop: Header=BB6_5830 Depth=4
	s_or_b32 exec_lo, exec_lo, s76
	v_lshlrev_b32_e32 v0, 24, v0
	s_delay_alu instid0(VALU_DEP_1) | instskip(NEXT) | instid1(VALU_DEP_1)
	v_and_b32_e32 v0, 0x80000000, v0
	v_lshl_add_u32 v0, v1, 23, v0
	s_delay_alu instid0(VALU_DEP_1) | instskip(NEXT) | instid1(VALU_DEP_1)
	v_lshl_or_b32 v0, v3, 21, v0
                                        ; implicit-def: $vgpr3
	v_add_nc_u32_e32 v1, 0x38000000, v0
                                        ; implicit-def: $vgpr0
.LBB6_10254:                            ;   in Loop: Header=BB6_5830 Depth=4
	s_and_not1_saveexec_b32 s76, s13
; %bb.10255:                            ;   in Loop: Header=BB6_5830 Depth=4
	v_bfe_i32 v0, v0, 0, 8
	v_cmp_eq_u32_e32 vcc_lo, 0, v3
	s_delay_alu instid0(VALU_DEP_2) | instskip(SKIP_1) | instid1(VALU_DEP_1)
	v_cmp_lt_i16_e64 s13, -1, v0
	v_mov_b32_e32 v0, 0x7f800000
	v_cndmask_b32_e64 v0, 0xff800000, v0, s13
	s_delay_alu instid0(VALU_DEP_1)
	v_cndmask_b32_e32 v1, 0x7f800001, v0, vcc_lo
; %bb.10256:                            ;   in Loop: Header=BB6_5830 Depth=4
	s_or_b32 exec_lo, exec_lo, s76
.LBB6_10257:                            ;   in Loop: Header=BB6_5830 Depth=4
	s_delay_alu instid0(SALU_CYCLE_1)
	s_or_b32 exec_lo, exec_lo, s75
.LBB6_10258:                            ;   in Loop: Header=BB6_5830 Depth=4
	s_delay_alu instid0(SALU_CYCLE_1) | instskip(NEXT) | instid1(VALU_DEP_1)
	s_or_b32 exec_lo, exec_lo, s74
	v_dual_add_f32 v2, v2, v1 :: v_dual_mov_b32 v47, v113
	v_mov_b32_e32 v1, v113
                                        ; implicit-def: $vgpr29
	s_mov_b32 s13, exec_lo
	s_delay_alu instid0(VALU_DEP_2) | instskip(SKIP_2) | instid1(VALU_DEP_3)
	v_and_b32_e32 v46, 0x7f800000, v2
	v_and_b32_e32 v0, 0x7fffff, v2
	v_lshrrev_b32_e32 v3, 24, v2
	v_cmpx_ne_u64_e32 0x7f800000, v[46:47]
	s_xor_b32 s74, exec_lo, s13
	s_cbranch_execz .LBB6_10272
; %bb.10259:                            ;   in Loop: Header=BB6_5830 Depth=4
	v_and_b32_e32 v46, 0x7fffffff, v2
	v_mov_b32_e32 v47, v113
	v_and_b32_e32 v33, 0x80, v3
                                        ; implicit-def: $vgpr29
	s_mov_b32 s13, exec_lo
	s_delay_alu instid0(VALU_DEP_2)
	v_cmpx_gt_u64_e32 0x47600001, v[46:47]
	s_xor_b32 s75, exec_lo, s13
	s_cbranch_execz .LBB6_10269
; %bb.10260:                            ;   in Loop: Header=BB6_5830 Depth=4
	v_mov_b32_e32 v29, 0
	s_mov_b32 s76, exec_lo
	v_cmpx_ne_u32_e32 0, v2
	s_cbranch_execz .LBB6_10268
; %bb.10261:                            ;   in Loop: Header=BB6_5830 Depth=4
	v_bfe_u32 v29, v2, 23, 8
	v_or_b32_e32 v3, 0x800000, v0
	s_delay_alu instid0(VALU_DEP_2) | instskip(SKIP_2) | instid1(VALU_DEP_2)
	v_cmp_gt_u32_e64 s13, 0x72, v29
	v_sub_nc_u32_e32 v2, 0x71, v29
	v_cmp_eq_u32_e32 vcc_lo, 0, v29
	v_dual_cndmask_b32 v2, 0, v2, s13 :: v_dual_cndmask_b32 v0, v3, v0, vcc_lo
	s_delay_alu instid0(VALU_DEP_1) | instskip(NEXT) | instid1(VALU_DEP_1)
	v_cndmask_b32_e64 v37, v2, 0x70, vcc_lo
	v_dual_add_nc_u32 v2, 21, v37 :: v_dual_add_nc_u32 v50, 20, v37
	s_delay_alu instid0(VALU_DEP_1) | instskip(NEXT) | instid1(VALU_DEP_2)
	v_lshlrev_b64_e64 v[2:3], v2, -1
	v_lshlrev_b64_e64 v[46:47], v50, 1
	s_delay_alu instid0(VALU_DEP_2) | instskip(SKIP_1) | instid1(VALU_DEP_4)
	v_bfi_b32 v2, v2, 0, v0
	v_lshrrev_b64 v[0:1], v37, v[0:1]
	v_bfi_b32 v3, v3, 0, 0
	s_delay_alu instid0(VALU_DEP_1) | instskip(NEXT) | instid1(VALU_DEP_3)
	v_cmp_eq_u64_e64 s13, v[2:3], v[46:47]
	v_mov_b64_e32 v[2:3], v[0:1]
	s_and_saveexec_b32 s77, s13
; %bb.10262:                            ;   in Loop: Header=BB6_5830 Depth=4
	v_bfe_u32 v2, v0, 21, 1
	v_mov_b32_e32 v3, v113
	s_delay_alu instid0(VALU_DEP_1) | instskip(NEXT) | instid1(VALU_DEP_1)
	v_add_nc_u64_e32 v[2:3], v[0:1], v[2:3]
	v_add_nc_u64_e32 v[2:3], -1, v[2:3]
; %bb.10263:                            ;   in Loop: Header=BB6_5830 Depth=4
	s_or_b32 exec_lo, exec_lo, s77
	v_add_nc_u32_e32 v1, 0xffffff81, v29
	v_lshrrev_b32_e32 v3, 23, v0
	s_mov_b32 s13, exec_lo
	s_delay_alu instid0(VALU_DEP_2) | instskip(NEXT) | instid1(VALU_DEP_1)
	v_cndmask_b32_e64 v1, v1, 0xffffff82, vcc_lo
	v_add3_u32 v29, v37, v1, v3
	v_and_b32_e32 v1, 0x1fffff, v2
                                        ; implicit-def: $vgpr2
	s_delay_alu instid0(VALU_DEP_1) | instskip(SKIP_1) | instid1(VALU_DEP_2)
	v_dual_add_nc_u32 v3, 14, v29 :: v_dual_add_nc_u32 v0, v1, v0
	v_mov_b32_e32 v1, v113
	v_cmpx_ne_u32_e32 0, v3
	s_xor_b32 s13, exec_lo, s13
; %bb.10264:                            ;   in Loop: Header=BB6_5830 Depth=4
	s_delay_alu instid0(VALU_DEP_2) | instskip(SKIP_1) | instid1(VALU_DEP_1)
	v_cmp_lt_u64_e32 vcc_lo, 0xffffff, v[0:1]
	v_add_nc_u32_e32 v2, 15, v29
	v_cndmask_b32_e32 v2, v3, v2, vcc_lo
	v_cndmask_b32_e64 v3, 0, 1, vcc_lo
	s_delay_alu instid0(VALU_DEP_1)
	v_lshrrev_b64 v[0:1], v3, v[0:1]
; %bb.10265:                            ;   in Loop: Header=BB6_5830 Depth=4
	s_and_not1_saveexec_b32 s13, s13
; %bb.10266:                            ;   in Loop: Header=BB6_5830 Depth=4
	s_delay_alu instid0(VALU_DEP_1)
	v_bfe_u32 v2, v0, 23, 1
; %bb.10267:                            ;   in Loop: Header=BB6_5830 Depth=4
	s_or_b32 exec_lo, exec_lo, s13
	s_delay_alu instid0(VALU_DEP_2) | instskip(NEXT) | instid1(VALU_DEP_2)
	v_lshrrev_b64 v[0:1], 21, v[0:1]
	v_cmp_gt_i32_e32 vcc_lo, 32, v2
	v_min_i32_e32 v3, 31, v2
	v_cmp_eq_u32_e64 s13, 0, v2
	s_delay_alu instid0(VALU_DEP_2) | instskip(SKIP_1) | instid1(VALU_DEP_2)
	v_dual_cndmask_b32 v1, 0, v1, vcc_lo :: v_dual_lshlrev_b32 v3, 2, v3
	v_cndmask_b32_e32 v0, 3, v0, vcc_lo
	v_and_b32_e32 v3, 0xfc, v3
	s_delay_alu instid0(VALU_DEP_2) | instskip(NEXT) | instid1(VALU_DEP_2)
	v_cmp_eq_u64_e32 vcc_lo, 0, v[0:1]
	v_and_or_b32 v0, v0, 3, v3
	s_and_b32 s13, s13, vcc_lo
	s_delay_alu instid0(VALU_DEP_1) | instid1(SALU_CYCLE_1)
	v_cndmask_b32_e64 v0, v0, 0, s13
	s_delay_alu instid0(VALU_DEP_1)
	v_or_b32_e32 v29, v0, v33
.LBB6_10268:                            ;   in Loop: Header=BB6_5830 Depth=4
	s_or_b32 exec_lo, exec_lo, s76
                                        ; implicit-def: $vgpr33
.LBB6_10269:                            ;   in Loop: Header=BB6_5830 Depth=4
	s_and_not1_saveexec_b32 s13, s75
; %bb.10270:                            ;   in Loop: Header=BB6_5830 Depth=4
	v_or_b32_e32 v29, 0x7b, v33
; %bb.10271:                            ;   in Loop: Header=BB6_5830 Depth=4
	s_or_b32 exec_lo, exec_lo, s13
                                        ; implicit-def: $vgpr2
                                        ; implicit-def: $vgpr0_vgpr1
                                        ; implicit-def: $vgpr3
.LBB6_10272:                            ;   in Loop: Header=BB6_5830 Depth=4
	s_and_not1_saveexec_b32 s13, s74
	s_cbranch_execz .LBB6_10278
; %bb.10273:                            ;   in Loop: Header=BB6_5830 Depth=4
	s_mov_b32 s74, exec_lo
                                        ; implicit-def: $vgpr29
	v_cmpx_ne_u64_e32 0, v[0:1]
	s_xor_b32 s74, exec_lo, s74
; %bb.10274:                            ;   in Loop: Header=BB6_5830 Depth=4
	v_or_b32_e32 v29, 0x7f, v3
                                        ; implicit-def: $vgpr2
; %bb.10275:                            ;   in Loop: Header=BB6_5830 Depth=4
	s_and_not1_saveexec_b32 s74, s74
; %bb.10276:                            ;   in Loop: Header=BB6_5830 Depth=4
	v_cmp_lt_i32_e32 vcc_lo, -1, v2
	v_mov_b32_e32 v0, 0x7c
	s_delay_alu instid0(VALU_DEP_1)
	v_cndmask_b32_e32 v29, 0xfc, v0, vcc_lo
; %bb.10277:                            ;   in Loop: Header=BB6_5830 Depth=4
	s_or_b32 exec_lo, exec_lo, s74
.LBB6_10278:                            ;   in Loop: Header=BB6_5830 Depth=4
	s_delay_alu instid0(SALU_CYCLE_1)
	s_or_b32 exec_lo, exec_lo, s13
	v_dual_mov_b32 v1, 0 :: v_dual_mov_b32 v2, 0
	s_mov_b32 s74, exec_lo
	v_cmpx_lt_u32_e32 0xffffff, v112
	s_cbranch_execz .LBB6_10288
; %bb.10279:                            ;   in Loop: Header=BB6_5830 Depth=4
	v_lshrrev_b32_e32 v0, 24, v112
	v_bfrev_b32_e32 v2, 1
	s_mov_b32 s75, exec_lo
	s_delay_alu instid0(VALU_DEP_2)
	v_cmpx_ne_u32_e32 0x80, v0
	s_cbranch_execz .LBB6_10287
; %bb.10280:                            ;   in Loop: Header=BB6_5830 Depth=4
	v_and_b32_e32 v2, 0x7c000000, v112
	v_bfe_u32 v3, v112, 24, 2
	s_delay_alu instid0(VALU_DEP_2) | instskip(SKIP_1) | instid1(SALU_CYCLE_1)
	v_cmp_ne_u32_e32 vcc_lo, 0x7c000000, v2
                                        ; implicit-def: $vgpr2
	s_and_saveexec_b32 s13, vcc_lo
	s_xor_b32 s13, exec_lo, s13
	s_cbranch_execz .LBB6_10284
; %bb.10281:                            ;   in Loop: Header=BB6_5830 Depth=4
	v_bfe_u32 v2, v112, 26, 5
	s_mov_b32 s76, exec_lo
	s_delay_alu instid0(VALU_DEP_1)
	v_cmpx_eq_u32_e32 0, v2
; %bb.10282:                            ;   in Loop: Header=BB6_5830 Depth=4
	v_clz_i32_u32_e32 v2, v3
	s_delay_alu instid0(VALU_DEP_1) | instskip(NEXT) | instid1(VALU_DEP_1)
	v_min_u32_e32 v2, 32, v2
	v_subrev_nc_u32_e32 v3, 29, v2
	v_sub_nc_u32_e32 v2, 30, v2
	s_delay_alu instid0(VALU_DEP_2) | instskip(NEXT) | instid1(VALU_DEP_1)
	v_lshlrev_b64_e32 v[46:47], v3, v[0:1]
	v_and_b32_e32 v3, 3, v46
; %bb.10283:                            ;   in Loop: Header=BB6_5830 Depth=4
	s_or_b32 exec_lo, exec_lo, s76
	v_and_b32_e32 v0, 0x80000000, v112
	s_delay_alu instid0(VALU_DEP_1) | instskip(NEXT) | instid1(VALU_DEP_1)
	v_lshl_add_u32 v0, v2, 23, v0
	v_lshl_or_b32 v0, v3, 21, v0
                                        ; implicit-def: $vgpr3
	s_delay_alu instid0(VALU_DEP_1)
	v_add_nc_u32_e32 v2, 0x38000000, v0
.LBB6_10284:                            ;   in Loop: Header=BB6_5830 Depth=4
	s_and_not1_saveexec_b32 s76, s13
; %bb.10285:                            ;   in Loop: Header=BB6_5830 Depth=4
	v_cmp_lt_i32_e64 s13, -1, v112
	v_mov_b32_e32 v0, 0x7f800000
	v_cmp_eq_u32_e32 vcc_lo, 0, v3
	s_delay_alu instid0(VALU_DEP_2) | instskip(NEXT) | instid1(VALU_DEP_1)
	v_cndmask_b32_e64 v0, 0xff800000, v0, s13
	v_cndmask_b32_e32 v2, 0x7f800001, v0, vcc_lo
; %bb.10286:                            ;   in Loop: Header=BB6_5830 Depth=4
	s_or_b32 exec_lo, exec_lo, s76
.LBB6_10287:                            ;   in Loop: Header=BB6_5830 Depth=4
	s_delay_alu instid0(SALU_CYCLE_1)
	s_or_b32 exec_lo, exec_lo, s75
.LBB6_10288:                            ;   in Loop: Header=BB6_5830 Depth=4
	s_delay_alu instid0(SALU_CYCLE_1) | instskip(NEXT) | instid1(SALU_CYCLE_1)
	s_or_b32 exec_lo, exec_lo, s74
	s_mov_b32 s74, exec_lo
	v_cmpx_lt_u64_e64 s[22:23], v[10:11]
	s_cbranch_execz .LBB6_10298
; %bb.10289:                            ;   in Loop: Header=BB6_5830 Depth=4
	v_lshrrev_b32_e32 v0, 24, v11
	v_bfrev_b32_e32 v1, 1
	s_mov_b32 s75, exec_lo
	s_delay_alu instid0(VALU_DEP_2)
	v_cmpx_ne_u32_e32 0x80, v0
	s_cbranch_execz .LBB6_10297
; %bb.10290:                            ;   in Loop: Header=BB6_5830 Depth=4
	v_and_b32_e32 v1, 0x7c000000, v11
	v_bfe_u32 v3, v11, 24, 2
	s_delay_alu instid0(VALU_DEP_2) | instskip(SKIP_1) | instid1(SALU_CYCLE_1)
	v_cmp_ne_u32_e32 vcc_lo, 0x7c000000, v1
                                        ; implicit-def: $vgpr1
	s_and_saveexec_b32 s13, vcc_lo
	s_xor_b32 s13, exec_lo, s13
	s_cbranch_execz .LBB6_10294
; %bb.10291:                            ;   in Loop: Header=BB6_5830 Depth=4
	v_bfe_u32 v1, v11, 26, 5
	s_mov_b32 s76, exec_lo
	s_delay_alu instid0(VALU_DEP_1)
	v_cmpx_eq_u32_e32 0, v1
; %bb.10292:                            ;   in Loop: Header=BB6_5830 Depth=4
	v_clz_i32_u32_e32 v1, v3
	s_delay_alu instid0(VALU_DEP_1) | instskip(NEXT) | instid1(VALU_DEP_1)
	v_min_u32_e32 v3, 32, v1
	v_subrev_nc_u32_e32 v1, 29, v3
	s_delay_alu instid0(VALU_DEP_1) | instskip(NEXT) | instid1(VALU_DEP_1)
	v_lshlrev_b64_e32 v[0:1], v1, v[0:1]
	v_dual_sub_nc_u32 v1, 30, v3 :: v_dual_bitop2_b32 v3, 3, v0 bitop3:0x40
; %bb.10293:                            ;   in Loop: Header=BB6_5830 Depth=4
	s_or_b32 exec_lo, exec_lo, s76
	v_and_b32_e32 v0, 0x80000000, v11
                                        ; implicit-def: $vgpr10_vgpr11
	s_delay_alu instid0(VALU_DEP_1) | instskip(NEXT) | instid1(VALU_DEP_1)
	v_lshl_add_u32 v0, v1, 23, v0
	v_lshl_or_b32 v0, v3, 21, v0
                                        ; implicit-def: $vgpr3
	s_delay_alu instid0(VALU_DEP_1)
	v_add_nc_u32_e32 v1, 0x38000000, v0
.LBB6_10294:                            ;   in Loop: Header=BB6_5830 Depth=4
	s_and_not1_saveexec_b32 s76, s13
; %bb.10295:                            ;   in Loop: Header=BB6_5830 Depth=4
	v_cmp_lt_i64_e64 s13, -1, v[10:11]
	v_mov_b32_e32 v0, 0x7f800000
	v_cmp_eq_u32_e32 vcc_lo, 0, v3
	s_delay_alu instid0(VALU_DEP_2) | instskip(NEXT) | instid1(VALU_DEP_1)
	v_cndmask_b32_e64 v0, 0xff800000, v0, s13
	v_cndmask_b32_e32 v1, 0x7f800001, v0, vcc_lo
; %bb.10296:                            ;   in Loop: Header=BB6_5830 Depth=4
	s_or_b32 exec_lo, exec_lo, s76
.LBB6_10297:                            ;   in Loop: Header=BB6_5830 Depth=4
	s_delay_alu instid0(SALU_CYCLE_1)
	s_or_b32 exec_lo, exec_lo, s75
.LBB6_10298:                            ;   in Loop: Header=BB6_5830 Depth=4
	s_delay_alu instid0(SALU_CYCLE_1) | instskip(NEXT) | instid1(VALU_DEP_1)
	s_or_b32 exec_lo, exec_lo, s74
	v_dual_add_f32 v1, v2, v1 :: v_dual_mov_b32 v3, v113
                                        ; implicit-def: $vgpr0
	s_delay_alu instid0(VALU_DEP_1) | instskip(SKIP_1) | instid1(VALU_DEP_2)
	v_and_b32_e32 v2, 0x7f800000, v1
	v_and_b32_e32 v112, 0x7fffff, v1
	v_cmp_ne_u64_e32 vcc_lo, 0x7f800000, v[2:3]
	v_lshrrev_b32_e32 v2, 24, v1
	s_and_saveexec_b32 s13, vcc_lo
	s_delay_alu instid0(SALU_CYCLE_1)
	s_xor_b32 s74, exec_lo, s13
	s_cbranch_execz .LBB6_10312
; %bb.10299:                            ;   in Loop: Header=BB6_5830 Depth=4
	v_and_b32_e32 v10, 0x7fffffff, v1
	v_mov_b32_e32 v11, v113
                                        ; implicit-def: $vgpr0
	s_delay_alu instid0(VALU_DEP_1) | instskip(SKIP_2) | instid1(SALU_CYCLE_1)
	v_cmp_gt_u64_e32 vcc_lo, 0x47600001, v[10:11]
	v_and_b32_e32 v10, 0x80, v2
	s_and_saveexec_b32 s13, vcc_lo
	s_xor_b32 s75, exec_lo, s13
	s_cbranch_execz .LBB6_10309
; %bb.10300:                            ;   in Loop: Header=BB6_5830 Depth=4
	v_mov_b32_e32 v0, 0
	s_mov_b32 s76, exec_lo
	v_cmpx_ne_u32_e32 0, v1
	s_cbranch_execz .LBB6_10308
; %bb.10301:                            ;   in Loop: Header=BB6_5830 Depth=4
	v_bfe_u32 v11, v1, 23, 8
	v_or_b32_e32 v1, 0x800000, v112
	s_delay_alu instid0(VALU_DEP_2) | instskip(SKIP_2) | instid1(VALU_DEP_2)
	v_cmp_gt_u32_e64 s13, 0x72, v11
	v_sub_nc_u32_e32 v0, 0x71, v11
	v_cmp_eq_u32_e32 vcc_lo, 0, v11
	v_cndmask_b32_e64 v0, 0, v0, s13
	s_delay_alu instid0(VALU_DEP_1) | instskip(SKIP_1) | instid1(VALU_DEP_2)
	v_cndmask_b32_e64 v33, v0, 0x70, vcc_lo
	v_cndmask_b32_e32 v0, v1, v112, vcc_lo
	v_dual_mov_b32 v1, v113 :: v_dual_add_nc_u32 v2, 21, v33
	v_add_nc_u32_e32 v37, 20, v33
	s_delay_alu instid0(VALU_DEP_2) | instskip(NEXT) | instid1(VALU_DEP_2)
	v_lshlrev_b64_e64 v[2:3], v2, -1
	v_lshlrev_b64_e64 v[46:47], v37, 1
	s_delay_alu instid0(VALU_DEP_2) | instskip(SKIP_1) | instid1(VALU_DEP_4)
	v_bfi_b32 v2, v2, 0, v0
	v_lshrrev_b64 v[0:1], v33, v[0:1]
	v_bfi_b32 v3, v3, 0, 0
	s_delay_alu instid0(VALU_DEP_1) | instskip(NEXT) | instid1(VALU_DEP_3)
	v_cmp_eq_u64_e64 s13, v[2:3], v[46:47]
	v_mov_b64_e32 v[2:3], v[0:1]
	s_and_saveexec_b32 s77, s13
; %bb.10302:                            ;   in Loop: Header=BB6_5830 Depth=4
	v_bfe_u32 v2, v0, 21, 1
	v_mov_b32_e32 v3, v113
	s_delay_alu instid0(VALU_DEP_1) | instskip(NEXT) | instid1(VALU_DEP_1)
	v_add_nc_u64_e32 v[2:3], v[0:1], v[2:3]
	v_add_nc_u64_e32 v[2:3], -1, v[2:3]
; %bb.10303:                            ;   in Loop: Header=BB6_5830 Depth=4
	s_or_b32 exec_lo, exec_lo, s77
	v_add_nc_u32_e32 v1, 0xffffff81, v11
	s_delay_alu instid0(VALU_DEP_2) | instskip(SKIP_2) | instid1(VALU_DEP_3)
	v_and_b32_e32 v2, 0x1fffff, v2
	v_lshrrev_b32_e32 v3, 23, v0
	s_mov_b32 s13, exec_lo
	v_cndmask_b32_e64 v1, v1, 0xffffff82, vcc_lo
	s_delay_alu instid0(VALU_DEP_3) | instskip(NEXT) | instid1(VALU_DEP_2)
	v_add_nc_u32_e32 v112, v2, v0
                                        ; implicit-def: $vgpr2
	v_add3_u32 v11, v33, v1, v3
                                        ; implicit-def: $vgpr0_vgpr1
	s_delay_alu instid0(VALU_DEP_1) | instskip(NEXT) | instid1(VALU_DEP_1)
	v_add_nc_u32_e32 v3, 14, v11
	v_cmpx_ne_u32_e32 0, v3
	s_xor_b32 s13, exec_lo, s13
; %bb.10304:                            ;   in Loop: Header=BB6_5830 Depth=4
	v_cmp_lt_u64_e32 vcc_lo, 0xffffff, v[112:113]
	v_add_nc_u32_e32 v0, 15, v11
	s_delay_alu instid0(VALU_DEP_1) | instskip(SKIP_1) | instid1(VALU_DEP_1)
	v_cndmask_b32_e32 v2, v3, v0, vcc_lo
	v_cndmask_b32_e64 v0, 0, 1, vcc_lo
	v_lshrrev_b64 v[0:1], v0, v[112:113]
; %bb.10305:                            ;   in Loop: Header=BB6_5830 Depth=4
	s_and_not1_saveexec_b32 s13, s13
; %bb.10306:                            ;   in Loop: Header=BB6_5830 Depth=4
	v_mov_b64_e32 v[0:1], v[112:113]
	v_bfe_u32 v2, v112, 23, 1
; %bb.10307:                            ;   in Loop: Header=BB6_5830 Depth=4
	s_or_b32 exec_lo, exec_lo, s13
	s_delay_alu instid0(VALU_DEP_2) | instskip(NEXT) | instid1(VALU_DEP_2)
	v_lshrrev_b64 v[0:1], 21, v[0:1]
	v_cmp_gt_i32_e32 vcc_lo, 32, v2
	v_min_i32_e32 v3, 31, v2
	v_cmp_eq_u32_e64 s13, 0, v2
	s_delay_alu instid0(VALU_DEP_2) | instskip(SKIP_1) | instid1(VALU_DEP_2)
	v_dual_cndmask_b32 v1, 0, v1, vcc_lo :: v_dual_lshlrev_b32 v3, 2, v3
	v_cndmask_b32_e32 v0, 3, v0, vcc_lo
	v_and_b32_e32 v3, 0xfc, v3
	s_delay_alu instid0(VALU_DEP_2) | instskip(NEXT) | instid1(VALU_DEP_2)
	v_cmp_eq_u64_e32 vcc_lo, 0, v[0:1]
	v_and_or_b32 v0, v0, 3, v3
	s_and_b32 s13, s13, vcc_lo
	s_delay_alu instid0(VALU_DEP_1) | instid1(SALU_CYCLE_1)
	v_cndmask_b32_e64 v0, v0, 0, s13
	s_delay_alu instid0(VALU_DEP_1)
	v_or_b32_e32 v0, v0, v10
.LBB6_10308:                            ;   in Loop: Header=BB6_5830 Depth=4
	s_or_b32 exec_lo, exec_lo, s76
                                        ; implicit-def: $vgpr10
.LBB6_10309:                            ;   in Loop: Header=BB6_5830 Depth=4
	s_and_not1_saveexec_b32 s13, s75
; %bb.10310:                            ;   in Loop: Header=BB6_5830 Depth=4
	v_or_b32_e32 v0, 0x7b, v10
; %bb.10311:                            ;   in Loop: Header=BB6_5830 Depth=4
	s_or_b32 exec_lo, exec_lo, s13
                                        ; implicit-def: $vgpr1
                                        ; implicit-def: $vgpr2
.LBB6_10312:                            ;   in Loop: Header=BB6_5830 Depth=4
	s_and_not1_saveexec_b32 s13, s74
	s_cbranch_execz .LBB6_5829
; %bb.10313:                            ;   in Loop: Header=BB6_5830 Depth=4
	s_mov_b32 s74, exec_lo
                                        ; implicit-def: $vgpr0
	v_cmpx_ne_u64_e32 0, v[112:113]
	s_xor_b32 s74, exec_lo, s74
; %bb.10314:                            ;   in Loop: Header=BB6_5830 Depth=4
	v_or_b32_e32 v0, 0x7f, v2
                                        ; implicit-def: $vgpr1
; %bb.10315:                            ;   in Loop: Header=BB6_5830 Depth=4
	s_and_not1_saveexec_b32 s74, s74
	s_cbranch_execz .LBB6_5828
; %bb.10316:                            ;   in Loop: Header=BB6_5830 Depth=4
	v_cmp_lt_i32_e32 vcc_lo, -1, v1
	v_mov_b32_e32 v0, 0x7c
	s_delay_alu instid0(VALU_DEP_1)
	v_cndmask_b32_e32 v0, 0xfc, v0, vcc_lo
	s_branch .LBB6_5828
.LBB6_10317:                            ;   in Loop: Header=BB6_5746 Depth=3
	s_or_b32 exec_lo, exec_lo, s15
	scratch_load_b32 v61, off, s33 offset:432 ; 4-byte Folded Reload
	v_mov_b32_e32 v63, v78
.LBB6_10318:                            ;   in Loop: Header=BB6_5746 Depth=3
	s_wait_xcnt 0x0
	s_or_b32 exec_lo, exec_lo, s14
	v_dual_lshlrev_b32 v16, 11, v5 :: v_dual_mov_b32 v8, 0
	s_mov_b32 s13, 0
	s_mov_b32 s15, exec_lo
                                        ; implicit-def: $vgpr3
                                        ; implicit-def: $vgpr5
	s_delay_alu instid0(VALU_DEP_1)
	v_cmpx_ne_u32_e64 v63, v16
	s_cbranch_execz .LBB6_11388
; %bb.10319:                            ;   in Loop: Header=BB6_5746 Depth=3
	scratch_load_b32 v1, off, s33 offset:504 ; 4-byte Folded Reload
	v_lshlrev_b32_e32 v0, 5, v4
	v_sub_nc_u32_e32 v2, v63, v16
	s_mov_b32 s72, exec_lo
	s_delay_alu instid0(VALU_DEP_1) | instskip(SKIP_1) | instid1(VALU_DEP_1)
	v_ashrrev_i32_e32 v3, 31, v2
	s_wait_loadcnt 0x0
	v_dual_lshrrev_b32 v3, 23, v3 :: v_dual_sub_nc_u32 v0, v1, v0
	s_delay_alu instid0(VALU_DEP_1) | instskip(NEXT) | instid1(VALU_DEP_1)
	v_ashrrev_i32_e32 v1, 31, v0
	v_lshrrev_b32_e32 v1, 27, v1
	s_delay_alu instid0(VALU_DEP_1) | instskip(NEXT) | instid1(VALU_DEP_1)
	v_add_nc_u32_e32 v1, v0, v1
	v_and_b32_e32 v4, 0xffffffe0, v1
	s_delay_alu instid0(VALU_DEP_1) | instskip(NEXT) | instid1(VALU_DEP_1)
	v_dual_add_nc_u32 v3, v2, v3 :: v_dual_sub_nc_u32 v17, v0, v4
	v_and_b32_e32 v18, 0xfffffe00, v3
	v_dual_ashrrev_i32 v1, 5, v1 :: v_dual_ashrrev_i32 v3, 9, v3
	s_delay_alu instid0(VALU_DEP_2) | instskip(NEXT) | instid1(VALU_DEP_1)
	v_dual_lshlrev_b32 v0, 4, v17 :: v_dual_sub_nc_u32 v19, v2, v18
	v_lshl_add_u32 v0, v1, 9, v0
	s_delay_alu instid0(VALU_DEP_2) | instskip(NEXT) | instid1(VALU_DEP_1)
	v_cmp_lt_i32_e64 s13, 15, v19
	v_add_co_ci_u32_e64 v3, null, 0, v3, s13
	s_delay_alu instid0(VALU_DEP_1) | instskip(SKIP_1) | instid1(VALU_DEP_1)
	v_dual_sub_nc_u32 v21, v2, v0 :: v_dual_sub_nc_u32 v20, v3, v1
	s_wait_xcnt 0x0
	v_cmpx_lt_i32_e32 15, v21
	s_cbranch_execz .LBB6_11387
; %bb.10320:                            ;   in Loop: Header=BB6_5746 Depth=3
	s_trap 2
	ds_load_b64 v[2:3], v0
	v_add_nc_u32_e32 v0, v0, v16
	s_delay_alu instid0(VALU_DEP_1) | instskip(NEXT) | instid1(VALU_DEP_1)
	v_ashrrev_i32_e32 v1, 31, v0
	v_add_nc_u64_e32 v[4:5], v[0:1], v[56:57]
	v_add_nc_u64_e32 v[12:13], v[0:1], v[58:59]
	s_wait_dscnt 0x0
	v_readfirstlane_b32 s74, v2
	v_readfirstlane_b32 s75, v3
	v_add_nc_u64_e32 v[14:15], v[2:3], v[0:1]
	s_and_b32 s73, s74, 3
	s_bfe_i32 s14, s74, 0x80000
	s_clz_i32_u32 s78, s73
	s_bfe_u32 s76, s74, 0x50002
	s_min_u32 s78, s78, 32
	s_and_b32 s77, s74, 0x7c
	s_sub_co_i32 s89, s78, 29
	s_lshl_b32 s79, s74, 24
	s_sext_i32_i8 s88, s74
	s_lshl_b64 s[74:75], s[74:75], s89
	s_and_b32 s79, s79, 0x80000000
	s_sub_co_i32 s75, 30, s78
	s_and_b32 s74, s74, 3
	s_cmp_gt_i32 s88, -1
	s_cselect_b32 s78, s47, 0xff800000
	s_cmp_eq_u32 s73, 0
	s_cselect_b32 s78, s78, 0x7f800001
	s_cmp_eq_u32 s76, 0
	s_cselect_b32 s75, s75, s76
	s_cselect_b32 s73, s74, s73
	s_lshl_b32 s74, s75, 23
	s_lshl_b32 s73, s73, 21
	s_add_co_i32 s74, s74, s79
	s_delay_alu instid0(SALU_CYCLE_1) | instskip(NEXT) | instid1(SALU_CYCLE_1)
	s_or_b32 s73, s74, s73
	s_add_co_i32 s74, s73, 0x38000000
	s_cmp_eq_u32 s77, 0x7c
	s_mov_b32 s73, 0
	s_cselect_b32 s74, s78, s74
	s_and_b32 s75, s14, 0xff
	s_branch .LBB6_10323
.LBB6_10321:                            ;   in Loop: Header=BB6_10323 Depth=4
	s_or_b32 exec_lo, exec_lo, s76
.LBB6_10322:                            ;   in Loop: Header=BB6_10323 Depth=4
	s_delay_alu instid0(SALU_CYCLE_1)
	s_or_b32 exec_lo, exec_lo, s14
	v_lshl_or_b32 v1, v35, 8, v33
	v_dual_lshlrev_b32 v2, 16, v36 :: v_dual_lshlrev_b32 v10, 16, v27
	v_dual_lshlrev_b32 v3, 24, v8 :: v_dual_lshlrev_b32 v11, 24, v30
	v_lshl_or_b32 v8, v24, 8, v22
	v_lshl_or_b32 v9, v25, 8, v9
	v_dual_lshlrev_b32 v22, 16, v29 :: v_dual_lshlrev_b32 v24, 24, v32
	v_dual_lshlrev_b32 v25, 24, v0 :: v_dual_lshlrev_b32 v23, 16, v23
	v_lshl_or_b32 v6, v7, 8, v6
	v_or3_b32 v1, v1, v2, v3
	v_or3_b32 v0, v8, v10, v11
	;; [unrolled: 1-line block ×3, first 2 shown]
	s_delay_alu instid0(VALU_DEP_4)
	v_or3_b32 v3, v6, v23, v25
	scratch_load_b64 v[6:7], off, s33 offset:336 ; 8-byte Folded Reload
	global_store_b128 v[12:13], v[0:3], off th:TH_STORE_NT
	scratch_load_b64 v[0:1], off, s33 offset:272 ; 8-byte Folded Reload
	s_wait_loadcnt 0x1
	v_sub_nc_u32_e32 v21, v21, v6
	v_add_nc_u64_e32 v[4:5], v[4:5], v[6:7]
	v_add_nc_u64_e32 v[14:15], v[14:15], v[6:7]
	;; [unrolled: 1-line block ×3, first 2 shown]
	s_wait_loadcnt 0x0
	v_sub_nc_u32_e32 v20, v20, v0
	v_cmp_gt_i32_e32 vcc_lo, 16, v21
	s_or_b32 s73, vcc_lo, s73
	s_wait_xcnt 0x0
	s_and_not1_b32 exec_lo, exec_lo, s73
	s_cbranch_execz .LBB6_11386
.LBB6_10323:                            ;   Parent Loop BB6_47 Depth=1
                                        ;     Parent Loop BB6_5743 Depth=2
                                        ;       Parent Loop BB6_5746 Depth=3
                                        ; =>      This Inner Loop Header: Depth=4
	s_cmp_lt_i32 s75, 0x80
	s_cbranch_scc1 .LBB6_10327
; %bb.10324:                            ;   in Loop: Header=BB6_10323 Depth=4
	s_and_b32 s14, 0xffff, s75
	s_delay_alu instid0(SALU_CYCLE_1)
	s_cmp_eq_u32 s14, 0x80
	s_mov_b32 s14, -1
	s_cbranch_scc0 .LBB6_10326
; %bb.10325:                            ;   in Loop: Header=BB6_10323 Depth=4
	s_mov_b32 s14, 0
.LBB6_10326:                            ;   in Loop: Header=BB6_10323 Depth=4
	s_brev_b32 s76, 1
	s_branch .LBB6_10329
.LBB6_10327:                            ;   in Loop: Header=BB6_10323 Depth=4
	s_mov_b32 s14, 0
	s_brev_b32 s76, 1
	s_cbranch_execz .LBB6_10329
; %bb.10328:                            ;   in Loop: Header=BB6_10323 Depth=4
	s_and_b32 s14, 0xffff, s75
	s_mov_b32 s76, 0
	s_cmp_lg_u32 s14, 0
	s_cselect_b32 s14, -1, 0
.LBB6_10329:                            ;   in Loop: Header=BB6_10323 Depth=4
	s_delay_alu instid0(SALU_CYCLE_1)
	s_and_not1_b32 vcc_lo, exec_lo, s14
	s_cbranch_vccnz .LBB6_10331
; %bb.10330:                            ;   in Loop: Header=BB6_10323 Depth=4
	s_mov_b32 s76, s74
.LBB6_10331:                            ;   in Loop: Header=BB6_10323 Depth=4
	global_load_b128 v[8:11], v[4:5], off th:TH_LOAD_NT
	s_wait_loadcnt 0x0
	v_and_b32_e32 v0, 0xff, v8
	s_delay_alu instid0(VALU_DEP_1)
	v_cmp_ne_u16_e32 vcc_lo, 0, v0
	v_mov_b32_e32 v0, 0
	s_wait_xcnt 0x0
	s_and_saveexec_b32 s14, vcc_lo
	s_cbranch_execz .LBB6_10341
; %bb.10332:                            ;   in Loop: Header=BB6_10323 Depth=4
	v_bfe_i32 v2, v8, 0, 8
	v_bfrev_b32_e32 v0, 1
	s_mov_b32 s77, exec_lo
	s_delay_alu instid0(VALU_DEP_2)
	v_cmpx_ne_u16_e32 0xff80, v2
	s_cbranch_execz .LBB6_10340
; %bb.10333:                            ;   in Loop: Header=BB6_10323 Depth=4
	v_and_b32_e32 v0, 0x7c, v8
	v_and_b32_e32 v1, 3, v8
	s_delay_alu instid0(VALU_DEP_2) | instskip(SKIP_1) | instid1(SALU_CYCLE_1)
	v_cmp_ne_u32_e32 vcc_lo, 0x7c, v0
                                        ; implicit-def: $vgpr0
	s_and_saveexec_b32 s78, vcc_lo
	s_xor_b32 s78, exec_lo, s78
	s_cbranch_execz .LBB6_10337
; %bb.10334:                            ;   in Loop: Header=BB6_10323 Depth=4
	v_bfe_u32 v0, v8, 2, 5
	s_mov_b32 s79, exec_lo
	s_delay_alu instid0(VALU_DEP_1)
	v_cmpx_eq_u32_e32 0, v0
; %bb.10335:                            ;   in Loop: Header=BB6_10323 Depth=4
	v_clz_i32_u32_e32 v0, v1
	s_delay_alu instid0(VALU_DEP_1) | instskip(NEXT) | instid1(VALU_DEP_1)
	v_min_u32_e32 v0, 32, v0
	v_subrev_nc_u32_e32 v1, 29, v0
	s_delay_alu instid0(VALU_DEP_1) | instskip(NEXT) | instid1(VALU_DEP_1)
	v_lshlrev_b64_e32 v[2:3], v1, v[8:9]
	v_dual_sub_nc_u32 v0, 30, v0 :: v_dual_bitop2_b32 v1, 3, v2 bitop3:0x40
; %bb.10336:                            ;   in Loop: Header=BB6_10323 Depth=4
	s_or_b32 exec_lo, exec_lo, s79
	v_lshlrev_b32_e32 v2, 24, v8
	s_delay_alu instid0(VALU_DEP_1) | instskip(NEXT) | instid1(VALU_DEP_1)
	v_and_b32_e32 v2, 0x80000000, v2
	v_lshl_add_u32 v0, v0, 23, v2
                                        ; implicit-def: $vgpr2
	s_delay_alu instid0(VALU_DEP_1) | instskip(NEXT) | instid1(VALU_DEP_1)
	v_lshl_or_b32 v0, v1, 21, v0
                                        ; implicit-def: $vgpr1
	v_add_nc_u32_e32 v0, 0x38000000, v0
.LBB6_10337:                            ;   in Loop: Header=BB6_10323 Depth=4
	s_and_not1_saveexec_b32 s78, s78
; %bb.10338:                            ;   in Loop: Header=BB6_10323 Depth=4
	v_cmp_lt_i16_e32 vcc_lo, -1, v2
	v_mov_b32_e32 v0, 0x7f800000
	s_delay_alu instid0(VALU_DEP_1) | instskip(SKIP_1) | instid1(VALU_DEP_2)
	v_cndmask_b32_e32 v0, 0xff800000, v0, vcc_lo
	v_cmp_eq_u32_e32 vcc_lo, 0, v1
	v_cndmask_b32_e32 v0, 0x7f800001, v0, vcc_lo
; %bb.10339:                            ;   in Loop: Header=BB6_10323 Depth=4
	s_or_b32 exec_lo, exec_lo, s78
.LBB6_10340:                            ;   in Loop: Header=BB6_10323 Depth=4
	s_delay_alu instid0(SALU_CYCLE_1)
	s_or_b32 exec_lo, exec_lo, s77
.LBB6_10341:                            ;   in Loop: Header=BB6_10323 Depth=4
	s_delay_alu instid0(SALU_CYCLE_1) | instskip(NEXT) | instid1(VALU_DEP_1)
	s_or_b32 exec_lo, exec_lo, s14
	v_dual_mul_f32 v0, s76, v0 :: v_dual_mov_b32 v3, v113
                                        ; implicit-def: $vgpr7
	s_mov_b32 s14, exec_lo
	s_delay_alu instid0(VALU_DEP_1) | instskip(SKIP_2) | instid1(VALU_DEP_3)
	v_and_b32_e32 v2, 0x7f800000, v0
	v_and_b32_e32 v112, 0x7fffff, v0
	v_lshrrev_b32_e32 v1, 24, v0
	v_cmpx_ne_u64_e32 0x7f800000, v[2:3]
	s_xor_b32 s77, exec_lo, s14
	s_cbranch_execz .LBB6_10355
; %bb.10342:                            ;   in Loop: Header=BB6_10323 Depth=4
	v_and_b32_e32 v2, 0x7fffffff, v0
	v_mov_b32_e32 v3, v113
	v_and_b32_e32 v6, 0x80, v1
                                        ; implicit-def: $vgpr7
	s_mov_b32 s14, exec_lo
	s_delay_alu instid0(VALU_DEP_2)
	v_cmpx_gt_u64_e32 0x47600001, v[2:3]
	s_xor_b32 s78, exec_lo, s14
	s_cbranch_execz .LBB6_10352
; %bb.10343:                            ;   in Loop: Header=BB6_10323 Depth=4
	v_mov_b32_e32 v7, 0
	s_mov_b32 s79, exec_lo
	v_cmpx_ne_u32_e32 0, v0
	s_cbranch_execz .LBB6_10351
; %bb.10344:                            ;   in Loop: Header=BB6_10323 Depth=4
	v_bfe_u32 v7, v0, 23, 8
	v_or_b32_e32 v2, 0x800000, v112
	s_mov_b32 s88, exec_lo
	s_delay_alu instid0(VALU_DEP_2) | instskip(SKIP_1) | instid1(VALU_DEP_2)
	v_dual_mov_b32 v3, v113 :: v_dual_sub_nc_u32 v0, 0x71, v7
	v_cmp_gt_u32_e32 vcc_lo, 0x72, v7
	v_cndmask_b32_e32 v0, 0, v0, vcc_lo
	v_cmp_eq_u32_e32 vcc_lo, 0, v7
	s_delay_alu instid0(VALU_DEP_2) | instskip(NEXT) | instid1(VALU_DEP_1)
	v_cndmask_b32_e64 v22, v0, 0x70, vcc_lo
	v_dual_cndmask_b32 v2, v2, v112, vcc_lo :: v_dual_add_nc_u32 v0, 21, v22
	v_add_nc_u32_e32 v23, 20, v22
	s_delay_alu instid0(VALU_DEP_2) | instskip(NEXT) | instid1(VALU_DEP_2)
	v_lshlrev_b64_e64 v[0:1], v0, -1
	v_lshlrev_b64_e64 v[24:25], v23, 1
	s_delay_alu instid0(VALU_DEP_2) | instskip(NEXT) | instid1(VALU_DEP_3)
	v_bfi_b32 v27, v1, 0, 0
	v_bfi_b32 v26, v0, 0, v2
	v_lshrrev_b64 v[0:1], v22, v[2:3]
	s_delay_alu instid0(VALU_DEP_1) | instskip(NEXT) | instid1(VALU_DEP_3)
	v_mov_b64_e32 v[2:3], v[0:1]
	v_cmpx_eq_u64_e64 v[26:27], v[24:25]
; %bb.10345:                            ;   in Loop: Header=BB6_10323 Depth=4
	v_bfe_u32 v2, v0, 21, 1
	v_mov_b32_e32 v3, v113
	s_delay_alu instid0(VALU_DEP_1) | instskip(NEXT) | instid1(VALU_DEP_1)
	v_add_nc_u64_e32 v[2:3], v[0:1], v[2:3]
	v_add_nc_u64_e32 v[2:3], -1, v[2:3]
; %bb.10346:                            ;   in Loop: Header=BB6_10323 Depth=4
	s_or_b32 exec_lo, exec_lo, s88
	v_add_nc_u32_e32 v1, 0xffffff81, v7
	s_delay_alu instid0(VALU_DEP_2) | instskip(SKIP_2) | instid1(VALU_DEP_3)
	v_and_b32_e32 v2, 0x1fffff, v2
	v_lshrrev_b32_e32 v3, 23, v0
	s_mov_b32 s14, exec_lo
	v_cndmask_b32_e64 v1, v1, 0xffffff82, vcc_lo
	s_delay_alu instid0(VALU_DEP_3) | instskip(NEXT) | instid1(VALU_DEP_2)
	v_add_nc_u32_e32 v112, v2, v0
                                        ; implicit-def: $vgpr2
	v_add3_u32 v3, v22, v1, v3
                                        ; implicit-def: $vgpr0_vgpr1
	s_delay_alu instid0(VALU_DEP_1) | instskip(NEXT) | instid1(VALU_DEP_1)
	v_add_nc_u32_e32 v7, 14, v3
	v_cmpx_ne_u32_e32 0, v7
	s_xor_b32 s14, exec_lo, s14
; %bb.10347:                            ;   in Loop: Header=BB6_10323 Depth=4
	v_cmp_lt_u64_e32 vcc_lo, 0xffffff, v[112:113]
	v_add_nc_u32_e32 v0, 15, v3
	s_delay_alu instid0(VALU_DEP_1) | instskip(SKIP_1) | instid1(VALU_DEP_1)
	v_cndmask_b32_e32 v2, v7, v0, vcc_lo
	v_cndmask_b32_e64 v0, 0, 1, vcc_lo
	v_lshrrev_b64 v[0:1], v0, v[112:113]
; %bb.10348:                            ;   in Loop: Header=BB6_10323 Depth=4
	s_and_not1_saveexec_b32 s14, s14
; %bb.10349:                            ;   in Loop: Header=BB6_10323 Depth=4
	v_mov_b64_e32 v[0:1], v[112:113]
	v_bfe_u32 v2, v112, 23, 1
; %bb.10350:                            ;   in Loop: Header=BB6_10323 Depth=4
	s_or_b32 exec_lo, exec_lo, s14
	s_delay_alu instid0(VALU_DEP_2) | instskip(NEXT) | instid1(VALU_DEP_2)
	v_lshrrev_b64 v[0:1], 21, v[0:1]
	v_cmp_gt_i32_e32 vcc_lo, 32, v2
	v_min_i32_e32 v3, 31, v2
	v_cmp_eq_u32_e64 s14, 0, v2
	s_delay_alu instid0(VALU_DEP_2) | instskip(SKIP_1) | instid1(VALU_DEP_2)
	v_dual_cndmask_b32 v1, 0, v1, vcc_lo :: v_dual_lshlrev_b32 v3, 2, v3
	v_cndmask_b32_e32 v0, 3, v0, vcc_lo
	v_and_b32_e32 v3, 0xfc, v3
	s_delay_alu instid0(VALU_DEP_2) | instskip(NEXT) | instid1(VALU_DEP_2)
	v_cmp_eq_u64_e32 vcc_lo, 0, v[0:1]
	v_and_or_b32 v0, v0, 3, v3
	s_and_b32 s14, s14, vcc_lo
	s_delay_alu instid0(VALU_DEP_1) | instid1(SALU_CYCLE_1)
	v_cndmask_b32_e64 v0, v0, 0, s14
	s_delay_alu instid0(VALU_DEP_1)
	v_or_b32_e32 v7, v0, v6
.LBB6_10351:                            ;   in Loop: Header=BB6_10323 Depth=4
	s_or_b32 exec_lo, exec_lo, s79
                                        ; implicit-def: $vgpr6
.LBB6_10352:                            ;   in Loop: Header=BB6_10323 Depth=4
	s_and_not1_saveexec_b32 s14, s78
; %bb.10353:                            ;   in Loop: Header=BB6_10323 Depth=4
	v_or_b32_e32 v7, 0x7b, v6
; %bb.10354:                            ;   in Loop: Header=BB6_10323 Depth=4
	s_or_b32 exec_lo, exec_lo, s14
                                        ; implicit-def: $vgpr0
                                        ; implicit-def: $vgpr1
.LBB6_10355:                            ;   in Loop: Header=BB6_10323 Depth=4
	s_and_not1_saveexec_b32 s14, s77
	s_cbranch_execz .LBB6_10361
; %bb.10356:                            ;   in Loop: Header=BB6_10323 Depth=4
	s_mov_b32 s77, exec_lo
                                        ; implicit-def: $vgpr7
	v_cmpx_ne_u64_e32 0, v[112:113]
	s_xor_b32 s77, exec_lo, s77
; %bb.10357:                            ;   in Loop: Header=BB6_10323 Depth=4
	v_or_b32_e32 v7, 0x7f, v1
                                        ; implicit-def: $vgpr0
; %bb.10358:                            ;   in Loop: Header=BB6_10323 Depth=4
	s_and_not1_saveexec_b32 s77, s77
; %bb.10359:                            ;   in Loop: Header=BB6_10323 Depth=4
	v_cmp_lt_i32_e32 vcc_lo, -1, v0
	v_mov_b32_e32 v0, 0x7c
	s_delay_alu instid0(VALU_DEP_1)
	v_cndmask_b32_e32 v7, 0xfc, v0, vcc_lo
; %bb.10360:                            ;   in Loop: Header=BB6_10323 Depth=4
	s_or_b32 exec_lo, exec_lo, s77
.LBB6_10361:                            ;   in Loop: Header=BB6_10323 Depth=4
	s_delay_alu instid0(SALU_CYCLE_1) | instskip(SKIP_3) | instid1(VALU_DEP_2)
	s_or_b32 exec_lo, exec_lo, s14
	v_lshrrev_b16 v0, 8, v8
	v_mov_b32_e32 v2, 0
	s_mov_b32 s14, exec_lo
	v_cmpx_ne_u16_e32 0, v0
	s_cbranch_execz .LBB6_10371
; %bb.10362:                            ;   in Loop: Header=BB6_10323 Depth=4
	v_bfrev_b32_e32 v2, 1
	s_mov_b32 s77, exec_lo
	v_cmpx_ne_u16_e32 0x80, v0
	s_cbranch_execz .LBB6_10370
; %bb.10363:                            ;   in Loop: Header=BB6_10323 Depth=4
	v_and_b32_e32 v3, 0xffff, v0
	s_delay_alu instid0(VALU_DEP_1) | instskip(SKIP_1) | instid1(VALU_DEP_2)
	v_and_b32_e32 v2, 0x7c, v3
	v_and_b32_e32 v1, 3, v3
	v_cmp_ne_u32_e32 vcc_lo, 0x7c, v2
                                        ; implicit-def: $vgpr2
	s_and_saveexec_b32 s78, vcc_lo
	s_delay_alu instid0(SALU_CYCLE_1)
	s_xor_b32 s78, exec_lo, s78
	s_cbranch_execz .LBB6_10367
; %bb.10364:                            ;   in Loop: Header=BB6_10323 Depth=4
	v_bfe_u32 v2, v3, 2, 5
	s_mov_b32 s79, exec_lo
	s_delay_alu instid0(VALU_DEP_1)
	v_cmpx_eq_u32_e32 0, v2
	s_cbranch_execz .LBB6_10366
; %bb.10365:                            ;   in Loop: Header=BB6_10323 Depth=4
	v_clz_i32_u32_e32 v1, v1
	s_delay_alu instid0(VALU_DEP_1) | instskip(SKIP_1) | instid1(VALU_DEP_2)
	v_min_u32_e32 v2, 32, v1
	v_mov_b32_e32 v1, v113
	v_subrev_nc_u32_e32 v3, 29, v2
	v_sub_nc_u32_e32 v2, 30, v2
	s_delay_alu instid0(VALU_DEP_2) | instskip(NEXT) | instid1(VALU_DEP_1)
	v_lshlrev_b64_e32 v[0:1], v3, v[0:1]
	v_and_b32_e32 v1, 3, v0
.LBB6_10366:                            ;   in Loop: Header=BB6_10323 Depth=4
	s_or_b32 exec_lo, exec_lo, s79
	v_lshlrev_b32_e32 v0, 16, v8
	s_delay_alu instid0(VALU_DEP_1) | instskip(NEXT) | instid1(VALU_DEP_1)
	v_and_b32_e32 v0, 0x80000000, v0
	v_lshl_add_u32 v0, v2, 23, v0
	s_delay_alu instid0(VALU_DEP_1) | instskip(NEXT) | instid1(VALU_DEP_1)
	v_lshl_or_b32 v0, v1, 21, v0
                                        ; implicit-def: $vgpr1
	v_add_nc_u32_e32 v2, 0x38000000, v0
.LBB6_10367:                            ;   in Loop: Header=BB6_10323 Depth=4
	s_and_not1_saveexec_b32 s78, s78
; %bb.10368:                            ;   in Loop: Header=BB6_10323 Depth=4
	v_cmp_lt_i16_e32 vcc_lo, -1, v8
	v_mov_b32_e32 v0, 0x7f800000
	s_delay_alu instid0(VALU_DEP_1) | instskip(SKIP_1) | instid1(VALU_DEP_2)
	v_cndmask_b32_e32 v0, 0xff800000, v0, vcc_lo
	v_cmp_eq_u32_e32 vcc_lo, 0, v1
	v_cndmask_b32_e32 v2, 0x7f800001, v0, vcc_lo
; %bb.10369:                            ;   in Loop: Header=BB6_10323 Depth=4
	s_or_b32 exec_lo, exec_lo, s78
.LBB6_10370:                            ;   in Loop: Header=BB6_10323 Depth=4
	s_delay_alu instid0(SALU_CYCLE_1)
	s_or_b32 exec_lo, exec_lo, s77
.LBB6_10371:                            ;   in Loop: Header=BB6_10323 Depth=4
	s_delay_alu instid0(SALU_CYCLE_1) | instskip(NEXT) | instid1(VALU_DEP_1)
	s_or_b32 exec_lo, exec_lo, s14
	v_dual_mul_f32 v0, s76, v2 :: v_dual_mov_b32 v3, v113
                                        ; implicit-def: $vgpr22
	s_mov_b32 s14, exec_lo
	s_delay_alu instid0(VALU_DEP_1) | instskip(SKIP_2) | instid1(VALU_DEP_3)
	v_and_b32_e32 v2, 0x7f800000, v0
	v_and_b32_e32 v112, 0x7fffff, v0
	v_lshrrev_b32_e32 v1, 24, v0
	v_cmpx_ne_u64_e32 0x7f800000, v[2:3]
	s_xor_b32 s77, exec_lo, s14
	s_cbranch_execz .LBB6_10385
; %bb.10372:                            ;   in Loop: Header=BB6_10323 Depth=4
	v_and_b32_e32 v2, 0x7fffffff, v0
	v_mov_b32_e32 v3, v113
	v_and_b32_e32 v6, 0x80, v1
                                        ; implicit-def: $vgpr22
	s_mov_b32 s14, exec_lo
	s_delay_alu instid0(VALU_DEP_2)
	v_cmpx_gt_u64_e32 0x47600001, v[2:3]
	s_xor_b32 s78, exec_lo, s14
	s_cbranch_execz .LBB6_10382
; %bb.10373:                            ;   in Loop: Header=BB6_10323 Depth=4
	v_mov_b32_e32 v22, 0
	s_mov_b32 s79, exec_lo
	v_cmpx_ne_u32_e32 0, v0
	s_cbranch_execz .LBB6_10381
; %bb.10374:                            ;   in Loop: Header=BB6_10323 Depth=4
	v_bfe_u32 v22, v0, 23, 8
	v_or_b32_e32 v2, 0x800000, v112
	s_mov_b32 s88, exec_lo
	s_delay_alu instid0(VALU_DEP_2) | instskip(SKIP_1) | instid1(VALU_DEP_2)
	v_dual_mov_b32 v3, v113 :: v_dual_sub_nc_u32 v0, 0x71, v22
	v_cmp_gt_u32_e32 vcc_lo, 0x72, v22
	v_cndmask_b32_e32 v0, 0, v0, vcc_lo
	v_cmp_eq_u32_e32 vcc_lo, 0, v22
	s_delay_alu instid0(VALU_DEP_2) | instskip(NEXT) | instid1(VALU_DEP_1)
	v_cndmask_b32_e64 v23, v0, 0x70, vcc_lo
	v_dual_cndmask_b32 v2, v2, v112, vcc_lo :: v_dual_add_nc_u32 v0, 21, v23
	v_add_nc_u32_e32 v24, 20, v23
	s_delay_alu instid0(VALU_DEP_2) | instskip(NEXT) | instid1(VALU_DEP_2)
	v_lshlrev_b64_e64 v[0:1], v0, -1
	v_lshlrev_b64_e64 v[24:25], v24, 1
	s_delay_alu instid0(VALU_DEP_2) | instskip(NEXT) | instid1(VALU_DEP_3)
	v_bfi_b32 v27, v1, 0, 0
	v_bfi_b32 v26, v0, 0, v2
	v_lshrrev_b64 v[0:1], v23, v[2:3]
	s_delay_alu instid0(VALU_DEP_1) | instskip(NEXT) | instid1(VALU_DEP_3)
	v_mov_b64_e32 v[2:3], v[0:1]
	v_cmpx_eq_u64_e64 v[26:27], v[24:25]
; %bb.10375:                            ;   in Loop: Header=BB6_10323 Depth=4
	v_bfe_u32 v2, v0, 21, 1
	v_mov_b32_e32 v3, v113
	s_delay_alu instid0(VALU_DEP_1) | instskip(NEXT) | instid1(VALU_DEP_1)
	v_add_nc_u64_e32 v[2:3], v[0:1], v[2:3]
	v_add_nc_u64_e32 v[2:3], -1, v[2:3]
; %bb.10376:                            ;   in Loop: Header=BB6_10323 Depth=4
	s_or_b32 exec_lo, exec_lo, s88
	v_add_nc_u32_e32 v1, 0xffffff81, v22
	s_delay_alu instid0(VALU_DEP_2) | instskip(SKIP_2) | instid1(VALU_DEP_3)
	v_and_b32_e32 v2, 0x1fffff, v2
	v_lshrrev_b32_e32 v3, 23, v0
	s_mov_b32 s14, exec_lo
	v_cndmask_b32_e64 v1, v1, 0xffffff82, vcc_lo
	s_delay_alu instid0(VALU_DEP_3) | instskip(NEXT) | instid1(VALU_DEP_2)
	v_add_nc_u32_e32 v112, v2, v0
                                        ; implicit-def: $vgpr2
	v_add3_u32 v3, v23, v1, v3
                                        ; implicit-def: $vgpr0_vgpr1
	s_delay_alu instid0(VALU_DEP_1) | instskip(NEXT) | instid1(VALU_DEP_1)
	v_add_nc_u32_e32 v22, 14, v3
	v_cmpx_ne_u32_e32 0, v22
	s_xor_b32 s14, exec_lo, s14
; %bb.10377:                            ;   in Loop: Header=BB6_10323 Depth=4
	v_cmp_lt_u64_e32 vcc_lo, 0xffffff, v[112:113]
	v_add_nc_u32_e32 v0, 15, v3
	s_delay_alu instid0(VALU_DEP_1) | instskip(SKIP_1) | instid1(VALU_DEP_1)
	v_cndmask_b32_e32 v2, v22, v0, vcc_lo
	v_cndmask_b32_e64 v0, 0, 1, vcc_lo
	v_lshrrev_b64 v[0:1], v0, v[112:113]
; %bb.10378:                            ;   in Loop: Header=BB6_10323 Depth=4
	s_and_not1_saveexec_b32 s14, s14
; %bb.10379:                            ;   in Loop: Header=BB6_10323 Depth=4
	v_mov_b64_e32 v[0:1], v[112:113]
	v_bfe_u32 v2, v112, 23, 1
; %bb.10380:                            ;   in Loop: Header=BB6_10323 Depth=4
	s_or_b32 exec_lo, exec_lo, s14
	s_delay_alu instid0(VALU_DEP_2) | instskip(NEXT) | instid1(VALU_DEP_2)
	v_lshrrev_b64 v[0:1], 21, v[0:1]
	v_cmp_gt_i32_e32 vcc_lo, 32, v2
	v_min_i32_e32 v3, 31, v2
	v_cmp_eq_u32_e64 s14, 0, v2
	s_delay_alu instid0(VALU_DEP_2) | instskip(SKIP_1) | instid1(VALU_DEP_2)
	v_dual_cndmask_b32 v1, 0, v1, vcc_lo :: v_dual_lshlrev_b32 v3, 2, v3
	v_cndmask_b32_e32 v0, 3, v0, vcc_lo
	v_and_b32_e32 v3, 0xfc, v3
	s_delay_alu instid0(VALU_DEP_2) | instskip(NEXT) | instid1(VALU_DEP_2)
	v_cmp_eq_u64_e32 vcc_lo, 0, v[0:1]
	v_and_or_b32 v0, v0, 3, v3
	s_and_b32 s14, s14, vcc_lo
	s_delay_alu instid0(VALU_DEP_1) | instid1(SALU_CYCLE_1)
	v_cndmask_b32_e64 v0, v0, 0, s14
	s_delay_alu instid0(VALU_DEP_1)
	v_or_b32_e32 v22, v0, v6
.LBB6_10381:                            ;   in Loop: Header=BB6_10323 Depth=4
	s_or_b32 exec_lo, exec_lo, s79
                                        ; implicit-def: $vgpr6
.LBB6_10382:                            ;   in Loop: Header=BB6_10323 Depth=4
	s_and_not1_saveexec_b32 s14, s78
; %bb.10383:                            ;   in Loop: Header=BB6_10323 Depth=4
	v_or_b32_e32 v22, 0x7b, v6
; %bb.10384:                            ;   in Loop: Header=BB6_10323 Depth=4
	s_or_b32 exec_lo, exec_lo, s14
                                        ; implicit-def: $vgpr0
                                        ; implicit-def: $vgpr1
.LBB6_10385:                            ;   in Loop: Header=BB6_10323 Depth=4
	s_and_not1_saveexec_b32 s14, s77
	s_cbranch_execz .LBB6_10391
; %bb.10386:                            ;   in Loop: Header=BB6_10323 Depth=4
	s_mov_b32 s77, exec_lo
                                        ; implicit-def: $vgpr22
	v_cmpx_ne_u64_e32 0, v[112:113]
	s_xor_b32 s77, exec_lo, s77
; %bb.10387:                            ;   in Loop: Header=BB6_10323 Depth=4
	v_or_b32_e32 v22, 0x7f, v1
                                        ; implicit-def: $vgpr0
; %bb.10388:                            ;   in Loop: Header=BB6_10323 Depth=4
	s_and_not1_saveexec_b32 s77, s77
; %bb.10389:                            ;   in Loop: Header=BB6_10323 Depth=4
	v_cmp_lt_i32_e32 vcc_lo, -1, v0
	v_mov_b32_e32 v0, 0x7c
	s_delay_alu instid0(VALU_DEP_1)
	v_cndmask_b32_e32 v22, 0xfc, v0, vcc_lo
; %bb.10390:                            ;   in Loop: Header=BB6_10323 Depth=4
	s_or_b32 exec_lo, exec_lo, s77
.LBB6_10391:                            ;   in Loop: Header=BB6_10323 Depth=4
	s_delay_alu instid0(SALU_CYCLE_1) | instskip(SKIP_2) | instid1(VALU_DEP_1)
	s_or_b32 exec_lo, exec_lo, s14
	v_dual_mov_b32 v1, 0 :: v_dual_lshrrev_b32 v0, 16, v8
	s_mov_b32 s14, exec_lo
	v_and_b32_e32 v2, 0xff, v0
	s_delay_alu instid0(VALU_DEP_1)
	v_cmpx_ne_u16_e32 0, v2
	s_cbranch_execz .LBB6_10401
; %bb.10392:                            ;   in Loop: Header=BB6_10323 Depth=4
	v_bfrev_b32_e32 v1, 1
	s_mov_b32 s77, exec_lo
	v_cmpx_ne_u16_e32 0x80, v2
	s_cbranch_execz .LBB6_10400
; %bb.10393:                            ;   in Loop: Header=BB6_10323 Depth=4
	v_and_b32_e32 v1, 0x7c0000, v8
	v_bfe_u32 v2, v8, 16, 2
	s_delay_alu instid0(VALU_DEP_2) | instskip(SKIP_1) | instid1(SALU_CYCLE_1)
	v_cmp_ne_u32_e32 vcc_lo, 0x7c0000, v1
                                        ; implicit-def: $vgpr1
	s_and_saveexec_b32 s78, vcc_lo
	s_xor_b32 s78, exec_lo, s78
	s_cbranch_execz .LBB6_10397
; %bb.10394:                            ;   in Loop: Header=BB6_10323 Depth=4
	v_bfe_u32 v1, v8, 18, 5
	s_mov_b32 s79, exec_lo
	s_delay_alu instid0(VALU_DEP_1)
	v_cmpx_eq_u32_e32 0, v1
; %bb.10395:                            ;   in Loop: Header=BB6_10323 Depth=4
	v_clz_i32_u32_e32 v1, v2
	s_delay_alu instid0(VALU_DEP_1) | instskip(NEXT) | instid1(VALU_DEP_1)
	v_min_u32_e32 v1, 32, v1
	v_subrev_nc_u32_e32 v2, 29, v1
	s_delay_alu instid0(VALU_DEP_1) | instskip(NEXT) | instid1(VALU_DEP_1)
	v_lshlrev_b64_e32 v[2:3], v2, v[0:1]
	v_dual_sub_nc_u32 v1, 30, v1 :: v_dual_bitop2_b32 v2, 3, v2 bitop3:0x40
; %bb.10396:                            ;   in Loop: Header=BB6_10323 Depth=4
	s_or_b32 exec_lo, exec_lo, s79
	v_lshlrev_b32_e32 v0, 24, v0
	s_delay_alu instid0(VALU_DEP_1) | instskip(NEXT) | instid1(VALU_DEP_1)
	v_and_b32_e32 v0, 0x80000000, v0
	v_lshl_add_u32 v0, v1, 23, v0
	s_delay_alu instid0(VALU_DEP_1) | instskip(NEXT) | instid1(VALU_DEP_1)
	v_lshl_or_b32 v0, v2, 21, v0
                                        ; implicit-def: $vgpr2
	v_add_nc_u32_e32 v1, 0x38000000, v0
                                        ; implicit-def: $vgpr0
.LBB6_10397:                            ;   in Loop: Header=BB6_10323 Depth=4
	s_and_not1_saveexec_b32 s78, s78
; %bb.10398:                            ;   in Loop: Header=BB6_10323 Depth=4
	v_bfe_i32 v0, v0, 0, 8
	s_delay_alu instid0(VALU_DEP_1) | instskip(SKIP_1) | instid1(VALU_DEP_1)
	v_cmp_lt_i16_e32 vcc_lo, -1, v0
	v_mov_b32_e32 v0, 0x7f800000
	v_cndmask_b32_e32 v0, 0xff800000, v0, vcc_lo
	v_cmp_eq_u32_e32 vcc_lo, 0, v2
	s_delay_alu instid0(VALU_DEP_2)
	v_cndmask_b32_e32 v1, 0x7f800001, v0, vcc_lo
; %bb.10399:                            ;   in Loop: Header=BB6_10323 Depth=4
	s_or_b32 exec_lo, exec_lo, s78
.LBB6_10400:                            ;   in Loop: Header=BB6_10323 Depth=4
	s_delay_alu instid0(SALU_CYCLE_1)
	s_or_b32 exec_lo, exec_lo, s77
.LBB6_10401:                            ;   in Loop: Header=BB6_10323 Depth=4
	s_delay_alu instid0(SALU_CYCLE_1) | instskip(NEXT) | instid1(VALU_DEP_1)
	s_or_b32 exec_lo, exec_lo, s14
	v_dual_mul_f32 v0, s76, v1 :: v_dual_mov_b32 v3, v113
                                        ; implicit-def: $vgpr24
	s_mov_b32 s14, exec_lo
	s_delay_alu instid0(VALU_DEP_1) | instskip(SKIP_2) | instid1(VALU_DEP_3)
	v_and_b32_e32 v2, 0x7f800000, v0
	v_and_b32_e32 v112, 0x7fffff, v0
	v_lshrrev_b32_e32 v1, 24, v0
	v_cmpx_ne_u64_e32 0x7f800000, v[2:3]
	s_xor_b32 s77, exec_lo, s14
	s_cbranch_execz .LBB6_10415
; %bb.10402:                            ;   in Loop: Header=BB6_10323 Depth=4
	v_and_b32_e32 v2, 0x7fffffff, v0
	v_mov_b32_e32 v3, v113
	v_and_b32_e32 v6, 0x80, v1
                                        ; implicit-def: $vgpr24
	s_mov_b32 s14, exec_lo
	s_delay_alu instid0(VALU_DEP_2)
	v_cmpx_gt_u64_e32 0x47600001, v[2:3]
	s_xor_b32 s78, exec_lo, s14
	s_cbranch_execz .LBB6_10412
; %bb.10403:                            ;   in Loop: Header=BB6_10323 Depth=4
	v_mov_b32_e32 v24, 0
	s_mov_b32 s79, exec_lo
	v_cmpx_ne_u32_e32 0, v0
	s_cbranch_execz .LBB6_10411
; %bb.10404:                            ;   in Loop: Header=BB6_10323 Depth=4
	v_bfe_u32 v23, v0, 23, 8
	v_or_b32_e32 v2, 0x800000, v112
	s_mov_b32 s88, exec_lo
	s_delay_alu instid0(VALU_DEP_2) | instskip(SKIP_1) | instid1(VALU_DEP_2)
	v_dual_mov_b32 v3, v113 :: v_dual_sub_nc_u32 v0, 0x71, v23
	v_cmp_gt_u32_e32 vcc_lo, 0x72, v23
	v_cndmask_b32_e32 v0, 0, v0, vcc_lo
	v_cmp_eq_u32_e32 vcc_lo, 0, v23
	s_delay_alu instid0(VALU_DEP_2) | instskip(SKIP_1) | instid1(VALU_DEP_2)
	v_cndmask_b32_e64 v24, v0, 0x70, vcc_lo
	v_cndmask_b32_e32 v2, v2, v112, vcc_lo
	v_dual_add_nc_u32 v0, 21, v24 :: v_dual_add_nc_u32 v25, 20, v24
	s_delay_alu instid0(VALU_DEP_1) | instskip(NEXT) | instid1(VALU_DEP_2)
	v_lshlrev_b64_e64 v[0:1], v0, -1
	v_lshlrev_b64_e64 v[26:27], v25, 1
	s_delay_alu instid0(VALU_DEP_2) | instskip(NEXT) | instid1(VALU_DEP_3)
	v_bfi_b32 v29, v1, 0, 0
	v_bfi_b32 v28, v0, 0, v2
	v_lshrrev_b64 v[0:1], v24, v[2:3]
	s_delay_alu instid0(VALU_DEP_1) | instskip(NEXT) | instid1(VALU_DEP_3)
	v_mov_b64_e32 v[2:3], v[0:1]
	v_cmpx_eq_u64_e64 v[28:29], v[26:27]
; %bb.10405:                            ;   in Loop: Header=BB6_10323 Depth=4
	v_bfe_u32 v2, v0, 21, 1
	v_mov_b32_e32 v3, v113
	s_delay_alu instid0(VALU_DEP_1) | instskip(NEXT) | instid1(VALU_DEP_1)
	v_add_nc_u64_e32 v[2:3], v[0:1], v[2:3]
	v_add_nc_u64_e32 v[2:3], -1, v[2:3]
; %bb.10406:                            ;   in Loop: Header=BB6_10323 Depth=4
	s_or_b32 exec_lo, exec_lo, s88
	v_add_nc_u32_e32 v1, 0xffffff81, v23
	s_delay_alu instid0(VALU_DEP_2) | instskip(SKIP_2) | instid1(VALU_DEP_3)
	v_and_b32_e32 v2, 0x1fffff, v2
	v_lshrrev_b32_e32 v3, 23, v0
	s_mov_b32 s14, exec_lo
	v_cndmask_b32_e64 v1, v1, 0xffffff82, vcc_lo
	s_delay_alu instid0(VALU_DEP_3) | instskip(NEXT) | instid1(VALU_DEP_2)
	v_add_nc_u32_e32 v112, v2, v0
                                        ; implicit-def: $vgpr2
	v_add3_u32 v3, v24, v1, v3
                                        ; implicit-def: $vgpr0_vgpr1
	s_delay_alu instid0(VALU_DEP_1) | instskip(NEXT) | instid1(VALU_DEP_1)
	v_add_nc_u32_e32 v23, 14, v3
	v_cmpx_ne_u32_e32 0, v23
	s_xor_b32 s14, exec_lo, s14
; %bb.10407:                            ;   in Loop: Header=BB6_10323 Depth=4
	v_cmp_lt_u64_e32 vcc_lo, 0xffffff, v[112:113]
	v_add_nc_u32_e32 v0, 15, v3
	s_delay_alu instid0(VALU_DEP_1) | instskip(SKIP_1) | instid1(VALU_DEP_1)
	v_cndmask_b32_e32 v2, v23, v0, vcc_lo
	v_cndmask_b32_e64 v0, 0, 1, vcc_lo
	v_lshrrev_b64 v[0:1], v0, v[112:113]
; %bb.10408:                            ;   in Loop: Header=BB6_10323 Depth=4
	s_and_not1_saveexec_b32 s14, s14
; %bb.10409:                            ;   in Loop: Header=BB6_10323 Depth=4
	v_mov_b64_e32 v[0:1], v[112:113]
	v_bfe_u32 v2, v112, 23, 1
; %bb.10410:                            ;   in Loop: Header=BB6_10323 Depth=4
	s_or_b32 exec_lo, exec_lo, s14
	s_delay_alu instid0(VALU_DEP_2) | instskip(NEXT) | instid1(VALU_DEP_2)
	v_lshrrev_b64 v[0:1], 21, v[0:1]
	v_cmp_gt_i32_e32 vcc_lo, 32, v2
	v_min_i32_e32 v3, 31, v2
	v_cmp_eq_u32_e64 s14, 0, v2
	s_delay_alu instid0(VALU_DEP_2) | instskip(SKIP_1) | instid1(VALU_DEP_2)
	v_dual_cndmask_b32 v1, 0, v1, vcc_lo :: v_dual_lshlrev_b32 v3, 2, v3
	v_cndmask_b32_e32 v0, 3, v0, vcc_lo
	v_and_b32_e32 v3, 0xfc, v3
	s_delay_alu instid0(VALU_DEP_2) | instskip(NEXT) | instid1(VALU_DEP_2)
	v_cmp_eq_u64_e32 vcc_lo, 0, v[0:1]
	v_and_or_b32 v0, v0, 3, v3
	s_and_b32 s14, s14, vcc_lo
	s_delay_alu instid0(VALU_DEP_1) | instid1(SALU_CYCLE_1)
	v_cndmask_b32_e64 v0, v0, 0, s14
	s_delay_alu instid0(VALU_DEP_1)
	v_or_b32_e32 v24, v0, v6
.LBB6_10411:                            ;   in Loop: Header=BB6_10323 Depth=4
	s_or_b32 exec_lo, exec_lo, s79
                                        ; implicit-def: $vgpr6
.LBB6_10412:                            ;   in Loop: Header=BB6_10323 Depth=4
	s_and_not1_saveexec_b32 s14, s78
; %bb.10413:                            ;   in Loop: Header=BB6_10323 Depth=4
	v_or_b32_e32 v24, 0x7b, v6
; %bb.10414:                            ;   in Loop: Header=BB6_10323 Depth=4
	s_or_b32 exec_lo, exec_lo, s14
                                        ; implicit-def: $vgpr0
                                        ; implicit-def: $vgpr1
.LBB6_10415:                            ;   in Loop: Header=BB6_10323 Depth=4
	s_and_not1_saveexec_b32 s14, s77
	s_cbranch_execz .LBB6_10421
; %bb.10416:                            ;   in Loop: Header=BB6_10323 Depth=4
	s_mov_b32 s77, exec_lo
                                        ; implicit-def: $vgpr24
	v_cmpx_ne_u64_e32 0, v[112:113]
	s_xor_b32 s77, exec_lo, s77
; %bb.10417:                            ;   in Loop: Header=BB6_10323 Depth=4
	v_or_b32_e32 v24, 0x7f, v1
                                        ; implicit-def: $vgpr0
; %bb.10418:                            ;   in Loop: Header=BB6_10323 Depth=4
	s_and_not1_saveexec_b32 s77, s77
; %bb.10419:                            ;   in Loop: Header=BB6_10323 Depth=4
	v_cmp_lt_i32_e32 vcc_lo, -1, v0
	v_mov_b32_e32 v0, 0x7c
	s_delay_alu instid0(VALU_DEP_1)
	v_cndmask_b32_e32 v24, 0xfc, v0, vcc_lo
; %bb.10420:                            ;   in Loop: Header=BB6_10323 Depth=4
	s_or_b32 exec_lo, exec_lo, s77
.LBB6_10421:                            ;   in Loop: Header=BB6_10323 Depth=4
	s_delay_alu instid0(SALU_CYCLE_1)
	s_or_b32 exec_lo, exec_lo, s14
	v_mov_b32_e32 v1, 0
	s_mov_b32 s14, exec_lo
	v_cmpx_lt_u32_e32 0xffffff, v8
	s_cbranch_execz .LBB6_10431
; %bb.10422:                            ;   in Loop: Header=BB6_10323 Depth=4
	v_lshrrev_b32_e32 v0, 24, v8
	v_bfrev_b32_e32 v1, 1
	s_mov_b32 s77, exec_lo
	s_delay_alu instid0(VALU_DEP_2)
	v_cmpx_ne_u32_e32 0x80, v0
	s_cbranch_execz .LBB6_10430
; %bb.10423:                            ;   in Loop: Header=BB6_10323 Depth=4
	v_and_b32_e32 v1, 0x7c000000, v8
	v_bfe_u32 v2, v8, 24, 2
	s_delay_alu instid0(VALU_DEP_2) | instskip(SKIP_1) | instid1(SALU_CYCLE_1)
	v_cmp_ne_u32_e32 vcc_lo, 0x7c000000, v1
                                        ; implicit-def: $vgpr1
	s_and_saveexec_b32 s78, vcc_lo
	s_xor_b32 s78, exec_lo, s78
	s_cbranch_execz .LBB6_10427
; %bb.10424:                            ;   in Loop: Header=BB6_10323 Depth=4
	v_bfe_u32 v1, v8, 26, 5
	s_mov_b32 s79, exec_lo
	s_delay_alu instid0(VALU_DEP_1)
	v_cmpx_eq_u32_e32 0, v1
; %bb.10425:                            ;   in Loop: Header=BB6_10323 Depth=4
	v_clz_i32_u32_e32 v1, v2
	s_delay_alu instid0(VALU_DEP_1) | instskip(NEXT) | instid1(VALU_DEP_1)
	v_min_u32_e32 v2, 32, v1
	v_subrev_nc_u32_e32 v1, 29, v2
	s_delay_alu instid0(VALU_DEP_1) | instskip(NEXT) | instid1(VALU_DEP_1)
	v_lshlrev_b64_e32 v[0:1], v1, v[0:1]
	v_dual_sub_nc_u32 v1, 30, v2 :: v_dual_bitop2_b32 v2, 3, v0 bitop3:0x40
; %bb.10426:                            ;   in Loop: Header=BB6_10323 Depth=4
	s_or_b32 exec_lo, exec_lo, s79
	v_and_b32_e32 v0, 0x80000000, v8
	s_delay_alu instid0(VALU_DEP_1) | instskip(NEXT) | instid1(VALU_DEP_1)
	v_lshl_add_u32 v0, v1, 23, v0
	v_lshl_or_b32 v0, v2, 21, v0
                                        ; implicit-def: $vgpr2
	s_delay_alu instid0(VALU_DEP_1)
	v_add_nc_u32_e32 v1, 0x38000000, v0
.LBB6_10427:                            ;   in Loop: Header=BB6_10323 Depth=4
	s_and_not1_saveexec_b32 s78, s78
; %bb.10428:                            ;   in Loop: Header=BB6_10323 Depth=4
	v_cmp_lt_i32_e32 vcc_lo, -1, v8
	v_mov_b32_e32 v0, 0x7f800000
	s_delay_alu instid0(VALU_DEP_1) | instskip(SKIP_1) | instid1(VALU_DEP_2)
	v_cndmask_b32_e32 v0, 0xff800000, v0, vcc_lo
	v_cmp_eq_u32_e32 vcc_lo, 0, v2
	v_cndmask_b32_e32 v1, 0x7f800001, v0, vcc_lo
; %bb.10429:                            ;   in Loop: Header=BB6_10323 Depth=4
	s_or_b32 exec_lo, exec_lo, s78
.LBB6_10430:                            ;   in Loop: Header=BB6_10323 Depth=4
	s_delay_alu instid0(SALU_CYCLE_1)
	s_or_b32 exec_lo, exec_lo, s77
.LBB6_10431:                            ;   in Loop: Header=BB6_10323 Depth=4
	s_delay_alu instid0(SALU_CYCLE_1) | instskip(NEXT) | instid1(VALU_DEP_1)
	s_or_b32 exec_lo, exec_lo, s14
	v_dual_mul_f32 v0, s76, v1 :: v_dual_mov_b32 v3, v113
                                        ; implicit-def: $vgpr27
	s_mov_b32 s14, exec_lo
	s_delay_alu instid0(VALU_DEP_1) | instskip(SKIP_2) | instid1(VALU_DEP_3)
	v_and_b32_e32 v2, 0x7f800000, v0
	v_and_b32_e32 v112, 0x7fffff, v0
	v_lshrrev_b32_e32 v1, 24, v0
	v_cmpx_ne_u64_e32 0x7f800000, v[2:3]
	s_xor_b32 s77, exec_lo, s14
	s_cbranch_execz .LBB6_10445
; %bb.10432:                            ;   in Loop: Header=BB6_10323 Depth=4
	v_and_b32_e32 v2, 0x7fffffff, v0
	v_mov_b32_e32 v3, v113
	v_and_b32_e32 v6, 0x80, v1
                                        ; implicit-def: $vgpr27
	s_mov_b32 s14, exec_lo
	s_delay_alu instid0(VALU_DEP_2)
	v_cmpx_gt_u64_e32 0x47600001, v[2:3]
	s_xor_b32 s78, exec_lo, s14
	s_cbranch_execz .LBB6_10442
; %bb.10433:                            ;   in Loop: Header=BB6_10323 Depth=4
	v_mov_b32_e32 v27, 0
	s_mov_b32 s79, exec_lo
	v_cmpx_ne_u32_e32 0, v0
	s_cbranch_execz .LBB6_10441
; %bb.10434:                            ;   in Loop: Header=BB6_10323 Depth=4
	v_bfe_u32 v23, v0, 23, 8
	v_or_b32_e32 v2, 0x800000, v112
	s_mov_b32 s88, exec_lo
	s_delay_alu instid0(VALU_DEP_2) | instskip(SKIP_1) | instid1(VALU_DEP_2)
	v_dual_mov_b32 v3, v113 :: v_dual_sub_nc_u32 v0, 0x71, v23
	v_cmp_gt_u32_e32 vcc_lo, 0x72, v23
	v_cndmask_b32_e32 v0, 0, v0, vcc_lo
	v_cmp_eq_u32_e32 vcc_lo, 0, v23
	s_delay_alu instid0(VALU_DEP_2) | instskip(NEXT) | instid1(VALU_DEP_1)
	v_cndmask_b32_e64 v25, v0, 0x70, vcc_lo
	v_dual_cndmask_b32 v2, v2, v112, vcc_lo :: v_dual_add_nc_u32 v0, 21, v25
	v_add_nc_u32_e32 v26, 20, v25
	s_delay_alu instid0(VALU_DEP_2) | instskip(NEXT) | instid1(VALU_DEP_2)
	v_lshlrev_b64_e64 v[0:1], v0, -1
	v_lshlrev_b64_e64 v[26:27], v26, 1
	s_delay_alu instid0(VALU_DEP_2) | instskip(NEXT) | instid1(VALU_DEP_3)
	v_bfi_b32 v29, v1, 0, 0
	v_bfi_b32 v28, v0, 0, v2
	v_lshrrev_b64 v[0:1], v25, v[2:3]
	s_delay_alu instid0(VALU_DEP_1) | instskip(NEXT) | instid1(VALU_DEP_3)
	v_mov_b64_e32 v[2:3], v[0:1]
	v_cmpx_eq_u64_e64 v[28:29], v[26:27]
; %bb.10435:                            ;   in Loop: Header=BB6_10323 Depth=4
	v_bfe_u32 v2, v0, 21, 1
	v_mov_b32_e32 v3, v113
	s_delay_alu instid0(VALU_DEP_1) | instskip(NEXT) | instid1(VALU_DEP_1)
	v_add_nc_u64_e32 v[2:3], v[0:1], v[2:3]
	v_add_nc_u64_e32 v[2:3], -1, v[2:3]
; %bb.10436:                            ;   in Loop: Header=BB6_10323 Depth=4
	s_or_b32 exec_lo, exec_lo, s88
	v_add_nc_u32_e32 v1, 0xffffff81, v23
	s_delay_alu instid0(VALU_DEP_2) | instskip(SKIP_2) | instid1(VALU_DEP_3)
	v_and_b32_e32 v2, 0x1fffff, v2
	v_lshrrev_b32_e32 v3, 23, v0
	s_mov_b32 s14, exec_lo
	v_cndmask_b32_e64 v1, v1, 0xffffff82, vcc_lo
	s_delay_alu instid0(VALU_DEP_3) | instskip(NEXT) | instid1(VALU_DEP_2)
	v_add_nc_u32_e32 v112, v2, v0
                                        ; implicit-def: $vgpr2
	v_add3_u32 v3, v25, v1, v3
                                        ; implicit-def: $vgpr0_vgpr1
	s_delay_alu instid0(VALU_DEP_1) | instskip(NEXT) | instid1(VALU_DEP_1)
	v_add_nc_u32_e32 v23, 14, v3
	v_cmpx_ne_u32_e32 0, v23
	s_xor_b32 s14, exec_lo, s14
; %bb.10437:                            ;   in Loop: Header=BB6_10323 Depth=4
	v_cmp_lt_u64_e32 vcc_lo, 0xffffff, v[112:113]
	v_add_nc_u32_e32 v0, 15, v3
	s_delay_alu instid0(VALU_DEP_1) | instskip(SKIP_1) | instid1(VALU_DEP_1)
	v_cndmask_b32_e32 v2, v23, v0, vcc_lo
	v_cndmask_b32_e64 v0, 0, 1, vcc_lo
	v_lshrrev_b64 v[0:1], v0, v[112:113]
; %bb.10438:                            ;   in Loop: Header=BB6_10323 Depth=4
	s_and_not1_saveexec_b32 s14, s14
; %bb.10439:                            ;   in Loop: Header=BB6_10323 Depth=4
	v_mov_b64_e32 v[0:1], v[112:113]
	v_bfe_u32 v2, v112, 23, 1
; %bb.10440:                            ;   in Loop: Header=BB6_10323 Depth=4
	s_or_b32 exec_lo, exec_lo, s14
	s_delay_alu instid0(VALU_DEP_2) | instskip(NEXT) | instid1(VALU_DEP_2)
	v_lshrrev_b64 v[0:1], 21, v[0:1]
	v_cmp_gt_i32_e32 vcc_lo, 32, v2
	v_min_i32_e32 v3, 31, v2
	v_cmp_eq_u32_e64 s14, 0, v2
	s_delay_alu instid0(VALU_DEP_2) | instskip(SKIP_1) | instid1(VALU_DEP_2)
	v_dual_cndmask_b32 v1, 0, v1, vcc_lo :: v_dual_lshlrev_b32 v3, 2, v3
	v_cndmask_b32_e32 v0, 3, v0, vcc_lo
	v_and_b32_e32 v3, 0xfc, v3
	s_delay_alu instid0(VALU_DEP_2) | instskip(NEXT) | instid1(VALU_DEP_2)
	v_cmp_eq_u64_e32 vcc_lo, 0, v[0:1]
	v_and_or_b32 v0, v0, 3, v3
	s_and_b32 s14, s14, vcc_lo
	s_delay_alu instid0(VALU_DEP_1) | instid1(SALU_CYCLE_1)
	v_cndmask_b32_e64 v0, v0, 0, s14
	s_delay_alu instid0(VALU_DEP_1)
	v_or_b32_e32 v27, v0, v6
.LBB6_10441:                            ;   in Loop: Header=BB6_10323 Depth=4
	s_or_b32 exec_lo, exec_lo, s79
                                        ; implicit-def: $vgpr6
.LBB6_10442:                            ;   in Loop: Header=BB6_10323 Depth=4
	s_and_not1_saveexec_b32 s14, s78
; %bb.10443:                            ;   in Loop: Header=BB6_10323 Depth=4
	v_or_b32_e32 v27, 0x7b, v6
; %bb.10444:                            ;   in Loop: Header=BB6_10323 Depth=4
	s_or_b32 exec_lo, exec_lo, s14
                                        ; implicit-def: $vgpr0
                                        ; implicit-def: $vgpr1
.LBB6_10445:                            ;   in Loop: Header=BB6_10323 Depth=4
	s_and_not1_saveexec_b32 s14, s77
	s_cbranch_execz .LBB6_10451
; %bb.10446:                            ;   in Loop: Header=BB6_10323 Depth=4
	s_mov_b32 s77, exec_lo
                                        ; implicit-def: $vgpr27
	v_cmpx_ne_u64_e32 0, v[112:113]
	s_xor_b32 s77, exec_lo, s77
; %bb.10447:                            ;   in Loop: Header=BB6_10323 Depth=4
	v_or_b32_e32 v27, 0x7f, v1
                                        ; implicit-def: $vgpr0
; %bb.10448:                            ;   in Loop: Header=BB6_10323 Depth=4
	s_and_not1_saveexec_b32 s77, s77
; %bb.10449:                            ;   in Loop: Header=BB6_10323 Depth=4
	v_cmp_lt_i32_e32 vcc_lo, -1, v0
	v_mov_b32_e32 v0, 0x7c
	s_delay_alu instid0(VALU_DEP_1)
	v_cndmask_b32_e32 v27, 0xfc, v0, vcc_lo
; %bb.10450:                            ;   in Loop: Header=BB6_10323 Depth=4
	s_or_b32 exec_lo, exec_lo, s77
.LBB6_10451:                            ;   in Loop: Header=BB6_10323 Depth=4
	s_delay_alu instid0(SALU_CYCLE_1) | instskip(SKIP_3) | instid1(VALU_DEP_2)
	s_or_b32 exec_lo, exec_lo, s14
	v_and_b32_e32 v1, 0xff, v9
	v_dual_mov_b32 v112, v9 :: v_dual_mov_b32 v0, 0
	s_mov_b32 s14, exec_lo
	v_cmpx_ne_u16_e32 0, v1
	s_cbranch_execz .LBB6_10461
; %bb.10452:                            ;   in Loop: Header=BB6_10323 Depth=4
	v_bfrev_b32_e32 v0, 1
	s_mov_b32 s77, exec_lo
	v_cmpx_ne_u16_e32 0x80, v1
	s_cbranch_execz .LBB6_10460
; %bb.10453:                            ;   in Loop: Header=BB6_10323 Depth=4
	v_and_b32_e32 v0, 0x7c, v9
	v_and_b32_e32 v1, 3, v9
	s_delay_alu instid0(VALU_DEP_2) | instskip(SKIP_1) | instid1(SALU_CYCLE_1)
	v_cmp_ne_u32_e32 vcc_lo, 0x7c, v0
                                        ; implicit-def: $vgpr0
	s_and_saveexec_b32 s78, vcc_lo
	s_xor_b32 s78, exec_lo, s78
	s_cbranch_execz .LBB6_10457
; %bb.10454:                            ;   in Loop: Header=BB6_10323 Depth=4
	v_bfe_u32 v0, v9, 2, 5
	s_mov_b32 s79, exec_lo
	s_delay_alu instid0(VALU_DEP_1)
	v_cmpx_eq_u32_e32 0, v0
; %bb.10455:                            ;   in Loop: Header=BB6_10323 Depth=4
	v_clz_i32_u32_e32 v0, v1
	s_delay_alu instid0(VALU_DEP_1) | instskip(NEXT) | instid1(VALU_DEP_1)
	v_min_u32_e32 v0, 32, v0
	v_subrev_nc_u32_e32 v1, 29, v0
	s_delay_alu instid0(VALU_DEP_1) | instskip(NEXT) | instid1(VALU_DEP_1)
	v_lshlrev_b64_e32 v[2:3], v1, v[112:113]
	v_dual_sub_nc_u32 v0, 30, v0 :: v_dual_bitop2_b32 v1, 3, v2 bitop3:0x40
; %bb.10456:                            ;   in Loop: Header=BB6_10323 Depth=4
	s_or_b32 exec_lo, exec_lo, s79
	v_lshlrev_b32_e32 v2, 24, v9
	s_delay_alu instid0(VALU_DEP_1) | instskip(NEXT) | instid1(VALU_DEP_1)
	v_and_b32_e32 v2, 0x80000000, v2
	v_lshl_add_u32 v0, v0, 23, v2
	s_delay_alu instid0(VALU_DEP_1) | instskip(NEXT) | instid1(VALU_DEP_1)
	v_lshl_or_b32 v0, v1, 21, v0
                                        ; implicit-def: $vgpr1
	v_add_nc_u32_e32 v0, 0x38000000, v0
.LBB6_10457:                            ;   in Loop: Header=BB6_10323 Depth=4
	s_and_not1_saveexec_b32 s78, s78
; %bb.10458:                            ;   in Loop: Header=BB6_10323 Depth=4
	v_bfe_i32 v0, v9, 0, 8
	s_delay_alu instid0(VALU_DEP_1) | instskip(SKIP_1) | instid1(VALU_DEP_1)
	v_cmp_lt_i16_e32 vcc_lo, -1, v0
	v_mov_b32_e32 v0, 0x7f800000
	v_cndmask_b32_e32 v0, 0xff800000, v0, vcc_lo
	v_cmp_eq_u32_e32 vcc_lo, 0, v1
	s_delay_alu instid0(VALU_DEP_2)
	v_cndmask_b32_e32 v0, 0x7f800001, v0, vcc_lo
; %bb.10459:                            ;   in Loop: Header=BB6_10323 Depth=4
	s_or_b32 exec_lo, exec_lo, s78
.LBB6_10460:                            ;   in Loop: Header=BB6_10323 Depth=4
	s_delay_alu instid0(SALU_CYCLE_1)
	s_or_b32 exec_lo, exec_lo, s77
.LBB6_10461:                            ;   in Loop: Header=BB6_10323 Depth=4
	s_delay_alu instid0(SALU_CYCLE_1) | instskip(NEXT) | instid1(VALU_DEP_1)
	s_or_b32 exec_lo, exec_lo, s14
	v_dual_mul_f32 v2, s76, v0 :: v_dual_mov_b32 v29, v113
	v_mov_b32_e32 v1, v113
                                        ; implicit-def: $vgpr6
	s_mov_b32 s14, exec_lo
	s_delay_alu instid0(VALU_DEP_2) | instskip(SKIP_2) | instid1(VALU_DEP_3)
	v_and_b32_e32 v28, 0x7f800000, v2
	v_and_b32_e32 v0, 0x7fffff, v2
	v_lshrrev_b32_e32 v3, 24, v2
	v_cmpx_ne_u64_e32 0x7f800000, v[28:29]
	s_xor_b32 s77, exec_lo, s14
	s_cbranch_execz .LBB6_10475
; %bb.10462:                            ;   in Loop: Header=BB6_10323 Depth=4
	v_and_b32_e32 v28, 0x7fffffff, v2
	v_mov_b32_e32 v29, v113
	v_and_b32_e32 v23, 0x80, v3
                                        ; implicit-def: $vgpr6
	s_mov_b32 s14, exec_lo
	s_delay_alu instid0(VALU_DEP_2)
	v_cmpx_gt_u64_e32 0x47600001, v[28:29]
	s_xor_b32 s78, exec_lo, s14
	s_cbranch_execz .LBB6_10472
; %bb.10463:                            ;   in Loop: Header=BB6_10323 Depth=4
	v_mov_b32_e32 v6, 0
	s_mov_b32 s79, exec_lo
	v_cmpx_ne_u32_e32 0, v2
	s_cbranch_execz .LBB6_10471
; %bb.10464:                            ;   in Loop: Header=BB6_10323 Depth=4
	v_bfe_u32 v6, v2, 23, 8
	v_or_b32_e32 v26, 0x800000, v0
	s_delay_alu instid0(VALU_DEP_2) | instskip(SKIP_1) | instid1(VALU_DEP_2)
	v_sub_nc_u32_e32 v2, 0x71, v6
	v_cmp_gt_u32_e32 vcc_lo, 0x72, v6
	v_cndmask_b32_e32 v2, 0, v2, vcc_lo
	v_cmp_eq_u32_e32 vcc_lo, 0, v6
	s_delay_alu instid0(VALU_DEP_2) | instskip(NEXT) | instid1(VALU_DEP_1)
	v_cndmask_b32_e64 v25, v2, 0x70, vcc_lo
	v_dual_cndmask_b32 v0, v26, v0, vcc_lo :: v_dual_add_nc_u32 v2, 21, v25
	v_add_nc_u32_e32 v28, 20, v25
	s_delay_alu instid0(VALU_DEP_2) | instskip(NEXT) | instid1(VALU_DEP_2)
	v_lshlrev_b64_e64 v[2:3], v2, -1
	v_lshlrev_b64_e64 v[28:29], v28, 1
	s_delay_alu instid0(VALU_DEP_2) | instskip(SKIP_1) | instid1(VALU_DEP_4)
	v_bfi_b32 v2, v2, 0, v0
	v_lshrrev_b64 v[0:1], v25, v[0:1]
	v_bfi_b32 v3, v3, 0, 0
	s_delay_alu instid0(VALU_DEP_1) | instskip(NEXT) | instid1(VALU_DEP_3)
	v_cmp_eq_u64_e64 s14, v[2:3], v[28:29]
	v_mov_b64_e32 v[2:3], v[0:1]
	s_and_saveexec_b32 s88, s14
; %bb.10465:                            ;   in Loop: Header=BB6_10323 Depth=4
	v_bfe_u32 v2, v0, 21, 1
	v_mov_b32_e32 v3, v113
	s_delay_alu instid0(VALU_DEP_1) | instskip(NEXT) | instid1(VALU_DEP_1)
	v_add_nc_u64_e32 v[2:3], v[0:1], v[2:3]
	v_add_nc_u64_e32 v[2:3], -1, v[2:3]
; %bb.10466:                            ;   in Loop: Header=BB6_10323 Depth=4
	s_or_b32 exec_lo, exec_lo, s88
	v_add_nc_u32_e32 v1, 0xffffff81, v6
	v_lshrrev_b32_e32 v3, 23, v0
	s_mov_b32 s14, exec_lo
	s_delay_alu instid0(VALU_DEP_2) | instskip(NEXT) | instid1(VALU_DEP_1)
	v_cndmask_b32_e64 v1, v1, 0xffffff82, vcc_lo
	v_add3_u32 v3, v25, v1, v3
	v_and_b32_e32 v1, 0x1fffff, v2
                                        ; implicit-def: $vgpr2
	s_delay_alu instid0(VALU_DEP_1) | instskip(SKIP_1) | instid1(VALU_DEP_2)
	v_dual_add_nc_u32 v6, 14, v3 :: v_dual_add_nc_u32 v0, v1, v0
	v_mov_b32_e32 v1, v113
	v_cmpx_ne_u32_e32 0, v6
	s_xor_b32 s14, exec_lo, s14
; %bb.10467:                            ;   in Loop: Header=BB6_10323 Depth=4
	s_delay_alu instid0(VALU_DEP_2) | instskip(SKIP_2) | instid1(VALU_DEP_2)
	v_cmp_lt_u64_e32 vcc_lo, 0xffffff, v[0:1]
	v_add_nc_u32_e32 v2, 15, v3
	v_cndmask_b32_e64 v3, 0, 1, vcc_lo
	v_cndmask_b32_e32 v2, v6, v2, vcc_lo
	s_delay_alu instid0(VALU_DEP_2)
	v_lshrrev_b64 v[0:1], v3, v[0:1]
; %bb.10468:                            ;   in Loop: Header=BB6_10323 Depth=4
	s_and_not1_saveexec_b32 s14, s14
; %bb.10469:                            ;   in Loop: Header=BB6_10323 Depth=4
	s_delay_alu instid0(VALU_DEP_1)
	v_bfe_u32 v2, v0, 23, 1
; %bb.10470:                            ;   in Loop: Header=BB6_10323 Depth=4
	s_or_b32 exec_lo, exec_lo, s14
	s_delay_alu instid0(VALU_DEP_2) | instskip(NEXT) | instid1(VALU_DEP_2)
	v_lshrrev_b64 v[0:1], 21, v[0:1]
	v_cmp_gt_i32_e32 vcc_lo, 32, v2
	v_min_i32_e32 v3, 31, v2
	v_cmp_eq_u32_e64 s14, 0, v2
	s_delay_alu instid0(VALU_DEP_2) | instskip(SKIP_1) | instid1(VALU_DEP_2)
	v_dual_cndmask_b32 v1, 0, v1, vcc_lo :: v_dual_lshlrev_b32 v3, 2, v3
	v_cndmask_b32_e32 v0, 3, v0, vcc_lo
	v_and_b32_e32 v3, 0xfc, v3
	s_delay_alu instid0(VALU_DEP_2) | instskip(NEXT) | instid1(VALU_DEP_2)
	v_cmp_eq_u64_e32 vcc_lo, 0, v[0:1]
	v_and_or_b32 v0, v0, 3, v3
	s_and_b32 s14, s14, vcc_lo
	s_delay_alu instid0(VALU_DEP_1) | instid1(SALU_CYCLE_1)
	v_cndmask_b32_e64 v0, v0, 0, s14
	s_delay_alu instid0(VALU_DEP_1)
	v_or_b32_e32 v6, v0, v23
.LBB6_10471:                            ;   in Loop: Header=BB6_10323 Depth=4
	s_or_b32 exec_lo, exec_lo, s79
                                        ; implicit-def: $vgpr23
.LBB6_10472:                            ;   in Loop: Header=BB6_10323 Depth=4
	s_and_not1_saveexec_b32 s14, s78
; %bb.10473:                            ;   in Loop: Header=BB6_10323 Depth=4
	v_or_b32_e32 v6, 0x7b, v23
; %bb.10474:                            ;   in Loop: Header=BB6_10323 Depth=4
	s_or_b32 exec_lo, exec_lo, s14
                                        ; implicit-def: $vgpr2
                                        ; implicit-def: $vgpr0_vgpr1
                                        ; implicit-def: $vgpr3
.LBB6_10475:                            ;   in Loop: Header=BB6_10323 Depth=4
	s_and_not1_saveexec_b32 s14, s77
	s_cbranch_execz .LBB6_10481
; %bb.10476:                            ;   in Loop: Header=BB6_10323 Depth=4
	s_mov_b32 s77, exec_lo
                                        ; implicit-def: $vgpr6
	v_cmpx_ne_u64_e32 0, v[0:1]
	s_xor_b32 s77, exec_lo, s77
; %bb.10477:                            ;   in Loop: Header=BB6_10323 Depth=4
	v_or_b32_e32 v6, 0x7f, v3
                                        ; implicit-def: $vgpr2
; %bb.10478:                            ;   in Loop: Header=BB6_10323 Depth=4
	s_and_not1_saveexec_b32 s77, s77
; %bb.10479:                            ;   in Loop: Header=BB6_10323 Depth=4
	v_cmp_lt_i32_e32 vcc_lo, -1, v2
	v_mov_b32_e32 v0, 0x7c
	s_delay_alu instid0(VALU_DEP_1)
	v_cndmask_b32_e32 v6, 0xfc, v0, vcc_lo
; %bb.10480:                            ;   in Loop: Header=BB6_10323 Depth=4
	s_or_b32 exec_lo, exec_lo, s77
.LBB6_10481:                            ;   in Loop: Header=BB6_10323 Depth=4
	s_delay_alu instid0(SALU_CYCLE_1) | instskip(SKIP_3) | instid1(VALU_DEP_2)
	s_or_b32 exec_lo, exec_lo, s14
	v_lshrrev_b16 v0, 8, v112
	v_mov_b32_e32 v2, 0
	s_mov_b32 s14, exec_lo
	v_cmpx_ne_u16_e32 0, v0
	s_cbranch_execz .LBB6_10491
; %bb.10482:                            ;   in Loop: Header=BB6_10323 Depth=4
	v_bfrev_b32_e32 v2, 1
	s_mov_b32 s77, exec_lo
	v_cmpx_ne_u16_e32 0x80, v0
	s_cbranch_execz .LBB6_10490
; %bb.10483:                            ;   in Loop: Header=BB6_10323 Depth=4
	v_and_b32_e32 v3, 0xffff, v0
	s_delay_alu instid0(VALU_DEP_1) | instskip(SKIP_1) | instid1(VALU_DEP_2)
	v_and_b32_e32 v2, 0x7c, v3
	v_and_b32_e32 v1, 3, v3
	v_cmp_ne_u32_e32 vcc_lo, 0x7c, v2
                                        ; implicit-def: $vgpr2
	s_and_saveexec_b32 s78, vcc_lo
	s_delay_alu instid0(SALU_CYCLE_1)
	s_xor_b32 s78, exec_lo, s78
	s_cbranch_execz .LBB6_10487
; %bb.10484:                            ;   in Loop: Header=BB6_10323 Depth=4
	v_bfe_u32 v2, v3, 2, 5
	s_mov_b32 s79, exec_lo
	s_delay_alu instid0(VALU_DEP_1)
	v_cmpx_eq_u32_e32 0, v2
	s_cbranch_execz .LBB6_10486
; %bb.10485:                            ;   in Loop: Header=BB6_10323 Depth=4
	v_clz_i32_u32_e32 v1, v1
	s_delay_alu instid0(VALU_DEP_1) | instskip(SKIP_1) | instid1(VALU_DEP_2)
	v_min_u32_e32 v2, 32, v1
	v_mov_b32_e32 v1, v113
	v_subrev_nc_u32_e32 v3, 29, v2
	v_sub_nc_u32_e32 v2, 30, v2
	s_delay_alu instid0(VALU_DEP_2) | instskip(NEXT) | instid1(VALU_DEP_1)
	v_lshlrev_b64_e32 v[0:1], v3, v[0:1]
	v_and_b32_e32 v1, 3, v0
.LBB6_10486:                            ;   in Loop: Header=BB6_10323 Depth=4
	s_or_b32 exec_lo, exec_lo, s79
	v_lshlrev_b32_e32 v0, 16, v112
	s_delay_alu instid0(VALU_DEP_1) | instskip(NEXT) | instid1(VALU_DEP_1)
	v_and_b32_e32 v0, 0x80000000, v0
	v_lshl_add_u32 v0, v2, 23, v0
	s_delay_alu instid0(VALU_DEP_1) | instskip(NEXT) | instid1(VALU_DEP_1)
	v_lshl_or_b32 v0, v1, 21, v0
                                        ; implicit-def: $vgpr1
	v_add_nc_u32_e32 v2, 0x38000000, v0
.LBB6_10487:                            ;   in Loop: Header=BB6_10323 Depth=4
	s_and_not1_saveexec_b32 s78, s78
; %bb.10488:                            ;   in Loop: Header=BB6_10323 Depth=4
	v_cmp_lt_i16_e32 vcc_lo, -1, v112
	v_mov_b32_e32 v0, 0x7f800000
	s_delay_alu instid0(VALU_DEP_1) | instskip(SKIP_1) | instid1(VALU_DEP_2)
	v_cndmask_b32_e32 v0, 0xff800000, v0, vcc_lo
	v_cmp_eq_u32_e32 vcc_lo, 0, v1
	v_cndmask_b32_e32 v2, 0x7f800001, v0, vcc_lo
; %bb.10489:                            ;   in Loop: Header=BB6_10323 Depth=4
	s_or_b32 exec_lo, exec_lo, s78
.LBB6_10490:                            ;   in Loop: Header=BB6_10323 Depth=4
	s_delay_alu instid0(SALU_CYCLE_1)
	s_or_b32 exec_lo, exec_lo, s77
.LBB6_10491:                            ;   in Loop: Header=BB6_10323 Depth=4
	s_delay_alu instid0(SALU_CYCLE_1) | instskip(NEXT) | instid1(VALU_DEP_1)
	s_or_b32 exec_lo, exec_lo, s14
	v_dual_mul_f32 v0, s76, v2 :: v_dual_mov_b32 v3, v113
                                        ; implicit-def: $vgpr33
	s_mov_b32 s14, exec_lo
	s_delay_alu instid0(VALU_DEP_1) | instskip(SKIP_2) | instid1(VALU_DEP_3)
	v_and_b32_e32 v2, 0x7f800000, v0
	v_and_b32_e32 v112, 0x7fffff, v0
	v_lshrrev_b32_e32 v1, 24, v0
	v_cmpx_ne_u64_e32 0x7f800000, v[2:3]
	s_xor_b32 s77, exec_lo, s14
	s_cbranch_execz .LBB6_10505
; %bb.10492:                            ;   in Loop: Header=BB6_10323 Depth=4
	v_and_b32_e32 v2, 0x7fffffff, v0
	v_mov_b32_e32 v3, v113
	v_and_b32_e32 v23, 0x80, v1
                                        ; implicit-def: $vgpr33
	s_mov_b32 s14, exec_lo
	s_delay_alu instid0(VALU_DEP_2)
	v_cmpx_gt_u64_e32 0x47600001, v[2:3]
	s_xor_b32 s78, exec_lo, s14
	s_cbranch_execz .LBB6_10502
; %bb.10493:                            ;   in Loop: Header=BB6_10323 Depth=4
	v_mov_b32_e32 v33, 0
	s_mov_b32 s79, exec_lo
	v_cmpx_ne_u32_e32 0, v0
	s_cbranch_execz .LBB6_10501
; %bb.10494:                            ;   in Loop: Header=BB6_10323 Depth=4
	v_bfe_u32 v25, v0, 23, 8
	v_or_b32_e32 v2, 0x800000, v112
	s_mov_b32 s88, exec_lo
	s_delay_alu instid0(VALU_DEP_2) | instskip(SKIP_1) | instid1(VALU_DEP_2)
	v_dual_mov_b32 v3, v113 :: v_dual_sub_nc_u32 v0, 0x71, v25
	v_cmp_gt_u32_e32 vcc_lo, 0x72, v25
	v_cndmask_b32_e32 v0, 0, v0, vcc_lo
	v_cmp_eq_u32_e32 vcc_lo, 0, v25
	s_delay_alu instid0(VALU_DEP_2) | instskip(NEXT) | instid1(VALU_DEP_1)
	v_cndmask_b32_e64 v26, v0, 0x70, vcc_lo
	v_dual_cndmask_b32 v2, v2, v112, vcc_lo :: v_dual_add_nc_u32 v0, 21, v26
	v_add_nc_u32_e32 v28, 20, v26
	s_delay_alu instid0(VALU_DEP_2) | instskip(NEXT) | instid1(VALU_DEP_2)
	v_lshlrev_b64_e64 v[0:1], v0, -1
	v_lshlrev_b64_e64 v[28:29], v28, 1
	s_delay_alu instid0(VALU_DEP_2) | instskip(NEXT) | instid1(VALU_DEP_3)
	v_bfi_b32 v31, v1, 0, 0
	v_bfi_b32 v30, v0, 0, v2
	v_lshrrev_b64 v[0:1], v26, v[2:3]
	s_delay_alu instid0(VALU_DEP_1) | instskip(NEXT) | instid1(VALU_DEP_3)
	v_mov_b64_e32 v[2:3], v[0:1]
	v_cmpx_eq_u64_e64 v[30:31], v[28:29]
; %bb.10495:                            ;   in Loop: Header=BB6_10323 Depth=4
	v_bfe_u32 v2, v0, 21, 1
	v_mov_b32_e32 v3, v113
	s_delay_alu instid0(VALU_DEP_1) | instskip(NEXT) | instid1(VALU_DEP_1)
	v_add_nc_u64_e32 v[2:3], v[0:1], v[2:3]
	v_add_nc_u64_e32 v[2:3], -1, v[2:3]
; %bb.10496:                            ;   in Loop: Header=BB6_10323 Depth=4
	s_or_b32 exec_lo, exec_lo, s88
	v_add_nc_u32_e32 v1, 0xffffff81, v25
	s_delay_alu instid0(VALU_DEP_2) | instskip(SKIP_2) | instid1(VALU_DEP_3)
	v_and_b32_e32 v2, 0x1fffff, v2
	v_lshrrev_b32_e32 v3, 23, v0
	s_mov_b32 s14, exec_lo
	v_cndmask_b32_e64 v1, v1, 0xffffff82, vcc_lo
	s_delay_alu instid0(VALU_DEP_3) | instskip(NEXT) | instid1(VALU_DEP_2)
	v_add_nc_u32_e32 v112, v2, v0
                                        ; implicit-def: $vgpr2
	v_add3_u32 v3, v26, v1, v3
                                        ; implicit-def: $vgpr0_vgpr1
	s_delay_alu instid0(VALU_DEP_1) | instskip(NEXT) | instid1(VALU_DEP_1)
	v_add_nc_u32_e32 v25, 14, v3
	v_cmpx_ne_u32_e32 0, v25
	s_xor_b32 s14, exec_lo, s14
; %bb.10497:                            ;   in Loop: Header=BB6_10323 Depth=4
	v_cmp_lt_u64_e32 vcc_lo, 0xffffff, v[112:113]
	v_add_nc_u32_e32 v0, 15, v3
	s_delay_alu instid0(VALU_DEP_1) | instskip(SKIP_1) | instid1(VALU_DEP_1)
	v_cndmask_b32_e32 v2, v25, v0, vcc_lo
	v_cndmask_b32_e64 v0, 0, 1, vcc_lo
	v_lshrrev_b64 v[0:1], v0, v[112:113]
; %bb.10498:                            ;   in Loop: Header=BB6_10323 Depth=4
	s_and_not1_saveexec_b32 s14, s14
; %bb.10499:                            ;   in Loop: Header=BB6_10323 Depth=4
	v_mov_b64_e32 v[0:1], v[112:113]
	v_bfe_u32 v2, v112, 23, 1
; %bb.10500:                            ;   in Loop: Header=BB6_10323 Depth=4
	s_or_b32 exec_lo, exec_lo, s14
	s_delay_alu instid0(VALU_DEP_2) | instskip(NEXT) | instid1(VALU_DEP_2)
	v_lshrrev_b64 v[0:1], 21, v[0:1]
	v_cmp_gt_i32_e32 vcc_lo, 32, v2
	v_min_i32_e32 v3, 31, v2
	v_cmp_eq_u32_e64 s14, 0, v2
	s_delay_alu instid0(VALU_DEP_2) | instskip(SKIP_1) | instid1(VALU_DEP_2)
	v_dual_cndmask_b32 v1, 0, v1, vcc_lo :: v_dual_lshlrev_b32 v3, 2, v3
	v_cndmask_b32_e32 v0, 3, v0, vcc_lo
	v_and_b32_e32 v3, 0xfc, v3
	s_delay_alu instid0(VALU_DEP_2) | instskip(NEXT) | instid1(VALU_DEP_2)
	v_cmp_eq_u64_e32 vcc_lo, 0, v[0:1]
	v_and_or_b32 v0, v0, 3, v3
	s_and_b32 s14, s14, vcc_lo
	s_delay_alu instid0(VALU_DEP_1) | instid1(SALU_CYCLE_1)
	v_cndmask_b32_e64 v0, v0, 0, s14
	s_delay_alu instid0(VALU_DEP_1)
	v_or_b32_e32 v33, v0, v23
.LBB6_10501:                            ;   in Loop: Header=BB6_10323 Depth=4
	s_or_b32 exec_lo, exec_lo, s79
                                        ; implicit-def: $vgpr23
.LBB6_10502:                            ;   in Loop: Header=BB6_10323 Depth=4
	s_and_not1_saveexec_b32 s14, s78
; %bb.10503:                            ;   in Loop: Header=BB6_10323 Depth=4
	v_or_b32_e32 v33, 0x7b, v23
; %bb.10504:                            ;   in Loop: Header=BB6_10323 Depth=4
	s_or_b32 exec_lo, exec_lo, s14
                                        ; implicit-def: $vgpr0
                                        ; implicit-def: $vgpr1
.LBB6_10505:                            ;   in Loop: Header=BB6_10323 Depth=4
	s_and_not1_saveexec_b32 s14, s77
	s_cbranch_execz .LBB6_10511
; %bb.10506:                            ;   in Loop: Header=BB6_10323 Depth=4
	s_mov_b32 s77, exec_lo
                                        ; implicit-def: $vgpr33
	v_cmpx_ne_u64_e32 0, v[112:113]
	s_xor_b32 s77, exec_lo, s77
; %bb.10507:                            ;   in Loop: Header=BB6_10323 Depth=4
	v_or_b32_e32 v33, 0x7f, v1
                                        ; implicit-def: $vgpr0
; %bb.10508:                            ;   in Loop: Header=BB6_10323 Depth=4
	s_and_not1_saveexec_b32 s77, s77
; %bb.10509:                            ;   in Loop: Header=BB6_10323 Depth=4
	v_cmp_lt_i32_e32 vcc_lo, -1, v0
	v_mov_b32_e32 v0, 0x7c
	s_delay_alu instid0(VALU_DEP_1)
	v_cndmask_b32_e32 v33, 0xfc, v0, vcc_lo
; %bb.10510:                            ;   in Loop: Header=BB6_10323 Depth=4
	s_or_b32 exec_lo, exec_lo, s77
.LBB6_10511:                            ;   in Loop: Header=BB6_10323 Depth=4
	s_delay_alu instid0(SALU_CYCLE_1) | instskip(SKIP_2) | instid1(VALU_DEP_1)
	s_or_b32 exec_lo, exec_lo, s14
	v_dual_mov_b32 v1, 0 :: v_dual_lshrrev_b32 v0, 16, v9
	s_mov_b32 s14, exec_lo
	v_and_b32_e32 v2, 0xff, v0
	s_delay_alu instid0(VALU_DEP_1)
	v_cmpx_ne_u16_e32 0, v2
	s_cbranch_execz .LBB6_10521
; %bb.10512:                            ;   in Loop: Header=BB6_10323 Depth=4
	v_bfrev_b32_e32 v1, 1
	s_mov_b32 s77, exec_lo
	v_cmpx_ne_u16_e32 0x80, v2
	s_cbranch_execz .LBB6_10520
; %bb.10513:                            ;   in Loop: Header=BB6_10323 Depth=4
	v_and_b32_e32 v1, 0x7c0000, v9
	v_bfe_u32 v2, v9, 16, 2
	s_delay_alu instid0(VALU_DEP_2) | instskip(SKIP_1) | instid1(SALU_CYCLE_1)
	v_cmp_ne_u32_e32 vcc_lo, 0x7c0000, v1
                                        ; implicit-def: $vgpr1
	s_and_saveexec_b32 s78, vcc_lo
	s_xor_b32 s78, exec_lo, s78
	s_cbranch_execz .LBB6_10517
; %bb.10514:                            ;   in Loop: Header=BB6_10323 Depth=4
	v_bfe_u32 v1, v9, 18, 5
	s_mov_b32 s79, exec_lo
	s_delay_alu instid0(VALU_DEP_1)
	v_cmpx_eq_u32_e32 0, v1
; %bb.10515:                            ;   in Loop: Header=BB6_10323 Depth=4
	v_clz_i32_u32_e32 v1, v2
	s_delay_alu instid0(VALU_DEP_1) | instskip(NEXT) | instid1(VALU_DEP_1)
	v_min_u32_e32 v1, 32, v1
	v_subrev_nc_u32_e32 v2, 29, v1
	s_delay_alu instid0(VALU_DEP_1) | instskip(NEXT) | instid1(VALU_DEP_1)
	v_lshlrev_b64_e32 v[2:3], v2, v[0:1]
	v_dual_sub_nc_u32 v1, 30, v1 :: v_dual_bitop2_b32 v2, 3, v2 bitop3:0x40
; %bb.10516:                            ;   in Loop: Header=BB6_10323 Depth=4
	s_or_b32 exec_lo, exec_lo, s79
	v_lshlrev_b32_e32 v0, 24, v0
	s_delay_alu instid0(VALU_DEP_1) | instskip(NEXT) | instid1(VALU_DEP_1)
	v_and_b32_e32 v0, 0x80000000, v0
	v_lshl_add_u32 v0, v1, 23, v0
	s_delay_alu instid0(VALU_DEP_1) | instskip(NEXT) | instid1(VALU_DEP_1)
	v_lshl_or_b32 v0, v2, 21, v0
                                        ; implicit-def: $vgpr2
	v_add_nc_u32_e32 v1, 0x38000000, v0
                                        ; implicit-def: $vgpr0
.LBB6_10517:                            ;   in Loop: Header=BB6_10323 Depth=4
	s_and_not1_saveexec_b32 s78, s78
; %bb.10518:                            ;   in Loop: Header=BB6_10323 Depth=4
	v_bfe_i32 v0, v0, 0, 8
	s_delay_alu instid0(VALU_DEP_1) | instskip(SKIP_1) | instid1(VALU_DEP_1)
	v_cmp_lt_i16_e32 vcc_lo, -1, v0
	v_mov_b32_e32 v0, 0x7f800000
	v_cndmask_b32_e32 v0, 0xff800000, v0, vcc_lo
	v_cmp_eq_u32_e32 vcc_lo, 0, v2
	s_delay_alu instid0(VALU_DEP_2)
	v_cndmask_b32_e32 v1, 0x7f800001, v0, vcc_lo
; %bb.10519:                            ;   in Loop: Header=BB6_10323 Depth=4
	s_or_b32 exec_lo, exec_lo, s78
.LBB6_10520:                            ;   in Loop: Header=BB6_10323 Depth=4
	s_delay_alu instid0(SALU_CYCLE_1)
	s_or_b32 exec_lo, exec_lo, s77
.LBB6_10521:                            ;   in Loop: Header=BB6_10323 Depth=4
	s_delay_alu instid0(SALU_CYCLE_1) | instskip(NEXT) | instid1(VALU_DEP_1)
	s_or_b32 exec_lo, exec_lo, s14
	v_dual_mul_f32 v0, s76, v1 :: v_dual_mov_b32 v3, v113
                                        ; implicit-def: $vgpr35
	s_mov_b32 s14, exec_lo
	s_delay_alu instid0(VALU_DEP_1) | instskip(SKIP_2) | instid1(VALU_DEP_3)
	v_and_b32_e32 v2, 0x7f800000, v0
	v_and_b32_e32 v112, 0x7fffff, v0
	v_lshrrev_b32_e32 v1, 24, v0
	v_cmpx_ne_u64_e32 0x7f800000, v[2:3]
	s_xor_b32 s77, exec_lo, s14
	s_cbranch_execz .LBB6_10535
; %bb.10522:                            ;   in Loop: Header=BB6_10323 Depth=4
	v_and_b32_e32 v2, 0x7fffffff, v0
	v_mov_b32_e32 v3, v113
	v_and_b32_e32 v23, 0x80, v1
                                        ; implicit-def: $vgpr35
	s_mov_b32 s14, exec_lo
	s_delay_alu instid0(VALU_DEP_2)
	v_cmpx_gt_u64_e32 0x47600001, v[2:3]
	s_xor_b32 s78, exec_lo, s14
	s_cbranch_execz .LBB6_10532
; %bb.10523:                            ;   in Loop: Header=BB6_10323 Depth=4
	v_mov_b32_e32 v35, 0
	s_mov_b32 s79, exec_lo
	v_cmpx_ne_u32_e32 0, v0
	s_cbranch_execz .LBB6_10531
; %bb.10524:                            ;   in Loop: Header=BB6_10323 Depth=4
	v_bfe_u32 v25, v0, 23, 8
	v_or_b32_e32 v2, 0x800000, v112
	s_mov_b32 s88, exec_lo
	s_delay_alu instid0(VALU_DEP_2) | instskip(SKIP_1) | instid1(VALU_DEP_2)
	v_dual_mov_b32 v3, v113 :: v_dual_sub_nc_u32 v0, 0x71, v25
	v_cmp_gt_u32_e32 vcc_lo, 0x72, v25
	v_cndmask_b32_e32 v0, 0, v0, vcc_lo
	v_cmp_eq_u32_e32 vcc_lo, 0, v25
	s_delay_alu instid0(VALU_DEP_2) | instskip(NEXT) | instid1(VALU_DEP_1)
	v_cndmask_b32_e64 v26, v0, 0x70, vcc_lo
	v_dual_cndmask_b32 v2, v2, v112, vcc_lo :: v_dual_add_nc_u32 v0, 21, v26
	v_add_nc_u32_e32 v28, 20, v26
	s_delay_alu instid0(VALU_DEP_2) | instskip(NEXT) | instid1(VALU_DEP_2)
	v_lshlrev_b64_e64 v[0:1], v0, -1
	v_lshlrev_b64_e64 v[28:29], v28, 1
	s_delay_alu instid0(VALU_DEP_2) | instskip(NEXT) | instid1(VALU_DEP_3)
	v_bfi_b32 v31, v1, 0, 0
	v_bfi_b32 v30, v0, 0, v2
	v_lshrrev_b64 v[0:1], v26, v[2:3]
	s_delay_alu instid0(VALU_DEP_1) | instskip(NEXT) | instid1(VALU_DEP_3)
	v_mov_b64_e32 v[2:3], v[0:1]
	v_cmpx_eq_u64_e64 v[30:31], v[28:29]
; %bb.10525:                            ;   in Loop: Header=BB6_10323 Depth=4
	v_bfe_u32 v2, v0, 21, 1
	v_mov_b32_e32 v3, v113
	s_delay_alu instid0(VALU_DEP_1) | instskip(NEXT) | instid1(VALU_DEP_1)
	v_add_nc_u64_e32 v[2:3], v[0:1], v[2:3]
	v_add_nc_u64_e32 v[2:3], -1, v[2:3]
; %bb.10526:                            ;   in Loop: Header=BB6_10323 Depth=4
	s_or_b32 exec_lo, exec_lo, s88
	v_add_nc_u32_e32 v1, 0xffffff81, v25
	s_delay_alu instid0(VALU_DEP_2) | instskip(SKIP_2) | instid1(VALU_DEP_3)
	v_and_b32_e32 v2, 0x1fffff, v2
	v_lshrrev_b32_e32 v3, 23, v0
	s_mov_b32 s14, exec_lo
	v_cndmask_b32_e64 v1, v1, 0xffffff82, vcc_lo
	s_delay_alu instid0(VALU_DEP_3) | instskip(NEXT) | instid1(VALU_DEP_2)
	v_add_nc_u32_e32 v112, v2, v0
                                        ; implicit-def: $vgpr2
	v_add3_u32 v3, v26, v1, v3
                                        ; implicit-def: $vgpr0_vgpr1
	s_delay_alu instid0(VALU_DEP_1) | instskip(NEXT) | instid1(VALU_DEP_1)
	v_add_nc_u32_e32 v25, 14, v3
	v_cmpx_ne_u32_e32 0, v25
	s_xor_b32 s14, exec_lo, s14
; %bb.10527:                            ;   in Loop: Header=BB6_10323 Depth=4
	v_cmp_lt_u64_e32 vcc_lo, 0xffffff, v[112:113]
	v_add_nc_u32_e32 v0, 15, v3
	s_delay_alu instid0(VALU_DEP_1) | instskip(SKIP_1) | instid1(VALU_DEP_1)
	v_cndmask_b32_e32 v2, v25, v0, vcc_lo
	v_cndmask_b32_e64 v0, 0, 1, vcc_lo
	v_lshrrev_b64 v[0:1], v0, v[112:113]
; %bb.10528:                            ;   in Loop: Header=BB6_10323 Depth=4
	s_and_not1_saveexec_b32 s14, s14
; %bb.10529:                            ;   in Loop: Header=BB6_10323 Depth=4
	v_mov_b64_e32 v[0:1], v[112:113]
	v_bfe_u32 v2, v112, 23, 1
; %bb.10530:                            ;   in Loop: Header=BB6_10323 Depth=4
	s_or_b32 exec_lo, exec_lo, s14
	s_delay_alu instid0(VALU_DEP_2) | instskip(NEXT) | instid1(VALU_DEP_2)
	v_lshrrev_b64 v[0:1], 21, v[0:1]
	v_cmp_gt_i32_e32 vcc_lo, 32, v2
	v_min_i32_e32 v3, 31, v2
	v_cmp_eq_u32_e64 s14, 0, v2
	s_delay_alu instid0(VALU_DEP_2) | instskip(SKIP_1) | instid1(VALU_DEP_2)
	v_dual_cndmask_b32 v1, 0, v1, vcc_lo :: v_dual_lshlrev_b32 v3, 2, v3
	v_cndmask_b32_e32 v0, 3, v0, vcc_lo
	v_and_b32_e32 v3, 0xfc, v3
	s_delay_alu instid0(VALU_DEP_2) | instskip(NEXT) | instid1(VALU_DEP_2)
	v_cmp_eq_u64_e32 vcc_lo, 0, v[0:1]
	v_and_or_b32 v0, v0, 3, v3
	s_and_b32 s14, s14, vcc_lo
	s_delay_alu instid0(VALU_DEP_1) | instid1(SALU_CYCLE_1)
	v_cndmask_b32_e64 v0, v0, 0, s14
	s_delay_alu instid0(VALU_DEP_1)
	v_or_b32_e32 v35, v0, v23
.LBB6_10531:                            ;   in Loop: Header=BB6_10323 Depth=4
	s_or_b32 exec_lo, exec_lo, s79
                                        ; implicit-def: $vgpr23
.LBB6_10532:                            ;   in Loop: Header=BB6_10323 Depth=4
	s_and_not1_saveexec_b32 s14, s78
; %bb.10533:                            ;   in Loop: Header=BB6_10323 Depth=4
	v_or_b32_e32 v35, 0x7b, v23
; %bb.10534:                            ;   in Loop: Header=BB6_10323 Depth=4
	s_or_b32 exec_lo, exec_lo, s14
                                        ; implicit-def: $vgpr0
                                        ; implicit-def: $vgpr1
.LBB6_10535:                            ;   in Loop: Header=BB6_10323 Depth=4
	s_and_not1_saveexec_b32 s14, s77
	s_cbranch_execz .LBB6_10541
; %bb.10536:                            ;   in Loop: Header=BB6_10323 Depth=4
	s_mov_b32 s77, exec_lo
                                        ; implicit-def: $vgpr35
	v_cmpx_ne_u64_e32 0, v[112:113]
	s_xor_b32 s77, exec_lo, s77
; %bb.10537:                            ;   in Loop: Header=BB6_10323 Depth=4
	v_or_b32_e32 v35, 0x7f, v1
                                        ; implicit-def: $vgpr0
; %bb.10538:                            ;   in Loop: Header=BB6_10323 Depth=4
	s_and_not1_saveexec_b32 s77, s77
; %bb.10539:                            ;   in Loop: Header=BB6_10323 Depth=4
	v_cmp_lt_i32_e32 vcc_lo, -1, v0
	v_mov_b32_e32 v0, 0x7c
	s_delay_alu instid0(VALU_DEP_1)
	v_cndmask_b32_e32 v35, 0xfc, v0, vcc_lo
; %bb.10540:                            ;   in Loop: Header=BB6_10323 Depth=4
	s_or_b32 exec_lo, exec_lo, s77
.LBB6_10541:                            ;   in Loop: Header=BB6_10323 Depth=4
	s_delay_alu instid0(SALU_CYCLE_1)
	s_or_b32 exec_lo, exec_lo, s14
	v_mov_b32_e32 v1, 0
	s_mov_b32 s14, exec_lo
	v_cmpx_lt_u64_e64 s[22:23], v[8:9]
	s_cbranch_execz .LBB6_10551
; %bb.10542:                            ;   in Loop: Header=BB6_10323 Depth=4
	v_lshrrev_b32_e32 v0, 24, v9
	v_bfrev_b32_e32 v1, 1
	s_mov_b32 s77, exec_lo
	s_delay_alu instid0(VALU_DEP_2)
	v_cmpx_ne_u32_e32 0x80, v0
	s_cbranch_execz .LBB6_10550
; %bb.10543:                            ;   in Loop: Header=BB6_10323 Depth=4
	v_and_b32_e32 v1, 0x7c000000, v9
	v_bfe_u32 v2, v9, 24, 2
	s_delay_alu instid0(VALU_DEP_2) | instskip(SKIP_1) | instid1(SALU_CYCLE_1)
	v_cmp_ne_u32_e32 vcc_lo, 0x7c000000, v1
                                        ; implicit-def: $vgpr1
	s_and_saveexec_b32 s78, vcc_lo
	s_xor_b32 s78, exec_lo, s78
	s_cbranch_execz .LBB6_10547
; %bb.10544:                            ;   in Loop: Header=BB6_10323 Depth=4
	v_bfe_u32 v1, v9, 26, 5
	s_mov_b32 s79, exec_lo
	s_delay_alu instid0(VALU_DEP_1)
	v_cmpx_eq_u32_e32 0, v1
; %bb.10545:                            ;   in Loop: Header=BB6_10323 Depth=4
	v_clz_i32_u32_e32 v1, v2
	s_delay_alu instid0(VALU_DEP_1) | instskip(NEXT) | instid1(VALU_DEP_1)
	v_min_u32_e32 v2, 32, v1
	v_subrev_nc_u32_e32 v1, 29, v2
	s_delay_alu instid0(VALU_DEP_1) | instskip(NEXT) | instid1(VALU_DEP_1)
	v_lshlrev_b64_e32 v[0:1], v1, v[0:1]
	v_dual_sub_nc_u32 v1, 30, v2 :: v_dual_bitop2_b32 v2, 3, v0 bitop3:0x40
; %bb.10546:                            ;   in Loop: Header=BB6_10323 Depth=4
	s_or_b32 exec_lo, exec_lo, s79
	v_and_b32_e32 v0, 0x80000000, v9
	s_delay_alu instid0(VALU_DEP_1) | instskip(NEXT) | instid1(VALU_DEP_1)
	v_lshl_add_u32 v0, v1, 23, v0
	v_lshl_or_b32 v0, v2, 21, v0
                                        ; implicit-def: $vgpr2
	s_delay_alu instid0(VALU_DEP_1)
	v_add_nc_u32_e32 v1, 0x38000000, v0
.LBB6_10547:                            ;   in Loop: Header=BB6_10323 Depth=4
	s_and_not1_saveexec_b32 s78, s78
; %bb.10548:                            ;   in Loop: Header=BB6_10323 Depth=4
	v_cmp_lt_i64_e32 vcc_lo, -1, v[8:9]
	v_mov_b32_e32 v0, 0x7f800000
	s_delay_alu instid0(VALU_DEP_1) | instskip(SKIP_1) | instid1(VALU_DEP_2)
	v_cndmask_b32_e32 v0, 0xff800000, v0, vcc_lo
	v_cmp_eq_u32_e32 vcc_lo, 0, v2
	v_cndmask_b32_e32 v1, 0x7f800001, v0, vcc_lo
; %bb.10549:                            ;   in Loop: Header=BB6_10323 Depth=4
	s_or_b32 exec_lo, exec_lo, s78
.LBB6_10550:                            ;   in Loop: Header=BB6_10323 Depth=4
	s_delay_alu instid0(SALU_CYCLE_1)
	s_or_b32 exec_lo, exec_lo, s77
.LBB6_10551:                            ;   in Loop: Header=BB6_10323 Depth=4
	s_delay_alu instid0(SALU_CYCLE_1) | instskip(NEXT) | instid1(VALU_DEP_1)
	s_or_b32 exec_lo, exec_lo, s14
	v_dual_mul_f32 v0, s76, v1 :: v_dual_mov_b32 v3, v113
                                        ; implicit-def: $vgpr36
	s_mov_b32 s14, exec_lo
	s_delay_alu instid0(VALU_DEP_1) | instskip(SKIP_2) | instid1(VALU_DEP_3)
	v_and_b32_e32 v2, 0x7f800000, v0
	v_and_b32_e32 v112, 0x7fffff, v0
	v_lshrrev_b32_e32 v1, 24, v0
	v_cmpx_ne_u64_e32 0x7f800000, v[2:3]
	s_xor_b32 s77, exec_lo, s14
	s_cbranch_execz .LBB6_10565
; %bb.10552:                            ;   in Loop: Header=BB6_10323 Depth=4
	v_and_b32_e32 v2, 0x7fffffff, v0
	v_mov_b32_e32 v3, v113
	v_and_b32_e32 v8, 0x80, v1
                                        ; implicit-def: $vgpr36
	s_mov_b32 s14, exec_lo
	s_delay_alu instid0(VALU_DEP_2)
	v_cmpx_gt_u64_e32 0x47600001, v[2:3]
	s_xor_b32 s78, exec_lo, s14
	s_cbranch_execz .LBB6_10562
; %bb.10553:                            ;   in Loop: Header=BB6_10323 Depth=4
	v_mov_b32_e32 v36, 0
	s_mov_b32 s79, exec_lo
	v_cmpx_ne_u32_e32 0, v0
	s_cbranch_execz .LBB6_10561
; %bb.10554:                            ;   in Loop: Header=BB6_10323 Depth=4
	v_bfe_u32 v9, v0, 23, 8
	v_or_b32_e32 v2, 0x800000, v112
	s_mov_b32 s88, exec_lo
	s_delay_alu instid0(VALU_DEP_2) | instskip(SKIP_1) | instid1(VALU_DEP_2)
	v_dual_mov_b32 v3, v113 :: v_dual_sub_nc_u32 v0, 0x71, v9
	v_cmp_gt_u32_e32 vcc_lo, 0x72, v9
	v_cndmask_b32_e32 v0, 0, v0, vcc_lo
	v_cmp_eq_u32_e32 vcc_lo, 0, v9
	s_delay_alu instid0(VALU_DEP_2) | instskip(NEXT) | instid1(VALU_DEP_1)
	v_cndmask_b32_e64 v23, v0, 0x70, vcc_lo
	v_dual_cndmask_b32 v2, v2, v112, vcc_lo :: v_dual_add_nc_u32 v0, 21, v23
	v_add_nc_u32_e32 v25, 20, v23
	s_delay_alu instid0(VALU_DEP_2) | instskip(NEXT) | instid1(VALU_DEP_2)
	v_lshlrev_b64_e64 v[0:1], v0, -1
	v_lshlrev_b64_e64 v[28:29], v25, 1
	s_delay_alu instid0(VALU_DEP_2) | instskip(NEXT) | instid1(VALU_DEP_3)
	v_bfi_b32 v31, v1, 0, 0
	v_bfi_b32 v30, v0, 0, v2
	v_lshrrev_b64 v[0:1], v23, v[2:3]
	s_delay_alu instid0(VALU_DEP_1) | instskip(NEXT) | instid1(VALU_DEP_3)
	v_mov_b64_e32 v[2:3], v[0:1]
	v_cmpx_eq_u64_e64 v[30:31], v[28:29]
; %bb.10555:                            ;   in Loop: Header=BB6_10323 Depth=4
	v_bfe_u32 v2, v0, 21, 1
	v_mov_b32_e32 v3, v113
	s_delay_alu instid0(VALU_DEP_1) | instskip(NEXT) | instid1(VALU_DEP_1)
	v_add_nc_u64_e32 v[2:3], v[0:1], v[2:3]
	v_add_nc_u64_e32 v[2:3], -1, v[2:3]
; %bb.10556:                            ;   in Loop: Header=BB6_10323 Depth=4
	s_or_b32 exec_lo, exec_lo, s88
	v_add_nc_u32_e32 v1, 0xffffff81, v9
	s_delay_alu instid0(VALU_DEP_2) | instskip(SKIP_2) | instid1(VALU_DEP_3)
	v_and_b32_e32 v2, 0x1fffff, v2
	v_lshrrev_b32_e32 v3, 23, v0
	s_mov_b32 s14, exec_lo
	v_cndmask_b32_e64 v1, v1, 0xffffff82, vcc_lo
	s_delay_alu instid0(VALU_DEP_3) | instskip(NEXT) | instid1(VALU_DEP_2)
	v_add_nc_u32_e32 v112, v2, v0
                                        ; implicit-def: $vgpr2
	v_add3_u32 v3, v23, v1, v3
                                        ; implicit-def: $vgpr0_vgpr1
	s_delay_alu instid0(VALU_DEP_1) | instskip(NEXT) | instid1(VALU_DEP_1)
	v_add_nc_u32_e32 v9, 14, v3
	v_cmpx_ne_u32_e32 0, v9
	s_xor_b32 s14, exec_lo, s14
; %bb.10557:                            ;   in Loop: Header=BB6_10323 Depth=4
	v_cmp_lt_u64_e32 vcc_lo, 0xffffff, v[112:113]
	v_add_nc_u32_e32 v0, 15, v3
	s_delay_alu instid0(VALU_DEP_1) | instskip(SKIP_1) | instid1(VALU_DEP_1)
	v_cndmask_b32_e32 v2, v9, v0, vcc_lo
	v_cndmask_b32_e64 v0, 0, 1, vcc_lo
	v_lshrrev_b64 v[0:1], v0, v[112:113]
; %bb.10558:                            ;   in Loop: Header=BB6_10323 Depth=4
	s_and_not1_saveexec_b32 s14, s14
; %bb.10559:                            ;   in Loop: Header=BB6_10323 Depth=4
	v_mov_b64_e32 v[0:1], v[112:113]
	v_bfe_u32 v2, v112, 23, 1
; %bb.10560:                            ;   in Loop: Header=BB6_10323 Depth=4
	s_or_b32 exec_lo, exec_lo, s14
	s_delay_alu instid0(VALU_DEP_2) | instskip(NEXT) | instid1(VALU_DEP_2)
	v_lshrrev_b64 v[0:1], 21, v[0:1]
	v_cmp_gt_i32_e32 vcc_lo, 32, v2
	v_min_i32_e32 v3, 31, v2
	v_cmp_eq_u32_e64 s14, 0, v2
	s_delay_alu instid0(VALU_DEP_2) | instskip(SKIP_1) | instid1(VALU_DEP_2)
	v_dual_cndmask_b32 v1, 0, v1, vcc_lo :: v_dual_lshlrev_b32 v3, 2, v3
	v_cndmask_b32_e32 v0, 3, v0, vcc_lo
	v_and_b32_e32 v3, 0xfc, v3
	s_delay_alu instid0(VALU_DEP_2) | instskip(NEXT) | instid1(VALU_DEP_2)
	v_cmp_eq_u64_e32 vcc_lo, 0, v[0:1]
	v_and_or_b32 v0, v0, 3, v3
	s_and_b32 s14, s14, vcc_lo
	s_delay_alu instid0(VALU_DEP_1) | instid1(SALU_CYCLE_1)
	v_cndmask_b32_e64 v0, v0, 0, s14
	s_delay_alu instid0(VALU_DEP_1)
	v_or_b32_e32 v36, v0, v8
.LBB6_10561:                            ;   in Loop: Header=BB6_10323 Depth=4
	s_or_b32 exec_lo, exec_lo, s79
                                        ; implicit-def: $vgpr8
.LBB6_10562:                            ;   in Loop: Header=BB6_10323 Depth=4
	s_and_not1_saveexec_b32 s14, s78
; %bb.10563:                            ;   in Loop: Header=BB6_10323 Depth=4
	v_or_b32_e32 v36, 0x7b, v8
; %bb.10564:                            ;   in Loop: Header=BB6_10323 Depth=4
	s_or_b32 exec_lo, exec_lo, s14
                                        ; implicit-def: $vgpr0
                                        ; implicit-def: $vgpr1
.LBB6_10565:                            ;   in Loop: Header=BB6_10323 Depth=4
	s_and_not1_saveexec_b32 s14, s77
	s_cbranch_execz .LBB6_10571
; %bb.10566:                            ;   in Loop: Header=BB6_10323 Depth=4
	s_mov_b32 s77, exec_lo
                                        ; implicit-def: $vgpr36
	v_cmpx_ne_u64_e32 0, v[112:113]
	s_xor_b32 s77, exec_lo, s77
; %bb.10567:                            ;   in Loop: Header=BB6_10323 Depth=4
	v_or_b32_e32 v36, 0x7f, v1
                                        ; implicit-def: $vgpr0
; %bb.10568:                            ;   in Loop: Header=BB6_10323 Depth=4
	s_and_not1_saveexec_b32 s77, s77
; %bb.10569:                            ;   in Loop: Header=BB6_10323 Depth=4
	v_cmp_lt_i32_e32 vcc_lo, -1, v0
	v_mov_b32_e32 v0, 0x7c
	s_delay_alu instid0(VALU_DEP_1)
	v_cndmask_b32_e32 v36, 0xfc, v0, vcc_lo
; %bb.10570:                            ;   in Loop: Header=BB6_10323 Depth=4
	s_or_b32 exec_lo, exec_lo, s77
.LBB6_10571:                            ;   in Loop: Header=BB6_10323 Depth=4
	s_delay_alu instid0(SALU_CYCLE_1) | instskip(SKIP_1) | instid1(VALU_DEP_1)
	s_or_b32 exec_lo, exec_lo, s14
	v_and_b32_e32 v0, 0xff, v10
	v_cmp_ne_u16_e32 vcc_lo, 0, v0
	v_mov_b32_e32 v0, 0
	s_and_saveexec_b32 s14, vcc_lo
	s_cbranch_execz .LBB6_10581
; %bb.10572:                            ;   in Loop: Header=BB6_10323 Depth=4
	v_bfe_i32 v2, v10, 0, 8
	v_bfrev_b32_e32 v0, 1
	s_mov_b32 s77, exec_lo
	s_delay_alu instid0(VALU_DEP_2)
	v_cmpx_ne_u16_e32 0xff80, v2
	s_cbranch_execz .LBB6_10580
; %bb.10573:                            ;   in Loop: Header=BB6_10323 Depth=4
	v_and_b32_e32 v0, 0x7c, v10
	v_and_b32_e32 v1, 3, v10
	s_delay_alu instid0(VALU_DEP_2) | instskip(SKIP_1) | instid1(SALU_CYCLE_1)
	v_cmp_ne_u32_e32 vcc_lo, 0x7c, v0
                                        ; implicit-def: $vgpr0
	s_and_saveexec_b32 s78, vcc_lo
	s_xor_b32 s78, exec_lo, s78
	s_cbranch_execz .LBB6_10577
; %bb.10574:                            ;   in Loop: Header=BB6_10323 Depth=4
	v_bfe_u32 v0, v10, 2, 5
	s_mov_b32 s79, exec_lo
	s_delay_alu instid0(VALU_DEP_1)
	v_cmpx_eq_u32_e32 0, v0
; %bb.10575:                            ;   in Loop: Header=BB6_10323 Depth=4
	v_clz_i32_u32_e32 v0, v1
	s_delay_alu instid0(VALU_DEP_1) | instskip(NEXT) | instid1(VALU_DEP_1)
	v_min_u32_e32 v0, 32, v0
	v_subrev_nc_u32_e32 v1, 29, v0
	s_delay_alu instid0(VALU_DEP_1) | instskip(NEXT) | instid1(VALU_DEP_1)
	v_lshlrev_b64_e32 v[2:3], v1, v[10:11]
	v_dual_sub_nc_u32 v0, 30, v0 :: v_dual_bitop2_b32 v1, 3, v2 bitop3:0x40
; %bb.10576:                            ;   in Loop: Header=BB6_10323 Depth=4
	s_or_b32 exec_lo, exec_lo, s79
	v_lshlrev_b32_e32 v2, 24, v10
	s_delay_alu instid0(VALU_DEP_1) | instskip(NEXT) | instid1(VALU_DEP_1)
	v_and_b32_e32 v2, 0x80000000, v2
	v_lshl_add_u32 v0, v0, 23, v2
                                        ; implicit-def: $vgpr2
	s_delay_alu instid0(VALU_DEP_1) | instskip(NEXT) | instid1(VALU_DEP_1)
	v_lshl_or_b32 v0, v1, 21, v0
                                        ; implicit-def: $vgpr1
	v_add_nc_u32_e32 v0, 0x38000000, v0
.LBB6_10577:                            ;   in Loop: Header=BB6_10323 Depth=4
	s_and_not1_saveexec_b32 s78, s78
; %bb.10578:                            ;   in Loop: Header=BB6_10323 Depth=4
	v_cmp_lt_i16_e32 vcc_lo, -1, v2
	v_mov_b32_e32 v0, 0x7f800000
	s_delay_alu instid0(VALU_DEP_1) | instskip(SKIP_1) | instid1(VALU_DEP_2)
	v_cndmask_b32_e32 v0, 0xff800000, v0, vcc_lo
	v_cmp_eq_u32_e32 vcc_lo, 0, v1
	v_cndmask_b32_e32 v0, 0x7f800001, v0, vcc_lo
; %bb.10579:                            ;   in Loop: Header=BB6_10323 Depth=4
	s_or_b32 exec_lo, exec_lo, s78
.LBB6_10580:                            ;   in Loop: Header=BB6_10323 Depth=4
	s_delay_alu instid0(SALU_CYCLE_1)
	s_or_b32 exec_lo, exec_lo, s77
.LBB6_10581:                            ;   in Loop: Header=BB6_10323 Depth=4
	s_delay_alu instid0(SALU_CYCLE_1) | instskip(NEXT) | instid1(VALU_DEP_1)
	s_or_b32 exec_lo, exec_lo, s14
	v_dual_mul_f32 v0, s76, v0 :: v_dual_mov_b32 v3, v113
                                        ; implicit-def: $vgpr25
	s_mov_b32 s14, exec_lo
	s_delay_alu instid0(VALU_DEP_1) | instskip(SKIP_2) | instid1(VALU_DEP_3)
	v_and_b32_e32 v2, 0x7f800000, v0
	v_and_b32_e32 v112, 0x7fffff, v0
	v_lshrrev_b32_e32 v1, 24, v0
	v_cmpx_ne_u64_e32 0x7f800000, v[2:3]
	s_xor_b32 s77, exec_lo, s14
	s_cbranch_execz .LBB6_10595
; %bb.10582:                            ;   in Loop: Header=BB6_10323 Depth=4
	v_and_b32_e32 v2, 0x7fffffff, v0
	v_mov_b32_e32 v3, v113
	v_and_b32_e32 v8, 0x80, v1
                                        ; implicit-def: $vgpr25
	s_mov_b32 s14, exec_lo
	s_delay_alu instid0(VALU_DEP_2)
	v_cmpx_gt_u64_e32 0x47600001, v[2:3]
	s_xor_b32 s78, exec_lo, s14
	s_cbranch_execz .LBB6_10592
; %bb.10583:                            ;   in Loop: Header=BB6_10323 Depth=4
	v_mov_b32_e32 v25, 0
	s_mov_b32 s79, exec_lo
	v_cmpx_ne_u32_e32 0, v0
	s_cbranch_execz .LBB6_10591
; %bb.10584:                            ;   in Loop: Header=BB6_10323 Depth=4
	v_bfe_u32 v9, v0, 23, 8
	v_or_b32_e32 v2, 0x800000, v112
	s_mov_b32 s88, exec_lo
	s_delay_alu instid0(VALU_DEP_2) | instskip(SKIP_1) | instid1(VALU_DEP_2)
	v_dual_mov_b32 v3, v113 :: v_dual_sub_nc_u32 v0, 0x71, v9
	v_cmp_gt_u32_e32 vcc_lo, 0x72, v9
	v_cndmask_b32_e32 v0, 0, v0, vcc_lo
	v_cmp_eq_u32_e32 vcc_lo, 0, v9
	s_delay_alu instid0(VALU_DEP_2) | instskip(NEXT) | instid1(VALU_DEP_1)
	v_cndmask_b32_e64 v23, v0, 0x70, vcc_lo
	v_dual_cndmask_b32 v2, v2, v112, vcc_lo :: v_dual_add_nc_u32 v0, 21, v23
	v_add_nc_u32_e32 v25, 20, v23
	s_delay_alu instid0(VALU_DEP_2) | instskip(NEXT) | instid1(VALU_DEP_2)
	v_lshlrev_b64_e64 v[0:1], v0, -1
	v_lshlrev_b64_e64 v[28:29], v25, 1
	s_delay_alu instid0(VALU_DEP_2) | instskip(NEXT) | instid1(VALU_DEP_3)
	v_bfi_b32 v31, v1, 0, 0
	v_bfi_b32 v30, v0, 0, v2
	v_lshrrev_b64 v[0:1], v23, v[2:3]
	s_delay_alu instid0(VALU_DEP_1) | instskip(NEXT) | instid1(VALU_DEP_3)
	v_mov_b64_e32 v[2:3], v[0:1]
	v_cmpx_eq_u64_e64 v[30:31], v[28:29]
; %bb.10585:                            ;   in Loop: Header=BB6_10323 Depth=4
	v_bfe_u32 v2, v0, 21, 1
	v_mov_b32_e32 v3, v113
	s_delay_alu instid0(VALU_DEP_1) | instskip(NEXT) | instid1(VALU_DEP_1)
	v_add_nc_u64_e32 v[2:3], v[0:1], v[2:3]
	v_add_nc_u64_e32 v[2:3], -1, v[2:3]
; %bb.10586:                            ;   in Loop: Header=BB6_10323 Depth=4
	s_or_b32 exec_lo, exec_lo, s88
	v_add_nc_u32_e32 v1, 0xffffff81, v9
	s_delay_alu instid0(VALU_DEP_2) | instskip(SKIP_2) | instid1(VALU_DEP_3)
	v_and_b32_e32 v2, 0x1fffff, v2
	v_lshrrev_b32_e32 v3, 23, v0
	s_mov_b32 s14, exec_lo
	v_cndmask_b32_e64 v1, v1, 0xffffff82, vcc_lo
	s_delay_alu instid0(VALU_DEP_3) | instskip(NEXT) | instid1(VALU_DEP_2)
	v_add_nc_u32_e32 v112, v2, v0
                                        ; implicit-def: $vgpr2
	v_add3_u32 v3, v23, v1, v3
                                        ; implicit-def: $vgpr0_vgpr1
	s_delay_alu instid0(VALU_DEP_1) | instskip(NEXT) | instid1(VALU_DEP_1)
	v_add_nc_u32_e32 v9, 14, v3
	v_cmpx_ne_u32_e32 0, v9
	s_xor_b32 s14, exec_lo, s14
; %bb.10587:                            ;   in Loop: Header=BB6_10323 Depth=4
	v_cmp_lt_u64_e32 vcc_lo, 0xffffff, v[112:113]
	v_add_nc_u32_e32 v0, 15, v3
	s_delay_alu instid0(VALU_DEP_1) | instskip(SKIP_1) | instid1(VALU_DEP_1)
	v_cndmask_b32_e32 v2, v9, v0, vcc_lo
	v_cndmask_b32_e64 v0, 0, 1, vcc_lo
	v_lshrrev_b64 v[0:1], v0, v[112:113]
; %bb.10588:                            ;   in Loop: Header=BB6_10323 Depth=4
	s_and_not1_saveexec_b32 s14, s14
; %bb.10589:                            ;   in Loop: Header=BB6_10323 Depth=4
	v_mov_b64_e32 v[0:1], v[112:113]
	v_bfe_u32 v2, v112, 23, 1
; %bb.10590:                            ;   in Loop: Header=BB6_10323 Depth=4
	s_or_b32 exec_lo, exec_lo, s14
	s_delay_alu instid0(VALU_DEP_2) | instskip(NEXT) | instid1(VALU_DEP_2)
	v_lshrrev_b64 v[0:1], 21, v[0:1]
	v_cmp_gt_i32_e32 vcc_lo, 32, v2
	v_min_i32_e32 v3, 31, v2
	v_cmp_eq_u32_e64 s14, 0, v2
	s_delay_alu instid0(VALU_DEP_2) | instskip(SKIP_1) | instid1(VALU_DEP_2)
	v_dual_cndmask_b32 v1, 0, v1, vcc_lo :: v_dual_lshlrev_b32 v3, 2, v3
	v_cndmask_b32_e32 v0, 3, v0, vcc_lo
	v_and_b32_e32 v3, 0xfc, v3
	s_delay_alu instid0(VALU_DEP_2) | instskip(NEXT) | instid1(VALU_DEP_2)
	v_cmp_eq_u64_e32 vcc_lo, 0, v[0:1]
	v_and_or_b32 v0, v0, 3, v3
	s_and_b32 s14, s14, vcc_lo
	s_delay_alu instid0(VALU_DEP_1) | instid1(SALU_CYCLE_1)
	v_cndmask_b32_e64 v0, v0, 0, s14
	s_delay_alu instid0(VALU_DEP_1)
	v_or_b32_e32 v25, v0, v8
.LBB6_10591:                            ;   in Loop: Header=BB6_10323 Depth=4
	s_or_b32 exec_lo, exec_lo, s79
                                        ; implicit-def: $vgpr8
.LBB6_10592:                            ;   in Loop: Header=BB6_10323 Depth=4
	s_and_not1_saveexec_b32 s14, s78
; %bb.10593:                            ;   in Loop: Header=BB6_10323 Depth=4
	v_or_b32_e32 v25, 0x7b, v8
; %bb.10594:                            ;   in Loop: Header=BB6_10323 Depth=4
	s_or_b32 exec_lo, exec_lo, s14
                                        ; implicit-def: $vgpr0
                                        ; implicit-def: $vgpr1
.LBB6_10595:                            ;   in Loop: Header=BB6_10323 Depth=4
	s_and_not1_saveexec_b32 s14, s77
	s_cbranch_execz .LBB6_10601
; %bb.10596:                            ;   in Loop: Header=BB6_10323 Depth=4
	s_mov_b32 s77, exec_lo
                                        ; implicit-def: $vgpr25
	v_cmpx_ne_u64_e32 0, v[112:113]
	s_xor_b32 s77, exec_lo, s77
; %bb.10597:                            ;   in Loop: Header=BB6_10323 Depth=4
	v_or_b32_e32 v25, 0x7f, v1
                                        ; implicit-def: $vgpr0
; %bb.10598:                            ;   in Loop: Header=BB6_10323 Depth=4
	s_and_not1_saveexec_b32 s77, s77
; %bb.10599:                            ;   in Loop: Header=BB6_10323 Depth=4
	v_cmp_lt_i32_e32 vcc_lo, -1, v0
	v_mov_b32_e32 v0, 0x7c
	s_delay_alu instid0(VALU_DEP_1)
	v_cndmask_b32_e32 v25, 0xfc, v0, vcc_lo
; %bb.10600:                            ;   in Loop: Header=BB6_10323 Depth=4
	s_or_b32 exec_lo, exec_lo, s77
.LBB6_10601:                            ;   in Loop: Header=BB6_10323 Depth=4
	s_delay_alu instid0(SALU_CYCLE_1) | instskip(SKIP_3) | instid1(VALU_DEP_2)
	s_or_b32 exec_lo, exec_lo, s14
	v_lshrrev_b16 v0, 8, v10
	v_mov_b32_e32 v2, 0
	s_mov_b32 s14, exec_lo
	v_cmpx_ne_u16_e32 0, v0
	s_cbranch_execz .LBB6_10611
; %bb.10602:                            ;   in Loop: Header=BB6_10323 Depth=4
	v_bfrev_b32_e32 v2, 1
	s_mov_b32 s77, exec_lo
	v_cmpx_ne_u16_e32 0x80, v0
	s_cbranch_execz .LBB6_10610
; %bb.10603:                            ;   in Loop: Header=BB6_10323 Depth=4
	v_and_b32_e32 v3, 0xffff, v0
	s_delay_alu instid0(VALU_DEP_1) | instskip(SKIP_1) | instid1(VALU_DEP_2)
	v_and_b32_e32 v2, 0x7c, v3
	v_and_b32_e32 v1, 3, v3
	v_cmp_ne_u32_e32 vcc_lo, 0x7c, v2
                                        ; implicit-def: $vgpr2
	s_and_saveexec_b32 s78, vcc_lo
	s_delay_alu instid0(SALU_CYCLE_1)
	s_xor_b32 s78, exec_lo, s78
	s_cbranch_execz .LBB6_10607
; %bb.10604:                            ;   in Loop: Header=BB6_10323 Depth=4
	v_bfe_u32 v2, v3, 2, 5
	s_mov_b32 s79, exec_lo
	s_delay_alu instid0(VALU_DEP_1)
	v_cmpx_eq_u32_e32 0, v2
	s_cbranch_execz .LBB6_10606
; %bb.10605:                            ;   in Loop: Header=BB6_10323 Depth=4
	v_clz_i32_u32_e32 v1, v1
	s_delay_alu instid0(VALU_DEP_1) | instskip(SKIP_1) | instid1(VALU_DEP_2)
	v_min_u32_e32 v2, 32, v1
	v_mov_b32_e32 v1, v113
	v_subrev_nc_u32_e32 v3, 29, v2
	v_sub_nc_u32_e32 v2, 30, v2
	s_delay_alu instid0(VALU_DEP_2) | instskip(NEXT) | instid1(VALU_DEP_1)
	v_lshlrev_b64_e32 v[0:1], v3, v[0:1]
	v_and_b32_e32 v1, 3, v0
.LBB6_10606:                            ;   in Loop: Header=BB6_10323 Depth=4
	s_or_b32 exec_lo, exec_lo, s79
	v_lshlrev_b32_e32 v0, 16, v10
	s_delay_alu instid0(VALU_DEP_1) | instskip(NEXT) | instid1(VALU_DEP_1)
	v_and_b32_e32 v0, 0x80000000, v0
	v_lshl_add_u32 v0, v2, 23, v0
	s_delay_alu instid0(VALU_DEP_1) | instskip(NEXT) | instid1(VALU_DEP_1)
	v_lshl_or_b32 v0, v1, 21, v0
                                        ; implicit-def: $vgpr1
	v_add_nc_u32_e32 v2, 0x38000000, v0
.LBB6_10607:                            ;   in Loop: Header=BB6_10323 Depth=4
	s_and_not1_saveexec_b32 s78, s78
; %bb.10608:                            ;   in Loop: Header=BB6_10323 Depth=4
	v_cmp_lt_i16_e32 vcc_lo, -1, v10
	v_mov_b32_e32 v0, 0x7f800000
	s_delay_alu instid0(VALU_DEP_1) | instskip(SKIP_1) | instid1(VALU_DEP_2)
	v_cndmask_b32_e32 v0, 0xff800000, v0, vcc_lo
	v_cmp_eq_u32_e32 vcc_lo, 0, v1
	v_cndmask_b32_e32 v2, 0x7f800001, v0, vcc_lo
; %bb.10609:                            ;   in Loop: Header=BB6_10323 Depth=4
	s_or_b32 exec_lo, exec_lo, s78
.LBB6_10610:                            ;   in Loop: Header=BB6_10323 Depth=4
	s_delay_alu instid0(SALU_CYCLE_1)
	s_or_b32 exec_lo, exec_lo, s77
.LBB6_10611:                            ;   in Loop: Header=BB6_10323 Depth=4
	s_delay_alu instid0(SALU_CYCLE_1) | instskip(NEXT) | instid1(VALU_DEP_1)
	s_or_b32 exec_lo, exec_lo, s14
	v_dual_mul_f32 v0, s76, v2 :: v_dual_mov_b32 v3, v113
                                        ; implicit-def: $vgpr29
	s_mov_b32 s14, exec_lo
	s_delay_alu instid0(VALU_DEP_1) | instskip(SKIP_2) | instid1(VALU_DEP_3)
	v_and_b32_e32 v2, 0x7f800000, v0
	v_and_b32_e32 v112, 0x7fffff, v0
	v_lshrrev_b32_e32 v1, 24, v0
	v_cmpx_ne_u64_e32 0x7f800000, v[2:3]
	s_xor_b32 s77, exec_lo, s14
	s_cbranch_execz .LBB6_10625
; %bb.10612:                            ;   in Loop: Header=BB6_10323 Depth=4
	v_and_b32_e32 v2, 0x7fffffff, v0
	v_mov_b32_e32 v3, v113
	v_and_b32_e32 v8, 0x80, v1
                                        ; implicit-def: $vgpr29
	s_mov_b32 s14, exec_lo
	s_delay_alu instid0(VALU_DEP_2)
	v_cmpx_gt_u64_e32 0x47600001, v[2:3]
	s_xor_b32 s78, exec_lo, s14
	s_cbranch_execz .LBB6_10622
; %bb.10613:                            ;   in Loop: Header=BB6_10323 Depth=4
	v_mov_b32_e32 v29, 0
	s_mov_b32 s79, exec_lo
	v_cmpx_ne_u32_e32 0, v0
	s_cbranch_execz .LBB6_10621
; %bb.10614:                            ;   in Loop: Header=BB6_10323 Depth=4
	v_bfe_u32 v9, v0, 23, 8
	v_or_b32_e32 v2, 0x800000, v112
	s_mov_b32 s88, exec_lo
	s_delay_alu instid0(VALU_DEP_2) | instskip(SKIP_1) | instid1(VALU_DEP_2)
	v_dual_mov_b32 v3, v113 :: v_dual_sub_nc_u32 v0, 0x71, v9
	v_cmp_gt_u32_e32 vcc_lo, 0x72, v9
	v_cndmask_b32_e32 v0, 0, v0, vcc_lo
	v_cmp_eq_u32_e32 vcc_lo, 0, v9
	s_delay_alu instid0(VALU_DEP_2) | instskip(NEXT) | instid1(VALU_DEP_1)
	v_cndmask_b32_e64 v23, v0, 0x70, vcc_lo
	v_dual_cndmask_b32 v2, v2, v112, vcc_lo :: v_dual_add_nc_u32 v0, 21, v23
	v_add_nc_u32_e32 v26, 20, v23
	s_delay_alu instid0(VALU_DEP_2) | instskip(NEXT) | instid1(VALU_DEP_2)
	v_lshlrev_b64_e64 v[0:1], v0, -1
	v_lshlrev_b64_e64 v[28:29], v26, 1
	s_delay_alu instid0(VALU_DEP_2) | instskip(NEXT) | instid1(VALU_DEP_3)
	v_bfi_b32 v31, v1, 0, 0
	v_bfi_b32 v30, v0, 0, v2
	v_lshrrev_b64 v[0:1], v23, v[2:3]
	s_delay_alu instid0(VALU_DEP_1) | instskip(NEXT) | instid1(VALU_DEP_3)
	v_mov_b64_e32 v[2:3], v[0:1]
	v_cmpx_eq_u64_e64 v[30:31], v[28:29]
; %bb.10615:                            ;   in Loop: Header=BB6_10323 Depth=4
	v_bfe_u32 v2, v0, 21, 1
	v_mov_b32_e32 v3, v113
	s_delay_alu instid0(VALU_DEP_1) | instskip(NEXT) | instid1(VALU_DEP_1)
	v_add_nc_u64_e32 v[2:3], v[0:1], v[2:3]
	v_add_nc_u64_e32 v[2:3], -1, v[2:3]
; %bb.10616:                            ;   in Loop: Header=BB6_10323 Depth=4
	s_or_b32 exec_lo, exec_lo, s88
	v_add_nc_u32_e32 v1, 0xffffff81, v9
	s_delay_alu instid0(VALU_DEP_2) | instskip(SKIP_2) | instid1(VALU_DEP_3)
	v_and_b32_e32 v2, 0x1fffff, v2
	v_lshrrev_b32_e32 v3, 23, v0
	s_mov_b32 s14, exec_lo
	v_cndmask_b32_e64 v1, v1, 0xffffff82, vcc_lo
	s_delay_alu instid0(VALU_DEP_3) | instskip(NEXT) | instid1(VALU_DEP_2)
	v_add_nc_u32_e32 v112, v2, v0
                                        ; implicit-def: $vgpr2
	v_add3_u32 v3, v23, v1, v3
                                        ; implicit-def: $vgpr0_vgpr1
	s_delay_alu instid0(VALU_DEP_1) | instskip(NEXT) | instid1(VALU_DEP_1)
	v_add_nc_u32_e32 v9, 14, v3
	v_cmpx_ne_u32_e32 0, v9
	s_xor_b32 s14, exec_lo, s14
; %bb.10617:                            ;   in Loop: Header=BB6_10323 Depth=4
	v_cmp_lt_u64_e32 vcc_lo, 0xffffff, v[112:113]
	v_add_nc_u32_e32 v0, 15, v3
	s_delay_alu instid0(VALU_DEP_1) | instskip(SKIP_1) | instid1(VALU_DEP_1)
	v_cndmask_b32_e32 v2, v9, v0, vcc_lo
	v_cndmask_b32_e64 v0, 0, 1, vcc_lo
	v_lshrrev_b64 v[0:1], v0, v[112:113]
; %bb.10618:                            ;   in Loop: Header=BB6_10323 Depth=4
	s_and_not1_saveexec_b32 s14, s14
; %bb.10619:                            ;   in Loop: Header=BB6_10323 Depth=4
	v_mov_b64_e32 v[0:1], v[112:113]
	v_bfe_u32 v2, v112, 23, 1
; %bb.10620:                            ;   in Loop: Header=BB6_10323 Depth=4
	s_or_b32 exec_lo, exec_lo, s14
	s_delay_alu instid0(VALU_DEP_2) | instskip(NEXT) | instid1(VALU_DEP_2)
	v_lshrrev_b64 v[0:1], 21, v[0:1]
	v_cmp_gt_i32_e32 vcc_lo, 32, v2
	v_min_i32_e32 v3, 31, v2
	v_cmp_eq_u32_e64 s14, 0, v2
	s_delay_alu instid0(VALU_DEP_2) | instskip(SKIP_1) | instid1(VALU_DEP_2)
	v_dual_cndmask_b32 v1, 0, v1, vcc_lo :: v_dual_lshlrev_b32 v3, 2, v3
	v_cndmask_b32_e32 v0, 3, v0, vcc_lo
	v_and_b32_e32 v3, 0xfc, v3
	s_delay_alu instid0(VALU_DEP_2) | instskip(NEXT) | instid1(VALU_DEP_2)
	v_cmp_eq_u64_e32 vcc_lo, 0, v[0:1]
	v_and_or_b32 v0, v0, 3, v3
	s_and_b32 s14, s14, vcc_lo
	s_delay_alu instid0(VALU_DEP_1) | instid1(SALU_CYCLE_1)
	v_cndmask_b32_e64 v0, v0, 0, s14
	s_delay_alu instid0(VALU_DEP_1)
	v_or_b32_e32 v29, v0, v8
.LBB6_10621:                            ;   in Loop: Header=BB6_10323 Depth=4
	s_or_b32 exec_lo, exec_lo, s79
                                        ; implicit-def: $vgpr8
.LBB6_10622:                            ;   in Loop: Header=BB6_10323 Depth=4
	s_and_not1_saveexec_b32 s14, s78
; %bb.10623:                            ;   in Loop: Header=BB6_10323 Depth=4
	v_or_b32_e32 v29, 0x7b, v8
; %bb.10624:                            ;   in Loop: Header=BB6_10323 Depth=4
	s_or_b32 exec_lo, exec_lo, s14
                                        ; implicit-def: $vgpr0
                                        ; implicit-def: $vgpr1
.LBB6_10625:                            ;   in Loop: Header=BB6_10323 Depth=4
	s_and_not1_saveexec_b32 s14, s77
	s_cbranch_execz .LBB6_10631
; %bb.10626:                            ;   in Loop: Header=BB6_10323 Depth=4
	s_mov_b32 s77, exec_lo
                                        ; implicit-def: $vgpr29
	v_cmpx_ne_u64_e32 0, v[112:113]
	s_xor_b32 s77, exec_lo, s77
; %bb.10627:                            ;   in Loop: Header=BB6_10323 Depth=4
	v_or_b32_e32 v29, 0x7f, v1
                                        ; implicit-def: $vgpr0
; %bb.10628:                            ;   in Loop: Header=BB6_10323 Depth=4
	s_and_not1_saveexec_b32 s77, s77
; %bb.10629:                            ;   in Loop: Header=BB6_10323 Depth=4
	v_cmp_lt_i32_e32 vcc_lo, -1, v0
	v_mov_b32_e32 v0, 0x7c
	s_delay_alu instid0(VALU_DEP_1)
	v_cndmask_b32_e32 v29, 0xfc, v0, vcc_lo
; %bb.10630:                            ;   in Loop: Header=BB6_10323 Depth=4
	s_or_b32 exec_lo, exec_lo, s77
.LBB6_10631:                            ;   in Loop: Header=BB6_10323 Depth=4
	s_delay_alu instid0(SALU_CYCLE_1) | instskip(SKIP_2) | instid1(VALU_DEP_1)
	s_or_b32 exec_lo, exec_lo, s14
	v_dual_mov_b32 v1, 0 :: v_dual_lshrrev_b32 v0, 16, v10
	s_mov_b32 s14, exec_lo
	v_and_b32_e32 v2, 0xff, v0
	s_delay_alu instid0(VALU_DEP_1)
	v_cmpx_ne_u16_e32 0, v2
	s_cbranch_execz .LBB6_10641
; %bb.10632:                            ;   in Loop: Header=BB6_10323 Depth=4
	v_bfrev_b32_e32 v1, 1
	s_mov_b32 s77, exec_lo
	v_cmpx_ne_u16_e32 0x80, v2
	s_cbranch_execz .LBB6_10640
; %bb.10633:                            ;   in Loop: Header=BB6_10323 Depth=4
	v_and_b32_e32 v1, 0x7c0000, v10
	v_bfe_u32 v2, v10, 16, 2
	s_delay_alu instid0(VALU_DEP_2) | instskip(SKIP_1) | instid1(SALU_CYCLE_1)
	v_cmp_ne_u32_e32 vcc_lo, 0x7c0000, v1
                                        ; implicit-def: $vgpr1
	s_and_saveexec_b32 s78, vcc_lo
	s_xor_b32 s78, exec_lo, s78
	s_cbranch_execz .LBB6_10637
; %bb.10634:                            ;   in Loop: Header=BB6_10323 Depth=4
	v_bfe_u32 v1, v10, 18, 5
	s_mov_b32 s79, exec_lo
	s_delay_alu instid0(VALU_DEP_1)
	v_cmpx_eq_u32_e32 0, v1
; %bb.10635:                            ;   in Loop: Header=BB6_10323 Depth=4
	v_clz_i32_u32_e32 v1, v2
	s_delay_alu instid0(VALU_DEP_1) | instskip(NEXT) | instid1(VALU_DEP_1)
	v_min_u32_e32 v1, 32, v1
	v_subrev_nc_u32_e32 v2, 29, v1
	s_delay_alu instid0(VALU_DEP_1) | instskip(NEXT) | instid1(VALU_DEP_1)
	v_lshlrev_b64_e32 v[2:3], v2, v[0:1]
	v_dual_sub_nc_u32 v1, 30, v1 :: v_dual_bitop2_b32 v2, 3, v2 bitop3:0x40
; %bb.10636:                            ;   in Loop: Header=BB6_10323 Depth=4
	s_or_b32 exec_lo, exec_lo, s79
	v_lshlrev_b32_e32 v0, 24, v0
	s_delay_alu instid0(VALU_DEP_1) | instskip(NEXT) | instid1(VALU_DEP_1)
	v_and_b32_e32 v0, 0x80000000, v0
	v_lshl_add_u32 v0, v1, 23, v0
	s_delay_alu instid0(VALU_DEP_1) | instskip(NEXT) | instid1(VALU_DEP_1)
	v_lshl_or_b32 v0, v2, 21, v0
                                        ; implicit-def: $vgpr2
	v_add_nc_u32_e32 v1, 0x38000000, v0
                                        ; implicit-def: $vgpr0
.LBB6_10637:                            ;   in Loop: Header=BB6_10323 Depth=4
	s_and_not1_saveexec_b32 s78, s78
; %bb.10638:                            ;   in Loop: Header=BB6_10323 Depth=4
	v_bfe_i32 v0, v0, 0, 8
	s_delay_alu instid0(VALU_DEP_1) | instskip(SKIP_1) | instid1(VALU_DEP_1)
	v_cmp_lt_i16_e32 vcc_lo, -1, v0
	v_mov_b32_e32 v0, 0x7f800000
	v_cndmask_b32_e32 v0, 0xff800000, v0, vcc_lo
	v_cmp_eq_u32_e32 vcc_lo, 0, v2
	s_delay_alu instid0(VALU_DEP_2)
	v_cndmask_b32_e32 v1, 0x7f800001, v0, vcc_lo
; %bb.10639:                            ;   in Loop: Header=BB6_10323 Depth=4
	s_or_b32 exec_lo, exec_lo, s78
.LBB6_10640:                            ;   in Loop: Header=BB6_10323 Depth=4
	s_delay_alu instid0(SALU_CYCLE_1)
	s_or_b32 exec_lo, exec_lo, s77
.LBB6_10641:                            ;   in Loop: Header=BB6_10323 Depth=4
	s_delay_alu instid0(SALU_CYCLE_1) | instskip(NEXT) | instid1(VALU_DEP_1)
	s_or_b32 exec_lo, exec_lo, s14
	v_dual_mul_f32 v0, s76, v1 :: v_dual_mov_b32 v3, v113
                                        ; implicit-def: $vgpr32
	s_mov_b32 s14, exec_lo
	s_delay_alu instid0(VALU_DEP_1) | instskip(SKIP_2) | instid1(VALU_DEP_3)
	v_and_b32_e32 v2, 0x7f800000, v0
	v_and_b32_e32 v112, 0x7fffff, v0
	v_lshrrev_b32_e32 v1, 24, v0
	v_cmpx_ne_u64_e32 0x7f800000, v[2:3]
	s_xor_b32 s77, exec_lo, s14
	s_cbranch_execz .LBB6_10655
; %bb.10642:                            ;   in Loop: Header=BB6_10323 Depth=4
	v_and_b32_e32 v2, 0x7fffffff, v0
	v_mov_b32_e32 v3, v113
	v_and_b32_e32 v8, 0x80, v1
                                        ; implicit-def: $vgpr32
	s_mov_b32 s14, exec_lo
	s_delay_alu instid0(VALU_DEP_2)
	v_cmpx_gt_u64_e32 0x47600001, v[2:3]
	s_xor_b32 s78, exec_lo, s14
	s_cbranch_execz .LBB6_10652
; %bb.10643:                            ;   in Loop: Header=BB6_10323 Depth=4
	v_mov_b32_e32 v32, 0
	s_mov_b32 s79, exec_lo
	v_cmpx_ne_u32_e32 0, v0
	s_cbranch_execz .LBB6_10651
; %bb.10644:                            ;   in Loop: Header=BB6_10323 Depth=4
	v_bfe_u32 v9, v0, 23, 8
	v_or_b32_e32 v2, 0x800000, v112
	s_mov_b32 s88, exec_lo
	s_delay_alu instid0(VALU_DEP_2) | instskip(SKIP_1) | instid1(VALU_DEP_2)
	v_dual_mov_b32 v3, v113 :: v_dual_sub_nc_u32 v0, 0x71, v9
	v_cmp_gt_u32_e32 vcc_lo, 0x72, v9
	v_cndmask_b32_e32 v0, 0, v0, vcc_lo
	v_cmp_eq_u32_e32 vcc_lo, 0, v9
	s_delay_alu instid0(VALU_DEP_2) | instskip(NEXT) | instid1(VALU_DEP_1)
	v_cndmask_b32_e64 v23, v0, 0x70, vcc_lo
	v_dual_cndmask_b32 v2, v2, v112, vcc_lo :: v_dual_add_nc_u32 v0, 21, v23
	v_add_nc_u32_e32 v26, 20, v23
	s_delay_alu instid0(VALU_DEP_2) | instskip(NEXT) | instid1(VALU_DEP_2)
	v_lshlrev_b64_e64 v[0:1], v0, -1
	v_lshlrev_b64_e64 v[30:31], v26, 1
	s_delay_alu instid0(VALU_DEP_2) | instskip(NEXT) | instid1(VALU_DEP_3)
	v_bfi_b32 v39, v1, 0, 0
	v_bfi_b32 v38, v0, 0, v2
	v_lshrrev_b64 v[0:1], v23, v[2:3]
	s_delay_alu instid0(VALU_DEP_1) | instskip(NEXT) | instid1(VALU_DEP_3)
	v_mov_b64_e32 v[2:3], v[0:1]
	v_cmpx_eq_u64_e64 v[38:39], v[30:31]
; %bb.10645:                            ;   in Loop: Header=BB6_10323 Depth=4
	v_bfe_u32 v2, v0, 21, 1
	v_mov_b32_e32 v3, v113
	s_delay_alu instid0(VALU_DEP_1) | instskip(NEXT) | instid1(VALU_DEP_1)
	v_add_nc_u64_e32 v[2:3], v[0:1], v[2:3]
	v_add_nc_u64_e32 v[2:3], -1, v[2:3]
; %bb.10646:                            ;   in Loop: Header=BB6_10323 Depth=4
	s_or_b32 exec_lo, exec_lo, s88
	v_add_nc_u32_e32 v1, 0xffffff81, v9
	s_delay_alu instid0(VALU_DEP_2) | instskip(SKIP_2) | instid1(VALU_DEP_3)
	v_and_b32_e32 v2, 0x1fffff, v2
	v_lshrrev_b32_e32 v3, 23, v0
	s_mov_b32 s14, exec_lo
	v_cndmask_b32_e64 v1, v1, 0xffffff82, vcc_lo
	s_delay_alu instid0(VALU_DEP_3) | instskip(NEXT) | instid1(VALU_DEP_2)
	v_add_nc_u32_e32 v112, v2, v0
                                        ; implicit-def: $vgpr2
	v_add3_u32 v3, v23, v1, v3
                                        ; implicit-def: $vgpr0_vgpr1
	s_delay_alu instid0(VALU_DEP_1) | instskip(NEXT) | instid1(VALU_DEP_1)
	v_add_nc_u32_e32 v9, 14, v3
	v_cmpx_ne_u32_e32 0, v9
	s_xor_b32 s14, exec_lo, s14
; %bb.10647:                            ;   in Loop: Header=BB6_10323 Depth=4
	v_cmp_lt_u64_e32 vcc_lo, 0xffffff, v[112:113]
	v_add_nc_u32_e32 v0, 15, v3
	s_delay_alu instid0(VALU_DEP_1) | instskip(SKIP_1) | instid1(VALU_DEP_1)
	v_cndmask_b32_e32 v2, v9, v0, vcc_lo
	v_cndmask_b32_e64 v0, 0, 1, vcc_lo
	v_lshrrev_b64 v[0:1], v0, v[112:113]
; %bb.10648:                            ;   in Loop: Header=BB6_10323 Depth=4
	s_and_not1_saveexec_b32 s14, s14
; %bb.10649:                            ;   in Loop: Header=BB6_10323 Depth=4
	v_mov_b64_e32 v[0:1], v[112:113]
	v_bfe_u32 v2, v112, 23, 1
; %bb.10650:                            ;   in Loop: Header=BB6_10323 Depth=4
	s_or_b32 exec_lo, exec_lo, s14
	s_delay_alu instid0(VALU_DEP_2) | instskip(NEXT) | instid1(VALU_DEP_2)
	v_lshrrev_b64 v[0:1], 21, v[0:1]
	v_cmp_gt_i32_e32 vcc_lo, 32, v2
	v_min_i32_e32 v3, 31, v2
	v_cmp_eq_u32_e64 s14, 0, v2
	s_delay_alu instid0(VALU_DEP_2) | instskip(SKIP_1) | instid1(VALU_DEP_2)
	v_dual_cndmask_b32 v1, 0, v1, vcc_lo :: v_dual_lshlrev_b32 v3, 2, v3
	v_cndmask_b32_e32 v0, 3, v0, vcc_lo
	v_and_b32_e32 v3, 0xfc, v3
	s_delay_alu instid0(VALU_DEP_2) | instskip(NEXT) | instid1(VALU_DEP_2)
	v_cmp_eq_u64_e32 vcc_lo, 0, v[0:1]
	v_and_or_b32 v0, v0, 3, v3
	s_and_b32 s14, s14, vcc_lo
	s_delay_alu instid0(VALU_DEP_1) | instid1(SALU_CYCLE_1)
	v_cndmask_b32_e64 v0, v0, 0, s14
	s_delay_alu instid0(VALU_DEP_1)
	v_or_b32_e32 v32, v0, v8
.LBB6_10651:                            ;   in Loop: Header=BB6_10323 Depth=4
	s_or_b32 exec_lo, exec_lo, s79
                                        ; implicit-def: $vgpr8
.LBB6_10652:                            ;   in Loop: Header=BB6_10323 Depth=4
	s_and_not1_saveexec_b32 s14, s78
; %bb.10653:                            ;   in Loop: Header=BB6_10323 Depth=4
	v_or_b32_e32 v32, 0x7b, v8
; %bb.10654:                            ;   in Loop: Header=BB6_10323 Depth=4
	s_or_b32 exec_lo, exec_lo, s14
                                        ; implicit-def: $vgpr0
                                        ; implicit-def: $vgpr1
.LBB6_10655:                            ;   in Loop: Header=BB6_10323 Depth=4
	s_and_not1_saveexec_b32 s14, s77
	s_cbranch_execz .LBB6_10661
; %bb.10656:                            ;   in Loop: Header=BB6_10323 Depth=4
	s_mov_b32 s77, exec_lo
                                        ; implicit-def: $vgpr32
	v_cmpx_ne_u64_e32 0, v[112:113]
	s_xor_b32 s77, exec_lo, s77
; %bb.10657:                            ;   in Loop: Header=BB6_10323 Depth=4
	v_or_b32_e32 v32, 0x7f, v1
                                        ; implicit-def: $vgpr0
; %bb.10658:                            ;   in Loop: Header=BB6_10323 Depth=4
	s_and_not1_saveexec_b32 s77, s77
; %bb.10659:                            ;   in Loop: Header=BB6_10323 Depth=4
	v_cmp_lt_i32_e32 vcc_lo, -1, v0
	v_mov_b32_e32 v0, 0x7c
	s_delay_alu instid0(VALU_DEP_1)
	v_cndmask_b32_e32 v32, 0xfc, v0, vcc_lo
; %bb.10660:                            ;   in Loop: Header=BB6_10323 Depth=4
	s_or_b32 exec_lo, exec_lo, s77
.LBB6_10661:                            ;   in Loop: Header=BB6_10323 Depth=4
	s_delay_alu instid0(SALU_CYCLE_1)
	s_or_b32 exec_lo, exec_lo, s14
	v_mov_b32_e32 v1, 0
	s_mov_b32 s14, exec_lo
	v_cmpx_lt_u32_e32 0xffffff, v10
	s_cbranch_execz .LBB6_10671
; %bb.10662:                            ;   in Loop: Header=BB6_10323 Depth=4
	v_lshrrev_b32_e32 v0, 24, v10
	v_bfrev_b32_e32 v1, 1
	s_mov_b32 s77, exec_lo
	s_delay_alu instid0(VALU_DEP_2)
	v_cmpx_ne_u32_e32 0x80, v0
	s_cbranch_execz .LBB6_10670
; %bb.10663:                            ;   in Loop: Header=BB6_10323 Depth=4
	v_and_b32_e32 v1, 0x7c000000, v10
	v_bfe_u32 v2, v10, 24, 2
	s_delay_alu instid0(VALU_DEP_2) | instskip(SKIP_1) | instid1(SALU_CYCLE_1)
	v_cmp_ne_u32_e32 vcc_lo, 0x7c000000, v1
                                        ; implicit-def: $vgpr1
	s_and_saveexec_b32 s78, vcc_lo
	s_xor_b32 s78, exec_lo, s78
	s_cbranch_execz .LBB6_10667
; %bb.10664:                            ;   in Loop: Header=BB6_10323 Depth=4
	v_bfe_u32 v1, v10, 26, 5
	s_mov_b32 s79, exec_lo
	s_delay_alu instid0(VALU_DEP_1)
	v_cmpx_eq_u32_e32 0, v1
; %bb.10665:                            ;   in Loop: Header=BB6_10323 Depth=4
	v_clz_i32_u32_e32 v1, v2
	s_delay_alu instid0(VALU_DEP_1) | instskip(NEXT) | instid1(VALU_DEP_1)
	v_min_u32_e32 v2, 32, v1
	v_subrev_nc_u32_e32 v1, 29, v2
	s_delay_alu instid0(VALU_DEP_1) | instskip(NEXT) | instid1(VALU_DEP_1)
	v_lshlrev_b64_e32 v[0:1], v1, v[0:1]
	v_dual_sub_nc_u32 v1, 30, v2 :: v_dual_bitop2_b32 v2, 3, v0 bitop3:0x40
; %bb.10666:                            ;   in Loop: Header=BB6_10323 Depth=4
	s_or_b32 exec_lo, exec_lo, s79
	v_and_b32_e32 v0, 0x80000000, v10
	s_delay_alu instid0(VALU_DEP_1) | instskip(NEXT) | instid1(VALU_DEP_1)
	v_lshl_add_u32 v0, v1, 23, v0
	v_lshl_or_b32 v0, v2, 21, v0
                                        ; implicit-def: $vgpr2
	s_delay_alu instid0(VALU_DEP_1)
	v_add_nc_u32_e32 v1, 0x38000000, v0
.LBB6_10667:                            ;   in Loop: Header=BB6_10323 Depth=4
	s_and_not1_saveexec_b32 s78, s78
; %bb.10668:                            ;   in Loop: Header=BB6_10323 Depth=4
	v_cmp_lt_i32_e32 vcc_lo, -1, v10
	v_mov_b32_e32 v0, 0x7f800000
	s_delay_alu instid0(VALU_DEP_1) | instskip(SKIP_1) | instid1(VALU_DEP_2)
	v_cndmask_b32_e32 v0, 0xff800000, v0, vcc_lo
	v_cmp_eq_u32_e32 vcc_lo, 0, v2
	v_cndmask_b32_e32 v1, 0x7f800001, v0, vcc_lo
; %bb.10669:                            ;   in Loop: Header=BB6_10323 Depth=4
	s_or_b32 exec_lo, exec_lo, s78
.LBB6_10670:                            ;   in Loop: Header=BB6_10323 Depth=4
	s_delay_alu instid0(SALU_CYCLE_1)
	s_or_b32 exec_lo, exec_lo, s77
.LBB6_10671:                            ;   in Loop: Header=BB6_10323 Depth=4
	s_delay_alu instid0(SALU_CYCLE_1) | instskip(NEXT) | instid1(VALU_DEP_1)
	s_or_b32 exec_lo, exec_lo, s14
	v_dual_mul_f32 v0, s76, v1 :: v_dual_mov_b32 v3, v113
                                        ; implicit-def: $vgpr34
	s_mov_b32 s14, exec_lo
	s_delay_alu instid0(VALU_DEP_1) | instskip(SKIP_2) | instid1(VALU_DEP_3)
	v_and_b32_e32 v2, 0x7f800000, v0
	v_and_b32_e32 v112, 0x7fffff, v0
	v_lshrrev_b32_e32 v1, 24, v0
	v_cmpx_ne_u64_e32 0x7f800000, v[2:3]
	s_xor_b32 s77, exec_lo, s14
	s_cbranch_execz .LBB6_10685
; %bb.10672:                            ;   in Loop: Header=BB6_10323 Depth=4
	v_and_b32_e32 v2, 0x7fffffff, v0
	v_mov_b32_e32 v3, v113
	v_and_b32_e32 v8, 0x80, v1
                                        ; implicit-def: $vgpr34
	s_mov_b32 s14, exec_lo
	s_delay_alu instid0(VALU_DEP_2)
	v_cmpx_gt_u64_e32 0x47600001, v[2:3]
	s_xor_b32 s78, exec_lo, s14
	s_cbranch_execz .LBB6_10682
; %bb.10673:                            ;   in Loop: Header=BB6_10323 Depth=4
	v_mov_b32_e32 v34, 0
	s_mov_b32 s79, exec_lo
	v_cmpx_ne_u32_e32 0, v0
	s_cbranch_execz .LBB6_10681
; %bb.10674:                            ;   in Loop: Header=BB6_10323 Depth=4
	v_bfe_u32 v9, v0, 23, 8
	v_or_b32_e32 v2, 0x800000, v112
	s_mov_b32 s88, exec_lo
	s_delay_alu instid0(VALU_DEP_2) | instskip(SKIP_1) | instid1(VALU_DEP_2)
	v_dual_mov_b32 v3, v113 :: v_dual_sub_nc_u32 v0, 0x71, v9
	v_cmp_gt_u32_e32 vcc_lo, 0x72, v9
	v_cndmask_b32_e32 v0, 0, v0, vcc_lo
	v_cmp_eq_u32_e32 vcc_lo, 0, v9
	s_delay_alu instid0(VALU_DEP_2) | instskip(NEXT) | instid1(VALU_DEP_1)
	v_cndmask_b32_e64 v23, v0, 0x70, vcc_lo
	v_dual_cndmask_b32 v2, v2, v112, vcc_lo :: v_dual_add_nc_u32 v0, 21, v23
	v_add_nc_u32_e32 v26, 20, v23
	s_delay_alu instid0(VALU_DEP_2) | instskip(NEXT) | instid1(VALU_DEP_2)
	v_lshlrev_b64_e64 v[0:1], v0, -1
	v_lshlrev_b64_e64 v[30:31], v26, 1
	s_delay_alu instid0(VALU_DEP_2) | instskip(NEXT) | instid1(VALU_DEP_3)
	v_bfi_b32 v39, v1, 0, 0
	v_bfi_b32 v38, v0, 0, v2
	v_lshrrev_b64 v[0:1], v23, v[2:3]
	s_delay_alu instid0(VALU_DEP_1) | instskip(NEXT) | instid1(VALU_DEP_3)
	v_mov_b64_e32 v[2:3], v[0:1]
	v_cmpx_eq_u64_e64 v[38:39], v[30:31]
; %bb.10675:                            ;   in Loop: Header=BB6_10323 Depth=4
	v_bfe_u32 v2, v0, 21, 1
	v_mov_b32_e32 v3, v113
	s_delay_alu instid0(VALU_DEP_1) | instskip(NEXT) | instid1(VALU_DEP_1)
	v_add_nc_u64_e32 v[2:3], v[0:1], v[2:3]
	v_add_nc_u64_e32 v[2:3], -1, v[2:3]
; %bb.10676:                            ;   in Loop: Header=BB6_10323 Depth=4
	s_or_b32 exec_lo, exec_lo, s88
	v_add_nc_u32_e32 v1, 0xffffff81, v9
	s_delay_alu instid0(VALU_DEP_2) | instskip(SKIP_2) | instid1(VALU_DEP_3)
	v_and_b32_e32 v2, 0x1fffff, v2
	v_lshrrev_b32_e32 v3, 23, v0
	s_mov_b32 s14, exec_lo
	v_cndmask_b32_e64 v1, v1, 0xffffff82, vcc_lo
	s_delay_alu instid0(VALU_DEP_3) | instskip(NEXT) | instid1(VALU_DEP_2)
	v_add_nc_u32_e32 v112, v2, v0
                                        ; implicit-def: $vgpr2
	v_add3_u32 v3, v23, v1, v3
                                        ; implicit-def: $vgpr0_vgpr1
	s_delay_alu instid0(VALU_DEP_1) | instskip(NEXT) | instid1(VALU_DEP_1)
	v_add_nc_u32_e32 v9, 14, v3
	v_cmpx_ne_u32_e32 0, v9
	s_xor_b32 s14, exec_lo, s14
; %bb.10677:                            ;   in Loop: Header=BB6_10323 Depth=4
	v_cmp_lt_u64_e32 vcc_lo, 0xffffff, v[112:113]
	v_add_nc_u32_e32 v0, 15, v3
	s_delay_alu instid0(VALU_DEP_1) | instskip(SKIP_1) | instid1(VALU_DEP_1)
	v_cndmask_b32_e32 v2, v9, v0, vcc_lo
	v_cndmask_b32_e64 v0, 0, 1, vcc_lo
	v_lshrrev_b64 v[0:1], v0, v[112:113]
; %bb.10678:                            ;   in Loop: Header=BB6_10323 Depth=4
	s_and_not1_saveexec_b32 s14, s14
; %bb.10679:                            ;   in Loop: Header=BB6_10323 Depth=4
	v_mov_b64_e32 v[0:1], v[112:113]
	v_bfe_u32 v2, v112, 23, 1
; %bb.10680:                            ;   in Loop: Header=BB6_10323 Depth=4
	s_or_b32 exec_lo, exec_lo, s14
	s_delay_alu instid0(VALU_DEP_2) | instskip(NEXT) | instid1(VALU_DEP_2)
	v_lshrrev_b64 v[0:1], 21, v[0:1]
	v_cmp_gt_i32_e32 vcc_lo, 32, v2
	v_min_i32_e32 v3, 31, v2
	v_cmp_eq_u32_e64 s14, 0, v2
	s_delay_alu instid0(VALU_DEP_2) | instskip(SKIP_1) | instid1(VALU_DEP_2)
	v_dual_cndmask_b32 v1, 0, v1, vcc_lo :: v_dual_lshlrev_b32 v3, 2, v3
	v_cndmask_b32_e32 v0, 3, v0, vcc_lo
	v_and_b32_e32 v3, 0xfc, v3
	s_delay_alu instid0(VALU_DEP_2) | instskip(NEXT) | instid1(VALU_DEP_2)
	v_cmp_eq_u64_e32 vcc_lo, 0, v[0:1]
	v_and_or_b32 v0, v0, 3, v3
	s_and_b32 s14, s14, vcc_lo
	s_delay_alu instid0(VALU_DEP_1) | instid1(SALU_CYCLE_1)
	v_cndmask_b32_e64 v0, v0, 0, s14
	s_delay_alu instid0(VALU_DEP_1)
	v_or_b32_e32 v34, v0, v8
.LBB6_10681:                            ;   in Loop: Header=BB6_10323 Depth=4
	s_or_b32 exec_lo, exec_lo, s79
                                        ; implicit-def: $vgpr8
.LBB6_10682:                            ;   in Loop: Header=BB6_10323 Depth=4
	s_and_not1_saveexec_b32 s14, s78
; %bb.10683:                            ;   in Loop: Header=BB6_10323 Depth=4
	v_or_b32_e32 v34, 0x7b, v8
; %bb.10684:                            ;   in Loop: Header=BB6_10323 Depth=4
	s_or_b32 exec_lo, exec_lo, s14
                                        ; implicit-def: $vgpr0
                                        ; implicit-def: $vgpr1
.LBB6_10685:                            ;   in Loop: Header=BB6_10323 Depth=4
	s_and_not1_saveexec_b32 s14, s77
	s_cbranch_execz .LBB6_10691
; %bb.10686:                            ;   in Loop: Header=BB6_10323 Depth=4
	s_mov_b32 s77, exec_lo
                                        ; implicit-def: $vgpr34
	v_cmpx_ne_u64_e32 0, v[112:113]
	s_xor_b32 s77, exec_lo, s77
; %bb.10687:                            ;   in Loop: Header=BB6_10323 Depth=4
	v_or_b32_e32 v34, 0x7f, v1
                                        ; implicit-def: $vgpr0
; %bb.10688:                            ;   in Loop: Header=BB6_10323 Depth=4
	s_and_not1_saveexec_b32 s77, s77
; %bb.10689:                            ;   in Loop: Header=BB6_10323 Depth=4
	v_cmp_lt_i32_e32 vcc_lo, -1, v0
	v_mov_b32_e32 v0, 0x7c
	s_delay_alu instid0(VALU_DEP_1)
	v_cndmask_b32_e32 v34, 0xfc, v0, vcc_lo
; %bb.10690:                            ;   in Loop: Header=BB6_10323 Depth=4
	s_or_b32 exec_lo, exec_lo, s77
.LBB6_10691:                            ;   in Loop: Header=BB6_10323 Depth=4
	s_delay_alu instid0(SALU_CYCLE_1) | instskip(SKIP_3) | instid1(VALU_DEP_2)
	s_or_b32 exec_lo, exec_lo, s14
	v_and_b32_e32 v1, 0xff, v11
	v_dual_mov_b32 v112, v11 :: v_dual_mov_b32 v0, 0
	s_mov_b32 s14, exec_lo
	v_cmpx_ne_u16_e32 0, v1
	s_cbranch_execz .LBB6_10701
; %bb.10692:                            ;   in Loop: Header=BB6_10323 Depth=4
	v_bfrev_b32_e32 v0, 1
	s_mov_b32 s77, exec_lo
	v_cmpx_ne_u16_e32 0x80, v1
	s_cbranch_execz .LBB6_10700
; %bb.10693:                            ;   in Loop: Header=BB6_10323 Depth=4
	v_and_b32_e32 v0, 0x7c, v11
	v_and_b32_e32 v1, 3, v11
	s_delay_alu instid0(VALU_DEP_2) | instskip(SKIP_1) | instid1(SALU_CYCLE_1)
	v_cmp_ne_u32_e32 vcc_lo, 0x7c, v0
                                        ; implicit-def: $vgpr0
	s_and_saveexec_b32 s78, vcc_lo
	s_xor_b32 s78, exec_lo, s78
	s_cbranch_execz .LBB6_10697
; %bb.10694:                            ;   in Loop: Header=BB6_10323 Depth=4
	v_bfe_u32 v0, v11, 2, 5
	s_mov_b32 s79, exec_lo
	s_delay_alu instid0(VALU_DEP_1)
	v_cmpx_eq_u32_e32 0, v0
; %bb.10695:                            ;   in Loop: Header=BB6_10323 Depth=4
	v_clz_i32_u32_e32 v0, v1
	s_delay_alu instid0(VALU_DEP_1) | instskip(NEXT) | instid1(VALU_DEP_1)
	v_min_u32_e32 v0, 32, v0
	v_subrev_nc_u32_e32 v1, 29, v0
	s_delay_alu instid0(VALU_DEP_1) | instskip(NEXT) | instid1(VALU_DEP_1)
	v_lshlrev_b64_e32 v[2:3], v1, v[112:113]
	v_dual_sub_nc_u32 v0, 30, v0 :: v_dual_bitop2_b32 v1, 3, v2 bitop3:0x40
; %bb.10696:                            ;   in Loop: Header=BB6_10323 Depth=4
	s_or_b32 exec_lo, exec_lo, s79
	v_lshlrev_b32_e32 v2, 24, v11
	s_delay_alu instid0(VALU_DEP_1) | instskip(NEXT) | instid1(VALU_DEP_1)
	v_and_b32_e32 v2, 0x80000000, v2
	v_lshl_add_u32 v0, v0, 23, v2
	s_delay_alu instid0(VALU_DEP_1) | instskip(NEXT) | instid1(VALU_DEP_1)
	v_lshl_or_b32 v0, v1, 21, v0
                                        ; implicit-def: $vgpr1
	v_add_nc_u32_e32 v0, 0x38000000, v0
.LBB6_10697:                            ;   in Loop: Header=BB6_10323 Depth=4
	s_and_not1_saveexec_b32 s78, s78
; %bb.10698:                            ;   in Loop: Header=BB6_10323 Depth=4
	v_bfe_i32 v0, v11, 0, 8
	s_delay_alu instid0(VALU_DEP_1) | instskip(SKIP_1) | instid1(VALU_DEP_1)
	v_cmp_lt_i16_e32 vcc_lo, -1, v0
	v_mov_b32_e32 v0, 0x7f800000
	v_cndmask_b32_e32 v0, 0xff800000, v0, vcc_lo
	v_cmp_eq_u32_e32 vcc_lo, 0, v1
	s_delay_alu instid0(VALU_DEP_2)
	v_cndmask_b32_e32 v0, 0x7f800001, v0, vcc_lo
; %bb.10699:                            ;   in Loop: Header=BB6_10323 Depth=4
	s_or_b32 exec_lo, exec_lo, s78
.LBB6_10700:                            ;   in Loop: Header=BB6_10323 Depth=4
	s_delay_alu instid0(SALU_CYCLE_1)
	s_or_b32 exec_lo, exec_lo, s77
.LBB6_10701:                            ;   in Loop: Header=BB6_10323 Depth=4
	s_delay_alu instid0(SALU_CYCLE_1) | instskip(NEXT) | instid1(VALU_DEP_1)
	s_or_b32 exec_lo, exec_lo, s14
	v_dual_mul_f32 v2, s76, v0 :: v_dual_mov_b32 v9, v113
	v_mov_b32_e32 v1, v113
                                        ; implicit-def: $vgpr23
	s_mov_b32 s14, exec_lo
	s_delay_alu instid0(VALU_DEP_2) | instskip(SKIP_2) | instid1(VALU_DEP_3)
	v_and_b32_e32 v8, 0x7f800000, v2
	v_and_b32_e32 v0, 0x7fffff, v2
	v_lshrrev_b32_e32 v3, 24, v2
	v_cmpx_ne_u64_e32 0x7f800000, v[8:9]
	s_xor_b32 s77, exec_lo, s14
	s_cbranch_execz .LBB6_10715
; %bb.10702:                            ;   in Loop: Header=BB6_10323 Depth=4
	v_and_b32_e32 v8, 0x7fffffff, v2
	v_mov_b32_e32 v9, v113
                                        ; implicit-def: $vgpr23
	s_delay_alu instid0(VALU_DEP_1) | instskip(SKIP_2) | instid1(SALU_CYCLE_1)
	v_cmp_gt_u64_e32 vcc_lo, 0x47600001, v[8:9]
	v_and_b32_e32 v8, 0x80, v3
	s_and_saveexec_b32 s14, vcc_lo
	s_xor_b32 s78, exec_lo, s14
	s_cbranch_execz .LBB6_10712
; %bb.10703:                            ;   in Loop: Header=BB6_10323 Depth=4
	v_mov_b32_e32 v23, 0
	s_mov_b32 s79, exec_lo
	v_cmpx_ne_u32_e32 0, v2
	s_cbranch_execz .LBB6_10711
; %bb.10704:                            ;   in Loop: Header=BB6_10323 Depth=4
	v_bfe_u32 v9, v2, 23, 8
	v_or_b32_e32 v26, 0x800000, v0
	s_delay_alu instid0(VALU_DEP_2) | instskip(SKIP_1) | instid1(VALU_DEP_2)
	v_sub_nc_u32_e32 v2, 0x71, v9
	v_cmp_gt_u32_e32 vcc_lo, 0x72, v9
	v_cndmask_b32_e32 v2, 0, v2, vcc_lo
	v_cmp_eq_u32_e32 vcc_lo, 0, v9
	s_delay_alu instid0(VALU_DEP_2) | instskip(NEXT) | instid1(VALU_DEP_1)
	v_cndmask_b32_e64 v23, v2, 0x70, vcc_lo
	v_dual_cndmask_b32 v0, v26, v0, vcc_lo :: v_dual_add_nc_u32 v2, 21, v23
	v_add_nc_u32_e32 v28, 20, v23
	s_delay_alu instid0(VALU_DEP_2) | instskip(NEXT) | instid1(VALU_DEP_2)
	v_lshlrev_b64_e64 v[2:3], v2, -1
	v_lshlrev_b64_e64 v[30:31], v28, 1
	s_delay_alu instid0(VALU_DEP_2) | instskip(SKIP_1) | instid1(VALU_DEP_4)
	v_bfi_b32 v2, v2, 0, v0
	v_lshrrev_b64 v[0:1], v23, v[0:1]
	v_bfi_b32 v3, v3, 0, 0
	s_delay_alu instid0(VALU_DEP_1) | instskip(NEXT) | instid1(VALU_DEP_3)
	v_cmp_eq_u64_e64 s14, v[2:3], v[30:31]
	v_mov_b64_e32 v[2:3], v[0:1]
	s_and_saveexec_b32 s88, s14
; %bb.10705:                            ;   in Loop: Header=BB6_10323 Depth=4
	v_bfe_u32 v2, v0, 21, 1
	v_mov_b32_e32 v3, v113
	s_delay_alu instid0(VALU_DEP_1) | instskip(NEXT) | instid1(VALU_DEP_1)
	v_add_nc_u64_e32 v[2:3], v[0:1], v[2:3]
	v_add_nc_u64_e32 v[2:3], -1, v[2:3]
; %bb.10706:                            ;   in Loop: Header=BB6_10323 Depth=4
	s_or_b32 exec_lo, exec_lo, s88
	v_add_nc_u32_e32 v1, 0xffffff81, v9
	v_lshrrev_b32_e32 v3, 23, v0
	s_mov_b32 s14, exec_lo
	s_delay_alu instid0(VALU_DEP_2) | instskip(NEXT) | instid1(VALU_DEP_1)
	v_cndmask_b32_e64 v1, v1, 0xffffff82, vcc_lo
	v_add3_u32 v3, v23, v1, v3
	v_and_b32_e32 v1, 0x1fffff, v2
                                        ; implicit-def: $vgpr2
	s_delay_alu instid0(VALU_DEP_1) | instskip(SKIP_1) | instid1(VALU_DEP_2)
	v_dual_add_nc_u32 v9, 14, v3 :: v_dual_add_nc_u32 v0, v1, v0
	v_mov_b32_e32 v1, v113
	v_cmpx_ne_u32_e32 0, v9
	s_xor_b32 s14, exec_lo, s14
; %bb.10707:                            ;   in Loop: Header=BB6_10323 Depth=4
	s_delay_alu instid0(VALU_DEP_2) | instskip(SKIP_2) | instid1(VALU_DEP_2)
	v_cmp_lt_u64_e32 vcc_lo, 0xffffff, v[0:1]
	v_add_nc_u32_e32 v2, 15, v3
	v_cndmask_b32_e64 v3, 0, 1, vcc_lo
	v_cndmask_b32_e32 v2, v9, v2, vcc_lo
	s_delay_alu instid0(VALU_DEP_2)
	v_lshrrev_b64 v[0:1], v3, v[0:1]
; %bb.10708:                            ;   in Loop: Header=BB6_10323 Depth=4
	s_and_not1_saveexec_b32 s14, s14
; %bb.10709:                            ;   in Loop: Header=BB6_10323 Depth=4
	s_delay_alu instid0(VALU_DEP_1)
	v_bfe_u32 v2, v0, 23, 1
; %bb.10710:                            ;   in Loop: Header=BB6_10323 Depth=4
	s_or_b32 exec_lo, exec_lo, s14
	s_delay_alu instid0(VALU_DEP_2) | instskip(NEXT) | instid1(VALU_DEP_2)
	v_lshrrev_b64 v[0:1], 21, v[0:1]
	v_cmp_gt_i32_e32 vcc_lo, 32, v2
	v_min_i32_e32 v3, 31, v2
	v_cmp_eq_u32_e64 s14, 0, v2
	s_delay_alu instid0(VALU_DEP_2) | instskip(SKIP_1) | instid1(VALU_DEP_2)
	v_dual_cndmask_b32 v1, 0, v1, vcc_lo :: v_dual_lshlrev_b32 v3, 2, v3
	v_cndmask_b32_e32 v0, 3, v0, vcc_lo
	v_and_b32_e32 v3, 0xfc, v3
	s_delay_alu instid0(VALU_DEP_2) | instskip(NEXT) | instid1(VALU_DEP_2)
	v_cmp_eq_u64_e32 vcc_lo, 0, v[0:1]
	v_and_or_b32 v0, v0, 3, v3
	s_and_b32 s14, s14, vcc_lo
	s_delay_alu instid0(VALU_DEP_1) | instid1(SALU_CYCLE_1)
	v_cndmask_b32_e64 v0, v0, 0, s14
	s_delay_alu instid0(VALU_DEP_1)
	v_or_b32_e32 v23, v0, v8
.LBB6_10711:                            ;   in Loop: Header=BB6_10323 Depth=4
	s_or_b32 exec_lo, exec_lo, s79
                                        ; implicit-def: $vgpr8
.LBB6_10712:                            ;   in Loop: Header=BB6_10323 Depth=4
	s_and_not1_saveexec_b32 s14, s78
; %bb.10713:                            ;   in Loop: Header=BB6_10323 Depth=4
	v_or_b32_e32 v23, 0x7b, v8
; %bb.10714:                            ;   in Loop: Header=BB6_10323 Depth=4
	s_or_b32 exec_lo, exec_lo, s14
                                        ; implicit-def: $vgpr2
                                        ; implicit-def: $vgpr0_vgpr1
                                        ; implicit-def: $vgpr3
.LBB6_10715:                            ;   in Loop: Header=BB6_10323 Depth=4
	s_and_not1_saveexec_b32 s14, s77
	s_cbranch_execz .LBB6_10721
; %bb.10716:                            ;   in Loop: Header=BB6_10323 Depth=4
	s_mov_b32 s77, exec_lo
                                        ; implicit-def: $vgpr23
	v_cmpx_ne_u64_e32 0, v[0:1]
	s_xor_b32 s77, exec_lo, s77
; %bb.10717:                            ;   in Loop: Header=BB6_10323 Depth=4
	v_or_b32_e32 v23, 0x7f, v3
                                        ; implicit-def: $vgpr2
; %bb.10718:                            ;   in Loop: Header=BB6_10323 Depth=4
	s_and_not1_saveexec_b32 s77, s77
; %bb.10719:                            ;   in Loop: Header=BB6_10323 Depth=4
	v_cmp_lt_i32_e32 vcc_lo, -1, v2
	v_mov_b32_e32 v0, 0x7c
	s_delay_alu instid0(VALU_DEP_1)
	v_cndmask_b32_e32 v23, 0xfc, v0, vcc_lo
; %bb.10720:                            ;   in Loop: Header=BB6_10323 Depth=4
	s_or_b32 exec_lo, exec_lo, s77
.LBB6_10721:                            ;   in Loop: Header=BB6_10323 Depth=4
	s_delay_alu instid0(SALU_CYCLE_1) | instskip(SKIP_3) | instid1(VALU_DEP_2)
	s_or_b32 exec_lo, exec_lo, s14
	v_lshrrev_b16 v0, 8, v112
	v_mov_b32_e32 v2, 0
	s_mov_b32 s14, exec_lo
	v_cmpx_ne_u16_e32 0, v0
	s_cbranch_execz .LBB6_10731
; %bb.10722:                            ;   in Loop: Header=BB6_10323 Depth=4
	v_bfrev_b32_e32 v2, 1
	s_mov_b32 s77, exec_lo
	v_cmpx_ne_u16_e32 0x80, v0
	s_cbranch_execz .LBB6_10730
; %bb.10723:                            ;   in Loop: Header=BB6_10323 Depth=4
	v_and_b32_e32 v3, 0xffff, v0
	s_delay_alu instid0(VALU_DEP_1) | instskip(SKIP_1) | instid1(VALU_DEP_2)
	v_and_b32_e32 v2, 0x7c, v3
	v_and_b32_e32 v1, 3, v3
	v_cmp_ne_u32_e32 vcc_lo, 0x7c, v2
                                        ; implicit-def: $vgpr2
	s_and_saveexec_b32 s78, vcc_lo
	s_delay_alu instid0(SALU_CYCLE_1)
	s_xor_b32 s78, exec_lo, s78
	s_cbranch_execz .LBB6_10727
; %bb.10724:                            ;   in Loop: Header=BB6_10323 Depth=4
	v_bfe_u32 v2, v3, 2, 5
	s_mov_b32 s79, exec_lo
	s_delay_alu instid0(VALU_DEP_1)
	v_cmpx_eq_u32_e32 0, v2
	s_cbranch_execz .LBB6_10726
; %bb.10725:                            ;   in Loop: Header=BB6_10323 Depth=4
	v_clz_i32_u32_e32 v1, v1
	s_delay_alu instid0(VALU_DEP_1) | instskip(SKIP_1) | instid1(VALU_DEP_2)
	v_min_u32_e32 v2, 32, v1
	v_mov_b32_e32 v1, v113
	v_subrev_nc_u32_e32 v3, 29, v2
	v_sub_nc_u32_e32 v2, 30, v2
	s_delay_alu instid0(VALU_DEP_2) | instskip(NEXT) | instid1(VALU_DEP_1)
	v_lshlrev_b64_e32 v[0:1], v3, v[0:1]
	v_and_b32_e32 v1, 3, v0
.LBB6_10726:                            ;   in Loop: Header=BB6_10323 Depth=4
	s_or_b32 exec_lo, exec_lo, s79
	v_lshlrev_b32_e32 v0, 16, v112
	s_delay_alu instid0(VALU_DEP_1) | instskip(NEXT) | instid1(VALU_DEP_1)
	v_and_b32_e32 v0, 0x80000000, v0
	v_lshl_add_u32 v0, v2, 23, v0
	s_delay_alu instid0(VALU_DEP_1) | instskip(NEXT) | instid1(VALU_DEP_1)
	v_lshl_or_b32 v0, v1, 21, v0
                                        ; implicit-def: $vgpr1
	v_add_nc_u32_e32 v2, 0x38000000, v0
.LBB6_10727:                            ;   in Loop: Header=BB6_10323 Depth=4
	s_and_not1_saveexec_b32 s78, s78
; %bb.10728:                            ;   in Loop: Header=BB6_10323 Depth=4
	v_cmp_lt_i16_e32 vcc_lo, -1, v112
	v_mov_b32_e32 v0, 0x7f800000
	s_delay_alu instid0(VALU_DEP_1) | instskip(SKIP_1) | instid1(VALU_DEP_2)
	v_cndmask_b32_e32 v0, 0xff800000, v0, vcc_lo
	v_cmp_eq_u32_e32 vcc_lo, 0, v1
	v_cndmask_b32_e32 v2, 0x7f800001, v0, vcc_lo
; %bb.10729:                            ;   in Loop: Header=BB6_10323 Depth=4
	s_or_b32 exec_lo, exec_lo, s78
.LBB6_10730:                            ;   in Loop: Header=BB6_10323 Depth=4
	s_delay_alu instid0(SALU_CYCLE_1)
	s_or_b32 exec_lo, exec_lo, s77
.LBB6_10731:                            ;   in Loop: Header=BB6_10323 Depth=4
	s_delay_alu instid0(SALU_CYCLE_1) | instskip(NEXT) | instid1(VALU_DEP_1)
	s_or_b32 exec_lo, exec_lo, s14
	v_dual_mul_f32 v0, s76, v2 :: v_dual_mov_b32 v3, v113
                                        ; implicit-def: $vgpr26
	s_mov_b32 s14, exec_lo
	s_delay_alu instid0(VALU_DEP_1) | instskip(SKIP_2) | instid1(VALU_DEP_3)
	v_and_b32_e32 v2, 0x7f800000, v0
	v_and_b32_e32 v112, 0x7fffff, v0
	v_lshrrev_b32_e32 v1, 24, v0
	v_cmpx_ne_u64_e32 0x7f800000, v[2:3]
	s_xor_b32 s77, exec_lo, s14
	s_cbranch_execz .LBB6_10745
; %bb.10732:                            ;   in Loop: Header=BB6_10323 Depth=4
	v_and_b32_e32 v2, 0x7fffffff, v0
	v_mov_b32_e32 v3, v113
	v_and_b32_e32 v8, 0x80, v1
                                        ; implicit-def: $vgpr26
	s_mov_b32 s14, exec_lo
	s_delay_alu instid0(VALU_DEP_2)
	v_cmpx_gt_u64_e32 0x47600001, v[2:3]
	s_xor_b32 s78, exec_lo, s14
	s_cbranch_execz .LBB6_10742
; %bb.10733:                            ;   in Loop: Header=BB6_10323 Depth=4
	v_mov_b32_e32 v26, 0
	s_mov_b32 s79, exec_lo
	v_cmpx_ne_u32_e32 0, v0
	s_cbranch_execz .LBB6_10741
; %bb.10734:                            ;   in Loop: Header=BB6_10323 Depth=4
	v_bfe_u32 v9, v0, 23, 8
	v_or_b32_e32 v2, 0x800000, v112
	s_mov_b32 s88, exec_lo
	s_delay_alu instid0(VALU_DEP_2) | instskip(SKIP_1) | instid1(VALU_DEP_2)
	v_dual_mov_b32 v3, v113 :: v_dual_sub_nc_u32 v0, 0x71, v9
	v_cmp_gt_u32_e32 vcc_lo, 0x72, v9
	v_cndmask_b32_e32 v0, 0, v0, vcc_lo
	v_cmp_eq_u32_e32 vcc_lo, 0, v9
	s_delay_alu instid0(VALU_DEP_2) | instskip(NEXT) | instid1(VALU_DEP_1)
	v_cndmask_b32_e64 v26, v0, 0x70, vcc_lo
	v_dual_cndmask_b32 v2, v2, v112, vcc_lo :: v_dual_add_nc_u32 v0, 21, v26
	v_add_nc_u32_e32 v28, 20, v26
	s_delay_alu instid0(VALU_DEP_2) | instskip(NEXT) | instid1(VALU_DEP_2)
	v_lshlrev_b64_e64 v[0:1], v0, -1
	v_lshlrev_b64_e64 v[30:31], v28, 1
	s_delay_alu instid0(VALU_DEP_2) | instskip(NEXT) | instid1(VALU_DEP_3)
	v_bfi_b32 v39, v1, 0, 0
	v_bfi_b32 v38, v0, 0, v2
	v_lshrrev_b64 v[0:1], v26, v[2:3]
	s_delay_alu instid0(VALU_DEP_1) | instskip(NEXT) | instid1(VALU_DEP_3)
	v_mov_b64_e32 v[2:3], v[0:1]
	v_cmpx_eq_u64_e64 v[38:39], v[30:31]
; %bb.10735:                            ;   in Loop: Header=BB6_10323 Depth=4
	v_bfe_u32 v2, v0, 21, 1
	v_mov_b32_e32 v3, v113
	s_delay_alu instid0(VALU_DEP_1) | instskip(NEXT) | instid1(VALU_DEP_1)
	v_add_nc_u64_e32 v[2:3], v[0:1], v[2:3]
	v_add_nc_u64_e32 v[2:3], -1, v[2:3]
; %bb.10736:                            ;   in Loop: Header=BB6_10323 Depth=4
	s_or_b32 exec_lo, exec_lo, s88
	v_add_nc_u32_e32 v1, 0xffffff81, v9
	s_delay_alu instid0(VALU_DEP_2) | instskip(SKIP_2) | instid1(VALU_DEP_3)
	v_and_b32_e32 v2, 0x1fffff, v2
	v_lshrrev_b32_e32 v3, 23, v0
	s_mov_b32 s14, exec_lo
	v_cndmask_b32_e64 v1, v1, 0xffffff82, vcc_lo
	s_delay_alu instid0(VALU_DEP_3) | instskip(NEXT) | instid1(VALU_DEP_2)
	v_add_nc_u32_e32 v112, v2, v0
                                        ; implicit-def: $vgpr2
	v_add3_u32 v3, v26, v1, v3
                                        ; implicit-def: $vgpr0_vgpr1
	s_delay_alu instid0(VALU_DEP_1) | instskip(NEXT) | instid1(VALU_DEP_1)
	v_add_nc_u32_e32 v9, 14, v3
	v_cmpx_ne_u32_e32 0, v9
	s_xor_b32 s14, exec_lo, s14
; %bb.10737:                            ;   in Loop: Header=BB6_10323 Depth=4
	v_cmp_lt_u64_e32 vcc_lo, 0xffffff, v[112:113]
	v_add_nc_u32_e32 v0, 15, v3
	s_delay_alu instid0(VALU_DEP_1) | instskip(SKIP_1) | instid1(VALU_DEP_1)
	v_cndmask_b32_e32 v2, v9, v0, vcc_lo
	v_cndmask_b32_e64 v0, 0, 1, vcc_lo
	v_lshrrev_b64 v[0:1], v0, v[112:113]
; %bb.10738:                            ;   in Loop: Header=BB6_10323 Depth=4
	s_and_not1_saveexec_b32 s14, s14
; %bb.10739:                            ;   in Loop: Header=BB6_10323 Depth=4
	v_mov_b64_e32 v[0:1], v[112:113]
	v_bfe_u32 v2, v112, 23, 1
; %bb.10740:                            ;   in Loop: Header=BB6_10323 Depth=4
	s_or_b32 exec_lo, exec_lo, s14
	s_delay_alu instid0(VALU_DEP_2) | instskip(NEXT) | instid1(VALU_DEP_2)
	v_lshrrev_b64 v[0:1], 21, v[0:1]
	v_cmp_gt_i32_e32 vcc_lo, 32, v2
	v_min_i32_e32 v3, 31, v2
	v_cmp_eq_u32_e64 s14, 0, v2
	s_delay_alu instid0(VALU_DEP_2) | instskip(SKIP_1) | instid1(VALU_DEP_2)
	v_dual_cndmask_b32 v1, 0, v1, vcc_lo :: v_dual_lshlrev_b32 v3, 2, v3
	v_cndmask_b32_e32 v0, 3, v0, vcc_lo
	v_and_b32_e32 v3, 0xfc, v3
	s_delay_alu instid0(VALU_DEP_2) | instskip(NEXT) | instid1(VALU_DEP_2)
	v_cmp_eq_u64_e32 vcc_lo, 0, v[0:1]
	v_and_or_b32 v0, v0, 3, v3
	s_and_b32 s14, s14, vcc_lo
	s_delay_alu instid0(VALU_DEP_1) | instid1(SALU_CYCLE_1)
	v_cndmask_b32_e64 v0, v0, 0, s14
	s_delay_alu instid0(VALU_DEP_1)
	v_or_b32_e32 v26, v0, v8
.LBB6_10741:                            ;   in Loop: Header=BB6_10323 Depth=4
	s_or_b32 exec_lo, exec_lo, s79
                                        ; implicit-def: $vgpr8
.LBB6_10742:                            ;   in Loop: Header=BB6_10323 Depth=4
	s_and_not1_saveexec_b32 s14, s78
; %bb.10743:                            ;   in Loop: Header=BB6_10323 Depth=4
	v_or_b32_e32 v26, 0x7b, v8
; %bb.10744:                            ;   in Loop: Header=BB6_10323 Depth=4
	s_or_b32 exec_lo, exec_lo, s14
                                        ; implicit-def: $vgpr0
                                        ; implicit-def: $vgpr1
.LBB6_10745:                            ;   in Loop: Header=BB6_10323 Depth=4
	s_and_not1_saveexec_b32 s14, s77
	s_cbranch_execz .LBB6_10751
; %bb.10746:                            ;   in Loop: Header=BB6_10323 Depth=4
	s_mov_b32 s77, exec_lo
                                        ; implicit-def: $vgpr26
	v_cmpx_ne_u64_e32 0, v[112:113]
	s_xor_b32 s77, exec_lo, s77
; %bb.10747:                            ;   in Loop: Header=BB6_10323 Depth=4
	v_or_b32_e32 v26, 0x7f, v1
                                        ; implicit-def: $vgpr0
; %bb.10748:                            ;   in Loop: Header=BB6_10323 Depth=4
	s_and_not1_saveexec_b32 s77, s77
; %bb.10749:                            ;   in Loop: Header=BB6_10323 Depth=4
	v_cmp_lt_i32_e32 vcc_lo, -1, v0
	v_mov_b32_e32 v0, 0x7c
	s_delay_alu instid0(VALU_DEP_1)
	v_cndmask_b32_e32 v26, 0xfc, v0, vcc_lo
; %bb.10750:                            ;   in Loop: Header=BB6_10323 Depth=4
	s_or_b32 exec_lo, exec_lo, s77
.LBB6_10751:                            ;   in Loop: Header=BB6_10323 Depth=4
	s_delay_alu instid0(SALU_CYCLE_1) | instskip(SKIP_2) | instid1(VALU_DEP_1)
	s_or_b32 exec_lo, exec_lo, s14
	v_dual_mov_b32 v1, 0 :: v_dual_lshrrev_b32 v0, 16, v11
	s_mov_b32 s14, exec_lo
	v_and_b32_e32 v2, 0xff, v0
	s_delay_alu instid0(VALU_DEP_1)
	v_cmpx_ne_u16_e32 0, v2
	s_cbranch_execz .LBB6_10761
; %bb.10752:                            ;   in Loop: Header=BB6_10323 Depth=4
	v_bfrev_b32_e32 v1, 1
	s_mov_b32 s77, exec_lo
	v_cmpx_ne_u16_e32 0x80, v2
	s_cbranch_execz .LBB6_10760
; %bb.10753:                            ;   in Loop: Header=BB6_10323 Depth=4
	v_and_b32_e32 v1, 0x7c0000, v11
	v_bfe_u32 v2, v11, 16, 2
	s_delay_alu instid0(VALU_DEP_2) | instskip(SKIP_1) | instid1(SALU_CYCLE_1)
	v_cmp_ne_u32_e32 vcc_lo, 0x7c0000, v1
                                        ; implicit-def: $vgpr1
	s_and_saveexec_b32 s78, vcc_lo
	s_xor_b32 s78, exec_lo, s78
	s_cbranch_execz .LBB6_10757
; %bb.10754:                            ;   in Loop: Header=BB6_10323 Depth=4
	v_bfe_u32 v1, v11, 18, 5
	s_mov_b32 s79, exec_lo
	s_delay_alu instid0(VALU_DEP_1)
	v_cmpx_eq_u32_e32 0, v1
; %bb.10755:                            ;   in Loop: Header=BB6_10323 Depth=4
	v_clz_i32_u32_e32 v1, v2
	s_delay_alu instid0(VALU_DEP_1) | instskip(NEXT) | instid1(VALU_DEP_1)
	v_min_u32_e32 v1, 32, v1
	v_subrev_nc_u32_e32 v2, 29, v1
	s_delay_alu instid0(VALU_DEP_1) | instskip(NEXT) | instid1(VALU_DEP_1)
	v_lshlrev_b64_e32 v[2:3], v2, v[0:1]
	v_dual_sub_nc_u32 v1, 30, v1 :: v_dual_bitop2_b32 v2, 3, v2 bitop3:0x40
; %bb.10756:                            ;   in Loop: Header=BB6_10323 Depth=4
	s_or_b32 exec_lo, exec_lo, s79
	v_lshlrev_b32_e32 v0, 24, v0
	s_delay_alu instid0(VALU_DEP_1) | instskip(NEXT) | instid1(VALU_DEP_1)
	v_and_b32_e32 v0, 0x80000000, v0
	v_lshl_add_u32 v0, v1, 23, v0
	s_delay_alu instid0(VALU_DEP_1) | instskip(NEXT) | instid1(VALU_DEP_1)
	v_lshl_or_b32 v0, v2, 21, v0
                                        ; implicit-def: $vgpr2
	v_add_nc_u32_e32 v1, 0x38000000, v0
                                        ; implicit-def: $vgpr0
.LBB6_10757:                            ;   in Loop: Header=BB6_10323 Depth=4
	s_and_not1_saveexec_b32 s78, s78
; %bb.10758:                            ;   in Loop: Header=BB6_10323 Depth=4
	v_bfe_i32 v0, v0, 0, 8
	s_delay_alu instid0(VALU_DEP_1) | instskip(SKIP_1) | instid1(VALU_DEP_1)
	v_cmp_lt_i16_e32 vcc_lo, -1, v0
	v_mov_b32_e32 v0, 0x7f800000
	v_cndmask_b32_e32 v0, 0xff800000, v0, vcc_lo
	v_cmp_eq_u32_e32 vcc_lo, 0, v2
	s_delay_alu instid0(VALU_DEP_2)
	v_cndmask_b32_e32 v1, 0x7f800001, v0, vcc_lo
; %bb.10759:                            ;   in Loop: Header=BB6_10323 Depth=4
	s_or_b32 exec_lo, exec_lo, s78
.LBB6_10760:                            ;   in Loop: Header=BB6_10323 Depth=4
	s_delay_alu instid0(SALU_CYCLE_1)
	s_or_b32 exec_lo, exec_lo, s77
.LBB6_10761:                            ;   in Loop: Header=BB6_10323 Depth=4
	s_delay_alu instid0(SALU_CYCLE_1) | instskip(NEXT) | instid1(VALU_DEP_1)
	s_or_b32 exec_lo, exec_lo, s14
	v_dual_mul_f32 v0, s76, v1 :: v_dual_mov_b32 v3, v113
                                        ; implicit-def: $vgpr28
	s_mov_b32 s14, exec_lo
	s_delay_alu instid0(VALU_DEP_1) | instskip(SKIP_2) | instid1(VALU_DEP_3)
	v_and_b32_e32 v2, 0x7f800000, v0
	v_and_b32_e32 v112, 0x7fffff, v0
	v_lshrrev_b32_e32 v1, 24, v0
	v_cmpx_ne_u64_e32 0x7f800000, v[2:3]
	s_xor_b32 s77, exec_lo, s14
	s_cbranch_execz .LBB6_10775
; %bb.10762:                            ;   in Loop: Header=BB6_10323 Depth=4
	v_and_b32_e32 v2, 0x7fffffff, v0
	v_mov_b32_e32 v3, v113
	v_and_b32_e32 v8, 0x80, v1
                                        ; implicit-def: $vgpr28
	s_mov_b32 s14, exec_lo
	s_delay_alu instid0(VALU_DEP_2)
	v_cmpx_gt_u64_e32 0x47600001, v[2:3]
	s_xor_b32 s78, exec_lo, s14
	s_cbranch_execz .LBB6_10772
; %bb.10763:                            ;   in Loop: Header=BB6_10323 Depth=4
	v_mov_b32_e32 v28, 0
	s_mov_b32 s79, exec_lo
	v_cmpx_ne_u32_e32 0, v0
	s_cbranch_execz .LBB6_10771
; %bb.10764:                            ;   in Loop: Header=BB6_10323 Depth=4
	v_bfe_u32 v9, v0, 23, 8
	v_or_b32_e32 v2, 0x800000, v112
	s_mov_b32 s88, exec_lo
	s_delay_alu instid0(VALU_DEP_2) | instskip(SKIP_1) | instid1(VALU_DEP_2)
	v_dual_mov_b32 v3, v113 :: v_dual_sub_nc_u32 v0, 0x71, v9
	v_cmp_gt_u32_e32 vcc_lo, 0x72, v9
	v_cndmask_b32_e32 v0, 0, v0, vcc_lo
	v_cmp_eq_u32_e32 vcc_lo, 0, v9
	s_delay_alu instid0(VALU_DEP_2) | instskip(SKIP_1) | instid1(VALU_DEP_2)
	v_cndmask_b32_e64 v28, v0, 0x70, vcc_lo
	v_cndmask_b32_e32 v2, v2, v112, vcc_lo
	v_dual_add_nc_u32 v0, 21, v28 :: v_dual_add_nc_u32 v30, 20, v28
	s_delay_alu instid0(VALU_DEP_1) | instskip(NEXT) | instid1(VALU_DEP_2)
	v_lshlrev_b64_e64 v[0:1], v0, -1
	v_lshlrev_b64_e64 v[30:31], v30, 1
	s_delay_alu instid0(VALU_DEP_2) | instskip(NEXT) | instid1(VALU_DEP_3)
	v_bfi_b32 v39, v1, 0, 0
	v_bfi_b32 v38, v0, 0, v2
	v_lshrrev_b64 v[0:1], v28, v[2:3]
	s_delay_alu instid0(VALU_DEP_1) | instskip(NEXT) | instid1(VALU_DEP_3)
	v_mov_b64_e32 v[2:3], v[0:1]
	v_cmpx_eq_u64_e64 v[38:39], v[30:31]
; %bb.10765:                            ;   in Loop: Header=BB6_10323 Depth=4
	v_bfe_u32 v2, v0, 21, 1
	v_mov_b32_e32 v3, v113
	s_delay_alu instid0(VALU_DEP_1) | instskip(NEXT) | instid1(VALU_DEP_1)
	v_add_nc_u64_e32 v[2:3], v[0:1], v[2:3]
	v_add_nc_u64_e32 v[2:3], -1, v[2:3]
; %bb.10766:                            ;   in Loop: Header=BB6_10323 Depth=4
	s_or_b32 exec_lo, exec_lo, s88
	v_add_nc_u32_e32 v1, 0xffffff81, v9
	s_delay_alu instid0(VALU_DEP_2) | instskip(SKIP_2) | instid1(VALU_DEP_3)
	v_and_b32_e32 v2, 0x1fffff, v2
	v_lshrrev_b32_e32 v3, 23, v0
	s_mov_b32 s14, exec_lo
	v_cndmask_b32_e64 v1, v1, 0xffffff82, vcc_lo
	s_delay_alu instid0(VALU_DEP_3) | instskip(NEXT) | instid1(VALU_DEP_2)
	v_add_nc_u32_e32 v112, v2, v0
                                        ; implicit-def: $vgpr2
	v_add3_u32 v3, v28, v1, v3
                                        ; implicit-def: $vgpr0_vgpr1
	s_delay_alu instid0(VALU_DEP_1) | instskip(NEXT) | instid1(VALU_DEP_1)
	v_add_nc_u32_e32 v9, 14, v3
	v_cmpx_ne_u32_e32 0, v9
	s_xor_b32 s14, exec_lo, s14
; %bb.10767:                            ;   in Loop: Header=BB6_10323 Depth=4
	v_cmp_lt_u64_e32 vcc_lo, 0xffffff, v[112:113]
	v_add_nc_u32_e32 v0, 15, v3
	s_delay_alu instid0(VALU_DEP_1) | instskip(SKIP_1) | instid1(VALU_DEP_1)
	v_cndmask_b32_e32 v2, v9, v0, vcc_lo
	v_cndmask_b32_e64 v0, 0, 1, vcc_lo
	v_lshrrev_b64 v[0:1], v0, v[112:113]
; %bb.10768:                            ;   in Loop: Header=BB6_10323 Depth=4
	s_and_not1_saveexec_b32 s14, s14
; %bb.10769:                            ;   in Loop: Header=BB6_10323 Depth=4
	v_mov_b64_e32 v[0:1], v[112:113]
	v_bfe_u32 v2, v112, 23, 1
; %bb.10770:                            ;   in Loop: Header=BB6_10323 Depth=4
	s_or_b32 exec_lo, exec_lo, s14
	s_delay_alu instid0(VALU_DEP_2) | instskip(NEXT) | instid1(VALU_DEP_2)
	v_lshrrev_b64 v[0:1], 21, v[0:1]
	v_cmp_gt_i32_e32 vcc_lo, 32, v2
	v_min_i32_e32 v3, 31, v2
	v_cmp_eq_u32_e64 s14, 0, v2
	s_delay_alu instid0(VALU_DEP_2) | instskip(SKIP_1) | instid1(VALU_DEP_2)
	v_dual_cndmask_b32 v1, 0, v1, vcc_lo :: v_dual_lshlrev_b32 v3, 2, v3
	v_cndmask_b32_e32 v0, 3, v0, vcc_lo
	v_and_b32_e32 v3, 0xfc, v3
	s_delay_alu instid0(VALU_DEP_2) | instskip(NEXT) | instid1(VALU_DEP_2)
	v_cmp_eq_u64_e32 vcc_lo, 0, v[0:1]
	v_and_or_b32 v0, v0, 3, v3
	s_and_b32 s14, s14, vcc_lo
	s_delay_alu instid0(VALU_DEP_1) | instid1(SALU_CYCLE_1)
	v_cndmask_b32_e64 v0, v0, 0, s14
	s_delay_alu instid0(VALU_DEP_1)
	v_or_b32_e32 v28, v0, v8
.LBB6_10771:                            ;   in Loop: Header=BB6_10323 Depth=4
	s_or_b32 exec_lo, exec_lo, s79
                                        ; implicit-def: $vgpr8
.LBB6_10772:                            ;   in Loop: Header=BB6_10323 Depth=4
	s_and_not1_saveexec_b32 s14, s78
; %bb.10773:                            ;   in Loop: Header=BB6_10323 Depth=4
	v_or_b32_e32 v28, 0x7b, v8
; %bb.10774:                            ;   in Loop: Header=BB6_10323 Depth=4
	s_or_b32 exec_lo, exec_lo, s14
                                        ; implicit-def: $vgpr0
                                        ; implicit-def: $vgpr1
.LBB6_10775:                            ;   in Loop: Header=BB6_10323 Depth=4
	s_and_not1_saveexec_b32 s14, s77
	s_cbranch_execz .LBB6_10781
; %bb.10776:                            ;   in Loop: Header=BB6_10323 Depth=4
	s_mov_b32 s77, exec_lo
                                        ; implicit-def: $vgpr28
	v_cmpx_ne_u64_e32 0, v[112:113]
	s_xor_b32 s77, exec_lo, s77
; %bb.10777:                            ;   in Loop: Header=BB6_10323 Depth=4
	v_or_b32_e32 v28, 0x7f, v1
                                        ; implicit-def: $vgpr0
; %bb.10778:                            ;   in Loop: Header=BB6_10323 Depth=4
	s_and_not1_saveexec_b32 s77, s77
; %bb.10779:                            ;   in Loop: Header=BB6_10323 Depth=4
	v_cmp_lt_i32_e32 vcc_lo, -1, v0
	v_mov_b32_e32 v0, 0x7c
	s_delay_alu instid0(VALU_DEP_1)
	v_cndmask_b32_e32 v28, 0xfc, v0, vcc_lo
; %bb.10780:                            ;   in Loop: Header=BB6_10323 Depth=4
	s_or_b32 exec_lo, exec_lo, s77
.LBB6_10781:                            ;   in Loop: Header=BB6_10323 Depth=4
	s_delay_alu instid0(SALU_CYCLE_1)
	s_or_b32 exec_lo, exec_lo, s14
	v_mov_b32_e32 v1, 0
	s_mov_b32 s14, exec_lo
	v_cmpx_lt_u64_e64 s[22:23], v[10:11]
	s_cbranch_execz .LBB6_10791
; %bb.10782:                            ;   in Loop: Header=BB6_10323 Depth=4
	v_lshrrev_b32_e32 v0, 24, v11
	v_bfrev_b32_e32 v1, 1
	s_mov_b32 s77, exec_lo
	s_delay_alu instid0(VALU_DEP_2)
	v_cmpx_ne_u32_e32 0x80, v0
	s_cbranch_execz .LBB6_10790
; %bb.10783:                            ;   in Loop: Header=BB6_10323 Depth=4
	v_and_b32_e32 v1, 0x7c000000, v11
	v_bfe_u32 v2, v11, 24, 2
	s_delay_alu instid0(VALU_DEP_2) | instskip(SKIP_1) | instid1(SALU_CYCLE_1)
	v_cmp_ne_u32_e32 vcc_lo, 0x7c000000, v1
                                        ; implicit-def: $vgpr1
	s_and_saveexec_b32 s78, vcc_lo
	s_xor_b32 s78, exec_lo, s78
	s_cbranch_execz .LBB6_10787
; %bb.10784:                            ;   in Loop: Header=BB6_10323 Depth=4
	v_bfe_u32 v1, v11, 26, 5
	s_mov_b32 s79, exec_lo
	s_delay_alu instid0(VALU_DEP_1)
	v_cmpx_eq_u32_e32 0, v1
; %bb.10785:                            ;   in Loop: Header=BB6_10323 Depth=4
	v_clz_i32_u32_e32 v1, v2
	s_delay_alu instid0(VALU_DEP_1) | instskip(NEXT) | instid1(VALU_DEP_1)
	v_min_u32_e32 v2, 32, v1
	v_subrev_nc_u32_e32 v1, 29, v2
	s_delay_alu instid0(VALU_DEP_1) | instskip(NEXT) | instid1(VALU_DEP_1)
	v_lshlrev_b64_e32 v[0:1], v1, v[0:1]
	v_dual_sub_nc_u32 v1, 30, v2 :: v_dual_bitop2_b32 v2, 3, v0 bitop3:0x40
; %bb.10786:                            ;   in Loop: Header=BB6_10323 Depth=4
	s_or_b32 exec_lo, exec_lo, s79
	v_and_b32_e32 v0, 0x80000000, v11
                                        ; implicit-def: $vgpr10_vgpr11
	s_delay_alu instid0(VALU_DEP_1) | instskip(NEXT) | instid1(VALU_DEP_1)
	v_lshl_add_u32 v0, v1, 23, v0
	v_lshl_or_b32 v0, v2, 21, v0
                                        ; implicit-def: $vgpr2
	s_delay_alu instid0(VALU_DEP_1)
	v_add_nc_u32_e32 v1, 0x38000000, v0
.LBB6_10787:                            ;   in Loop: Header=BB6_10323 Depth=4
	s_and_not1_saveexec_b32 s78, s78
; %bb.10788:                            ;   in Loop: Header=BB6_10323 Depth=4
	v_cmp_lt_i64_e32 vcc_lo, -1, v[10:11]
	v_mov_b32_e32 v0, 0x7f800000
	s_delay_alu instid0(VALU_DEP_1) | instskip(SKIP_1) | instid1(VALU_DEP_2)
	v_cndmask_b32_e32 v0, 0xff800000, v0, vcc_lo
	v_cmp_eq_u32_e32 vcc_lo, 0, v2
	v_cndmask_b32_e32 v1, 0x7f800001, v0, vcc_lo
; %bb.10789:                            ;   in Loop: Header=BB6_10323 Depth=4
	s_or_b32 exec_lo, exec_lo, s78
.LBB6_10790:                            ;   in Loop: Header=BB6_10323 Depth=4
	s_delay_alu instid0(SALU_CYCLE_1)
	s_or_b32 exec_lo, exec_lo, s77
.LBB6_10791:                            ;   in Loop: Header=BB6_10323 Depth=4
	s_delay_alu instid0(SALU_CYCLE_1) | instskip(NEXT) | instid1(VALU_DEP_1)
	s_or_b32 exec_lo, exec_lo, s14
	v_dual_mul_f32 v0, s76, v1 :: v_dual_mov_b32 v3, v113
                                        ; implicit-def: $vgpr31
	s_mov_b32 s14, exec_lo
	s_delay_alu instid0(VALU_DEP_1) | instskip(SKIP_2) | instid1(VALU_DEP_3)
	v_and_b32_e32 v2, 0x7f800000, v0
	v_and_b32_e32 v112, 0x7fffff, v0
	v_lshrrev_b32_e32 v1, 24, v0
	v_cmpx_ne_u64_e32 0x7f800000, v[2:3]
	s_xor_b32 s76, exec_lo, s14
	s_cbranch_execz .LBB6_10805
; %bb.10792:                            ;   in Loop: Header=BB6_10323 Depth=4
	v_and_b32_e32 v2, 0x7fffffff, v0
	v_mov_b32_e32 v3, v113
	v_and_b32_e32 v8, 0x80, v1
                                        ; implicit-def: $vgpr31
	s_mov_b32 s14, exec_lo
	s_delay_alu instid0(VALU_DEP_2)
	v_cmpx_gt_u64_e32 0x47600001, v[2:3]
	s_xor_b32 s77, exec_lo, s14
	s_cbranch_execz .LBB6_10802
; %bb.10793:                            ;   in Loop: Header=BB6_10323 Depth=4
	v_mov_b32_e32 v31, 0
	s_mov_b32 s78, exec_lo
	v_cmpx_ne_u32_e32 0, v0
	s_cbranch_execz .LBB6_10801
; %bb.10794:                            ;   in Loop: Header=BB6_10323 Depth=4
	v_bfe_u32 v9, v0, 23, 8
	v_or_b32_e32 v2, 0x800000, v112
	s_mov_b32 s79, exec_lo
	s_delay_alu instid0(VALU_DEP_2) | instskip(SKIP_1) | instid1(VALU_DEP_2)
	v_dual_mov_b32 v3, v113 :: v_dual_sub_nc_u32 v0, 0x71, v9
	v_cmp_gt_u32_e32 vcc_lo, 0x72, v9
	v_cndmask_b32_e32 v0, 0, v0, vcc_lo
	v_cmp_eq_u32_e32 vcc_lo, 0, v9
	s_delay_alu instid0(VALU_DEP_2) | instskip(NEXT) | instid1(VALU_DEP_1)
	v_cndmask_b32_e64 v10, v0, 0x70, vcc_lo
	v_dual_cndmask_b32 v2, v2, v112, vcc_lo :: v_dual_add_nc_u32 v0, 21, v10
	v_add_nc_u32_e32 v11, 20, v10
	s_delay_alu instid0(VALU_DEP_2) | instskip(NEXT) | instid1(VALU_DEP_2)
	v_lshlrev_b64_e64 v[0:1], v0, -1
	v_lshlrev_b64_e64 v[30:31], v11, 1
	s_delay_alu instid0(VALU_DEP_2) | instskip(NEXT) | instid1(VALU_DEP_3)
	v_bfi_b32 v39, v1, 0, 0
	v_bfi_b32 v38, v0, 0, v2
	v_lshrrev_b64 v[0:1], v10, v[2:3]
	s_delay_alu instid0(VALU_DEP_1) | instskip(NEXT) | instid1(VALU_DEP_3)
	v_mov_b64_e32 v[2:3], v[0:1]
	v_cmpx_eq_u64_e64 v[38:39], v[30:31]
; %bb.10795:                            ;   in Loop: Header=BB6_10323 Depth=4
	v_bfe_u32 v2, v0, 21, 1
	v_mov_b32_e32 v3, v113
	s_delay_alu instid0(VALU_DEP_1) | instskip(NEXT) | instid1(VALU_DEP_1)
	v_add_nc_u64_e32 v[2:3], v[0:1], v[2:3]
	v_add_nc_u64_e32 v[2:3], -1, v[2:3]
; %bb.10796:                            ;   in Loop: Header=BB6_10323 Depth=4
	s_or_b32 exec_lo, exec_lo, s79
	v_add_nc_u32_e32 v1, 0xffffff81, v9
	s_delay_alu instid0(VALU_DEP_2) | instskip(SKIP_2) | instid1(VALU_DEP_3)
	v_and_b32_e32 v2, 0x1fffff, v2
	v_lshrrev_b32_e32 v3, 23, v0
	s_mov_b32 s14, exec_lo
	v_cndmask_b32_e64 v1, v1, 0xffffff82, vcc_lo
	s_delay_alu instid0(VALU_DEP_3) | instskip(NEXT) | instid1(VALU_DEP_2)
	v_add_nc_u32_e32 v112, v2, v0
                                        ; implicit-def: $vgpr2
	v_add3_u32 v3, v10, v1, v3
                                        ; implicit-def: $vgpr0_vgpr1
	s_delay_alu instid0(VALU_DEP_1) | instskip(NEXT) | instid1(VALU_DEP_1)
	v_add_nc_u32_e32 v9, 14, v3
	v_cmpx_ne_u32_e32 0, v9
	s_xor_b32 s14, exec_lo, s14
; %bb.10797:                            ;   in Loop: Header=BB6_10323 Depth=4
	v_cmp_lt_u64_e32 vcc_lo, 0xffffff, v[112:113]
	v_add_nc_u32_e32 v0, 15, v3
	s_delay_alu instid0(VALU_DEP_1) | instskip(SKIP_1) | instid1(VALU_DEP_1)
	v_cndmask_b32_e32 v2, v9, v0, vcc_lo
	v_cndmask_b32_e64 v0, 0, 1, vcc_lo
	v_lshrrev_b64 v[0:1], v0, v[112:113]
; %bb.10798:                            ;   in Loop: Header=BB6_10323 Depth=4
	s_and_not1_saveexec_b32 s14, s14
; %bb.10799:                            ;   in Loop: Header=BB6_10323 Depth=4
	v_mov_b64_e32 v[0:1], v[112:113]
	v_bfe_u32 v2, v112, 23, 1
; %bb.10800:                            ;   in Loop: Header=BB6_10323 Depth=4
	s_or_b32 exec_lo, exec_lo, s14
	s_delay_alu instid0(VALU_DEP_2) | instskip(NEXT) | instid1(VALU_DEP_2)
	v_lshrrev_b64 v[0:1], 21, v[0:1]
	v_cmp_gt_i32_e32 vcc_lo, 32, v2
	v_min_i32_e32 v3, 31, v2
	v_cmp_eq_u32_e64 s14, 0, v2
	s_delay_alu instid0(VALU_DEP_2) | instskip(SKIP_1) | instid1(VALU_DEP_2)
	v_dual_cndmask_b32 v1, 0, v1, vcc_lo :: v_dual_lshlrev_b32 v3, 2, v3
	v_cndmask_b32_e32 v0, 3, v0, vcc_lo
	v_and_b32_e32 v3, 0xfc, v3
	s_delay_alu instid0(VALU_DEP_2) | instskip(NEXT) | instid1(VALU_DEP_2)
	v_cmp_eq_u64_e32 vcc_lo, 0, v[0:1]
	v_and_or_b32 v0, v0, 3, v3
	s_and_b32 s14, s14, vcc_lo
	s_delay_alu instid0(VALU_DEP_1) | instid1(SALU_CYCLE_1)
	v_cndmask_b32_e64 v0, v0, 0, s14
	s_delay_alu instid0(VALU_DEP_1)
	v_or_b32_e32 v31, v0, v8
.LBB6_10801:                            ;   in Loop: Header=BB6_10323 Depth=4
	s_or_b32 exec_lo, exec_lo, s78
                                        ; implicit-def: $vgpr8
.LBB6_10802:                            ;   in Loop: Header=BB6_10323 Depth=4
	s_and_not1_saveexec_b32 s14, s77
; %bb.10803:                            ;   in Loop: Header=BB6_10323 Depth=4
	v_or_b32_e32 v31, 0x7b, v8
; %bb.10804:                            ;   in Loop: Header=BB6_10323 Depth=4
	s_or_b32 exec_lo, exec_lo, s14
                                        ; implicit-def: $vgpr0
                                        ; implicit-def: $vgpr1
.LBB6_10805:                            ;   in Loop: Header=BB6_10323 Depth=4
	s_and_not1_saveexec_b32 s14, s76
	s_cbranch_execz .LBB6_10811
; %bb.10806:                            ;   in Loop: Header=BB6_10323 Depth=4
	s_mov_b32 s76, exec_lo
                                        ; implicit-def: $vgpr31
	v_cmpx_ne_u64_e32 0, v[112:113]
	s_xor_b32 s76, exec_lo, s76
; %bb.10807:                            ;   in Loop: Header=BB6_10323 Depth=4
	v_or_b32_e32 v31, 0x7f, v1
                                        ; implicit-def: $vgpr0
; %bb.10808:                            ;   in Loop: Header=BB6_10323 Depth=4
	s_and_not1_saveexec_b32 s76, s76
; %bb.10809:                            ;   in Loop: Header=BB6_10323 Depth=4
	v_cmp_lt_i32_e32 vcc_lo, -1, v0
	v_mov_b32_e32 v0, 0x7c
	s_delay_alu instid0(VALU_DEP_1)
	v_cndmask_b32_e32 v31, 0xfc, v0, vcc_lo
; %bb.10810:                            ;   in Loop: Header=BB6_10323 Depth=4
	s_or_b32 exec_lo, exec_lo, s76
.LBB6_10811:                            ;   in Loop: Header=BB6_10323 Depth=4
	s_delay_alu instid0(SALU_CYCLE_1) | instskip(SKIP_4) | instid1(VALU_DEP_1)
	s_or_b32 exec_lo, exec_lo, s14
	global_load_b128 v[8:11], v[14:15], off th:TH_LOAD_NT
	v_lshl_or_b32 v30, v22, 8, v7
	v_dual_lshlrev_b32 v0, 16, v24 :: v_dual_lshlrev_b32 v1, 24, v27
	s_mov_b32 s14, exec_lo
	v_or3_b32 v112, v0, v1, v30
	v_mov_b32_e32 v0, 0
	s_wait_xcnt 0x0
	v_cmpx_ne_u32_e32 0, v7
	s_cbranch_execz .LBB6_10821
; %bb.10812:                            ;   in Loop: Header=BB6_10323 Depth=4
	v_bfrev_b32_e32 v0, 1
	s_mov_b32 s76, exec_lo
	v_cmpx_ne_u32_e32 0x80, v7
	s_cbranch_execz .LBB6_10820
; %bb.10813:                            ;   in Loop: Header=BB6_10323 Depth=4
	v_and_b32_e32 v0, 0x7c, v7
	v_and_b32_e32 v1, 3, v7
	s_delay_alu instid0(VALU_DEP_2) | instskip(SKIP_1) | instid1(SALU_CYCLE_1)
	v_cmp_ne_u32_e32 vcc_lo, 0x7c, v0
                                        ; implicit-def: $vgpr0
	s_and_saveexec_b32 s77, vcc_lo
	s_xor_b32 s77, exec_lo, s77
	s_cbranch_execz .LBB6_10817
; %bb.10814:                            ;   in Loop: Header=BB6_10323 Depth=4
	v_bfe_u32 v0, v7, 2, 5
	s_mov_b32 s78, exec_lo
	s_delay_alu instid0(VALU_DEP_1)
	v_cmpx_eq_u32_e32 0, v0
; %bb.10815:                            ;   in Loop: Header=BB6_10323 Depth=4
	v_clz_i32_u32_e32 v0, v1
	s_delay_alu instid0(VALU_DEP_1) | instskip(NEXT) | instid1(VALU_DEP_1)
	v_min_u32_e32 v0, 32, v0
	v_subrev_nc_u32_e32 v1, 29, v0
	s_delay_alu instid0(VALU_DEP_1) | instskip(NEXT) | instid1(VALU_DEP_1)
	v_lshlrev_b64_e32 v[2:3], v1, v[112:113]
	v_dual_sub_nc_u32 v0, 30, v0 :: v_dual_bitop2_b32 v1, 3, v2 bitop3:0x40
; %bb.10816:                            ;   in Loop: Header=BB6_10323 Depth=4
	s_or_b32 exec_lo, exec_lo, s78
	v_lshlrev_b32_e32 v2, 24, v7
                                        ; implicit-def: $vgpr7
	s_delay_alu instid0(VALU_DEP_1) | instskip(NEXT) | instid1(VALU_DEP_1)
	v_and_b32_e32 v2, 0x80000000, v2
	v_lshl_add_u32 v0, v0, 23, v2
	s_delay_alu instid0(VALU_DEP_1) | instskip(NEXT) | instid1(VALU_DEP_1)
	v_lshl_or_b32 v0, v1, 21, v0
                                        ; implicit-def: $vgpr1
	v_add_nc_u32_e32 v0, 0x38000000, v0
.LBB6_10817:                            ;   in Loop: Header=BB6_10323 Depth=4
	s_and_not1_saveexec_b32 s77, s77
; %bb.10818:                            ;   in Loop: Header=BB6_10323 Depth=4
	v_and_b32_e32 v0, 0x80, v7
	s_delay_alu instid0(VALU_DEP_1) | instskip(SKIP_1) | instid1(VALU_DEP_1)
	v_cmp_eq_u32_e32 vcc_lo, 0, v0
	v_mov_b32_e32 v0, 0x7f800000
	v_cndmask_b32_e32 v0, 0xff800000, v0, vcc_lo
	v_cmp_eq_u32_e32 vcc_lo, 0, v1
	s_delay_alu instid0(VALU_DEP_2)
	v_cndmask_b32_e32 v0, 0x7f800001, v0, vcc_lo
; %bb.10819:                            ;   in Loop: Header=BB6_10323 Depth=4
	s_or_b32 exec_lo, exec_lo, s77
.LBB6_10820:                            ;   in Loop: Header=BB6_10323 Depth=4
	s_delay_alu instid0(SALU_CYCLE_1)
	s_or_b32 exec_lo, exec_lo, s76
.LBB6_10821:                            ;   in Loop: Header=BB6_10323 Depth=4
	s_delay_alu instid0(SALU_CYCLE_1) | instskip(SKIP_4) | instid1(VALU_DEP_1)
	s_or_b32 exec_lo, exec_lo, s14
	s_wait_loadcnt 0x0
	v_and_b32_e32 v2, 0xff, v8
	s_mov_b32 s76, 0
	s_mov_b32 s14, exec_lo
	v_cmpx_lt_i16_e32 0x7f, v2
	s_xor_b32 s14, exec_lo, s14
	s_cbranch_execz .LBB6_11362
; %bb.10822:                            ;   in Loop: Header=BB6_10323 Depth=4
	s_mov_b32 s76, -1
	s_mov_b32 s77, exec_lo
	v_cmpx_eq_u16_e32 0x80, v2
; %bb.10823:                            ;   in Loop: Header=BB6_10323 Depth=4
	s_xor_b32 s76, exec_lo, -1
; %bb.10824:                            ;   in Loop: Header=BB6_10323 Depth=4
	s_or_b32 exec_lo, exec_lo, s77
	s_delay_alu instid0(SALU_CYCLE_1)
	s_and_b32 s76, s76, exec_lo
                                        ; implicit-def: $vgpr2
	s_or_saveexec_b32 s14, s14
	v_bfrev_b32_e32 v1, 1
	s_xor_b32 exec_lo, exec_lo, s14
	s_cbranch_execnz .LBB6_11363
.LBB6_10825:                            ;   in Loop: Header=BB6_10323 Depth=4
	s_or_b32 exec_lo, exec_lo, s14
	s_and_saveexec_b32 s14, s76
	s_cbranch_execz .LBB6_10827
.LBB6_10826:                            ;   in Loop: Header=BB6_10323 Depth=4
	v_and_b32_e32 v1, 3, v8
	v_bfe_u32 v22, v8, 2, 5
	s_delay_alu instid0(VALU_DEP_2) | instskip(NEXT) | instid1(VALU_DEP_2)
	v_clz_i32_u32_e32 v2, v1
	v_cmp_eq_u32_e32 vcc_lo, 0, v22
	s_delay_alu instid0(VALU_DEP_2) | instskip(NEXT) | instid1(VALU_DEP_1)
	v_min_u32_e32 v7, 32, v2
	v_subrev_nc_u32_e32 v2, 29, v7
	s_delay_alu instid0(VALU_DEP_1) | instskip(SKIP_1) | instid1(VALU_DEP_1)
	v_lshlrev_b64_e32 v[2:3], v2, v[8:9]
	v_dual_lshlrev_b32 v3, 24, v8 :: v_dual_sub_nc_u32 v7, 30, v7
	v_and_b32_e32 v3, 0x80000000, v3
	s_delay_alu instid0(VALU_DEP_2) | instskip(SKIP_1) | instid1(VALU_DEP_2)
	v_dual_cndmask_b32 v7, v22, v7, vcc_lo :: v_dual_bitop2_b32 v2, 3, v2 bitop3:0x40
	v_bfe_i32 v22, v8, 0, 8
	v_cndmask_b32_e32 v2, v1, v2, vcc_lo
	s_delay_alu instid0(VALU_DEP_3) | instskip(NEXT) | instid1(VALU_DEP_3)
	v_lshl_add_u32 v3, v7, 23, v3
	v_cmp_lt_i16_e32 vcc_lo, -1, v22
	v_mov_b32_e32 v7, 0x7f800000
	s_delay_alu instid0(VALU_DEP_3) | instskip(SKIP_1) | instid1(VALU_DEP_3)
	v_lshl_or_b32 v2, v2, 21, v3
	v_and_b32_e32 v3, 0x7c, v8
	v_cndmask_b32_e32 v7, 0xff800000, v7, vcc_lo
	v_cmp_eq_u32_e32 vcc_lo, 0, v1
	s_delay_alu instid0(VALU_DEP_4) | instskip(NEXT) | instid1(VALU_DEP_3)
	v_add_nc_u32_e32 v2, 0x38000000, v2
	v_cndmask_b32_e32 v1, 0x7f800001, v7, vcc_lo
	v_cmp_eq_u32_e32 vcc_lo, 0x7c, v3
	s_delay_alu instid0(VALU_DEP_2)
	v_cndmask_b32_e32 v1, v2, v1, vcc_lo
.LBB6_10827:                            ;   in Loop: Header=BB6_10323 Depth=4
	s_or_b32 exec_lo, exec_lo, s14
	s_delay_alu instid0(VALU_DEP_1) | instskip(SKIP_2) | instid1(VALU_DEP_2)
	v_dual_add_f32 v2, v0, v1 :: v_dual_mov_b32 v39, v113
	v_mov_b32_e32 v1, v113
                                        ; implicit-def: $vgpr22
	s_mov_b32 s14, exec_lo
	v_and_b32_e32 v38, 0x7f800000, v2
	v_and_b32_e32 v0, 0x7fffff, v2
	v_lshrrev_b32_e32 v3, 24, v2
	s_delay_alu instid0(VALU_DEP_3)
	v_cmpx_ne_u64_e32 0x7f800000, v[38:39]
	s_xor_b32 s76, exec_lo, s14
	s_cbranch_execz .LBB6_10841
; %bb.10828:                            ;   in Loop: Header=BB6_10323 Depth=4
	v_and_b32_e32 v38, 0x7fffffff, v2
	v_mov_b32_e32 v39, v113
	v_and_b32_e32 v7, 0x80, v3
                                        ; implicit-def: $vgpr22
	s_mov_b32 s14, exec_lo
	s_delay_alu instid0(VALU_DEP_2)
	v_cmpx_gt_u64_e32 0x47600001, v[38:39]
	s_xor_b32 s77, exec_lo, s14
	s_cbranch_execz .LBB6_10838
; %bb.10829:                            ;   in Loop: Header=BB6_10323 Depth=4
	v_mov_b32_e32 v22, 0
	s_mov_b32 s78, exec_lo
	v_cmpx_ne_u32_e32 0, v2
	s_cbranch_execz .LBB6_10837
; %bb.10830:                            ;   in Loop: Header=BB6_10323 Depth=4
	v_bfe_u32 v22, v2, 23, 8
	v_or_b32_e32 v27, 0x800000, v0
	s_delay_alu instid0(VALU_DEP_2) | instskip(SKIP_1) | instid1(VALU_DEP_2)
	v_sub_nc_u32_e32 v2, 0x71, v22
	v_cmp_gt_u32_e32 vcc_lo, 0x72, v22
	v_cndmask_b32_e32 v2, 0, v2, vcc_lo
	v_cmp_eq_u32_e32 vcc_lo, 0, v22
	s_delay_alu instid0(VALU_DEP_2) | instskip(SKIP_1) | instid1(VALU_DEP_2)
	v_cndmask_b32_e64 v24, v2, 0x70, vcc_lo
	v_cndmask_b32_e32 v0, v27, v0, vcc_lo
	v_dual_add_nc_u32 v2, 21, v24 :: v_dual_add_nc_u32 v37, 20, v24
	s_delay_alu instid0(VALU_DEP_1) | instskip(NEXT) | instid1(VALU_DEP_2)
	v_lshlrev_b64_e64 v[2:3], v2, -1
	v_lshlrev_b64_e64 v[38:39], v37, 1
	s_delay_alu instid0(VALU_DEP_2) | instskip(SKIP_1) | instid1(VALU_DEP_4)
	v_bfi_b32 v2, v2, 0, v0
	v_lshrrev_b64 v[0:1], v24, v[0:1]
	v_bfi_b32 v3, v3, 0, 0
	s_delay_alu instid0(VALU_DEP_1) | instskip(NEXT) | instid1(VALU_DEP_3)
	v_cmp_eq_u64_e64 s14, v[2:3], v[38:39]
	v_mov_b64_e32 v[2:3], v[0:1]
	s_and_saveexec_b32 s79, s14
; %bb.10831:                            ;   in Loop: Header=BB6_10323 Depth=4
	v_bfe_u32 v2, v0, 21, 1
	v_mov_b32_e32 v3, v113
	s_delay_alu instid0(VALU_DEP_1) | instskip(NEXT) | instid1(VALU_DEP_1)
	v_add_nc_u64_e32 v[2:3], v[0:1], v[2:3]
	v_add_nc_u64_e32 v[2:3], -1, v[2:3]
; %bb.10832:                            ;   in Loop: Header=BB6_10323 Depth=4
	s_or_b32 exec_lo, exec_lo, s79
	v_add_nc_u32_e32 v1, 0xffffff81, v22
	v_lshrrev_b32_e32 v3, 23, v0
	s_mov_b32 s14, exec_lo
	s_delay_alu instid0(VALU_DEP_2) | instskip(NEXT) | instid1(VALU_DEP_1)
	v_cndmask_b32_e64 v1, v1, 0xffffff82, vcc_lo
	v_add3_u32 v3, v24, v1, v3
	v_and_b32_e32 v1, 0x1fffff, v2
                                        ; implicit-def: $vgpr2
	s_delay_alu instid0(VALU_DEP_1) | instskip(SKIP_1) | instid1(VALU_DEP_2)
	v_dual_add_nc_u32 v22, 14, v3 :: v_dual_add_nc_u32 v0, v1, v0
	v_mov_b32_e32 v1, v113
	v_cmpx_ne_u32_e32 0, v22
	s_xor_b32 s14, exec_lo, s14
; %bb.10833:                            ;   in Loop: Header=BB6_10323 Depth=4
	s_delay_alu instid0(VALU_DEP_2) | instskip(SKIP_2) | instid1(VALU_DEP_2)
	v_cmp_lt_u64_e32 vcc_lo, 0xffffff, v[0:1]
	v_add_nc_u32_e32 v2, 15, v3
	v_cndmask_b32_e64 v3, 0, 1, vcc_lo
	v_cndmask_b32_e32 v2, v22, v2, vcc_lo
	s_delay_alu instid0(VALU_DEP_2)
	v_lshrrev_b64 v[0:1], v3, v[0:1]
; %bb.10834:                            ;   in Loop: Header=BB6_10323 Depth=4
	s_and_not1_saveexec_b32 s14, s14
; %bb.10835:                            ;   in Loop: Header=BB6_10323 Depth=4
	s_delay_alu instid0(VALU_DEP_1)
	v_bfe_u32 v2, v0, 23, 1
; %bb.10836:                            ;   in Loop: Header=BB6_10323 Depth=4
	s_or_b32 exec_lo, exec_lo, s14
	s_delay_alu instid0(VALU_DEP_2) | instskip(NEXT) | instid1(VALU_DEP_2)
	v_lshrrev_b64 v[0:1], 21, v[0:1]
	v_cmp_gt_i32_e32 vcc_lo, 32, v2
	v_min_i32_e32 v3, 31, v2
	v_cmp_eq_u32_e64 s14, 0, v2
	s_delay_alu instid0(VALU_DEP_2) | instskip(SKIP_1) | instid1(VALU_DEP_2)
	v_dual_cndmask_b32 v1, 0, v1, vcc_lo :: v_dual_lshlrev_b32 v3, 2, v3
	v_cndmask_b32_e32 v0, 3, v0, vcc_lo
	v_and_b32_e32 v3, 0xfc, v3
	s_delay_alu instid0(VALU_DEP_2) | instskip(NEXT) | instid1(VALU_DEP_2)
	v_cmp_eq_u64_e32 vcc_lo, 0, v[0:1]
	v_and_or_b32 v0, v0, 3, v3
	s_and_b32 s14, s14, vcc_lo
	s_delay_alu instid0(VALU_DEP_1) | instid1(SALU_CYCLE_1)
	v_cndmask_b32_e64 v0, v0, 0, s14
	s_delay_alu instid0(VALU_DEP_1)
	v_or_b32_e32 v22, v0, v7
.LBB6_10837:                            ;   in Loop: Header=BB6_10323 Depth=4
	s_or_b32 exec_lo, exec_lo, s78
                                        ; implicit-def: $vgpr7
.LBB6_10838:                            ;   in Loop: Header=BB6_10323 Depth=4
	s_and_not1_saveexec_b32 s14, s77
; %bb.10839:                            ;   in Loop: Header=BB6_10323 Depth=4
	v_or_b32_e32 v22, 0x7b, v7
; %bb.10840:                            ;   in Loop: Header=BB6_10323 Depth=4
	s_or_b32 exec_lo, exec_lo, s14
                                        ; implicit-def: $vgpr2
                                        ; implicit-def: $vgpr0_vgpr1
                                        ; implicit-def: $vgpr3
.LBB6_10841:                            ;   in Loop: Header=BB6_10323 Depth=4
	s_and_not1_saveexec_b32 s14, s76
	s_cbranch_execz .LBB6_10847
; %bb.10842:                            ;   in Loop: Header=BB6_10323 Depth=4
	s_mov_b32 s76, exec_lo
                                        ; implicit-def: $vgpr22
	v_cmpx_ne_u64_e32 0, v[0:1]
	s_xor_b32 s76, exec_lo, s76
; %bb.10843:                            ;   in Loop: Header=BB6_10323 Depth=4
	v_or_b32_e32 v22, 0x7f, v3
                                        ; implicit-def: $vgpr2
; %bb.10844:                            ;   in Loop: Header=BB6_10323 Depth=4
	s_and_not1_saveexec_b32 s76, s76
; %bb.10845:                            ;   in Loop: Header=BB6_10323 Depth=4
	v_cmp_lt_i32_e32 vcc_lo, -1, v2
	v_mov_b32_e32 v0, 0x7c
	s_delay_alu instid0(VALU_DEP_1)
	v_cndmask_b32_e32 v22, 0xfc, v0, vcc_lo
; %bb.10846:                            ;   in Loop: Header=BB6_10323 Depth=4
	s_or_b32 exec_lo, exec_lo, s76
.LBB6_10847:                            ;   in Loop: Header=BB6_10323 Depth=4
	s_delay_alu instid0(SALU_CYCLE_1) | instskip(SKIP_3) | instid1(VALU_DEP_2)
	s_or_b32 exec_lo, exec_lo, s14
	v_lshrrev_b16 v0, 8, v30
	v_mov_b32_e32 v2, 0
	s_mov_b32 s14, exec_lo
	v_cmpx_ne_u16_e32 0, v0
	s_cbranch_execz .LBB6_10857
; %bb.10848:                            ;   in Loop: Header=BB6_10323 Depth=4
	v_bfrev_b32_e32 v2, 1
	s_mov_b32 s76, exec_lo
	v_cmpx_ne_u16_e32 0x80, v0
	s_cbranch_execz .LBB6_10856
; %bb.10849:                            ;   in Loop: Header=BB6_10323 Depth=4
	v_and_b32_e32 v3, 0xffff, v0
	s_delay_alu instid0(VALU_DEP_1) | instskip(SKIP_1) | instid1(VALU_DEP_2)
	v_and_b32_e32 v2, 0x7c, v3
	v_and_b32_e32 v1, 3, v3
	v_cmp_ne_u32_e32 vcc_lo, 0x7c, v2
                                        ; implicit-def: $vgpr2
	s_and_saveexec_b32 s77, vcc_lo
	s_delay_alu instid0(SALU_CYCLE_1)
	s_xor_b32 s77, exec_lo, s77
	s_cbranch_execz .LBB6_10853
; %bb.10850:                            ;   in Loop: Header=BB6_10323 Depth=4
	v_bfe_u32 v2, v3, 2, 5
	s_mov_b32 s78, exec_lo
	s_delay_alu instid0(VALU_DEP_1)
	v_cmpx_eq_u32_e32 0, v2
	s_cbranch_execz .LBB6_10852
; %bb.10851:                            ;   in Loop: Header=BB6_10323 Depth=4
	v_clz_i32_u32_e32 v1, v1
	s_delay_alu instid0(VALU_DEP_1) | instskip(SKIP_1) | instid1(VALU_DEP_2)
	v_min_u32_e32 v2, 32, v1
	v_mov_b32_e32 v1, v113
	v_subrev_nc_u32_e32 v3, 29, v2
	v_sub_nc_u32_e32 v2, 30, v2
	s_delay_alu instid0(VALU_DEP_2) | instskip(NEXT) | instid1(VALU_DEP_1)
	v_lshlrev_b64_e32 v[0:1], v3, v[0:1]
	v_and_b32_e32 v1, 3, v0
.LBB6_10852:                            ;   in Loop: Header=BB6_10323 Depth=4
	s_or_b32 exec_lo, exec_lo, s78
	v_lshlrev_b32_e32 v0, 16, v30
                                        ; implicit-def: $vgpr30
	s_delay_alu instid0(VALU_DEP_1) | instskip(NEXT) | instid1(VALU_DEP_1)
	v_and_b32_e32 v0, 0x80000000, v0
	v_lshl_add_u32 v0, v2, 23, v0
	s_delay_alu instid0(VALU_DEP_1) | instskip(NEXT) | instid1(VALU_DEP_1)
	v_lshl_or_b32 v0, v1, 21, v0
                                        ; implicit-def: $vgpr1
	v_add_nc_u32_e32 v2, 0x38000000, v0
.LBB6_10853:                            ;   in Loop: Header=BB6_10323 Depth=4
	s_and_not1_saveexec_b32 s77, s77
; %bb.10854:                            ;   in Loop: Header=BB6_10323 Depth=4
	v_cmp_lt_i16_e32 vcc_lo, -1, v30
	v_mov_b32_e32 v0, 0x7f800000
	s_delay_alu instid0(VALU_DEP_1) | instskip(SKIP_1) | instid1(VALU_DEP_2)
	v_cndmask_b32_e32 v0, 0xff800000, v0, vcc_lo
	v_cmp_eq_u32_e32 vcc_lo, 0, v1
	v_cndmask_b32_e32 v2, 0x7f800001, v0, vcc_lo
; %bb.10855:                            ;   in Loop: Header=BB6_10323 Depth=4
	s_or_b32 exec_lo, exec_lo, s77
.LBB6_10856:                            ;   in Loop: Header=BB6_10323 Depth=4
	s_delay_alu instid0(SALU_CYCLE_1)
	s_or_b32 exec_lo, exec_lo, s76
.LBB6_10857:                            ;   in Loop: Header=BB6_10323 Depth=4
	s_delay_alu instid0(SALU_CYCLE_1) | instskip(SKIP_3) | instid1(VALU_DEP_1)
	s_or_b32 exec_lo, exec_lo, s14
	v_lshrrev_b16 v0, 8, v8
	s_mov_b32 s76, 0
	s_mov_b32 s14, exec_lo
	v_cmpx_lt_i16_e32 0x7f, v0
	s_xor_b32 s14, exec_lo, s14
	s_cbranch_execz .LBB6_11364
; %bb.10858:                            ;   in Loop: Header=BB6_10323 Depth=4
	s_mov_b32 s76, -1
	s_mov_b32 s77, exec_lo
	v_cmpx_eq_u16_e32 0x80, v0
; %bb.10859:                            ;   in Loop: Header=BB6_10323 Depth=4
	s_xor_b32 s76, exec_lo, -1
; %bb.10860:                            ;   in Loop: Header=BB6_10323 Depth=4
	s_or_b32 exec_lo, exec_lo, s77
	s_delay_alu instid0(SALU_CYCLE_1)
	s_and_b32 s76, s76, exec_lo
	s_or_saveexec_b32 s14, s14
	v_bfrev_b32_e32 v1, 1
	s_xor_b32 exec_lo, exec_lo, s14
	s_cbranch_execnz .LBB6_11365
.LBB6_10861:                            ;   in Loop: Header=BB6_10323 Depth=4
	s_or_b32 exec_lo, exec_lo, s14
	s_and_saveexec_b32 s14, s76
	s_cbranch_execz .LBB6_10863
.LBB6_10862:                            ;   in Loop: Header=BB6_10323 Depth=4
	v_and_b32_e32 v3, 0xffff, v0
	s_delay_alu instid0(VALU_DEP_1) | instskip(NEXT) | instid1(VALU_DEP_1)
	v_and_b32_e32 v7, 3, v3
	v_clz_i32_u32_e32 v1, v7
	s_delay_alu instid0(VALU_DEP_1) | instskip(SKIP_1) | instid1(VALU_DEP_2)
	v_min_u32_e32 v24, 32, v1
	v_mov_b32_e32 v1, v113
	v_subrev_nc_u32_e32 v27, 29, v24
	v_sub_nc_u32_e32 v24, 30, v24
	s_delay_alu instid0(VALU_DEP_2) | instskip(SKIP_3) | instid1(VALU_DEP_3)
	v_lshlrev_b64_e32 v[38:39], v27, v[0:1]
	v_bfe_u32 v1, v3, 2, 5
	v_lshlrev_b32_e32 v0, 24, v0
	v_and_b32_e32 v3, 0x7c, v3
	v_cmp_eq_u32_e32 vcc_lo, 0, v1
	v_and_b32_e32 v27, 3, v38
	s_delay_alu instid0(VALU_DEP_4) | instskip(NEXT) | instid1(VALU_DEP_2)
	v_and_b32_e32 v0, 0x80000000, v0
	v_dual_cndmask_b32 v1, v1, v24 :: v_dual_cndmask_b32 v24, v7, v27
	v_cmp_lt_i16_e32 vcc_lo, -1, v8
	s_delay_alu instid0(VALU_DEP_2) | instskip(SKIP_1) | instid1(VALU_DEP_2)
	v_lshl_add_u32 v0, v1, 23, v0
	v_mov_b32_e32 v1, 0x7f800000
	v_lshl_or_b32 v0, v24, 21, v0
	s_delay_alu instid0(VALU_DEP_2) | instskip(SKIP_1) | instid1(VALU_DEP_3)
	v_cndmask_b32_e32 v1, 0xff800000, v1, vcc_lo
	v_cmp_eq_u32_e32 vcc_lo, 0, v7
	v_add_nc_u32_e32 v0, 0x38000000, v0
	s_delay_alu instid0(VALU_DEP_3) | instskip(SKIP_1) | instid1(VALU_DEP_2)
	v_cndmask_b32_e32 v1, 0x7f800001, v1, vcc_lo
	v_cmp_eq_u32_e32 vcc_lo, 0x7c, v3
	v_cndmask_b32_e32 v1, v0, v1, vcc_lo
.LBB6_10863:                            ;   in Loop: Header=BB6_10323 Depth=4
	s_or_b32 exec_lo, exec_lo, s14
	s_delay_alu instid0(VALU_DEP_1) | instskip(SKIP_2) | instid1(VALU_DEP_2)
	v_dual_add_f32 v2, v2, v1 :: v_dual_mov_b32 v39, v113
	v_mov_b32_e32 v1, v113
                                        ; implicit-def: $vgpr24
	s_mov_b32 s14, exec_lo
	v_and_b32_e32 v38, 0x7f800000, v2
	v_and_b32_e32 v0, 0x7fffff, v2
	v_lshrrev_b32_e32 v3, 24, v2
	s_delay_alu instid0(VALU_DEP_3)
	v_cmpx_ne_u64_e32 0x7f800000, v[38:39]
	s_xor_b32 s76, exec_lo, s14
	s_cbranch_execz .LBB6_10877
; %bb.10864:                            ;   in Loop: Header=BB6_10323 Depth=4
	v_and_b32_e32 v38, 0x7fffffff, v2
	v_mov_b32_e32 v39, v113
	v_and_b32_e32 v7, 0x80, v3
                                        ; implicit-def: $vgpr24
	s_mov_b32 s14, exec_lo
	s_delay_alu instid0(VALU_DEP_2)
	v_cmpx_gt_u64_e32 0x47600001, v[38:39]
	s_xor_b32 s77, exec_lo, s14
	s_cbranch_execz .LBB6_10874
; %bb.10865:                            ;   in Loop: Header=BB6_10323 Depth=4
	v_mov_b32_e32 v24, 0
	s_mov_b32 s78, exec_lo
	v_cmpx_ne_u32_e32 0, v2
	s_cbranch_execz .LBB6_10873
; %bb.10866:                            ;   in Loop: Header=BB6_10323 Depth=4
	v_bfe_u32 v24, v2, 23, 8
	v_or_b32_e32 v30, 0x800000, v0
	s_delay_alu instid0(VALU_DEP_2) | instskip(SKIP_1) | instid1(VALU_DEP_2)
	v_sub_nc_u32_e32 v2, 0x71, v24
	v_cmp_gt_u32_e32 vcc_lo, 0x72, v24
	v_cndmask_b32_e32 v2, 0, v2, vcc_lo
	v_cmp_eq_u32_e32 vcc_lo, 0, v24
	s_delay_alu instid0(VALU_DEP_2) | instskip(NEXT) | instid1(VALU_DEP_1)
	v_cndmask_b32_e64 v27, v2, 0x70, vcc_lo
	v_dual_cndmask_b32 v0, v30, v0, vcc_lo :: v_dual_add_nc_u32 v2, 21, v27
	v_add_nc_u32_e32 v37, 20, v27
	s_delay_alu instid0(VALU_DEP_2) | instskip(NEXT) | instid1(VALU_DEP_2)
	v_lshlrev_b64_e64 v[2:3], v2, -1
	v_lshlrev_b64_e64 v[38:39], v37, 1
	s_delay_alu instid0(VALU_DEP_2) | instskip(SKIP_1) | instid1(VALU_DEP_4)
	v_bfi_b32 v2, v2, 0, v0
	v_lshrrev_b64 v[0:1], v27, v[0:1]
	v_bfi_b32 v3, v3, 0, 0
	s_delay_alu instid0(VALU_DEP_1) | instskip(NEXT) | instid1(VALU_DEP_3)
	v_cmp_eq_u64_e64 s14, v[2:3], v[38:39]
	v_mov_b64_e32 v[2:3], v[0:1]
	s_and_saveexec_b32 s79, s14
; %bb.10867:                            ;   in Loop: Header=BB6_10323 Depth=4
	v_bfe_u32 v2, v0, 21, 1
	v_mov_b32_e32 v3, v113
	s_delay_alu instid0(VALU_DEP_1) | instskip(NEXT) | instid1(VALU_DEP_1)
	v_add_nc_u64_e32 v[2:3], v[0:1], v[2:3]
	v_add_nc_u64_e32 v[2:3], -1, v[2:3]
; %bb.10868:                            ;   in Loop: Header=BB6_10323 Depth=4
	s_or_b32 exec_lo, exec_lo, s79
	v_add_nc_u32_e32 v1, 0xffffff81, v24
	v_lshrrev_b32_e32 v3, 23, v0
	s_mov_b32 s14, exec_lo
	s_delay_alu instid0(VALU_DEP_2) | instskip(NEXT) | instid1(VALU_DEP_1)
	v_cndmask_b32_e64 v1, v1, 0xffffff82, vcc_lo
	v_add3_u32 v3, v27, v1, v3
	v_and_b32_e32 v1, 0x1fffff, v2
                                        ; implicit-def: $vgpr2
	s_delay_alu instid0(VALU_DEP_1) | instskip(SKIP_1) | instid1(VALU_DEP_2)
	v_dual_add_nc_u32 v24, 14, v3 :: v_dual_add_nc_u32 v0, v1, v0
	v_mov_b32_e32 v1, v113
	v_cmpx_ne_u32_e32 0, v24
	s_xor_b32 s14, exec_lo, s14
; %bb.10869:                            ;   in Loop: Header=BB6_10323 Depth=4
	s_delay_alu instid0(VALU_DEP_2) | instskip(SKIP_2) | instid1(VALU_DEP_2)
	v_cmp_lt_u64_e32 vcc_lo, 0xffffff, v[0:1]
	v_add_nc_u32_e32 v2, 15, v3
	v_cndmask_b32_e64 v3, 0, 1, vcc_lo
	v_cndmask_b32_e32 v2, v24, v2, vcc_lo
	s_delay_alu instid0(VALU_DEP_2)
	v_lshrrev_b64 v[0:1], v3, v[0:1]
; %bb.10870:                            ;   in Loop: Header=BB6_10323 Depth=4
	s_and_not1_saveexec_b32 s14, s14
; %bb.10871:                            ;   in Loop: Header=BB6_10323 Depth=4
	s_delay_alu instid0(VALU_DEP_1)
	v_bfe_u32 v2, v0, 23, 1
; %bb.10872:                            ;   in Loop: Header=BB6_10323 Depth=4
	s_or_b32 exec_lo, exec_lo, s14
	s_delay_alu instid0(VALU_DEP_2) | instskip(NEXT) | instid1(VALU_DEP_2)
	v_lshrrev_b64 v[0:1], 21, v[0:1]
	v_cmp_gt_i32_e32 vcc_lo, 32, v2
	v_min_i32_e32 v3, 31, v2
	v_cmp_eq_u32_e64 s14, 0, v2
	s_delay_alu instid0(VALU_DEP_2) | instskip(SKIP_1) | instid1(VALU_DEP_2)
	v_dual_cndmask_b32 v1, 0, v1, vcc_lo :: v_dual_lshlrev_b32 v3, 2, v3
	v_cndmask_b32_e32 v0, 3, v0, vcc_lo
	v_and_b32_e32 v3, 0xfc, v3
	s_delay_alu instid0(VALU_DEP_2) | instskip(NEXT) | instid1(VALU_DEP_2)
	v_cmp_eq_u64_e32 vcc_lo, 0, v[0:1]
	v_and_or_b32 v0, v0, 3, v3
	s_and_b32 s14, s14, vcc_lo
	s_delay_alu instid0(VALU_DEP_1) | instid1(SALU_CYCLE_1)
	v_cndmask_b32_e64 v0, v0, 0, s14
	s_delay_alu instid0(VALU_DEP_1)
	v_or_b32_e32 v24, v0, v7
.LBB6_10873:                            ;   in Loop: Header=BB6_10323 Depth=4
	s_or_b32 exec_lo, exec_lo, s78
                                        ; implicit-def: $vgpr7
.LBB6_10874:                            ;   in Loop: Header=BB6_10323 Depth=4
	s_and_not1_saveexec_b32 s14, s77
; %bb.10875:                            ;   in Loop: Header=BB6_10323 Depth=4
	v_or_b32_e32 v24, 0x7b, v7
; %bb.10876:                            ;   in Loop: Header=BB6_10323 Depth=4
	s_or_b32 exec_lo, exec_lo, s14
                                        ; implicit-def: $vgpr2
                                        ; implicit-def: $vgpr0_vgpr1
                                        ; implicit-def: $vgpr3
.LBB6_10877:                            ;   in Loop: Header=BB6_10323 Depth=4
	s_and_not1_saveexec_b32 s14, s76
	s_cbranch_execz .LBB6_10883
; %bb.10878:                            ;   in Loop: Header=BB6_10323 Depth=4
	s_mov_b32 s76, exec_lo
                                        ; implicit-def: $vgpr24
	v_cmpx_ne_u64_e32 0, v[0:1]
	s_xor_b32 s76, exec_lo, s76
; %bb.10879:                            ;   in Loop: Header=BB6_10323 Depth=4
	v_or_b32_e32 v24, 0x7f, v3
                                        ; implicit-def: $vgpr2
; %bb.10880:                            ;   in Loop: Header=BB6_10323 Depth=4
	s_and_not1_saveexec_b32 s76, s76
; %bb.10881:                            ;   in Loop: Header=BB6_10323 Depth=4
	v_cmp_lt_i32_e32 vcc_lo, -1, v2
	v_mov_b32_e32 v0, 0x7c
	s_delay_alu instid0(VALU_DEP_1)
	v_cndmask_b32_e32 v24, 0xfc, v0, vcc_lo
; %bb.10882:                            ;   in Loop: Header=BB6_10323 Depth=4
	s_or_b32 exec_lo, exec_lo, s76
.LBB6_10883:                            ;   in Loop: Header=BB6_10323 Depth=4
	s_delay_alu instid0(SALU_CYCLE_1) | instskip(SKIP_2) | instid1(VALU_DEP_1)
	s_or_b32 exec_lo, exec_lo, s14
	v_dual_mov_b32 v1, 0 :: v_dual_lshrrev_b32 v0, 16, v112
	s_mov_b32 s14, exec_lo
	v_and_b32_e32 v2, 0xff, v0
	s_delay_alu instid0(VALU_DEP_1)
	v_cmpx_ne_u16_e32 0, v2
	s_cbranch_execz .LBB6_10893
; %bb.10884:                            ;   in Loop: Header=BB6_10323 Depth=4
	v_bfrev_b32_e32 v1, 1
	s_mov_b32 s76, exec_lo
	v_cmpx_ne_u16_e32 0x80, v2
	s_cbranch_execz .LBB6_10892
; %bb.10885:                            ;   in Loop: Header=BB6_10323 Depth=4
	v_and_b32_e32 v1, 0x7c0000, v112
	v_bfe_u32 v2, v112, 16, 2
	s_delay_alu instid0(VALU_DEP_2) | instskip(SKIP_1) | instid1(SALU_CYCLE_1)
	v_cmp_ne_u32_e32 vcc_lo, 0x7c0000, v1
                                        ; implicit-def: $vgpr1
	s_and_saveexec_b32 s77, vcc_lo
	s_xor_b32 s77, exec_lo, s77
	s_cbranch_execz .LBB6_10889
; %bb.10886:                            ;   in Loop: Header=BB6_10323 Depth=4
	v_bfe_u32 v1, v112, 18, 5
	v_lshrrev_b32_e32 v0, 16, v112
	s_mov_b32 s78, exec_lo
	s_delay_alu instid0(VALU_DEP_2)
	v_cmpx_eq_u32_e32 0, v1
; %bb.10887:                            ;   in Loop: Header=BB6_10323 Depth=4
	v_clz_i32_u32_e32 v1, v2
	s_delay_alu instid0(VALU_DEP_1) | instskip(NEXT) | instid1(VALU_DEP_1)
	v_min_u32_e32 v1, 32, v1
	v_subrev_nc_u32_e32 v2, 29, v1
	s_delay_alu instid0(VALU_DEP_1) | instskip(NEXT) | instid1(VALU_DEP_1)
	v_lshlrev_b64_e32 v[2:3], v2, v[0:1]
	v_dual_sub_nc_u32 v1, 30, v1 :: v_dual_bitop2_b32 v2, 3, v2 bitop3:0x40
; %bb.10888:                            ;   in Loop: Header=BB6_10323 Depth=4
	s_or_b32 exec_lo, exec_lo, s78
	v_lshlrev_b32_e32 v0, 24, v0
	s_delay_alu instid0(VALU_DEP_1) | instskip(NEXT) | instid1(VALU_DEP_1)
	v_and_b32_e32 v0, 0x80000000, v0
	v_lshl_add_u32 v0, v1, 23, v0
	s_delay_alu instid0(VALU_DEP_1) | instskip(NEXT) | instid1(VALU_DEP_1)
	v_lshl_or_b32 v0, v2, 21, v0
                                        ; implicit-def: $vgpr2
	v_add_nc_u32_e32 v1, 0x38000000, v0
                                        ; implicit-def: $vgpr0
.LBB6_10889:                            ;   in Loop: Header=BB6_10323 Depth=4
	s_and_not1_saveexec_b32 s77, s77
; %bb.10890:                            ;   in Loop: Header=BB6_10323 Depth=4
	v_bfe_i32 v0, v0, 0, 8
	s_delay_alu instid0(VALU_DEP_1) | instskip(SKIP_1) | instid1(VALU_DEP_1)
	v_cmp_lt_i16_e32 vcc_lo, -1, v0
	v_mov_b32_e32 v0, 0x7f800000
	v_cndmask_b32_e32 v0, 0xff800000, v0, vcc_lo
	v_cmp_eq_u32_e32 vcc_lo, 0, v2
	s_delay_alu instid0(VALU_DEP_2)
	v_cndmask_b32_e32 v1, 0x7f800001, v0, vcc_lo
; %bb.10891:                            ;   in Loop: Header=BB6_10323 Depth=4
	s_or_b32 exec_lo, exec_lo, s77
.LBB6_10892:                            ;   in Loop: Header=BB6_10323 Depth=4
	s_delay_alu instid0(SALU_CYCLE_1)
	s_or_b32 exec_lo, exec_lo, s76
.LBB6_10893:                            ;   in Loop: Header=BB6_10323 Depth=4
	s_delay_alu instid0(SALU_CYCLE_1) | instskip(SKIP_3) | instid1(VALU_DEP_1)
	s_or_b32 exec_lo, exec_lo, s14
	v_lshrrev_b32_e32 v0, 16, v8
	s_mov_b32 s76, 0
	s_mov_b32 s14, exec_lo
	v_and_b32_e32 v3, 0xff, v0
	s_delay_alu instid0(VALU_DEP_1)
	v_cmpx_lt_i16_e32 0x7f, v3
	s_xor_b32 s14, exec_lo, s14
	s_cbranch_execz .LBB6_11366
; %bb.10894:                            ;   in Loop: Header=BB6_10323 Depth=4
	s_mov_b32 s76, -1
	s_mov_b32 s77, exec_lo
	v_cmpx_eq_u16_e32 0x80, v3
; %bb.10895:                            ;   in Loop: Header=BB6_10323 Depth=4
	s_xor_b32 s76, exec_lo, -1
; %bb.10896:                            ;   in Loop: Header=BB6_10323 Depth=4
	s_or_b32 exec_lo, exec_lo, s77
	s_delay_alu instid0(SALU_CYCLE_1)
	s_and_b32 s76, s76, exec_lo
                                        ; implicit-def: $vgpr3
	s_or_saveexec_b32 s14, s14
	v_bfrev_b32_e32 v2, 1
	s_xor_b32 exec_lo, exec_lo, s14
	s_cbranch_execnz .LBB6_11367
.LBB6_10897:                            ;   in Loop: Header=BB6_10323 Depth=4
	s_or_b32 exec_lo, exec_lo, s14
	s_and_saveexec_b32 s14, s76
	s_cbranch_execz .LBB6_10899
.LBB6_10898:                            ;   in Loop: Header=BB6_10323 Depth=4
	v_and_b32_e32 v7, 3, v0
	v_bfe_u32 v30, v8, 18, 5
	s_delay_alu instid0(VALU_DEP_2) | instskip(NEXT) | instid1(VALU_DEP_2)
	v_clz_i32_u32_e32 v2, v7
	v_cmp_eq_u32_e32 vcc_lo, 0, v30
	s_delay_alu instid0(VALU_DEP_2) | instskip(NEXT) | instid1(VALU_DEP_1)
	v_min_u32_e32 v27, 32, v2
	v_subrev_nc_u32_e32 v2, 29, v27
	s_delay_alu instid0(VALU_DEP_1) | instskip(SKIP_2) | instid1(VALU_DEP_2)
	v_lshlrev_b64_e32 v[2:3], v2, v[0:1]
	v_dual_lshlrev_b32 v3, 24, v0 :: v_dual_sub_nc_u32 v27, 30, v27
	v_bfe_i32 v0, v0, 0, 8
	v_and_b32_e32 v3, 0x80000000, v3
	s_delay_alu instid0(VALU_DEP_3) | instskip(NEXT) | instid1(VALU_DEP_1)
	v_dual_cndmask_b32 v27, v30, v27, vcc_lo :: v_dual_bitop2_b32 v2, 3, v2 bitop3:0x40
	v_cndmask_b32_e32 v2, v7, v2, vcc_lo
	s_delay_alu instid0(VALU_DEP_2) | instskip(SKIP_2) | instid1(VALU_DEP_3)
	v_lshl_add_u32 v3, v27, 23, v3
	v_cmp_lt_i16_e32 vcc_lo, -1, v0
	v_mov_b32_e32 v0, 0x7f800000
	v_lshl_or_b32 v2, v2, 21, v3
	v_and_b32_e32 v3, 0x7c0000, v8
	s_delay_alu instid0(VALU_DEP_3) | instskip(SKIP_1) | instid1(VALU_DEP_4)
	v_cndmask_b32_e32 v0, 0xff800000, v0, vcc_lo
	v_cmp_eq_u32_e32 vcc_lo, 0, v7
	v_add_nc_u32_e32 v2, 0x38000000, v2
	s_delay_alu instid0(VALU_DEP_3) | instskip(SKIP_1) | instid1(VALU_DEP_2)
	v_cndmask_b32_e32 v0, 0x7f800001, v0, vcc_lo
	v_cmp_eq_u32_e32 vcc_lo, 0x7c0000, v3
	v_cndmask_b32_e32 v2, v2, v0, vcc_lo
.LBB6_10899:                            ;   in Loop: Header=BB6_10323 Depth=4
	s_or_b32 exec_lo, exec_lo, s14
	s_delay_alu instid0(VALU_DEP_1) | instskip(SKIP_2) | instid1(VALU_DEP_2)
	v_add_f32_e32 v2, v1, v2
	v_dual_mov_b32 v39, v113 :: v_dual_mov_b32 v1, v113
                                        ; implicit-def: $vgpr27
	s_mov_b32 s14, exec_lo
	v_and_b32_e32 v38, 0x7f800000, v2
	v_and_b32_e32 v0, 0x7fffff, v2
	v_lshrrev_b32_e32 v3, 24, v2
	s_delay_alu instid0(VALU_DEP_3)
	v_cmpx_ne_u64_e32 0x7f800000, v[38:39]
	s_xor_b32 s76, exec_lo, s14
	s_cbranch_execz .LBB6_10913
; %bb.10900:                            ;   in Loop: Header=BB6_10323 Depth=4
	v_and_b32_e32 v38, 0x7fffffff, v2
	v_mov_b32_e32 v39, v113
	v_and_b32_e32 v7, 0x80, v3
                                        ; implicit-def: $vgpr27
	s_mov_b32 s14, exec_lo
	s_delay_alu instid0(VALU_DEP_2)
	v_cmpx_gt_u64_e32 0x47600001, v[38:39]
	s_xor_b32 s77, exec_lo, s14
	s_cbranch_execz .LBB6_10910
; %bb.10901:                            ;   in Loop: Header=BB6_10323 Depth=4
	v_mov_b32_e32 v27, 0
	s_mov_b32 s78, exec_lo
	v_cmpx_ne_u32_e32 0, v2
	s_cbranch_execz .LBB6_10909
; %bb.10902:                            ;   in Loop: Header=BB6_10323 Depth=4
	v_bfe_u32 v27, v2, 23, 8
	v_or_b32_e32 v37, 0x800000, v0
	s_delay_alu instid0(VALU_DEP_2) | instskip(SKIP_1) | instid1(VALU_DEP_2)
	v_sub_nc_u32_e32 v2, 0x71, v27
	v_cmp_gt_u32_e32 vcc_lo, 0x72, v27
	v_cndmask_b32_e32 v2, 0, v2, vcc_lo
	v_cmp_eq_u32_e32 vcc_lo, 0, v27
	v_cndmask_b32_e32 v0, v37, v0, vcc_lo
	s_delay_alu instid0(VALU_DEP_3) | instskip(NEXT) | instid1(VALU_DEP_1)
	v_cndmask_b32_e64 v30, v2, 0x70, vcc_lo
	v_dual_add_nc_u32 v2, 21, v30 :: v_dual_add_nc_u32 v38, 20, v30
	s_delay_alu instid0(VALU_DEP_1) | instskip(NEXT) | instid1(VALU_DEP_2)
	v_lshlrev_b64_e64 v[2:3], v2, -1
	v_lshlrev_b64_e64 v[38:39], v38, 1
	s_delay_alu instid0(VALU_DEP_2) | instskip(SKIP_1) | instid1(VALU_DEP_4)
	v_bfi_b32 v2, v2, 0, v0
	v_lshrrev_b64 v[0:1], v30, v[0:1]
	v_bfi_b32 v3, v3, 0, 0
	s_delay_alu instid0(VALU_DEP_1) | instskip(NEXT) | instid1(VALU_DEP_3)
	v_cmp_eq_u64_e64 s14, v[2:3], v[38:39]
	v_mov_b64_e32 v[2:3], v[0:1]
	s_and_saveexec_b32 s79, s14
; %bb.10903:                            ;   in Loop: Header=BB6_10323 Depth=4
	v_bfe_u32 v2, v0, 21, 1
	v_mov_b32_e32 v3, v113
	s_delay_alu instid0(VALU_DEP_1) | instskip(NEXT) | instid1(VALU_DEP_1)
	v_add_nc_u64_e32 v[2:3], v[0:1], v[2:3]
	v_add_nc_u64_e32 v[2:3], -1, v[2:3]
; %bb.10904:                            ;   in Loop: Header=BB6_10323 Depth=4
	s_or_b32 exec_lo, exec_lo, s79
	v_add_nc_u32_e32 v1, 0xffffff81, v27
	v_lshrrev_b32_e32 v3, 23, v0
	s_mov_b32 s14, exec_lo
	s_delay_alu instid0(VALU_DEP_2) | instskip(NEXT) | instid1(VALU_DEP_1)
	v_cndmask_b32_e64 v1, v1, 0xffffff82, vcc_lo
	v_add3_u32 v3, v30, v1, v3
	v_and_b32_e32 v1, 0x1fffff, v2
                                        ; implicit-def: $vgpr2
	s_delay_alu instid0(VALU_DEP_1) | instskip(SKIP_1) | instid1(VALU_DEP_2)
	v_dual_add_nc_u32 v27, 14, v3 :: v_dual_add_nc_u32 v0, v1, v0
	v_mov_b32_e32 v1, v113
	v_cmpx_ne_u32_e32 0, v27
	s_xor_b32 s14, exec_lo, s14
; %bb.10905:                            ;   in Loop: Header=BB6_10323 Depth=4
	s_delay_alu instid0(VALU_DEP_2) | instskip(SKIP_2) | instid1(VALU_DEP_2)
	v_cmp_lt_u64_e32 vcc_lo, 0xffffff, v[0:1]
	v_add_nc_u32_e32 v2, 15, v3
	v_cndmask_b32_e64 v3, 0, 1, vcc_lo
	v_cndmask_b32_e32 v2, v27, v2, vcc_lo
	s_delay_alu instid0(VALU_DEP_2)
	v_lshrrev_b64 v[0:1], v3, v[0:1]
; %bb.10906:                            ;   in Loop: Header=BB6_10323 Depth=4
	s_and_not1_saveexec_b32 s14, s14
; %bb.10907:                            ;   in Loop: Header=BB6_10323 Depth=4
	s_delay_alu instid0(VALU_DEP_1)
	v_bfe_u32 v2, v0, 23, 1
; %bb.10908:                            ;   in Loop: Header=BB6_10323 Depth=4
	s_or_b32 exec_lo, exec_lo, s14
	s_delay_alu instid0(VALU_DEP_2) | instskip(NEXT) | instid1(VALU_DEP_2)
	v_lshrrev_b64 v[0:1], 21, v[0:1]
	v_cmp_gt_i32_e32 vcc_lo, 32, v2
	v_min_i32_e32 v3, 31, v2
	v_cmp_eq_u32_e64 s14, 0, v2
	s_delay_alu instid0(VALU_DEP_2) | instskip(SKIP_1) | instid1(VALU_DEP_2)
	v_dual_cndmask_b32 v1, 0, v1, vcc_lo :: v_dual_lshlrev_b32 v3, 2, v3
	v_cndmask_b32_e32 v0, 3, v0, vcc_lo
	v_and_b32_e32 v3, 0xfc, v3
	s_delay_alu instid0(VALU_DEP_2) | instskip(NEXT) | instid1(VALU_DEP_2)
	v_cmp_eq_u64_e32 vcc_lo, 0, v[0:1]
	v_and_or_b32 v0, v0, 3, v3
	s_and_b32 s14, s14, vcc_lo
	s_delay_alu instid0(VALU_DEP_1) | instid1(SALU_CYCLE_1)
	v_cndmask_b32_e64 v0, v0, 0, s14
	s_delay_alu instid0(VALU_DEP_1)
	v_or_b32_e32 v27, v0, v7
.LBB6_10909:                            ;   in Loop: Header=BB6_10323 Depth=4
	s_or_b32 exec_lo, exec_lo, s78
                                        ; implicit-def: $vgpr7
.LBB6_10910:                            ;   in Loop: Header=BB6_10323 Depth=4
	s_and_not1_saveexec_b32 s14, s77
; %bb.10911:                            ;   in Loop: Header=BB6_10323 Depth=4
	v_or_b32_e32 v27, 0x7b, v7
; %bb.10912:                            ;   in Loop: Header=BB6_10323 Depth=4
	s_or_b32 exec_lo, exec_lo, s14
                                        ; implicit-def: $vgpr2
                                        ; implicit-def: $vgpr0_vgpr1
                                        ; implicit-def: $vgpr3
.LBB6_10913:                            ;   in Loop: Header=BB6_10323 Depth=4
	s_and_not1_saveexec_b32 s14, s76
	s_cbranch_execz .LBB6_10919
; %bb.10914:                            ;   in Loop: Header=BB6_10323 Depth=4
	s_mov_b32 s76, exec_lo
                                        ; implicit-def: $vgpr27
	v_cmpx_ne_u64_e32 0, v[0:1]
	s_xor_b32 s76, exec_lo, s76
; %bb.10915:                            ;   in Loop: Header=BB6_10323 Depth=4
	v_or_b32_e32 v27, 0x7f, v3
                                        ; implicit-def: $vgpr2
; %bb.10916:                            ;   in Loop: Header=BB6_10323 Depth=4
	s_and_not1_saveexec_b32 s76, s76
; %bb.10917:                            ;   in Loop: Header=BB6_10323 Depth=4
	v_cmp_lt_i32_e32 vcc_lo, -1, v2
	v_mov_b32_e32 v0, 0x7c
	s_delay_alu instid0(VALU_DEP_1)
	v_cndmask_b32_e32 v27, 0xfc, v0, vcc_lo
; %bb.10918:                            ;   in Loop: Header=BB6_10323 Depth=4
	s_or_b32 exec_lo, exec_lo, s76
.LBB6_10919:                            ;   in Loop: Header=BB6_10323 Depth=4
	s_delay_alu instid0(SALU_CYCLE_1)
	s_or_b32 exec_lo, exec_lo, s14
	v_mov_b32_e32 v1, 0
	s_mov_b32 s14, exec_lo
	v_cmpx_lt_u32_e32 0xffffff, v112
	s_cbranch_execz .LBB6_10929
; %bb.10920:                            ;   in Loop: Header=BB6_10323 Depth=4
	v_lshrrev_b32_e32 v0, 24, v112
	v_bfrev_b32_e32 v1, 1
	s_mov_b32 s76, exec_lo
	s_delay_alu instid0(VALU_DEP_2)
	v_cmpx_ne_u32_e32 0x80, v0
	s_cbranch_execz .LBB6_10928
; %bb.10921:                            ;   in Loop: Header=BB6_10323 Depth=4
	v_and_b32_e32 v1, 0x7c000000, v112
	v_bfe_u32 v2, v112, 24, 2
	s_delay_alu instid0(VALU_DEP_2) | instskip(SKIP_1) | instid1(SALU_CYCLE_1)
	v_cmp_ne_u32_e32 vcc_lo, 0x7c000000, v1
                                        ; implicit-def: $vgpr1
	s_and_saveexec_b32 s77, vcc_lo
	s_xor_b32 s77, exec_lo, s77
	s_cbranch_execz .LBB6_10925
; %bb.10922:                            ;   in Loop: Header=BB6_10323 Depth=4
	v_bfe_u32 v1, v112, 26, 5
	s_mov_b32 s78, exec_lo
	s_delay_alu instid0(VALU_DEP_1)
	v_cmpx_eq_u32_e32 0, v1
; %bb.10923:                            ;   in Loop: Header=BB6_10323 Depth=4
	v_clz_i32_u32_e32 v1, v2
	s_delay_alu instid0(VALU_DEP_1) | instskip(NEXT) | instid1(VALU_DEP_1)
	v_min_u32_e32 v2, 32, v1
	v_subrev_nc_u32_e32 v1, 29, v2
	s_delay_alu instid0(VALU_DEP_1) | instskip(NEXT) | instid1(VALU_DEP_1)
	v_lshlrev_b64_e32 v[0:1], v1, v[0:1]
	v_dual_sub_nc_u32 v1, 30, v2 :: v_dual_bitop2_b32 v2, 3, v0 bitop3:0x40
; %bb.10924:                            ;   in Loop: Header=BB6_10323 Depth=4
	s_or_b32 exec_lo, exec_lo, s78
	v_and_b32_e32 v0, 0x80000000, v112
	s_delay_alu instid0(VALU_DEP_1) | instskip(NEXT) | instid1(VALU_DEP_1)
	v_lshl_add_u32 v0, v1, 23, v0
	v_lshl_or_b32 v0, v2, 21, v0
                                        ; implicit-def: $vgpr2
	s_delay_alu instid0(VALU_DEP_1)
	v_add_nc_u32_e32 v1, 0x38000000, v0
.LBB6_10925:                            ;   in Loop: Header=BB6_10323 Depth=4
	s_and_not1_saveexec_b32 s77, s77
; %bb.10926:                            ;   in Loop: Header=BB6_10323 Depth=4
	v_cmp_lt_i32_e32 vcc_lo, -1, v112
	v_mov_b32_e32 v0, 0x7f800000
	s_delay_alu instid0(VALU_DEP_1) | instskip(SKIP_1) | instid1(VALU_DEP_2)
	v_cndmask_b32_e32 v0, 0xff800000, v0, vcc_lo
	v_cmp_eq_u32_e32 vcc_lo, 0, v2
	v_cndmask_b32_e32 v1, 0x7f800001, v0, vcc_lo
; %bb.10927:                            ;   in Loop: Header=BB6_10323 Depth=4
	s_or_b32 exec_lo, exec_lo, s77
.LBB6_10928:                            ;   in Loop: Header=BB6_10323 Depth=4
	s_delay_alu instid0(SALU_CYCLE_1)
	s_or_b32 exec_lo, exec_lo, s76
.LBB6_10929:                            ;   in Loop: Header=BB6_10323 Depth=4
	s_delay_alu instid0(SALU_CYCLE_1) | instskip(SKIP_3) | instid1(VALU_DEP_2)
	s_or_b32 exec_lo, exec_lo, s14
	v_bfe_u32 v7, v8, 24, 2
	v_bfe_u32 v37, v8, 26, 5
	s_mov_b32 s14, exec_lo
	v_clz_i32_u32_e32 v0, v7
	s_delay_alu instid0(VALU_DEP_2) | instskip(NEXT) | instid1(VALU_DEP_2)
	v_cmp_eq_u32_e32 vcc_lo, 0, v37
	v_min_u32_e32 v30, 32, v0
	v_lshrrev_b32_e32 v0, 24, v8
	s_delay_alu instid0(VALU_DEP_2) | instskip(NEXT) | instid1(VALU_DEP_1)
	v_subrev_nc_u32_e32 v2, 29, v30
	v_lshlrev_b64_e32 v[2:3], v2, v[0:1]
	v_sub_nc_u32_e32 v3, 30, v30
	v_and_b32_e32 v30, 0x80000000, v8
	s_delay_alu instid0(VALU_DEP_2) | instskip(NEXT) | instid1(VALU_DEP_1)
	v_dual_cndmask_b32 v3, v37, v3, vcc_lo :: v_dual_bitop2_b32 v2, 3, v2 bitop3:0x40
	v_lshl_add_u32 v3, v3, 23, v30
	s_delay_alu instid0(VALU_DEP_2) | instskip(SKIP_2) | instid1(VALU_DEP_3)
	v_cndmask_b32_e32 v2, v7, v2, vcc_lo
	v_cmp_lt_i32_e32 vcc_lo, -1, v8
	v_mov_b32_e32 v30, 0x7f800000
	v_lshl_or_b32 v2, v2, 21, v3
	v_and_b32_e32 v3, 0x7c000000, v8
	s_delay_alu instid0(VALU_DEP_3) | instskip(SKIP_1) | instid1(VALU_DEP_4)
	v_cndmask_b32_e32 v30, 0xff800000, v30, vcc_lo
	v_cmp_eq_u32_e32 vcc_lo, 0, v7
	v_add_nc_u32_e32 v2, 0x38000000, v2
	s_delay_alu instid0(VALU_DEP_3) | instskip(SKIP_2) | instid1(VALU_DEP_3)
	v_cndmask_b32_e32 v7, 0x7f800001, v30, vcc_lo
	v_cmp_eq_u32_e32 vcc_lo, 0x7c000000, v3
	v_mov_b32_e32 v3, v113
                                        ; implicit-def: $vgpr30
	v_cndmask_b32_e32 v2, v2, v7, vcc_lo
	v_cmp_ne_u32_e32 vcc_lo, 0x80, v0
	s_delay_alu instid0(VALU_DEP_2) | instskip(SKIP_1) | instid1(VALU_DEP_2)
	v_cndmask_b32_e32 v0, 0x80000000, v2, vcc_lo
	v_cmp_lt_u32_e32 vcc_lo, 0xffffff, v8
	v_cndmask_b32_e32 v0, 0, v0, vcc_lo
	s_delay_alu instid0(VALU_DEP_1) | instskip(NEXT) | instid1(VALU_DEP_1)
	v_add_f32_e32 v0, v0, v1
	v_and_b32_e32 v2, 0x7f800000, v0
	v_and_b32_e32 v112, 0x7fffff, v0
	v_lshrrev_b32_e32 v1, 24, v0
	s_delay_alu instid0(VALU_DEP_3)
	v_cmpx_ne_u64_e32 0x7f800000, v[2:3]
	s_xor_b32 s76, exec_lo, s14
	s_cbranch_execz .LBB6_10943
; %bb.10930:                            ;   in Loop: Header=BB6_10323 Depth=4
	v_and_b32_e32 v2, 0x7fffffff, v0
	v_mov_b32_e32 v3, v113
	v_and_b32_e32 v7, 0x80, v1
                                        ; implicit-def: $vgpr30
	s_mov_b32 s14, exec_lo
	s_delay_alu instid0(VALU_DEP_2)
	v_cmpx_gt_u64_e32 0x47600001, v[2:3]
	s_xor_b32 s77, exec_lo, s14
	s_cbranch_execz .LBB6_10940
; %bb.10931:                            ;   in Loop: Header=BB6_10323 Depth=4
	v_mov_b32_e32 v30, 0
	s_mov_b32 s78, exec_lo
	v_cmpx_ne_u32_e32 0, v0
	s_cbranch_execz .LBB6_10939
; %bb.10932:                            ;   in Loop: Header=BB6_10323 Depth=4
	v_bfe_u32 v30, v0, 23, 8
	v_or_b32_e32 v2, 0x800000, v112
	s_mov_b32 s79, exec_lo
	s_delay_alu instid0(VALU_DEP_2) | instskip(SKIP_1) | instid1(VALU_DEP_2)
	v_dual_mov_b32 v3, v113 :: v_dual_sub_nc_u32 v0, 0x71, v30
	v_cmp_gt_u32_e32 vcc_lo, 0x72, v30
	v_cndmask_b32_e32 v0, 0, v0, vcc_lo
	v_cmp_eq_u32_e32 vcc_lo, 0, v30
	s_delay_alu instid0(VALU_DEP_2) | instskip(NEXT) | instid1(VALU_DEP_1)
	v_cndmask_b32_e64 v37, v0, 0x70, vcc_lo
	v_dual_cndmask_b32 v2, v2, v112, vcc_lo :: v_dual_add_nc_u32 v0, 21, v37
	v_add_nc_u32_e32 v38, 20, v37
	s_delay_alu instid0(VALU_DEP_2) | instskip(NEXT) | instid1(VALU_DEP_2)
	v_lshlrev_b64_e64 v[0:1], v0, -1
	v_lshlrev_b64_e64 v[38:39], v38, 1
	s_delay_alu instid0(VALU_DEP_2) | instskip(NEXT) | instid1(VALU_DEP_3)
	v_bfi_b32 v49, v1, 0, 0
	v_bfi_b32 v48, v0, 0, v2
	v_lshrrev_b64 v[0:1], v37, v[2:3]
	s_delay_alu instid0(VALU_DEP_1) | instskip(NEXT) | instid1(VALU_DEP_3)
	v_mov_b64_e32 v[2:3], v[0:1]
	v_cmpx_eq_u64_e64 v[48:49], v[38:39]
; %bb.10933:                            ;   in Loop: Header=BB6_10323 Depth=4
	v_bfe_u32 v2, v0, 21, 1
	v_mov_b32_e32 v3, v113
	s_delay_alu instid0(VALU_DEP_1) | instskip(NEXT) | instid1(VALU_DEP_1)
	v_add_nc_u64_e32 v[2:3], v[0:1], v[2:3]
	v_add_nc_u64_e32 v[2:3], -1, v[2:3]
; %bb.10934:                            ;   in Loop: Header=BB6_10323 Depth=4
	s_or_b32 exec_lo, exec_lo, s79
	v_add_nc_u32_e32 v1, 0xffffff81, v30
	s_delay_alu instid0(VALU_DEP_2) | instskip(SKIP_2) | instid1(VALU_DEP_3)
	v_and_b32_e32 v2, 0x1fffff, v2
	v_lshrrev_b32_e32 v3, 23, v0
	s_mov_b32 s14, exec_lo
	v_cndmask_b32_e64 v1, v1, 0xffffff82, vcc_lo
	s_delay_alu instid0(VALU_DEP_3) | instskip(NEXT) | instid1(VALU_DEP_2)
	v_add_nc_u32_e32 v112, v2, v0
                                        ; implicit-def: $vgpr2
	v_add3_u32 v3, v37, v1, v3
                                        ; implicit-def: $vgpr0_vgpr1
	s_delay_alu instid0(VALU_DEP_1) | instskip(NEXT) | instid1(VALU_DEP_1)
	v_add_nc_u32_e32 v30, 14, v3
	v_cmpx_ne_u32_e32 0, v30
	s_xor_b32 s14, exec_lo, s14
; %bb.10935:                            ;   in Loop: Header=BB6_10323 Depth=4
	v_cmp_lt_u64_e32 vcc_lo, 0xffffff, v[112:113]
	v_add_nc_u32_e32 v0, 15, v3
	s_delay_alu instid0(VALU_DEP_1) | instskip(SKIP_1) | instid1(VALU_DEP_1)
	v_cndmask_b32_e32 v2, v30, v0, vcc_lo
	v_cndmask_b32_e64 v0, 0, 1, vcc_lo
	v_lshrrev_b64 v[0:1], v0, v[112:113]
; %bb.10936:                            ;   in Loop: Header=BB6_10323 Depth=4
	s_and_not1_saveexec_b32 s14, s14
; %bb.10937:                            ;   in Loop: Header=BB6_10323 Depth=4
	v_mov_b64_e32 v[0:1], v[112:113]
	v_bfe_u32 v2, v112, 23, 1
; %bb.10938:                            ;   in Loop: Header=BB6_10323 Depth=4
	s_or_b32 exec_lo, exec_lo, s14
	s_delay_alu instid0(VALU_DEP_2) | instskip(NEXT) | instid1(VALU_DEP_2)
	v_lshrrev_b64 v[0:1], 21, v[0:1]
	v_cmp_gt_i32_e32 vcc_lo, 32, v2
	v_min_i32_e32 v3, 31, v2
	v_cmp_eq_u32_e64 s14, 0, v2
	s_delay_alu instid0(VALU_DEP_2) | instskip(SKIP_1) | instid1(VALU_DEP_2)
	v_dual_cndmask_b32 v1, 0, v1, vcc_lo :: v_dual_lshlrev_b32 v3, 2, v3
	v_cndmask_b32_e32 v0, 3, v0, vcc_lo
	v_and_b32_e32 v3, 0xfc, v3
	s_delay_alu instid0(VALU_DEP_2) | instskip(NEXT) | instid1(VALU_DEP_2)
	v_cmp_eq_u64_e32 vcc_lo, 0, v[0:1]
	v_and_or_b32 v0, v0, 3, v3
	s_and_b32 s14, s14, vcc_lo
	s_delay_alu instid0(VALU_DEP_1) | instid1(SALU_CYCLE_1)
	v_cndmask_b32_e64 v0, v0, 0, s14
	s_delay_alu instid0(VALU_DEP_1)
	v_or_b32_e32 v30, v0, v7
.LBB6_10939:                            ;   in Loop: Header=BB6_10323 Depth=4
	s_or_b32 exec_lo, exec_lo, s78
                                        ; implicit-def: $vgpr7
.LBB6_10940:                            ;   in Loop: Header=BB6_10323 Depth=4
	s_and_not1_saveexec_b32 s14, s77
; %bb.10941:                            ;   in Loop: Header=BB6_10323 Depth=4
	v_or_b32_e32 v30, 0x7b, v7
; %bb.10942:                            ;   in Loop: Header=BB6_10323 Depth=4
	s_or_b32 exec_lo, exec_lo, s14
                                        ; implicit-def: $vgpr0
                                        ; implicit-def: $vgpr1
.LBB6_10943:                            ;   in Loop: Header=BB6_10323 Depth=4
	s_and_not1_saveexec_b32 s14, s76
	s_cbranch_execz .LBB6_10949
; %bb.10944:                            ;   in Loop: Header=BB6_10323 Depth=4
	s_mov_b32 s76, exec_lo
                                        ; implicit-def: $vgpr30
	v_cmpx_ne_u64_e32 0, v[112:113]
	s_xor_b32 s76, exec_lo, s76
; %bb.10945:                            ;   in Loop: Header=BB6_10323 Depth=4
	v_or_b32_e32 v30, 0x7f, v1
                                        ; implicit-def: $vgpr0
; %bb.10946:                            ;   in Loop: Header=BB6_10323 Depth=4
	s_and_not1_saveexec_b32 s76, s76
; %bb.10947:                            ;   in Loop: Header=BB6_10323 Depth=4
	v_cmp_lt_i32_e32 vcc_lo, -1, v0
	v_mov_b32_e32 v0, 0x7c
	s_delay_alu instid0(VALU_DEP_1)
	v_cndmask_b32_e32 v30, 0xfc, v0, vcc_lo
; %bb.10948:                            ;   in Loop: Header=BB6_10323 Depth=4
	s_or_b32 exec_lo, exec_lo, s76
.LBB6_10949:                            ;   in Loop: Header=BB6_10323 Depth=4
	s_delay_alu instid0(SALU_CYCLE_1) | instskip(SKIP_4) | instid1(VALU_DEP_2)
	s_or_b32 exec_lo, exec_lo, s14
	v_lshl_or_b32 v37, v33, 8, v6
	v_dual_lshlrev_b32 v0, 16, v35 :: v_dual_lshlrev_b32 v1, 24, v36
	v_mov_b32_e32 v2, 0
	s_mov_b32 s14, exec_lo
	v_or3_b32 v112, v0, v1, v37
	v_cmpx_ne_u32_e32 0, v6
	s_cbranch_execz .LBB6_10959
; %bb.10950:                            ;   in Loop: Header=BB6_10323 Depth=4
	v_bfrev_b32_e32 v2, 1
	s_mov_b32 s76, exec_lo
	v_cmpx_ne_u32_e32 0x80, v6
	s_cbranch_execz .LBB6_10958
; %bb.10951:                            ;   in Loop: Header=BB6_10323 Depth=4
	v_and_b32_e32 v1, 0x7c, v6
	v_and_b32_e32 v0, 3, v6
	s_mov_b32 s77, exec_lo
                                        ; implicit-def: $vgpr2
	s_delay_alu instid0(VALU_DEP_2)
	v_cmpx_ne_u32_e32 0x7c, v1
	s_xor_b32 s77, exec_lo, s77
	s_cbranch_execz .LBB6_10955
; %bb.10952:                            ;   in Loop: Header=BB6_10323 Depth=4
	v_bfe_u32 v1, v6, 2, 5
	s_mov_b32 s78, exec_lo
	s_delay_alu instid0(VALU_DEP_1)
	v_cmpx_eq_u32_e32 0, v1
; %bb.10953:                            ;   in Loop: Header=BB6_10323 Depth=4
	v_clz_i32_u32_e32 v0, v0
	s_delay_alu instid0(VALU_DEP_1) | instskip(NEXT) | instid1(VALU_DEP_1)
	v_min_u32_e32 v2, 32, v0
	v_subrev_nc_u32_e32 v0, 29, v2
	s_delay_alu instid0(VALU_DEP_1) | instskip(NEXT) | instid1(VALU_DEP_1)
	v_lshlrev_b64_e32 v[0:1], v0, v[112:113]
	v_dual_sub_nc_u32 v1, 30, v2 :: v_dual_bitop2_b32 v0, 3, v0 bitop3:0x40
; %bb.10954:                            ;   in Loop: Header=BB6_10323 Depth=4
	s_or_b32 exec_lo, exec_lo, s78
	v_lshlrev_b32_e32 v2, 24, v6
                                        ; implicit-def: $vgpr6
	s_delay_alu instid0(VALU_DEP_1) | instskip(NEXT) | instid1(VALU_DEP_1)
	v_and_b32_e32 v2, 0x80000000, v2
	v_lshl_add_u32 v1, v1, 23, v2
	s_delay_alu instid0(VALU_DEP_1) | instskip(NEXT) | instid1(VALU_DEP_1)
	v_lshl_or_b32 v0, v0, 21, v1
	v_add_nc_u32_e32 v2, 0x38000000, v0
                                        ; implicit-def: $vgpr0
.LBB6_10955:                            ;   in Loop: Header=BB6_10323 Depth=4
	s_and_not1_saveexec_b32 s77, s77
; %bb.10956:                            ;   in Loop: Header=BB6_10323 Depth=4
	v_and_b32_e32 v1, 0x80, v6
	s_delay_alu instid0(VALU_DEP_1) | instskip(SKIP_1) | instid1(VALU_DEP_1)
	v_cmp_eq_u32_e32 vcc_lo, 0, v1
	v_mov_b32_e32 v1, 0x7f800000
	v_cndmask_b32_e32 v1, 0xff800000, v1, vcc_lo
	v_cmp_eq_u32_e32 vcc_lo, 0, v0
	s_delay_alu instid0(VALU_DEP_2)
	v_cndmask_b32_e32 v2, 0x7f800001, v1, vcc_lo
; %bb.10957:                            ;   in Loop: Header=BB6_10323 Depth=4
	s_or_b32 exec_lo, exec_lo, s77
.LBB6_10958:                            ;   in Loop: Header=BB6_10323 Depth=4
	s_delay_alu instid0(SALU_CYCLE_1)
	s_or_b32 exec_lo, exec_lo, s76
.LBB6_10959:                            ;   in Loop: Header=BB6_10323 Depth=4
	s_delay_alu instid0(SALU_CYCLE_1) | instskip(SKIP_4) | instid1(VALU_DEP_2)
	s_or_b32 exec_lo, exec_lo, s14
	v_and_b32_e32 v1, 0xff, v9
	v_mov_b32_e32 v0, v9
	s_mov_b32 s76, 0
	s_mov_b32 s14, exec_lo
	v_cmpx_lt_i16_e32 0x7f, v1
	s_xor_b32 s14, exec_lo, s14
	s_cbranch_execz .LBB6_11368
; %bb.10960:                            ;   in Loop: Header=BB6_10323 Depth=4
	s_mov_b32 s76, -1
	s_mov_b32 s77, exec_lo
	v_cmpx_eq_u16_e32 0x80, v1
; %bb.10961:                            ;   in Loop: Header=BB6_10323 Depth=4
	s_xor_b32 s76, exec_lo, -1
; %bb.10962:                            ;   in Loop: Header=BB6_10323 Depth=4
	s_or_b32 exec_lo, exec_lo, s77
	s_delay_alu instid0(SALU_CYCLE_1)
	s_and_b32 s76, s76, exec_lo
                                        ; implicit-def: $vgpr1
	s_or_saveexec_b32 s14, s14
	v_bfrev_b32_e32 v3, 1
	s_xor_b32 exec_lo, exec_lo, s14
	s_cbranch_execnz .LBB6_11369
.LBB6_10963:                            ;   in Loop: Header=BB6_10323 Depth=4
	s_or_b32 exec_lo, exec_lo, s14
	v_mov_b32_e32 v1, v113
	s_and_saveexec_b32 s14, s76
	s_cbranch_execz .LBB6_10965
.LBB6_10964:                            ;   in Loop: Header=BB6_10323 Depth=4
	v_and_b32_e32 v3, 3, v9
	s_delay_alu instid0(VALU_DEP_1) | instskip(NEXT) | instid1(VALU_DEP_1)
	v_clz_i32_u32_e32 v6, v3
	v_min_u32_e32 v33, 32, v6
	s_delay_alu instid0(VALU_DEP_1) | instskip(NEXT) | instid1(VALU_DEP_1)
	v_subrev_nc_u32_e32 v6, 29, v33
	v_lshlrev_b64_e32 v[6:7], v6, v[0:1]
	v_bfe_u32 v7, v9, 2, 5
	v_lshlrev_b32_e32 v1, 24, v9
	v_sub_nc_u32_e32 v33, 30, v33
	s_delay_alu instid0(VALU_DEP_3) | instskip(NEXT) | instid1(VALU_DEP_3)
	v_cmp_eq_u32_e32 vcc_lo, 0, v7
	v_and_b32_e32 v1, 0x80000000, v1
	s_delay_alu instid0(VALU_DEP_3) | instskip(SKIP_1) | instid1(VALU_DEP_2)
	v_dual_cndmask_b32 v7, v7, v33, vcc_lo :: v_dual_bitop2_b32 v6, 3, v6 bitop3:0x40
	v_bfe_i32 v33, v9, 0, 8
	v_cndmask_b32_e32 v6, v3, v6, vcc_lo
	s_delay_alu instid0(VALU_DEP_3) | instskip(NEXT) | instid1(VALU_DEP_3)
	v_lshl_add_u32 v1, v7, 23, v1
	v_cmp_lt_i16_e32 vcc_lo, -1, v33
	v_mov_b32_e32 v7, 0x7f800000
	s_delay_alu instid0(VALU_DEP_3) | instskip(SKIP_1) | instid1(VALU_DEP_3)
	v_lshl_or_b32 v1, v6, 21, v1
	v_and_b32_e32 v6, 0x7c, v9
	v_cndmask_b32_e32 v7, 0xff800000, v7, vcc_lo
	v_cmp_eq_u32_e32 vcc_lo, 0, v3
	s_delay_alu instid0(VALU_DEP_4) | instskip(NEXT) | instid1(VALU_DEP_3)
	v_add_nc_u32_e32 v1, 0x38000000, v1
	v_cndmask_b32_e32 v3, 0x7f800001, v7, vcc_lo
	v_cmp_eq_u32_e32 vcc_lo, 0x7c, v6
	s_delay_alu instid0(VALU_DEP_2)
	v_cndmask_b32_e32 v3, v1, v3, vcc_lo
.LBB6_10965:                            ;   in Loop: Header=BB6_10323 Depth=4
	s_or_b32 exec_lo, exec_lo, s14
	s_delay_alu instid0(VALU_DEP_1) | instskip(SKIP_2) | instid1(VALU_DEP_2)
	v_dual_add_f32 v6, v2, v3 :: v_dual_mov_b32 v39, v113
	v_mov_b32_e32 v3, v113
                                        ; implicit-def: $vgpr33
	s_mov_b32 s14, exec_lo
	v_and_b32_e32 v38, 0x7f800000, v6
	v_and_b32_e32 v2, 0x7fffff, v6
	v_lshrrev_b32_e32 v1, 24, v6
	s_delay_alu instid0(VALU_DEP_3)
	v_cmpx_ne_u64_e32 0x7f800000, v[38:39]
	s_xor_b32 s76, exec_lo, s14
	s_cbranch_execz .LBB6_10979
; %bb.10966:                            ;   in Loop: Header=BB6_10323 Depth=4
	v_and_b32_e32 v38, 0x7fffffff, v6
	v_mov_b32_e32 v39, v113
	v_and_b32_e32 v1, 0x80, v1
                                        ; implicit-def: $vgpr33
	s_mov_b32 s14, exec_lo
	s_delay_alu instid0(VALU_DEP_2)
	v_cmpx_gt_u64_e32 0x47600001, v[38:39]
	s_xor_b32 s77, exec_lo, s14
	s_cbranch_execz .LBB6_10976
; %bb.10967:                            ;   in Loop: Header=BB6_10323 Depth=4
	v_mov_b32_e32 v33, 0
	s_mov_b32 s78, exec_lo
	v_cmpx_ne_u32_e32 0, v6
	s_cbranch_execz .LBB6_10975
; %bb.10968:                            ;   in Loop: Header=BB6_10323 Depth=4
	v_bfe_u32 v33, v6, 23, 8
	v_or_b32_e32 v36, 0x800000, v2
	s_delay_alu instid0(VALU_DEP_2) | instskip(SKIP_1) | instid1(VALU_DEP_2)
	v_sub_nc_u32_e32 v6, 0x71, v33
	v_cmp_gt_u32_e32 vcc_lo, 0x72, v33
	v_cndmask_b32_e32 v6, 0, v6, vcc_lo
	v_cmp_eq_u32_e32 vcc_lo, 0, v33
	s_delay_alu instid0(VALU_DEP_2) | instskip(NEXT) | instid1(VALU_DEP_1)
	v_cndmask_b32_e64 v35, v6, 0x70, vcc_lo
	v_dual_cndmask_b32 v2, v36, v2, vcc_lo :: v_dual_add_nc_u32 v6, 21, v35
	v_add_nc_u32_e32 v38, 20, v35
	s_delay_alu instid0(VALU_DEP_2) | instskip(NEXT) | instid1(VALU_DEP_2)
	v_lshlrev_b64_e64 v[6:7], v6, -1
	v_lshlrev_b64_e64 v[38:39], v38, 1
	s_delay_alu instid0(VALU_DEP_2) | instskip(SKIP_1) | instid1(VALU_DEP_4)
	v_bfi_b32 v6, v6, 0, v2
	v_lshrrev_b64 v[2:3], v35, v[2:3]
	v_bfi_b32 v7, v7, 0, 0
	s_delay_alu instid0(VALU_DEP_1) | instskip(NEXT) | instid1(VALU_DEP_3)
	v_cmp_eq_u64_e64 s14, v[6:7], v[38:39]
	v_mov_b64_e32 v[6:7], v[2:3]
	s_and_saveexec_b32 s79, s14
; %bb.10969:                            ;   in Loop: Header=BB6_10323 Depth=4
	v_bfe_u32 v6, v2, 21, 1
	v_mov_b32_e32 v7, v113
	s_delay_alu instid0(VALU_DEP_1) | instskip(NEXT) | instid1(VALU_DEP_1)
	v_add_nc_u64_e32 v[6:7], v[2:3], v[6:7]
	v_add_nc_u64_e32 v[6:7], -1, v[6:7]
; %bb.10970:                            ;   in Loop: Header=BB6_10323 Depth=4
	s_or_b32 exec_lo, exec_lo, s79
	v_add_nc_u32_e32 v3, 0xffffff81, v33
	v_lshrrev_b32_e32 v7, 23, v2
	s_mov_b32 s14, exec_lo
	s_delay_alu instid0(VALU_DEP_2) | instskip(NEXT) | instid1(VALU_DEP_1)
	v_cndmask_b32_e64 v3, v3, 0xffffff82, vcc_lo
	v_add3_u32 v7, v35, v3, v7
	v_and_b32_e32 v3, 0x1fffff, v6
                                        ; implicit-def: $vgpr6
	s_delay_alu instid0(VALU_DEP_1) | instskip(SKIP_1) | instid1(VALU_DEP_2)
	v_dual_add_nc_u32 v33, 14, v7 :: v_dual_add_nc_u32 v2, v3, v2
	v_mov_b32_e32 v3, v113
	v_cmpx_ne_u32_e32 0, v33
	s_xor_b32 s14, exec_lo, s14
; %bb.10971:                            ;   in Loop: Header=BB6_10323 Depth=4
	s_delay_alu instid0(VALU_DEP_2) | instskip(SKIP_2) | instid1(VALU_DEP_2)
	v_cmp_lt_u64_e32 vcc_lo, 0xffffff, v[2:3]
	v_add_nc_u32_e32 v6, 15, v7
	v_cndmask_b32_e64 v7, 0, 1, vcc_lo
	v_cndmask_b32_e32 v6, v33, v6, vcc_lo
	s_delay_alu instid0(VALU_DEP_2)
	v_lshrrev_b64 v[2:3], v7, v[2:3]
; %bb.10972:                            ;   in Loop: Header=BB6_10323 Depth=4
	s_and_not1_saveexec_b32 s14, s14
; %bb.10973:                            ;   in Loop: Header=BB6_10323 Depth=4
	s_delay_alu instid0(VALU_DEP_1)
	v_bfe_u32 v6, v2, 23, 1
; %bb.10974:                            ;   in Loop: Header=BB6_10323 Depth=4
	s_or_b32 exec_lo, exec_lo, s14
	s_delay_alu instid0(VALU_DEP_2) | instskip(NEXT) | instid1(VALU_DEP_2)
	v_lshrrev_b64 v[2:3], 21, v[2:3]
	v_cmp_gt_i32_e32 vcc_lo, 32, v6
	v_min_i32_e32 v7, 31, v6
	v_cmp_eq_u32_e64 s14, 0, v6
	s_delay_alu instid0(VALU_DEP_4) | instskip(NEXT) | instid1(VALU_DEP_3)
	v_cndmask_b32_e32 v3, 0, v3, vcc_lo
	v_dual_cndmask_b32 v2, 3, v2 :: v_dual_lshlrev_b32 v7, 2, v7
	s_delay_alu instid0(VALU_DEP_1) | instskip(NEXT) | instid1(VALU_DEP_2)
	v_and_b32_e32 v7, 0xfc, v7
	v_cmp_eq_u64_e32 vcc_lo, 0, v[2:3]
	s_delay_alu instid0(VALU_DEP_2)
	v_and_or_b32 v2, v2, 3, v7
	s_and_b32 s14, s14, vcc_lo
	s_delay_alu instid0(VALU_DEP_1) | instid1(SALU_CYCLE_1)
	v_cndmask_b32_e64 v2, v2, 0, s14
	s_delay_alu instid0(VALU_DEP_1)
	v_or_b32_e32 v33, v2, v1
.LBB6_10975:                            ;   in Loop: Header=BB6_10323 Depth=4
	s_or_b32 exec_lo, exec_lo, s78
                                        ; implicit-def: $vgpr1
.LBB6_10976:                            ;   in Loop: Header=BB6_10323 Depth=4
	s_and_not1_saveexec_b32 s14, s77
; %bb.10977:                            ;   in Loop: Header=BB6_10323 Depth=4
	v_or_b32_e32 v33, 0x7b, v1
; %bb.10978:                            ;   in Loop: Header=BB6_10323 Depth=4
	s_or_b32 exec_lo, exec_lo, s14
                                        ; implicit-def: $vgpr6
                                        ; implicit-def: $vgpr2_vgpr3
                                        ; implicit-def: $vgpr1
.LBB6_10979:                            ;   in Loop: Header=BB6_10323 Depth=4
	s_and_not1_saveexec_b32 s14, s76
	s_cbranch_execz .LBB6_10985
; %bb.10980:                            ;   in Loop: Header=BB6_10323 Depth=4
	s_mov_b32 s76, exec_lo
                                        ; implicit-def: $vgpr33
	v_cmpx_ne_u64_e32 0, v[2:3]
	s_xor_b32 s76, exec_lo, s76
; %bb.10981:                            ;   in Loop: Header=BB6_10323 Depth=4
	v_or_b32_e32 v33, 0x7f, v1
                                        ; implicit-def: $vgpr6
; %bb.10982:                            ;   in Loop: Header=BB6_10323 Depth=4
	s_and_not1_saveexec_b32 s76, s76
; %bb.10983:                            ;   in Loop: Header=BB6_10323 Depth=4
	v_cmp_lt_i32_e32 vcc_lo, -1, v6
	v_mov_b32_e32 v1, 0x7c
	s_delay_alu instid0(VALU_DEP_1)
	v_cndmask_b32_e32 v33, 0xfc, v1, vcc_lo
; %bb.10984:                            ;   in Loop: Header=BB6_10323 Depth=4
	s_or_b32 exec_lo, exec_lo, s76
.LBB6_10985:                            ;   in Loop: Header=BB6_10323 Depth=4
	s_delay_alu instid0(SALU_CYCLE_1) | instskip(SKIP_3) | instid1(VALU_DEP_2)
	s_or_b32 exec_lo, exec_lo, s14
	v_lshrrev_b16 v2, 8, v37
	v_mov_b32_e32 v1, 0
	s_mov_b32 s14, exec_lo
	v_cmpx_ne_u16_e32 0, v2
	s_cbranch_execz .LBB6_10995
; %bb.10986:                            ;   in Loop: Header=BB6_10323 Depth=4
	v_bfrev_b32_e32 v1, 1
	s_mov_b32 s76, exec_lo
	v_cmpx_ne_u16_e32 0x80, v2
	s_cbranch_execz .LBB6_10994
; %bb.10987:                            ;   in Loop: Header=BB6_10323 Depth=4
	v_and_b32_e32 v6, 0xffff, v2
	s_delay_alu instid0(VALU_DEP_1) | instskip(SKIP_1) | instid1(VALU_DEP_2)
	v_and_b32_e32 v1, 0x7c, v6
	v_and_b32_e32 v3, 3, v6
	v_cmp_ne_u32_e32 vcc_lo, 0x7c, v1
                                        ; implicit-def: $vgpr1
	s_and_saveexec_b32 s77, vcc_lo
	s_delay_alu instid0(SALU_CYCLE_1)
	s_xor_b32 s77, exec_lo, s77
	s_cbranch_execz .LBB6_10991
; %bb.10988:                            ;   in Loop: Header=BB6_10323 Depth=4
	v_bfe_u32 v1, v6, 2, 5
	s_mov_b32 s78, exec_lo
	s_delay_alu instid0(VALU_DEP_1)
	v_cmpx_eq_u32_e32 0, v1
	s_cbranch_execz .LBB6_10990
; %bb.10989:                            ;   in Loop: Header=BB6_10323 Depth=4
	v_clz_i32_u32_e32 v1, v3
	s_delay_alu instid0(VALU_DEP_1) | instskip(SKIP_1) | instid1(VALU_DEP_2)
	v_min_u32_e32 v1, 32, v1
	v_mov_b32_e32 v3, v113
	v_subrev_nc_u32_e32 v6, 29, v1
	v_sub_nc_u32_e32 v1, 30, v1
	s_delay_alu instid0(VALU_DEP_2) | instskip(NEXT) | instid1(VALU_DEP_1)
	v_lshlrev_b64_e32 v[2:3], v6, v[2:3]
	v_and_b32_e32 v3, 3, v2
.LBB6_10990:                            ;   in Loop: Header=BB6_10323 Depth=4
	s_or_b32 exec_lo, exec_lo, s78
	v_lshlrev_b32_e32 v2, 16, v37
                                        ; implicit-def: $vgpr37
	s_delay_alu instid0(VALU_DEP_1) | instskip(NEXT) | instid1(VALU_DEP_1)
	v_and_b32_e32 v2, 0x80000000, v2
	v_lshl_add_u32 v1, v1, 23, v2
	s_delay_alu instid0(VALU_DEP_1) | instskip(NEXT) | instid1(VALU_DEP_1)
	v_lshl_or_b32 v1, v3, 21, v1
                                        ; implicit-def: $vgpr3
	v_add_nc_u32_e32 v1, 0x38000000, v1
.LBB6_10991:                            ;   in Loop: Header=BB6_10323 Depth=4
	s_and_not1_saveexec_b32 s77, s77
; %bb.10992:                            ;   in Loop: Header=BB6_10323 Depth=4
	v_cmp_lt_i16_e32 vcc_lo, -1, v37
	v_mov_b32_e32 v1, 0x7f800000
	s_delay_alu instid0(VALU_DEP_1) | instskip(SKIP_1) | instid1(VALU_DEP_2)
	v_cndmask_b32_e32 v1, 0xff800000, v1, vcc_lo
	v_cmp_eq_u32_e32 vcc_lo, 0, v3
	v_cndmask_b32_e32 v1, 0x7f800001, v1, vcc_lo
; %bb.10993:                            ;   in Loop: Header=BB6_10323 Depth=4
	s_or_b32 exec_lo, exec_lo, s77
.LBB6_10994:                            ;   in Loop: Header=BB6_10323 Depth=4
	s_delay_alu instid0(SALU_CYCLE_1)
	s_or_b32 exec_lo, exec_lo, s76
.LBB6_10995:                            ;   in Loop: Header=BB6_10323 Depth=4
	s_delay_alu instid0(SALU_CYCLE_1) | instskip(SKIP_3) | instid1(VALU_DEP_1)
	s_or_b32 exec_lo, exec_lo, s14
	v_lshrrev_b16 v2, 8, v0
	s_mov_b32 s76, 0
	s_mov_b32 s14, exec_lo
	v_cmpx_lt_i16_e32 0x7f, v2
	s_xor_b32 s14, exec_lo, s14
	s_cbranch_execz .LBB6_11370
; %bb.10996:                            ;   in Loop: Header=BB6_10323 Depth=4
	s_mov_b32 s76, -1
	s_mov_b32 s77, exec_lo
	v_cmpx_eq_u16_e32 0x80, v2
; %bb.10997:                            ;   in Loop: Header=BB6_10323 Depth=4
	s_xor_b32 s76, exec_lo, -1
; %bb.10998:                            ;   in Loop: Header=BB6_10323 Depth=4
	s_or_b32 exec_lo, exec_lo, s77
	s_delay_alu instid0(SALU_CYCLE_1)
	s_and_b32 s76, s76, exec_lo
	s_or_saveexec_b32 s14, s14
	v_bfrev_b32_e32 v3, 1
	s_xor_b32 exec_lo, exec_lo, s14
	s_cbranch_execnz .LBB6_11371
.LBB6_10999:                            ;   in Loop: Header=BB6_10323 Depth=4
	s_or_b32 exec_lo, exec_lo, s14
	s_and_saveexec_b32 s14, s76
	s_cbranch_execz .LBB6_11001
.LBB6_11000:                            ;   in Loop: Header=BB6_10323 Depth=4
	v_and_b32_e32 v35, 0xffff, v2
	s_delay_alu instid0(VALU_DEP_1) | instskip(NEXT) | instid1(VALU_DEP_1)
	v_and_b32_e32 v36, 3, v35
	v_clz_i32_u32_e32 v3, v36
	s_delay_alu instid0(VALU_DEP_1) | instskip(SKIP_1) | instid1(VALU_DEP_2)
	v_min_u32_e32 v37, 32, v3
	v_mov_b32_e32 v3, v113
	v_subrev_nc_u32_e32 v6, 29, v37
	s_delay_alu instid0(VALU_DEP_1) | instskip(SKIP_2) | instid1(VALU_DEP_2)
	v_lshlrev_b64_e32 v[6:7], v6, v[2:3]
	v_bfe_u32 v3, v35, 2, 5
	v_dual_lshlrev_b32 v2, 24, v2 :: v_dual_sub_nc_u32 v7, 30, v37
	v_cmp_eq_u32_e32 vcc_lo, 0, v3
	s_delay_alu instid0(VALU_DEP_2) | instskip(NEXT) | instid1(VALU_DEP_3)
	v_and_b32_e32 v2, 0x80000000, v2
	v_dual_cndmask_b32 v3, v3, v7, vcc_lo :: v_dual_bitop2_b32 v6, 3, v6 bitop3:0x40
	s_delay_alu instid0(VALU_DEP_1) | instskip(SKIP_2) | instid1(VALU_DEP_4)
	v_cndmask_b32_e32 v6, v36, v6, vcc_lo
	v_cmp_lt_i16_e32 vcc_lo, -1, v0
	v_mov_b32_e32 v0, 0x7f800000
	v_lshl_add_u32 v2, v3, 23, v2
	v_and_b32_e32 v3, 0x7c, v35
	s_delay_alu instid0(VALU_DEP_3) | instskip(NEXT) | instid1(VALU_DEP_3)
	v_cndmask_b32_e32 v0, 0xff800000, v0, vcc_lo
	v_lshl_or_b32 v2, v6, 21, v2
	v_cmp_eq_u32_e32 vcc_lo, 0, v36
	s_delay_alu instid0(VALU_DEP_2) | instskip(NEXT) | instid1(VALU_DEP_4)
	v_add_nc_u32_e32 v2, 0x38000000, v2
	v_cndmask_b32_e32 v0, 0x7f800001, v0, vcc_lo
	v_cmp_eq_u32_e32 vcc_lo, 0x7c, v3
	s_delay_alu instid0(VALU_DEP_2)
	v_cndmask_b32_e32 v3, v2, v0, vcc_lo
.LBB6_11001:                            ;   in Loop: Header=BB6_10323 Depth=4
	s_or_b32 exec_lo, exec_lo, s14
	s_delay_alu instid0(VALU_DEP_1) | instskip(SKIP_2) | instid1(VALU_DEP_2)
	v_add_f32_e32 v2, v1, v3
	v_dual_mov_b32 v7, v113 :: v_dual_mov_b32 v1, v113
                                        ; implicit-def: $vgpr35
	s_mov_b32 s14, exec_lo
	v_and_b32_e32 v6, 0x7f800000, v2
	v_and_b32_e32 v0, 0x7fffff, v2
	v_lshrrev_b32_e32 v3, 24, v2
	s_delay_alu instid0(VALU_DEP_3)
	v_cmpx_ne_u64_e32 0x7f800000, v[6:7]
	s_xor_b32 s76, exec_lo, s14
	s_cbranch_execz .LBB6_11015
; %bb.11002:                            ;   in Loop: Header=BB6_10323 Depth=4
	v_and_b32_e32 v6, 0x7fffffff, v2
	v_mov_b32_e32 v7, v113
                                        ; implicit-def: $vgpr35
	s_delay_alu instid0(VALU_DEP_1) | instskip(SKIP_2) | instid1(SALU_CYCLE_1)
	v_cmp_gt_u64_e32 vcc_lo, 0x47600001, v[6:7]
	v_and_b32_e32 v6, 0x80, v3
	s_and_saveexec_b32 s14, vcc_lo
	s_xor_b32 s77, exec_lo, s14
	s_cbranch_execz .LBB6_11012
; %bb.11003:                            ;   in Loop: Header=BB6_10323 Depth=4
	v_mov_b32_e32 v35, 0
	s_mov_b32 s78, exec_lo
	v_cmpx_ne_u32_e32 0, v2
	s_cbranch_execz .LBB6_11011
; %bb.11004:                            ;   in Loop: Header=BB6_10323 Depth=4
	v_bfe_u32 v7, v2, 23, 8
	v_or_b32_e32 v36, 0x800000, v0
	s_delay_alu instid0(VALU_DEP_2) | instskip(SKIP_1) | instid1(VALU_DEP_2)
	v_sub_nc_u32_e32 v2, 0x71, v7
	v_cmp_gt_u32_e32 vcc_lo, 0x72, v7
	v_cndmask_b32_e32 v2, 0, v2, vcc_lo
	v_cmp_eq_u32_e32 vcc_lo, 0, v7
	s_delay_alu instid0(VALU_DEP_2) | instskip(NEXT) | instid1(VALU_DEP_1)
	v_cndmask_b32_e64 v35, v2, 0x70, vcc_lo
	v_dual_cndmask_b32 v0, v36, v0, vcc_lo :: v_dual_add_nc_u32 v2, 21, v35
	v_add_nc_u32_e32 v37, 20, v35
	s_delay_alu instid0(VALU_DEP_2) | instskip(NEXT) | instid1(VALU_DEP_2)
	v_lshlrev_b64_e64 v[2:3], v2, -1
	v_lshlrev_b64_e64 v[36:37], v37, 1
	s_delay_alu instid0(VALU_DEP_2) | instskip(SKIP_1) | instid1(VALU_DEP_4)
	v_bfi_b32 v2, v2, 0, v0
	v_lshrrev_b64 v[0:1], v35, v[0:1]
	v_bfi_b32 v3, v3, 0, 0
	s_delay_alu instid0(VALU_DEP_1) | instskip(NEXT) | instid1(VALU_DEP_3)
	v_cmp_eq_u64_e64 s14, v[2:3], v[36:37]
	v_mov_b64_e32 v[2:3], v[0:1]
	s_and_saveexec_b32 s79, s14
; %bb.11005:                            ;   in Loop: Header=BB6_10323 Depth=4
	v_bfe_u32 v2, v0, 21, 1
	v_mov_b32_e32 v3, v113
	s_delay_alu instid0(VALU_DEP_1) | instskip(NEXT) | instid1(VALU_DEP_1)
	v_add_nc_u64_e32 v[2:3], v[0:1], v[2:3]
	v_add_nc_u64_e32 v[2:3], -1, v[2:3]
; %bb.11006:                            ;   in Loop: Header=BB6_10323 Depth=4
	s_or_b32 exec_lo, exec_lo, s79
	v_add_nc_u32_e32 v1, 0xffffff81, v7
	v_lshrrev_b32_e32 v3, 23, v0
	s_mov_b32 s14, exec_lo
	s_delay_alu instid0(VALU_DEP_2) | instskip(NEXT) | instid1(VALU_DEP_1)
	v_cndmask_b32_e64 v1, v1, 0xffffff82, vcc_lo
	v_add3_u32 v3, v35, v1, v3
	v_and_b32_e32 v1, 0x1fffff, v2
                                        ; implicit-def: $vgpr2
	s_delay_alu instid0(VALU_DEP_1) | instskip(SKIP_1) | instid1(VALU_DEP_2)
	v_dual_add_nc_u32 v7, 14, v3 :: v_dual_add_nc_u32 v0, v1, v0
	v_mov_b32_e32 v1, v113
	v_cmpx_ne_u32_e32 0, v7
	s_xor_b32 s14, exec_lo, s14
; %bb.11007:                            ;   in Loop: Header=BB6_10323 Depth=4
	s_delay_alu instid0(VALU_DEP_2) | instskip(SKIP_2) | instid1(VALU_DEP_2)
	v_cmp_lt_u64_e32 vcc_lo, 0xffffff, v[0:1]
	v_add_nc_u32_e32 v2, 15, v3
	v_cndmask_b32_e64 v3, 0, 1, vcc_lo
	v_cndmask_b32_e32 v2, v7, v2, vcc_lo
	s_delay_alu instid0(VALU_DEP_2)
	v_lshrrev_b64 v[0:1], v3, v[0:1]
; %bb.11008:                            ;   in Loop: Header=BB6_10323 Depth=4
	s_and_not1_saveexec_b32 s14, s14
; %bb.11009:                            ;   in Loop: Header=BB6_10323 Depth=4
	s_delay_alu instid0(VALU_DEP_1)
	v_bfe_u32 v2, v0, 23, 1
; %bb.11010:                            ;   in Loop: Header=BB6_10323 Depth=4
	s_or_b32 exec_lo, exec_lo, s14
	s_delay_alu instid0(VALU_DEP_2) | instskip(NEXT) | instid1(VALU_DEP_2)
	v_lshrrev_b64 v[0:1], 21, v[0:1]
	v_cmp_gt_i32_e32 vcc_lo, 32, v2
	v_min_i32_e32 v3, 31, v2
	v_cmp_eq_u32_e64 s14, 0, v2
	s_delay_alu instid0(VALU_DEP_2) | instskip(SKIP_1) | instid1(VALU_DEP_2)
	v_dual_cndmask_b32 v1, 0, v1, vcc_lo :: v_dual_lshlrev_b32 v3, 2, v3
	v_cndmask_b32_e32 v0, 3, v0, vcc_lo
	v_and_b32_e32 v3, 0xfc, v3
	s_delay_alu instid0(VALU_DEP_2) | instskip(NEXT) | instid1(VALU_DEP_2)
	v_cmp_eq_u64_e32 vcc_lo, 0, v[0:1]
	v_and_or_b32 v0, v0, 3, v3
	s_and_b32 s14, s14, vcc_lo
	s_delay_alu instid0(VALU_DEP_1) | instid1(SALU_CYCLE_1)
	v_cndmask_b32_e64 v0, v0, 0, s14
	s_delay_alu instid0(VALU_DEP_1)
	v_or_b32_e32 v35, v0, v6
.LBB6_11011:                            ;   in Loop: Header=BB6_10323 Depth=4
	s_or_b32 exec_lo, exec_lo, s78
                                        ; implicit-def: $vgpr6
.LBB6_11012:                            ;   in Loop: Header=BB6_10323 Depth=4
	s_and_not1_saveexec_b32 s14, s77
; %bb.11013:                            ;   in Loop: Header=BB6_10323 Depth=4
	v_or_b32_e32 v35, 0x7b, v6
; %bb.11014:                            ;   in Loop: Header=BB6_10323 Depth=4
	s_or_b32 exec_lo, exec_lo, s14
                                        ; implicit-def: $vgpr2
                                        ; implicit-def: $vgpr0_vgpr1
                                        ; implicit-def: $vgpr3
.LBB6_11015:                            ;   in Loop: Header=BB6_10323 Depth=4
	s_and_not1_saveexec_b32 s14, s76
	s_cbranch_execz .LBB6_11021
; %bb.11016:                            ;   in Loop: Header=BB6_10323 Depth=4
	s_mov_b32 s76, exec_lo
                                        ; implicit-def: $vgpr35
	v_cmpx_ne_u64_e32 0, v[0:1]
	s_xor_b32 s76, exec_lo, s76
; %bb.11017:                            ;   in Loop: Header=BB6_10323 Depth=4
	v_or_b32_e32 v35, 0x7f, v3
                                        ; implicit-def: $vgpr2
; %bb.11018:                            ;   in Loop: Header=BB6_10323 Depth=4
	s_and_not1_saveexec_b32 s76, s76
; %bb.11019:                            ;   in Loop: Header=BB6_10323 Depth=4
	v_cmp_lt_i32_e32 vcc_lo, -1, v2
	v_mov_b32_e32 v0, 0x7c
	s_delay_alu instid0(VALU_DEP_1)
	v_cndmask_b32_e32 v35, 0xfc, v0, vcc_lo
; %bb.11020:                            ;   in Loop: Header=BB6_10323 Depth=4
	s_or_b32 exec_lo, exec_lo, s76
.LBB6_11021:                            ;   in Loop: Header=BB6_10323 Depth=4
	s_delay_alu instid0(SALU_CYCLE_1) | instskip(SKIP_2) | instid1(VALU_DEP_1)
	s_or_b32 exec_lo, exec_lo, s14
	v_dual_mov_b32 v1, 0 :: v_dual_lshrrev_b32 v0, 16, v112
	s_mov_b32 s14, exec_lo
	v_and_b32_e32 v2, 0xff, v0
	s_delay_alu instid0(VALU_DEP_1)
	v_cmpx_ne_u16_e32 0, v2
	s_cbranch_execz .LBB6_11031
; %bb.11022:                            ;   in Loop: Header=BB6_10323 Depth=4
	v_bfrev_b32_e32 v1, 1
	s_mov_b32 s76, exec_lo
	v_cmpx_ne_u16_e32 0x80, v2
	s_cbranch_execz .LBB6_11030
; %bb.11023:                            ;   in Loop: Header=BB6_10323 Depth=4
	v_and_b32_e32 v1, 0x7c0000, v112
	v_bfe_u32 v2, v112, 16, 2
	s_delay_alu instid0(VALU_DEP_2) | instskip(SKIP_1) | instid1(SALU_CYCLE_1)
	v_cmp_ne_u32_e32 vcc_lo, 0x7c0000, v1
                                        ; implicit-def: $vgpr1
	s_and_saveexec_b32 s77, vcc_lo
	s_xor_b32 s77, exec_lo, s77
	s_cbranch_execz .LBB6_11027
; %bb.11024:                            ;   in Loop: Header=BB6_10323 Depth=4
	v_bfe_u32 v1, v112, 18, 5
	s_mov_b32 s78, exec_lo
	s_delay_alu instid0(VALU_DEP_1)
	v_cmpx_eq_u32_e32 0, v1
; %bb.11025:                            ;   in Loop: Header=BB6_10323 Depth=4
	v_clz_i32_u32_e32 v1, v2
	s_delay_alu instid0(VALU_DEP_1) | instskip(NEXT) | instid1(VALU_DEP_1)
	v_min_u32_e32 v1, 32, v1
	v_subrev_nc_u32_e32 v2, 29, v1
	s_delay_alu instid0(VALU_DEP_1) | instskip(NEXT) | instid1(VALU_DEP_1)
	v_lshlrev_b64_e32 v[2:3], v2, v[0:1]
	v_dual_sub_nc_u32 v1, 30, v1 :: v_dual_bitop2_b32 v2, 3, v2 bitop3:0x40
; %bb.11026:                            ;   in Loop: Header=BB6_10323 Depth=4
	s_or_b32 exec_lo, exec_lo, s78
	v_lshlrev_b32_e32 v0, 24, v0
	s_delay_alu instid0(VALU_DEP_1) | instskip(NEXT) | instid1(VALU_DEP_1)
	v_and_b32_e32 v0, 0x80000000, v0
	v_lshl_add_u32 v0, v1, 23, v0
	s_delay_alu instid0(VALU_DEP_1) | instskip(NEXT) | instid1(VALU_DEP_1)
	v_lshl_or_b32 v0, v2, 21, v0
                                        ; implicit-def: $vgpr2
	v_add_nc_u32_e32 v1, 0x38000000, v0
                                        ; implicit-def: $vgpr0
.LBB6_11027:                            ;   in Loop: Header=BB6_10323 Depth=4
	s_and_not1_saveexec_b32 s77, s77
; %bb.11028:                            ;   in Loop: Header=BB6_10323 Depth=4
	v_bfe_i32 v0, v0, 0, 8
	s_delay_alu instid0(VALU_DEP_1) | instskip(SKIP_1) | instid1(VALU_DEP_1)
	v_cmp_lt_i16_e32 vcc_lo, -1, v0
	v_mov_b32_e32 v0, 0x7f800000
	v_cndmask_b32_e32 v0, 0xff800000, v0, vcc_lo
	v_cmp_eq_u32_e32 vcc_lo, 0, v2
	s_delay_alu instid0(VALU_DEP_2)
	v_cndmask_b32_e32 v1, 0x7f800001, v0, vcc_lo
; %bb.11029:                            ;   in Loop: Header=BB6_10323 Depth=4
	s_or_b32 exec_lo, exec_lo, s77
.LBB6_11030:                            ;   in Loop: Header=BB6_10323 Depth=4
	s_delay_alu instid0(SALU_CYCLE_1)
	s_or_b32 exec_lo, exec_lo, s76
.LBB6_11031:                            ;   in Loop: Header=BB6_10323 Depth=4
	s_delay_alu instid0(SALU_CYCLE_1) | instskip(SKIP_3) | instid1(VALU_DEP_1)
	s_or_b32 exec_lo, exec_lo, s14
	v_lshrrev_b32_e32 v0, 16, v9
	s_mov_b32 s76, 0
	s_mov_b32 s14, exec_lo
	v_and_b32_e32 v3, 0xff, v0
	s_delay_alu instid0(VALU_DEP_1)
	v_cmpx_lt_i16_e32 0x7f, v3
	s_xor_b32 s14, exec_lo, s14
	s_cbranch_execz .LBB6_11372
; %bb.11032:                            ;   in Loop: Header=BB6_10323 Depth=4
	s_mov_b32 s76, -1
	s_mov_b32 s77, exec_lo
	v_cmpx_eq_u16_e32 0x80, v3
; %bb.11033:                            ;   in Loop: Header=BB6_10323 Depth=4
	s_xor_b32 s76, exec_lo, -1
; %bb.11034:                            ;   in Loop: Header=BB6_10323 Depth=4
	s_or_b32 exec_lo, exec_lo, s77
	s_delay_alu instid0(SALU_CYCLE_1)
	s_and_b32 s76, s76, exec_lo
                                        ; implicit-def: $vgpr3
	s_or_saveexec_b32 s14, s14
	v_bfrev_b32_e32 v2, 1
	s_xor_b32 exec_lo, exec_lo, s14
	s_cbranch_execnz .LBB6_11373
.LBB6_11035:                            ;   in Loop: Header=BB6_10323 Depth=4
	s_or_b32 exec_lo, exec_lo, s14
	s_and_saveexec_b32 s14, s76
	s_cbranch_execz .LBB6_11037
.LBB6_11036:                            ;   in Loop: Header=BB6_10323 Depth=4
	v_and_b32_e32 v6, 3, v0
	v_bfe_u32 v36, v9, 18, 5
	s_delay_alu instid0(VALU_DEP_2) | instskip(NEXT) | instid1(VALU_DEP_2)
	v_clz_i32_u32_e32 v2, v6
	v_cmp_eq_u32_e32 vcc_lo, 0, v36
	s_delay_alu instid0(VALU_DEP_2) | instskip(NEXT) | instid1(VALU_DEP_1)
	v_min_u32_e32 v7, 32, v2
	v_subrev_nc_u32_e32 v2, 29, v7
	s_delay_alu instid0(VALU_DEP_1) | instskip(SKIP_2) | instid1(VALU_DEP_2)
	v_lshlrev_b64_e32 v[2:3], v2, v[0:1]
	v_dual_lshlrev_b32 v3, 24, v0 :: v_dual_sub_nc_u32 v7, 30, v7
	v_bfe_i32 v0, v0, 0, 8
	v_and_b32_e32 v3, 0x80000000, v3
	s_delay_alu instid0(VALU_DEP_3) | instskip(NEXT) | instid1(VALU_DEP_1)
	v_dual_cndmask_b32 v7, v36, v7, vcc_lo :: v_dual_bitop2_b32 v2, 3, v2 bitop3:0x40
	v_cndmask_b32_e32 v2, v6, v2, vcc_lo
	s_delay_alu instid0(VALU_DEP_2) | instskip(SKIP_2) | instid1(VALU_DEP_3)
	v_lshl_add_u32 v3, v7, 23, v3
	v_cmp_lt_i16_e32 vcc_lo, -1, v0
	v_mov_b32_e32 v0, 0x7f800000
	v_lshl_or_b32 v2, v2, 21, v3
	v_and_b32_e32 v3, 0x7c0000, v9
	s_delay_alu instid0(VALU_DEP_3) | instskip(SKIP_1) | instid1(VALU_DEP_4)
	v_cndmask_b32_e32 v0, 0xff800000, v0, vcc_lo
	v_cmp_eq_u32_e32 vcc_lo, 0, v6
	v_add_nc_u32_e32 v2, 0x38000000, v2
	s_delay_alu instid0(VALU_DEP_3) | instskip(SKIP_1) | instid1(VALU_DEP_2)
	v_cndmask_b32_e32 v0, 0x7f800001, v0, vcc_lo
	v_cmp_eq_u32_e32 vcc_lo, 0x7c0000, v3
	v_cndmask_b32_e32 v2, v2, v0, vcc_lo
.LBB6_11037:                            ;   in Loop: Header=BB6_10323 Depth=4
	s_or_b32 exec_lo, exec_lo, s14
	s_delay_alu instid0(VALU_DEP_1) | instskip(SKIP_2) | instid1(VALU_DEP_2)
	v_add_f32_e32 v2, v1, v2
	v_dual_mov_b32 v7, v113 :: v_dual_mov_b32 v1, v113
                                        ; implicit-def: $vgpr36
	s_mov_b32 s14, exec_lo
	v_and_b32_e32 v6, 0x7f800000, v2
	v_and_b32_e32 v0, 0x7fffff, v2
	v_lshrrev_b32_e32 v3, 24, v2
	s_delay_alu instid0(VALU_DEP_3)
	v_cmpx_ne_u64_e32 0x7f800000, v[6:7]
	s_xor_b32 s76, exec_lo, s14
	s_cbranch_execz .LBB6_11051
; %bb.11038:                            ;   in Loop: Header=BB6_10323 Depth=4
	v_and_b32_e32 v6, 0x7fffffff, v2
	v_mov_b32_e32 v7, v113
                                        ; implicit-def: $vgpr36
	s_delay_alu instid0(VALU_DEP_1) | instskip(SKIP_2) | instid1(SALU_CYCLE_1)
	v_cmp_gt_u64_e32 vcc_lo, 0x47600001, v[6:7]
	v_and_b32_e32 v6, 0x80, v3
	s_and_saveexec_b32 s14, vcc_lo
	s_xor_b32 s77, exec_lo, s14
	s_cbranch_execz .LBB6_11048
; %bb.11039:                            ;   in Loop: Header=BB6_10323 Depth=4
	v_mov_b32_e32 v36, 0
	s_mov_b32 s78, exec_lo
	v_cmpx_ne_u32_e32 0, v2
	s_cbranch_execz .LBB6_11047
; %bb.11040:                            ;   in Loop: Header=BB6_10323 Depth=4
	v_bfe_u32 v7, v2, 23, 8
	v_or_b32_e32 v37, 0x800000, v0
	s_delay_alu instid0(VALU_DEP_2) | instskip(SKIP_1) | instid1(VALU_DEP_2)
	v_sub_nc_u32_e32 v2, 0x71, v7
	v_cmp_gt_u32_e32 vcc_lo, 0x72, v7
	v_cndmask_b32_e32 v2, 0, v2, vcc_lo
	v_cmp_eq_u32_e32 vcc_lo, 0, v7
	s_delay_alu instid0(VALU_DEP_2) | instskip(SKIP_1) | instid1(VALU_DEP_2)
	v_cndmask_b32_e64 v36, v2, 0x70, vcc_lo
	v_cndmask_b32_e32 v0, v37, v0, vcc_lo
	v_dual_add_nc_u32 v2, 21, v36 :: v_dual_add_nc_u32 v38, 20, v36
	s_delay_alu instid0(VALU_DEP_1) | instskip(NEXT) | instid1(VALU_DEP_2)
	v_lshlrev_b64_e64 v[2:3], v2, -1
	v_lshlrev_b64_e64 v[38:39], v38, 1
	s_delay_alu instid0(VALU_DEP_2) | instskip(SKIP_1) | instid1(VALU_DEP_4)
	v_bfi_b32 v2, v2, 0, v0
	v_lshrrev_b64 v[0:1], v36, v[0:1]
	v_bfi_b32 v3, v3, 0, 0
	s_delay_alu instid0(VALU_DEP_1) | instskip(NEXT) | instid1(VALU_DEP_3)
	v_cmp_eq_u64_e64 s14, v[2:3], v[38:39]
	v_mov_b64_e32 v[2:3], v[0:1]
	s_and_saveexec_b32 s79, s14
; %bb.11041:                            ;   in Loop: Header=BB6_10323 Depth=4
	v_bfe_u32 v2, v0, 21, 1
	v_mov_b32_e32 v3, v113
	s_delay_alu instid0(VALU_DEP_1) | instskip(NEXT) | instid1(VALU_DEP_1)
	v_add_nc_u64_e32 v[2:3], v[0:1], v[2:3]
	v_add_nc_u64_e32 v[2:3], -1, v[2:3]
; %bb.11042:                            ;   in Loop: Header=BB6_10323 Depth=4
	s_or_b32 exec_lo, exec_lo, s79
	v_add_nc_u32_e32 v1, 0xffffff81, v7
	v_lshrrev_b32_e32 v3, 23, v0
	s_mov_b32 s14, exec_lo
	s_delay_alu instid0(VALU_DEP_2) | instskip(NEXT) | instid1(VALU_DEP_1)
	v_cndmask_b32_e64 v1, v1, 0xffffff82, vcc_lo
	v_add3_u32 v3, v36, v1, v3
	v_and_b32_e32 v1, 0x1fffff, v2
                                        ; implicit-def: $vgpr2
	s_delay_alu instid0(VALU_DEP_1) | instskip(SKIP_1) | instid1(VALU_DEP_2)
	v_dual_add_nc_u32 v7, 14, v3 :: v_dual_add_nc_u32 v0, v1, v0
	v_mov_b32_e32 v1, v113
	v_cmpx_ne_u32_e32 0, v7
	s_xor_b32 s14, exec_lo, s14
; %bb.11043:                            ;   in Loop: Header=BB6_10323 Depth=4
	s_delay_alu instid0(VALU_DEP_2) | instskip(SKIP_2) | instid1(VALU_DEP_2)
	v_cmp_lt_u64_e32 vcc_lo, 0xffffff, v[0:1]
	v_add_nc_u32_e32 v2, 15, v3
	v_cndmask_b32_e64 v3, 0, 1, vcc_lo
	v_cndmask_b32_e32 v2, v7, v2, vcc_lo
	s_delay_alu instid0(VALU_DEP_2)
	v_lshrrev_b64 v[0:1], v3, v[0:1]
; %bb.11044:                            ;   in Loop: Header=BB6_10323 Depth=4
	s_and_not1_saveexec_b32 s14, s14
; %bb.11045:                            ;   in Loop: Header=BB6_10323 Depth=4
	s_delay_alu instid0(VALU_DEP_1)
	v_bfe_u32 v2, v0, 23, 1
; %bb.11046:                            ;   in Loop: Header=BB6_10323 Depth=4
	s_or_b32 exec_lo, exec_lo, s14
	s_delay_alu instid0(VALU_DEP_2) | instskip(NEXT) | instid1(VALU_DEP_2)
	v_lshrrev_b64 v[0:1], 21, v[0:1]
	v_cmp_gt_i32_e32 vcc_lo, 32, v2
	v_min_i32_e32 v3, 31, v2
	v_cmp_eq_u32_e64 s14, 0, v2
	s_delay_alu instid0(VALU_DEP_2) | instskip(SKIP_1) | instid1(VALU_DEP_2)
	v_dual_cndmask_b32 v1, 0, v1, vcc_lo :: v_dual_lshlrev_b32 v3, 2, v3
	v_cndmask_b32_e32 v0, 3, v0, vcc_lo
	v_and_b32_e32 v3, 0xfc, v3
	s_delay_alu instid0(VALU_DEP_2) | instskip(NEXT) | instid1(VALU_DEP_2)
	v_cmp_eq_u64_e32 vcc_lo, 0, v[0:1]
	v_and_or_b32 v0, v0, 3, v3
	s_and_b32 s14, s14, vcc_lo
	s_delay_alu instid0(VALU_DEP_1) | instid1(SALU_CYCLE_1)
	v_cndmask_b32_e64 v0, v0, 0, s14
	s_delay_alu instid0(VALU_DEP_1)
	v_or_b32_e32 v36, v0, v6
.LBB6_11047:                            ;   in Loop: Header=BB6_10323 Depth=4
	s_or_b32 exec_lo, exec_lo, s78
                                        ; implicit-def: $vgpr6
.LBB6_11048:                            ;   in Loop: Header=BB6_10323 Depth=4
	s_and_not1_saveexec_b32 s14, s77
; %bb.11049:                            ;   in Loop: Header=BB6_10323 Depth=4
	v_or_b32_e32 v36, 0x7b, v6
; %bb.11050:                            ;   in Loop: Header=BB6_10323 Depth=4
	s_or_b32 exec_lo, exec_lo, s14
                                        ; implicit-def: $vgpr2
                                        ; implicit-def: $vgpr0_vgpr1
                                        ; implicit-def: $vgpr3
.LBB6_11051:                            ;   in Loop: Header=BB6_10323 Depth=4
	s_and_not1_saveexec_b32 s14, s76
	s_cbranch_execz .LBB6_11057
; %bb.11052:                            ;   in Loop: Header=BB6_10323 Depth=4
	s_mov_b32 s76, exec_lo
                                        ; implicit-def: $vgpr36
	v_cmpx_ne_u64_e32 0, v[0:1]
	s_xor_b32 s76, exec_lo, s76
; %bb.11053:                            ;   in Loop: Header=BB6_10323 Depth=4
	v_or_b32_e32 v36, 0x7f, v3
                                        ; implicit-def: $vgpr2
; %bb.11054:                            ;   in Loop: Header=BB6_10323 Depth=4
	s_and_not1_saveexec_b32 s76, s76
; %bb.11055:                            ;   in Loop: Header=BB6_10323 Depth=4
	v_cmp_lt_i32_e32 vcc_lo, -1, v2
	v_mov_b32_e32 v0, 0x7c
	s_delay_alu instid0(VALU_DEP_1)
	v_cndmask_b32_e32 v36, 0xfc, v0, vcc_lo
; %bb.11056:                            ;   in Loop: Header=BB6_10323 Depth=4
	s_or_b32 exec_lo, exec_lo, s76
.LBB6_11057:                            ;   in Loop: Header=BB6_10323 Depth=4
	s_delay_alu instid0(SALU_CYCLE_1)
	s_or_b32 exec_lo, exec_lo, s14
	v_mov_b32_e32 v1, 0
	s_mov_b32 s14, exec_lo
	v_cmpx_lt_u32_e32 0xffffff, v112
	s_cbranch_execz .LBB6_11067
; %bb.11058:                            ;   in Loop: Header=BB6_10323 Depth=4
	v_lshrrev_b32_e32 v0, 24, v112
	v_bfrev_b32_e32 v1, 1
	s_mov_b32 s76, exec_lo
	s_delay_alu instid0(VALU_DEP_2)
	v_cmpx_ne_u32_e32 0x80, v0
	s_cbranch_execz .LBB6_11066
; %bb.11059:                            ;   in Loop: Header=BB6_10323 Depth=4
	v_and_b32_e32 v1, 0x7c000000, v112
	v_bfe_u32 v2, v112, 24, 2
	s_delay_alu instid0(VALU_DEP_2) | instskip(SKIP_1) | instid1(SALU_CYCLE_1)
	v_cmp_ne_u32_e32 vcc_lo, 0x7c000000, v1
                                        ; implicit-def: $vgpr1
	s_and_saveexec_b32 s77, vcc_lo
	s_xor_b32 s77, exec_lo, s77
	s_cbranch_execz .LBB6_11063
; %bb.11060:                            ;   in Loop: Header=BB6_10323 Depth=4
	v_bfe_u32 v1, v112, 26, 5
	s_mov_b32 s78, exec_lo
	s_delay_alu instid0(VALU_DEP_1)
	v_cmpx_eq_u32_e32 0, v1
; %bb.11061:                            ;   in Loop: Header=BB6_10323 Depth=4
	v_clz_i32_u32_e32 v1, v2
	s_delay_alu instid0(VALU_DEP_1) | instskip(NEXT) | instid1(VALU_DEP_1)
	v_min_u32_e32 v2, 32, v1
	v_subrev_nc_u32_e32 v1, 29, v2
	s_delay_alu instid0(VALU_DEP_1) | instskip(NEXT) | instid1(VALU_DEP_1)
	v_lshlrev_b64_e32 v[0:1], v1, v[0:1]
	v_dual_sub_nc_u32 v1, 30, v2 :: v_dual_bitop2_b32 v2, 3, v0 bitop3:0x40
; %bb.11062:                            ;   in Loop: Header=BB6_10323 Depth=4
	s_or_b32 exec_lo, exec_lo, s78
	v_and_b32_e32 v0, 0x80000000, v112
	s_delay_alu instid0(VALU_DEP_1) | instskip(NEXT) | instid1(VALU_DEP_1)
	v_lshl_add_u32 v0, v1, 23, v0
	v_lshl_or_b32 v0, v2, 21, v0
                                        ; implicit-def: $vgpr2
	s_delay_alu instid0(VALU_DEP_1)
	v_add_nc_u32_e32 v1, 0x38000000, v0
.LBB6_11063:                            ;   in Loop: Header=BB6_10323 Depth=4
	s_and_not1_saveexec_b32 s77, s77
; %bb.11064:                            ;   in Loop: Header=BB6_10323 Depth=4
	v_cmp_lt_i32_e32 vcc_lo, -1, v112
	v_mov_b32_e32 v0, 0x7f800000
	s_delay_alu instid0(VALU_DEP_1) | instskip(SKIP_1) | instid1(VALU_DEP_2)
	v_cndmask_b32_e32 v0, 0xff800000, v0, vcc_lo
	v_cmp_eq_u32_e32 vcc_lo, 0, v2
	v_cndmask_b32_e32 v1, 0x7f800001, v0, vcc_lo
; %bb.11065:                            ;   in Loop: Header=BB6_10323 Depth=4
	s_or_b32 exec_lo, exec_lo, s77
.LBB6_11066:                            ;   in Loop: Header=BB6_10323 Depth=4
	s_delay_alu instid0(SALU_CYCLE_1)
	s_or_b32 exec_lo, exec_lo, s76
.LBB6_11067:                            ;   in Loop: Header=BB6_10323 Depth=4
	s_delay_alu instid0(SALU_CYCLE_1) | instskip(SKIP_3) | instid1(VALU_DEP_2)
	s_or_b32 exec_lo, exec_lo, s14
	v_bfe_u32 v6, v9, 24, 2
	v_bfe_u32 v37, v9, 26, 5
	s_mov_b32 s14, exec_lo
	v_clz_i32_u32_e32 v0, v6
	s_delay_alu instid0(VALU_DEP_2) | instskip(NEXT) | instid1(VALU_DEP_2)
	v_cmp_eq_u32_e32 vcc_lo, 0, v37
	v_min_u32_e32 v7, 32, v0
	v_lshrrev_b32_e32 v0, 24, v9
	s_delay_alu instid0(VALU_DEP_2) | instskip(NEXT) | instid1(VALU_DEP_1)
	v_subrev_nc_u32_e32 v2, 29, v7
	v_lshlrev_b64_e32 v[2:3], v2, v[0:1]
	v_sub_nc_u32_e32 v3, 30, v7
	v_and_b32_e32 v7, 0x80000000, v9
	s_delay_alu instid0(VALU_DEP_2) | instskip(NEXT) | instid1(VALU_DEP_1)
	v_dual_cndmask_b32 v3, v37, v3, vcc_lo :: v_dual_bitop2_b32 v2, 3, v2 bitop3:0x40
	v_lshl_add_u32 v3, v3, 23, v7
	s_delay_alu instid0(VALU_DEP_2) | instskip(SKIP_1) | instid1(VALU_DEP_2)
	v_dual_cndmask_b32 v2, v6, v2 :: v_dual_mov_b32 v7, 0x7f800000
	v_cmp_lt_i64_e32 vcc_lo, -1, v[8:9]
	v_lshl_or_b32 v2, v2, 21, v3
	v_and_b32_e32 v3, 0x7c000000, v9
	s_delay_alu instid0(VALU_DEP_4) | instskip(SKIP_1) | instid1(VALU_DEP_4)
	v_cndmask_b32_e32 v7, 0xff800000, v7, vcc_lo
	v_cmp_eq_u32_e32 vcc_lo, 0, v6
	v_add_nc_u32_e32 v2, 0x38000000, v2
	s_delay_alu instid0(VALU_DEP_3) | instskip(SKIP_1) | instid1(VALU_DEP_2)
	v_cndmask_b32_e32 v6, 0x7f800001, v7, vcc_lo
	v_cmp_eq_u32_e32 vcc_lo, 0x7c000000, v3
	v_dual_mov_b32 v3, v113 :: v_dual_cndmask_b32 v2, v2, v6
	v_cmp_ne_u32_e32 vcc_lo, 0x80, v0
	s_delay_alu instid0(VALU_DEP_2) | instskip(SKIP_1) | instid1(VALU_DEP_2)
	v_cndmask_b32_e32 v0, 0x80000000, v2, vcc_lo
	v_cmp_lt_u64_e32 vcc_lo, s[22:23], v[8:9]
                                        ; implicit-def: $vgpr8
	v_cndmask_b32_e32 v0, 0, v0, vcc_lo
	s_delay_alu instid0(VALU_DEP_1) | instskip(NEXT) | instid1(VALU_DEP_1)
	v_add_f32_e32 v0, v0, v1
	v_and_b32_e32 v2, 0x7f800000, v0
	v_and_b32_e32 v112, 0x7fffff, v0
	v_lshrrev_b32_e32 v1, 24, v0
	s_delay_alu instid0(VALU_DEP_3)
	v_cmpx_ne_u64_e32 0x7f800000, v[2:3]
	s_xor_b32 s76, exec_lo, s14
	s_cbranch_execz .LBB6_11081
; %bb.11068:                            ;   in Loop: Header=BB6_10323 Depth=4
	v_and_b32_e32 v2, 0x7fffffff, v0
	v_mov_b32_e32 v3, v113
	v_and_b32_e32 v6, 0x80, v1
                                        ; implicit-def: $vgpr8
	s_mov_b32 s14, exec_lo
	s_delay_alu instid0(VALU_DEP_2)
	v_cmpx_gt_u64_e32 0x47600001, v[2:3]
	s_xor_b32 s77, exec_lo, s14
	s_cbranch_execz .LBB6_11078
; %bb.11069:                            ;   in Loop: Header=BB6_10323 Depth=4
	v_mov_b32_e32 v8, 0
	s_mov_b32 s78, exec_lo
	v_cmpx_ne_u32_e32 0, v0
	s_cbranch_execz .LBB6_11077
; %bb.11070:                            ;   in Loop: Header=BB6_10323 Depth=4
	v_bfe_u32 v7, v0, 23, 8
	v_or_b32_e32 v2, 0x800000, v112
	s_mov_b32 s79, exec_lo
	s_delay_alu instid0(VALU_DEP_2) | instskip(SKIP_1) | instid1(VALU_DEP_2)
	v_dual_mov_b32 v3, v113 :: v_dual_sub_nc_u32 v0, 0x71, v7
	v_cmp_gt_u32_e32 vcc_lo, 0x72, v7
	v_cndmask_b32_e32 v0, 0, v0, vcc_lo
	v_cmp_eq_u32_e32 vcc_lo, 0, v7
	s_delay_alu instid0(VALU_DEP_2) | instskip(SKIP_1) | instid1(VALU_DEP_2)
	v_cndmask_b32_e64 v8, v0, 0x70, vcc_lo
	v_cndmask_b32_e32 v2, v2, v112, vcc_lo
	v_dual_add_nc_u32 v0, 21, v8 :: v_dual_add_nc_u32 v9, 20, v8
	s_delay_alu instid0(VALU_DEP_1) | instskip(NEXT) | instid1(VALU_DEP_2)
	v_lshlrev_b64_e64 v[0:1], v0, -1
	v_lshlrev_b64_e64 v[38:39], v9, 1
	s_delay_alu instid0(VALU_DEP_2) | instskip(NEXT) | instid1(VALU_DEP_3)
	v_bfi_b32 v49, v1, 0, 0
	v_bfi_b32 v48, v0, 0, v2
	v_lshrrev_b64 v[0:1], v8, v[2:3]
	s_delay_alu instid0(VALU_DEP_1) | instskip(NEXT) | instid1(VALU_DEP_3)
	v_mov_b64_e32 v[2:3], v[0:1]
	v_cmpx_eq_u64_e64 v[48:49], v[38:39]
; %bb.11071:                            ;   in Loop: Header=BB6_10323 Depth=4
	v_bfe_u32 v2, v0, 21, 1
	v_mov_b32_e32 v3, v113
	s_delay_alu instid0(VALU_DEP_1) | instskip(NEXT) | instid1(VALU_DEP_1)
	v_add_nc_u64_e32 v[2:3], v[0:1], v[2:3]
	v_add_nc_u64_e32 v[2:3], -1, v[2:3]
; %bb.11072:                            ;   in Loop: Header=BB6_10323 Depth=4
	s_or_b32 exec_lo, exec_lo, s79
	v_add_nc_u32_e32 v1, 0xffffff81, v7
	s_delay_alu instid0(VALU_DEP_2) | instskip(SKIP_2) | instid1(VALU_DEP_3)
	v_and_b32_e32 v2, 0x1fffff, v2
	v_lshrrev_b32_e32 v3, 23, v0
	s_mov_b32 s14, exec_lo
	v_cndmask_b32_e64 v1, v1, 0xffffff82, vcc_lo
	s_delay_alu instid0(VALU_DEP_3) | instskip(NEXT) | instid1(VALU_DEP_2)
	v_add_nc_u32_e32 v112, v2, v0
                                        ; implicit-def: $vgpr2
	v_add3_u32 v3, v8, v1, v3
                                        ; implicit-def: $vgpr0_vgpr1
	s_delay_alu instid0(VALU_DEP_1) | instskip(NEXT) | instid1(VALU_DEP_1)
	v_add_nc_u32_e32 v7, 14, v3
	v_cmpx_ne_u32_e32 0, v7
	s_xor_b32 s14, exec_lo, s14
; %bb.11073:                            ;   in Loop: Header=BB6_10323 Depth=4
	v_cmp_lt_u64_e32 vcc_lo, 0xffffff, v[112:113]
	v_add_nc_u32_e32 v0, 15, v3
	s_delay_alu instid0(VALU_DEP_1) | instskip(SKIP_1) | instid1(VALU_DEP_1)
	v_cndmask_b32_e32 v2, v7, v0, vcc_lo
	v_cndmask_b32_e64 v0, 0, 1, vcc_lo
	v_lshrrev_b64 v[0:1], v0, v[112:113]
; %bb.11074:                            ;   in Loop: Header=BB6_10323 Depth=4
	s_and_not1_saveexec_b32 s14, s14
; %bb.11075:                            ;   in Loop: Header=BB6_10323 Depth=4
	v_mov_b64_e32 v[0:1], v[112:113]
	v_bfe_u32 v2, v112, 23, 1
; %bb.11076:                            ;   in Loop: Header=BB6_10323 Depth=4
	s_or_b32 exec_lo, exec_lo, s14
	s_delay_alu instid0(VALU_DEP_2) | instskip(NEXT) | instid1(VALU_DEP_2)
	v_lshrrev_b64 v[0:1], 21, v[0:1]
	v_cmp_gt_i32_e32 vcc_lo, 32, v2
	v_min_i32_e32 v3, 31, v2
	v_cmp_eq_u32_e64 s14, 0, v2
	s_delay_alu instid0(VALU_DEP_2) | instskip(SKIP_1) | instid1(VALU_DEP_2)
	v_dual_cndmask_b32 v1, 0, v1, vcc_lo :: v_dual_lshlrev_b32 v3, 2, v3
	v_cndmask_b32_e32 v0, 3, v0, vcc_lo
	v_and_b32_e32 v3, 0xfc, v3
	s_delay_alu instid0(VALU_DEP_2) | instskip(NEXT) | instid1(VALU_DEP_2)
	v_cmp_eq_u64_e32 vcc_lo, 0, v[0:1]
	v_and_or_b32 v0, v0, 3, v3
	s_and_b32 s14, s14, vcc_lo
	s_delay_alu instid0(VALU_DEP_1) | instid1(SALU_CYCLE_1)
	v_cndmask_b32_e64 v0, v0, 0, s14
	s_delay_alu instid0(VALU_DEP_1)
	v_or_b32_e32 v8, v0, v6
.LBB6_11077:                            ;   in Loop: Header=BB6_10323 Depth=4
	s_or_b32 exec_lo, exec_lo, s78
                                        ; implicit-def: $vgpr6
.LBB6_11078:                            ;   in Loop: Header=BB6_10323 Depth=4
	s_and_not1_saveexec_b32 s14, s77
; %bb.11079:                            ;   in Loop: Header=BB6_10323 Depth=4
	v_or_b32_e32 v8, 0x7b, v6
; %bb.11080:                            ;   in Loop: Header=BB6_10323 Depth=4
	s_or_b32 exec_lo, exec_lo, s14
                                        ; implicit-def: $vgpr0
                                        ; implicit-def: $vgpr1
.LBB6_11081:                            ;   in Loop: Header=BB6_10323 Depth=4
	s_and_not1_saveexec_b32 s14, s76
	s_cbranch_execz .LBB6_11087
; %bb.11082:                            ;   in Loop: Header=BB6_10323 Depth=4
	s_mov_b32 s76, exec_lo
                                        ; implicit-def: $vgpr8
	v_cmpx_ne_u64_e32 0, v[112:113]
	s_xor_b32 s76, exec_lo, s76
; %bb.11083:                            ;   in Loop: Header=BB6_10323 Depth=4
	v_or_b32_e32 v8, 0x7f, v1
                                        ; implicit-def: $vgpr0
; %bb.11084:                            ;   in Loop: Header=BB6_10323 Depth=4
	s_and_not1_saveexec_b32 s76, s76
; %bb.11085:                            ;   in Loop: Header=BB6_10323 Depth=4
	v_cmp_lt_i32_e32 vcc_lo, -1, v0
	v_mov_b32_e32 v0, 0x7c
	s_delay_alu instid0(VALU_DEP_1)
	v_cndmask_b32_e32 v8, 0xfc, v0, vcc_lo
; %bb.11086:                            ;   in Loop: Header=BB6_10323 Depth=4
	s_or_b32 exec_lo, exec_lo, s76
.LBB6_11087:                            ;   in Loop: Header=BB6_10323 Depth=4
	s_delay_alu instid0(SALU_CYCLE_1) | instskip(SKIP_3) | instid1(VALU_DEP_1)
	s_or_b32 exec_lo, exec_lo, s14
	v_lshl_or_b32 v6, v29, 8, v25
	v_dual_lshlrev_b32 v0, 16, v32 :: v_dual_lshlrev_b32 v1, 24, v34
	s_mov_b32 s14, exec_lo
	v_or3_b32 v112, v0, v1, v6
	v_mov_b32_e32 v0, 0
	v_cmpx_ne_u32_e32 0, v25
	s_cbranch_execz .LBB6_11097
; %bb.11088:                            ;   in Loop: Header=BB6_10323 Depth=4
	v_bfrev_b32_e32 v0, 1
	s_mov_b32 s76, exec_lo
	v_cmpx_ne_u32_e32 0x80, v25
	s_cbranch_execz .LBB6_11096
; %bb.11089:                            ;   in Loop: Header=BB6_10323 Depth=4
	v_and_b32_e32 v0, 0x7c, v25
	v_and_b32_e32 v1, 3, v25
	s_delay_alu instid0(VALU_DEP_2) | instskip(SKIP_1) | instid1(SALU_CYCLE_1)
	v_cmp_ne_u32_e32 vcc_lo, 0x7c, v0
                                        ; implicit-def: $vgpr0
	s_and_saveexec_b32 s77, vcc_lo
	s_xor_b32 s77, exec_lo, s77
	s_cbranch_execz .LBB6_11093
; %bb.11090:                            ;   in Loop: Header=BB6_10323 Depth=4
	v_bfe_u32 v0, v25, 2, 5
	s_mov_b32 s78, exec_lo
	s_delay_alu instid0(VALU_DEP_1)
	v_cmpx_eq_u32_e32 0, v0
; %bb.11091:                            ;   in Loop: Header=BB6_10323 Depth=4
	v_clz_i32_u32_e32 v0, v1
	s_delay_alu instid0(VALU_DEP_1) | instskip(NEXT) | instid1(VALU_DEP_1)
	v_min_u32_e32 v0, 32, v0
	v_subrev_nc_u32_e32 v1, 29, v0
	s_delay_alu instid0(VALU_DEP_1) | instskip(NEXT) | instid1(VALU_DEP_1)
	v_lshlrev_b64_e32 v[2:3], v1, v[112:113]
	v_dual_sub_nc_u32 v0, 30, v0 :: v_dual_bitop2_b32 v1, 3, v2 bitop3:0x40
; %bb.11092:                            ;   in Loop: Header=BB6_10323 Depth=4
	s_or_b32 exec_lo, exec_lo, s78
	v_lshlrev_b32_e32 v2, 24, v25
                                        ; implicit-def: $vgpr25
	s_delay_alu instid0(VALU_DEP_1) | instskip(NEXT) | instid1(VALU_DEP_1)
	v_and_b32_e32 v2, 0x80000000, v2
	v_lshl_add_u32 v0, v0, 23, v2
	s_delay_alu instid0(VALU_DEP_1) | instskip(NEXT) | instid1(VALU_DEP_1)
	v_lshl_or_b32 v0, v1, 21, v0
                                        ; implicit-def: $vgpr1
	v_add_nc_u32_e32 v0, 0x38000000, v0
.LBB6_11093:                            ;   in Loop: Header=BB6_10323 Depth=4
	s_and_not1_saveexec_b32 s77, s77
; %bb.11094:                            ;   in Loop: Header=BB6_10323 Depth=4
	v_and_b32_e32 v0, 0x80, v25
	s_delay_alu instid0(VALU_DEP_1) | instskip(SKIP_1) | instid1(VALU_DEP_1)
	v_cmp_eq_u32_e32 vcc_lo, 0, v0
	v_mov_b32_e32 v0, 0x7f800000
	v_cndmask_b32_e32 v0, 0xff800000, v0, vcc_lo
	v_cmp_eq_u32_e32 vcc_lo, 0, v1
	s_delay_alu instid0(VALU_DEP_2)
	v_cndmask_b32_e32 v0, 0x7f800001, v0, vcc_lo
; %bb.11095:                            ;   in Loop: Header=BB6_10323 Depth=4
	s_or_b32 exec_lo, exec_lo, s77
.LBB6_11096:                            ;   in Loop: Header=BB6_10323 Depth=4
	s_delay_alu instid0(SALU_CYCLE_1)
	s_or_b32 exec_lo, exec_lo, s76
.LBB6_11097:                            ;   in Loop: Header=BB6_10323 Depth=4
	s_delay_alu instid0(SALU_CYCLE_1) | instskip(SKIP_3) | instid1(VALU_DEP_1)
	s_or_b32 exec_lo, exec_lo, s14
	v_and_b32_e32 v2, 0xff, v10
	s_mov_b32 s76, 0
	s_mov_b32 s14, exec_lo
	v_cmpx_lt_i16_e32 0x7f, v2
	s_xor_b32 s14, exec_lo, s14
	s_cbranch_execz .LBB6_11374
; %bb.11098:                            ;   in Loop: Header=BB6_10323 Depth=4
	s_mov_b32 s76, -1
	s_mov_b32 s77, exec_lo
	v_cmpx_eq_u16_e32 0x80, v2
; %bb.11099:                            ;   in Loop: Header=BB6_10323 Depth=4
	s_xor_b32 s76, exec_lo, -1
; %bb.11100:                            ;   in Loop: Header=BB6_10323 Depth=4
	s_or_b32 exec_lo, exec_lo, s77
	s_delay_alu instid0(SALU_CYCLE_1)
	s_and_b32 s76, s76, exec_lo
                                        ; implicit-def: $vgpr2
	s_or_saveexec_b32 s14, s14
	v_bfrev_b32_e32 v1, 1
	s_xor_b32 exec_lo, exec_lo, s14
	s_cbranch_execnz .LBB6_11375
.LBB6_11101:                            ;   in Loop: Header=BB6_10323 Depth=4
	s_or_b32 exec_lo, exec_lo, s14
	s_and_saveexec_b32 s14, s76
	s_cbranch_execz .LBB6_11103
.LBB6_11102:                            ;   in Loop: Header=BB6_10323 Depth=4
	v_and_b32_e32 v1, 3, v10
	v_bfe_u32 v9, v10, 2, 5
	s_delay_alu instid0(VALU_DEP_2) | instskip(NEXT) | instid1(VALU_DEP_2)
	v_clz_i32_u32_e32 v2, v1
	v_cmp_eq_u32_e32 vcc_lo, 0, v9
	s_delay_alu instid0(VALU_DEP_2) | instskip(NEXT) | instid1(VALU_DEP_1)
	v_min_u32_e32 v7, 32, v2
	v_subrev_nc_u32_e32 v2, 29, v7
	s_delay_alu instid0(VALU_DEP_1) | instskip(SKIP_1) | instid1(VALU_DEP_1)
	v_lshlrev_b64_e32 v[2:3], v2, v[10:11]
	v_dual_lshlrev_b32 v3, 24, v10 :: v_dual_sub_nc_u32 v7, 30, v7
	v_and_b32_e32 v3, 0x80000000, v3
	s_delay_alu instid0(VALU_DEP_2) | instskip(SKIP_1) | instid1(VALU_DEP_2)
	v_dual_cndmask_b32 v7, v9, v7, vcc_lo :: v_dual_bitop2_b32 v2, 3, v2 bitop3:0x40
	v_bfe_i32 v9, v10, 0, 8
	v_cndmask_b32_e32 v2, v1, v2, vcc_lo
	s_delay_alu instid0(VALU_DEP_3) | instskip(NEXT) | instid1(VALU_DEP_3)
	v_lshl_add_u32 v3, v7, 23, v3
	v_cmp_lt_i16_e32 vcc_lo, -1, v9
	v_mov_b32_e32 v7, 0x7f800000
	s_delay_alu instid0(VALU_DEP_3) | instskip(SKIP_1) | instid1(VALU_DEP_3)
	v_lshl_or_b32 v2, v2, 21, v3
	v_and_b32_e32 v3, 0x7c, v10
	v_cndmask_b32_e32 v7, 0xff800000, v7, vcc_lo
	v_cmp_eq_u32_e32 vcc_lo, 0, v1
	s_delay_alu instid0(VALU_DEP_4) | instskip(NEXT) | instid1(VALU_DEP_3)
	v_add_nc_u32_e32 v2, 0x38000000, v2
	v_cndmask_b32_e32 v1, 0x7f800001, v7, vcc_lo
	v_cmp_eq_u32_e32 vcc_lo, 0x7c, v3
	s_delay_alu instid0(VALU_DEP_2)
	v_cndmask_b32_e32 v1, v2, v1, vcc_lo
.LBB6_11103:                            ;   in Loop: Header=BB6_10323 Depth=4
	s_or_b32 exec_lo, exec_lo, s14
	s_delay_alu instid0(VALU_DEP_1) | instskip(SKIP_2) | instid1(VALU_DEP_2)
	v_dual_add_f32 v2, v0, v1 :: v_dual_mov_b32 v39, v113
	v_mov_b32_e32 v1, v113
                                        ; implicit-def: $vgpr9
	s_mov_b32 s14, exec_lo
	v_and_b32_e32 v38, 0x7f800000, v2
	v_and_b32_e32 v0, 0x7fffff, v2
	v_lshrrev_b32_e32 v3, 24, v2
	s_delay_alu instid0(VALU_DEP_3)
	v_cmpx_ne_u64_e32 0x7f800000, v[38:39]
	s_xor_b32 s76, exec_lo, s14
	s_cbranch_execz .LBB6_11117
; %bb.11104:                            ;   in Loop: Header=BB6_10323 Depth=4
	v_and_b32_e32 v38, 0x7fffffff, v2
	v_mov_b32_e32 v39, v113
	v_and_b32_e32 v7, 0x80, v3
                                        ; implicit-def: $vgpr9
	s_mov_b32 s14, exec_lo
	s_delay_alu instid0(VALU_DEP_2)
	v_cmpx_gt_u64_e32 0x47600001, v[38:39]
	s_xor_b32 s77, exec_lo, s14
	s_cbranch_execz .LBB6_11114
; %bb.11105:                            ;   in Loop: Header=BB6_10323 Depth=4
	v_mov_b32_e32 v9, 0
	s_mov_b32 s78, exec_lo
	v_cmpx_ne_u32_e32 0, v2
	s_cbranch_execz .LBB6_11113
; %bb.11106:                            ;   in Loop: Header=BB6_10323 Depth=4
	v_bfe_u32 v9, v2, 23, 8
	v_or_b32_e32 v29, 0x800000, v0
	s_delay_alu instid0(VALU_DEP_2) | instskip(SKIP_1) | instid1(VALU_DEP_2)
	v_sub_nc_u32_e32 v2, 0x71, v9
	v_cmp_gt_u32_e32 vcc_lo, 0x72, v9
	v_cndmask_b32_e32 v2, 0, v2, vcc_lo
	v_cmp_eq_u32_e32 vcc_lo, 0, v9
	s_delay_alu instid0(VALU_DEP_2) | instskip(NEXT) | instid1(VALU_DEP_1)
	v_cndmask_b32_e64 v25, v2, 0x70, vcc_lo
	v_dual_cndmask_b32 v0, v29, v0, vcc_lo :: v_dual_add_nc_u32 v2, 21, v25
	v_add_nc_u32_e32 v32, 20, v25
	s_delay_alu instid0(VALU_DEP_2) | instskip(NEXT) | instid1(VALU_DEP_2)
	v_lshlrev_b64_e64 v[2:3], v2, -1
	v_lshlrev_b64_e64 v[38:39], v32, 1
	s_delay_alu instid0(VALU_DEP_2) | instskip(SKIP_1) | instid1(VALU_DEP_4)
	v_bfi_b32 v2, v2, 0, v0
	v_lshrrev_b64 v[0:1], v25, v[0:1]
	v_bfi_b32 v3, v3, 0, 0
	s_delay_alu instid0(VALU_DEP_1) | instskip(NEXT) | instid1(VALU_DEP_3)
	v_cmp_eq_u64_e64 s14, v[2:3], v[38:39]
	v_mov_b64_e32 v[2:3], v[0:1]
	s_and_saveexec_b32 s79, s14
; %bb.11107:                            ;   in Loop: Header=BB6_10323 Depth=4
	v_bfe_u32 v2, v0, 21, 1
	v_mov_b32_e32 v3, v113
	s_delay_alu instid0(VALU_DEP_1) | instskip(NEXT) | instid1(VALU_DEP_1)
	v_add_nc_u64_e32 v[2:3], v[0:1], v[2:3]
	v_add_nc_u64_e32 v[2:3], -1, v[2:3]
; %bb.11108:                            ;   in Loop: Header=BB6_10323 Depth=4
	s_or_b32 exec_lo, exec_lo, s79
	v_add_nc_u32_e32 v1, 0xffffff81, v9
	v_lshrrev_b32_e32 v3, 23, v0
	s_mov_b32 s14, exec_lo
	s_delay_alu instid0(VALU_DEP_2) | instskip(NEXT) | instid1(VALU_DEP_1)
	v_cndmask_b32_e64 v1, v1, 0xffffff82, vcc_lo
	v_add3_u32 v3, v25, v1, v3
	v_and_b32_e32 v1, 0x1fffff, v2
                                        ; implicit-def: $vgpr2
	s_delay_alu instid0(VALU_DEP_1) | instskip(SKIP_1) | instid1(VALU_DEP_2)
	v_dual_add_nc_u32 v9, 14, v3 :: v_dual_add_nc_u32 v0, v1, v0
	v_mov_b32_e32 v1, v113
	v_cmpx_ne_u32_e32 0, v9
	s_xor_b32 s14, exec_lo, s14
; %bb.11109:                            ;   in Loop: Header=BB6_10323 Depth=4
	s_delay_alu instid0(VALU_DEP_2) | instskip(SKIP_2) | instid1(VALU_DEP_2)
	v_cmp_lt_u64_e32 vcc_lo, 0xffffff, v[0:1]
	v_add_nc_u32_e32 v2, 15, v3
	v_cndmask_b32_e64 v3, 0, 1, vcc_lo
	v_cndmask_b32_e32 v2, v9, v2, vcc_lo
	s_delay_alu instid0(VALU_DEP_2)
	v_lshrrev_b64 v[0:1], v3, v[0:1]
; %bb.11110:                            ;   in Loop: Header=BB6_10323 Depth=4
	s_and_not1_saveexec_b32 s14, s14
; %bb.11111:                            ;   in Loop: Header=BB6_10323 Depth=4
	s_delay_alu instid0(VALU_DEP_1)
	v_bfe_u32 v2, v0, 23, 1
; %bb.11112:                            ;   in Loop: Header=BB6_10323 Depth=4
	s_or_b32 exec_lo, exec_lo, s14
	s_delay_alu instid0(VALU_DEP_2) | instskip(NEXT) | instid1(VALU_DEP_2)
	v_lshrrev_b64 v[0:1], 21, v[0:1]
	v_cmp_gt_i32_e32 vcc_lo, 32, v2
	v_min_i32_e32 v3, 31, v2
	v_cmp_eq_u32_e64 s14, 0, v2
	s_delay_alu instid0(VALU_DEP_2) | instskip(SKIP_1) | instid1(VALU_DEP_2)
	v_dual_cndmask_b32 v1, 0, v1, vcc_lo :: v_dual_lshlrev_b32 v3, 2, v3
	v_cndmask_b32_e32 v0, 3, v0, vcc_lo
	v_and_b32_e32 v3, 0xfc, v3
	s_delay_alu instid0(VALU_DEP_2) | instskip(NEXT) | instid1(VALU_DEP_2)
	v_cmp_eq_u64_e32 vcc_lo, 0, v[0:1]
	v_and_or_b32 v0, v0, 3, v3
	s_and_b32 s14, s14, vcc_lo
	s_delay_alu instid0(VALU_DEP_1) | instid1(SALU_CYCLE_1)
	v_cndmask_b32_e64 v0, v0, 0, s14
	s_delay_alu instid0(VALU_DEP_1)
	v_or_b32_e32 v9, v0, v7
.LBB6_11113:                            ;   in Loop: Header=BB6_10323 Depth=4
	s_or_b32 exec_lo, exec_lo, s78
                                        ; implicit-def: $vgpr7
.LBB6_11114:                            ;   in Loop: Header=BB6_10323 Depth=4
	s_and_not1_saveexec_b32 s14, s77
; %bb.11115:                            ;   in Loop: Header=BB6_10323 Depth=4
	v_or_b32_e32 v9, 0x7b, v7
; %bb.11116:                            ;   in Loop: Header=BB6_10323 Depth=4
	s_or_b32 exec_lo, exec_lo, s14
                                        ; implicit-def: $vgpr2
                                        ; implicit-def: $vgpr0_vgpr1
                                        ; implicit-def: $vgpr3
.LBB6_11117:                            ;   in Loop: Header=BB6_10323 Depth=4
	s_and_not1_saveexec_b32 s14, s76
	s_cbranch_execz .LBB6_11123
; %bb.11118:                            ;   in Loop: Header=BB6_10323 Depth=4
	s_mov_b32 s76, exec_lo
                                        ; implicit-def: $vgpr9
	v_cmpx_ne_u64_e32 0, v[0:1]
	s_xor_b32 s76, exec_lo, s76
; %bb.11119:                            ;   in Loop: Header=BB6_10323 Depth=4
	v_or_b32_e32 v9, 0x7f, v3
                                        ; implicit-def: $vgpr2
; %bb.11120:                            ;   in Loop: Header=BB6_10323 Depth=4
	s_and_not1_saveexec_b32 s76, s76
; %bb.11121:                            ;   in Loop: Header=BB6_10323 Depth=4
	v_cmp_lt_i32_e32 vcc_lo, -1, v2
	v_mov_b32_e32 v0, 0x7c
	s_delay_alu instid0(VALU_DEP_1)
	v_cndmask_b32_e32 v9, 0xfc, v0, vcc_lo
; %bb.11122:                            ;   in Loop: Header=BB6_10323 Depth=4
	s_or_b32 exec_lo, exec_lo, s76
.LBB6_11123:                            ;   in Loop: Header=BB6_10323 Depth=4
	s_delay_alu instid0(SALU_CYCLE_1) | instskip(SKIP_3) | instid1(VALU_DEP_2)
	s_or_b32 exec_lo, exec_lo, s14
	v_lshrrev_b16 v0, 8, v6
	v_mov_b32_e32 v2, 0
	s_mov_b32 s14, exec_lo
	v_cmpx_ne_u16_e32 0, v0
	s_cbranch_execz .LBB6_11133
; %bb.11124:                            ;   in Loop: Header=BB6_10323 Depth=4
	v_bfrev_b32_e32 v2, 1
	s_mov_b32 s76, exec_lo
	v_cmpx_ne_u16_e32 0x80, v0
	s_cbranch_execz .LBB6_11132
; %bb.11125:                            ;   in Loop: Header=BB6_10323 Depth=4
	v_and_b32_e32 v3, 0xffff, v0
	s_delay_alu instid0(VALU_DEP_1) | instskip(SKIP_1) | instid1(VALU_DEP_2)
	v_and_b32_e32 v2, 0x7c, v3
	v_and_b32_e32 v1, 3, v3
	v_cmp_ne_u32_e32 vcc_lo, 0x7c, v2
                                        ; implicit-def: $vgpr2
	s_and_saveexec_b32 s77, vcc_lo
	s_delay_alu instid0(SALU_CYCLE_1)
	s_xor_b32 s77, exec_lo, s77
	s_cbranch_execz .LBB6_11129
; %bb.11126:                            ;   in Loop: Header=BB6_10323 Depth=4
	v_bfe_u32 v2, v3, 2, 5
	s_mov_b32 s78, exec_lo
	s_delay_alu instid0(VALU_DEP_1)
	v_cmpx_eq_u32_e32 0, v2
	s_cbranch_execz .LBB6_11128
; %bb.11127:                            ;   in Loop: Header=BB6_10323 Depth=4
	v_clz_i32_u32_e32 v1, v1
	s_delay_alu instid0(VALU_DEP_1) | instskip(SKIP_1) | instid1(VALU_DEP_2)
	v_min_u32_e32 v2, 32, v1
	v_mov_b32_e32 v1, v113
	v_subrev_nc_u32_e32 v3, 29, v2
	v_sub_nc_u32_e32 v2, 30, v2
	s_delay_alu instid0(VALU_DEP_2) | instskip(NEXT) | instid1(VALU_DEP_1)
	v_lshlrev_b64_e32 v[0:1], v3, v[0:1]
	v_and_b32_e32 v1, 3, v0
.LBB6_11128:                            ;   in Loop: Header=BB6_10323 Depth=4
	s_or_b32 exec_lo, exec_lo, s78
	v_lshlrev_b32_e32 v0, 16, v6
                                        ; implicit-def: $vgpr6
	s_delay_alu instid0(VALU_DEP_1) | instskip(NEXT) | instid1(VALU_DEP_1)
	v_and_b32_e32 v0, 0x80000000, v0
	v_lshl_add_u32 v0, v2, 23, v0
	s_delay_alu instid0(VALU_DEP_1) | instskip(NEXT) | instid1(VALU_DEP_1)
	v_lshl_or_b32 v0, v1, 21, v0
                                        ; implicit-def: $vgpr1
	v_add_nc_u32_e32 v2, 0x38000000, v0
.LBB6_11129:                            ;   in Loop: Header=BB6_10323 Depth=4
	s_and_not1_saveexec_b32 s77, s77
; %bb.11130:                            ;   in Loop: Header=BB6_10323 Depth=4
	v_cmp_lt_i16_e32 vcc_lo, -1, v6
	v_mov_b32_e32 v0, 0x7f800000
	s_delay_alu instid0(VALU_DEP_1) | instskip(SKIP_1) | instid1(VALU_DEP_2)
	v_cndmask_b32_e32 v0, 0xff800000, v0, vcc_lo
	v_cmp_eq_u32_e32 vcc_lo, 0, v1
	v_cndmask_b32_e32 v2, 0x7f800001, v0, vcc_lo
; %bb.11131:                            ;   in Loop: Header=BB6_10323 Depth=4
	s_or_b32 exec_lo, exec_lo, s77
.LBB6_11132:                            ;   in Loop: Header=BB6_10323 Depth=4
	s_delay_alu instid0(SALU_CYCLE_1)
	s_or_b32 exec_lo, exec_lo, s76
.LBB6_11133:                            ;   in Loop: Header=BB6_10323 Depth=4
	s_delay_alu instid0(SALU_CYCLE_1) | instskip(SKIP_3) | instid1(VALU_DEP_1)
	s_or_b32 exec_lo, exec_lo, s14
	v_lshrrev_b16 v0, 8, v10
	s_mov_b32 s76, 0
	s_mov_b32 s14, exec_lo
	v_cmpx_lt_i16_e32 0x7f, v0
	s_xor_b32 s14, exec_lo, s14
	s_cbranch_execz .LBB6_11376
; %bb.11134:                            ;   in Loop: Header=BB6_10323 Depth=4
	s_mov_b32 s76, -1
	s_mov_b32 s77, exec_lo
	v_cmpx_eq_u16_e32 0x80, v0
; %bb.11135:                            ;   in Loop: Header=BB6_10323 Depth=4
	s_xor_b32 s76, exec_lo, -1
; %bb.11136:                            ;   in Loop: Header=BB6_10323 Depth=4
	s_or_b32 exec_lo, exec_lo, s77
	s_delay_alu instid0(SALU_CYCLE_1)
	s_and_b32 s76, s76, exec_lo
	s_or_saveexec_b32 s14, s14
	v_bfrev_b32_e32 v1, 1
	s_xor_b32 exec_lo, exec_lo, s14
	s_cbranch_execnz .LBB6_11377
.LBB6_11137:                            ;   in Loop: Header=BB6_10323 Depth=4
	s_or_b32 exec_lo, exec_lo, s14
	s_and_saveexec_b32 s14, s76
	s_cbranch_execz .LBB6_11139
.LBB6_11138:                            ;   in Loop: Header=BB6_10323 Depth=4
	v_and_b32_e32 v3, 0xffff, v0
	s_delay_alu instid0(VALU_DEP_1) | instskip(NEXT) | instid1(VALU_DEP_1)
	v_and_b32_e32 v25, 3, v3
	v_clz_i32_u32_e32 v1, v25
	s_delay_alu instid0(VALU_DEP_1) | instskip(SKIP_1) | instid1(VALU_DEP_2)
	v_min_u32_e32 v29, 32, v1
	v_mov_b32_e32 v1, v113
	v_subrev_nc_u32_e32 v6, 29, v29
	s_delay_alu instid0(VALU_DEP_1) | instskip(SKIP_3) | instid1(VALU_DEP_3)
	v_lshlrev_b64_e32 v[6:7], v6, v[0:1]
	v_bfe_u32 v1, v3, 2, 5
	v_dual_lshlrev_b32 v0, 24, v0 :: v_dual_sub_nc_u32 v7, 30, v29
	v_and_b32_e32 v3, 0x7c, v3
	v_cmp_eq_u32_e32 vcc_lo, 0, v1
	s_delay_alu instid0(VALU_DEP_3) | instskip(NEXT) | instid1(VALU_DEP_4)
	v_and_b32_e32 v0, 0x80000000, v0
	v_dual_cndmask_b32 v1, v1, v7, vcc_lo :: v_dual_bitop2_b32 v6, 3, v6 bitop3:0x40
	s_delay_alu instid0(VALU_DEP_1) | instskip(SKIP_1) | instid1(VALU_DEP_3)
	v_cndmask_b32_e32 v6, v25, v6, vcc_lo
	v_cmp_lt_i16_e32 vcc_lo, -1, v10
	v_lshl_add_u32 v0, v1, 23, v0
	v_mov_b32_e32 v1, 0x7f800000
	s_delay_alu instid0(VALU_DEP_2) | instskip(NEXT) | instid1(VALU_DEP_2)
	v_lshl_or_b32 v0, v6, 21, v0
	v_cndmask_b32_e32 v1, 0xff800000, v1, vcc_lo
	v_cmp_eq_u32_e32 vcc_lo, 0, v25
	s_delay_alu instid0(VALU_DEP_3) | instskip(NEXT) | instid1(VALU_DEP_3)
	v_add_nc_u32_e32 v0, 0x38000000, v0
	v_cndmask_b32_e32 v1, 0x7f800001, v1, vcc_lo
	v_cmp_eq_u32_e32 vcc_lo, 0x7c, v3
	s_delay_alu instid0(VALU_DEP_2)
	v_cndmask_b32_e32 v1, v0, v1, vcc_lo
.LBB6_11139:                            ;   in Loop: Header=BB6_10323 Depth=4
	s_or_b32 exec_lo, exec_lo, s14
	s_delay_alu instid0(VALU_DEP_1) | instskip(SKIP_2) | instid1(VALU_DEP_2)
	v_dual_add_f32 v2, v2, v1 :: v_dual_mov_b32 v7, v113
	v_mov_b32_e32 v1, v113
                                        ; implicit-def: $vgpr25
	s_mov_b32 s14, exec_lo
	v_and_b32_e32 v6, 0x7f800000, v2
	v_and_b32_e32 v0, 0x7fffff, v2
	v_lshrrev_b32_e32 v3, 24, v2
	s_delay_alu instid0(VALU_DEP_3)
	v_cmpx_ne_u64_e32 0x7f800000, v[6:7]
	s_xor_b32 s76, exec_lo, s14
	s_cbranch_execz .LBB6_11153
; %bb.11140:                            ;   in Loop: Header=BB6_10323 Depth=4
	v_and_b32_e32 v6, 0x7fffffff, v2
	v_mov_b32_e32 v7, v113
                                        ; implicit-def: $vgpr25
	s_delay_alu instid0(VALU_DEP_1) | instskip(SKIP_2) | instid1(SALU_CYCLE_1)
	v_cmp_gt_u64_e32 vcc_lo, 0x47600001, v[6:7]
	v_and_b32_e32 v6, 0x80, v3
	s_and_saveexec_b32 s14, vcc_lo
	s_xor_b32 s77, exec_lo, s14
	s_cbranch_execz .LBB6_11150
; %bb.11141:                            ;   in Loop: Header=BB6_10323 Depth=4
	v_mov_b32_e32 v25, 0
	s_mov_b32 s78, exec_lo
	v_cmpx_ne_u32_e32 0, v2
	s_cbranch_execz .LBB6_11149
; %bb.11142:                            ;   in Loop: Header=BB6_10323 Depth=4
	v_bfe_u32 v7, v2, 23, 8
	v_or_b32_e32 v29, 0x800000, v0
	s_delay_alu instid0(VALU_DEP_2) | instskip(SKIP_1) | instid1(VALU_DEP_2)
	v_sub_nc_u32_e32 v2, 0x71, v7
	v_cmp_gt_u32_e32 vcc_lo, 0x72, v7
	v_cndmask_b32_e32 v2, 0, v2, vcc_lo
	v_cmp_eq_u32_e32 vcc_lo, 0, v7
	s_delay_alu instid0(VALU_DEP_2) | instskip(NEXT) | instid1(VALU_DEP_1)
	v_cndmask_b32_e64 v25, v2, 0x70, vcc_lo
	v_dual_cndmask_b32 v0, v29, v0, vcc_lo :: v_dual_add_nc_u32 v2, 21, v25
	v_add_nc_u32_e32 v32, 20, v25
	s_delay_alu instid0(VALU_DEP_2) | instskip(NEXT) | instid1(VALU_DEP_2)
	v_lshlrev_b64_e64 v[2:3], v2, -1
	v_lshlrev_b64_e64 v[38:39], v32, 1
	s_delay_alu instid0(VALU_DEP_2) | instskip(SKIP_1) | instid1(VALU_DEP_4)
	v_bfi_b32 v2, v2, 0, v0
	v_lshrrev_b64 v[0:1], v25, v[0:1]
	v_bfi_b32 v3, v3, 0, 0
	s_delay_alu instid0(VALU_DEP_1) | instskip(NEXT) | instid1(VALU_DEP_3)
	v_cmp_eq_u64_e64 s14, v[2:3], v[38:39]
	v_mov_b64_e32 v[2:3], v[0:1]
	s_and_saveexec_b32 s79, s14
; %bb.11143:                            ;   in Loop: Header=BB6_10323 Depth=4
	v_bfe_u32 v2, v0, 21, 1
	v_mov_b32_e32 v3, v113
	s_delay_alu instid0(VALU_DEP_1) | instskip(NEXT) | instid1(VALU_DEP_1)
	v_add_nc_u64_e32 v[2:3], v[0:1], v[2:3]
	v_add_nc_u64_e32 v[2:3], -1, v[2:3]
; %bb.11144:                            ;   in Loop: Header=BB6_10323 Depth=4
	s_or_b32 exec_lo, exec_lo, s79
	v_add_nc_u32_e32 v1, 0xffffff81, v7
	v_lshrrev_b32_e32 v3, 23, v0
	s_mov_b32 s14, exec_lo
	s_delay_alu instid0(VALU_DEP_2) | instskip(NEXT) | instid1(VALU_DEP_1)
	v_cndmask_b32_e64 v1, v1, 0xffffff82, vcc_lo
	v_add3_u32 v3, v25, v1, v3
	v_and_b32_e32 v1, 0x1fffff, v2
                                        ; implicit-def: $vgpr2
	s_delay_alu instid0(VALU_DEP_1) | instskip(SKIP_1) | instid1(VALU_DEP_2)
	v_dual_add_nc_u32 v7, 14, v3 :: v_dual_add_nc_u32 v0, v1, v0
	v_mov_b32_e32 v1, v113
	v_cmpx_ne_u32_e32 0, v7
	s_xor_b32 s14, exec_lo, s14
; %bb.11145:                            ;   in Loop: Header=BB6_10323 Depth=4
	s_delay_alu instid0(VALU_DEP_2) | instskip(SKIP_2) | instid1(VALU_DEP_2)
	v_cmp_lt_u64_e32 vcc_lo, 0xffffff, v[0:1]
	v_add_nc_u32_e32 v2, 15, v3
	v_cndmask_b32_e64 v3, 0, 1, vcc_lo
	v_cndmask_b32_e32 v2, v7, v2, vcc_lo
	s_delay_alu instid0(VALU_DEP_2)
	v_lshrrev_b64 v[0:1], v3, v[0:1]
; %bb.11146:                            ;   in Loop: Header=BB6_10323 Depth=4
	s_and_not1_saveexec_b32 s14, s14
; %bb.11147:                            ;   in Loop: Header=BB6_10323 Depth=4
	s_delay_alu instid0(VALU_DEP_1)
	v_bfe_u32 v2, v0, 23, 1
; %bb.11148:                            ;   in Loop: Header=BB6_10323 Depth=4
	s_or_b32 exec_lo, exec_lo, s14
	s_delay_alu instid0(VALU_DEP_2) | instskip(NEXT) | instid1(VALU_DEP_2)
	v_lshrrev_b64 v[0:1], 21, v[0:1]
	v_cmp_gt_i32_e32 vcc_lo, 32, v2
	v_min_i32_e32 v3, 31, v2
	v_cmp_eq_u32_e64 s14, 0, v2
	s_delay_alu instid0(VALU_DEP_2) | instskip(SKIP_1) | instid1(VALU_DEP_2)
	v_dual_cndmask_b32 v1, 0, v1, vcc_lo :: v_dual_lshlrev_b32 v3, 2, v3
	v_cndmask_b32_e32 v0, 3, v0, vcc_lo
	v_and_b32_e32 v3, 0xfc, v3
	s_delay_alu instid0(VALU_DEP_2) | instskip(NEXT) | instid1(VALU_DEP_2)
	v_cmp_eq_u64_e32 vcc_lo, 0, v[0:1]
	v_and_or_b32 v0, v0, 3, v3
	s_and_b32 s14, s14, vcc_lo
	s_delay_alu instid0(VALU_DEP_1) | instid1(SALU_CYCLE_1)
	v_cndmask_b32_e64 v0, v0, 0, s14
	s_delay_alu instid0(VALU_DEP_1)
	v_or_b32_e32 v25, v0, v6
.LBB6_11149:                            ;   in Loop: Header=BB6_10323 Depth=4
	s_or_b32 exec_lo, exec_lo, s78
                                        ; implicit-def: $vgpr6
.LBB6_11150:                            ;   in Loop: Header=BB6_10323 Depth=4
	s_and_not1_saveexec_b32 s14, s77
; %bb.11151:                            ;   in Loop: Header=BB6_10323 Depth=4
	v_or_b32_e32 v25, 0x7b, v6
; %bb.11152:                            ;   in Loop: Header=BB6_10323 Depth=4
	s_or_b32 exec_lo, exec_lo, s14
                                        ; implicit-def: $vgpr2
                                        ; implicit-def: $vgpr0_vgpr1
                                        ; implicit-def: $vgpr3
.LBB6_11153:                            ;   in Loop: Header=BB6_10323 Depth=4
	s_and_not1_saveexec_b32 s14, s76
	s_cbranch_execz .LBB6_11159
; %bb.11154:                            ;   in Loop: Header=BB6_10323 Depth=4
	s_mov_b32 s76, exec_lo
                                        ; implicit-def: $vgpr25
	v_cmpx_ne_u64_e32 0, v[0:1]
	s_xor_b32 s76, exec_lo, s76
; %bb.11155:                            ;   in Loop: Header=BB6_10323 Depth=4
	v_or_b32_e32 v25, 0x7f, v3
                                        ; implicit-def: $vgpr2
; %bb.11156:                            ;   in Loop: Header=BB6_10323 Depth=4
	s_and_not1_saveexec_b32 s76, s76
; %bb.11157:                            ;   in Loop: Header=BB6_10323 Depth=4
	v_cmp_lt_i32_e32 vcc_lo, -1, v2
	v_mov_b32_e32 v0, 0x7c
	s_delay_alu instid0(VALU_DEP_1)
	v_cndmask_b32_e32 v25, 0xfc, v0, vcc_lo
; %bb.11158:                            ;   in Loop: Header=BB6_10323 Depth=4
	s_or_b32 exec_lo, exec_lo, s76
.LBB6_11159:                            ;   in Loop: Header=BB6_10323 Depth=4
	s_delay_alu instid0(SALU_CYCLE_1) | instskip(SKIP_2) | instid1(VALU_DEP_1)
	s_or_b32 exec_lo, exec_lo, s14
	v_dual_mov_b32 v1, 0 :: v_dual_lshrrev_b32 v0, 16, v112
	s_mov_b32 s14, exec_lo
	v_and_b32_e32 v2, 0xff, v0
	s_delay_alu instid0(VALU_DEP_1)
	v_cmpx_ne_u16_e32 0, v2
	s_cbranch_execz .LBB6_11169
; %bb.11160:                            ;   in Loop: Header=BB6_10323 Depth=4
	v_bfrev_b32_e32 v1, 1
	s_mov_b32 s76, exec_lo
	v_cmpx_ne_u16_e32 0x80, v2
	s_cbranch_execz .LBB6_11168
; %bb.11161:                            ;   in Loop: Header=BB6_10323 Depth=4
	v_and_b32_e32 v1, 0x7c0000, v112
	v_bfe_u32 v2, v112, 16, 2
	s_delay_alu instid0(VALU_DEP_2) | instskip(SKIP_1) | instid1(SALU_CYCLE_1)
	v_cmp_ne_u32_e32 vcc_lo, 0x7c0000, v1
                                        ; implicit-def: $vgpr1
	s_and_saveexec_b32 s77, vcc_lo
	s_xor_b32 s77, exec_lo, s77
	s_cbranch_execz .LBB6_11165
; %bb.11162:                            ;   in Loop: Header=BB6_10323 Depth=4
	v_bfe_u32 v1, v112, 18, 5
	s_mov_b32 s78, exec_lo
	s_delay_alu instid0(VALU_DEP_1)
	v_cmpx_eq_u32_e32 0, v1
; %bb.11163:                            ;   in Loop: Header=BB6_10323 Depth=4
	v_clz_i32_u32_e32 v1, v2
	s_delay_alu instid0(VALU_DEP_1) | instskip(NEXT) | instid1(VALU_DEP_1)
	v_min_u32_e32 v1, 32, v1
	v_subrev_nc_u32_e32 v2, 29, v1
	s_delay_alu instid0(VALU_DEP_1) | instskip(NEXT) | instid1(VALU_DEP_1)
	v_lshlrev_b64_e32 v[2:3], v2, v[0:1]
	v_dual_sub_nc_u32 v1, 30, v1 :: v_dual_bitop2_b32 v2, 3, v2 bitop3:0x40
; %bb.11164:                            ;   in Loop: Header=BB6_10323 Depth=4
	s_or_b32 exec_lo, exec_lo, s78
	v_lshlrev_b32_e32 v0, 24, v0
	s_delay_alu instid0(VALU_DEP_1) | instskip(NEXT) | instid1(VALU_DEP_1)
	v_and_b32_e32 v0, 0x80000000, v0
	v_lshl_add_u32 v0, v1, 23, v0
	s_delay_alu instid0(VALU_DEP_1) | instskip(NEXT) | instid1(VALU_DEP_1)
	v_lshl_or_b32 v0, v2, 21, v0
                                        ; implicit-def: $vgpr2
	v_add_nc_u32_e32 v1, 0x38000000, v0
                                        ; implicit-def: $vgpr0
.LBB6_11165:                            ;   in Loop: Header=BB6_10323 Depth=4
	s_and_not1_saveexec_b32 s77, s77
; %bb.11166:                            ;   in Loop: Header=BB6_10323 Depth=4
	v_bfe_i32 v0, v0, 0, 8
	s_delay_alu instid0(VALU_DEP_1) | instskip(SKIP_1) | instid1(VALU_DEP_1)
	v_cmp_lt_i16_e32 vcc_lo, -1, v0
	v_mov_b32_e32 v0, 0x7f800000
	v_cndmask_b32_e32 v0, 0xff800000, v0, vcc_lo
	v_cmp_eq_u32_e32 vcc_lo, 0, v2
	s_delay_alu instid0(VALU_DEP_2)
	v_cndmask_b32_e32 v1, 0x7f800001, v0, vcc_lo
; %bb.11167:                            ;   in Loop: Header=BB6_10323 Depth=4
	s_or_b32 exec_lo, exec_lo, s77
.LBB6_11168:                            ;   in Loop: Header=BB6_10323 Depth=4
	s_delay_alu instid0(SALU_CYCLE_1)
	s_or_b32 exec_lo, exec_lo, s76
.LBB6_11169:                            ;   in Loop: Header=BB6_10323 Depth=4
	s_delay_alu instid0(SALU_CYCLE_1) | instskip(SKIP_3) | instid1(VALU_DEP_1)
	s_or_b32 exec_lo, exec_lo, s14
	v_lshrrev_b32_e32 v0, 16, v10
	s_mov_b32 s76, 0
	s_mov_b32 s14, exec_lo
	v_and_b32_e32 v3, 0xff, v0
	s_delay_alu instid0(VALU_DEP_1)
	v_cmpx_lt_i16_e32 0x7f, v3
	s_xor_b32 s14, exec_lo, s14
	s_cbranch_execz .LBB6_11378
; %bb.11170:                            ;   in Loop: Header=BB6_10323 Depth=4
	s_mov_b32 s76, -1
	s_mov_b32 s77, exec_lo
	v_cmpx_eq_u16_e32 0x80, v3
; %bb.11171:                            ;   in Loop: Header=BB6_10323 Depth=4
	s_xor_b32 s76, exec_lo, -1
; %bb.11172:                            ;   in Loop: Header=BB6_10323 Depth=4
	s_or_b32 exec_lo, exec_lo, s77
	s_delay_alu instid0(SALU_CYCLE_1)
	s_and_b32 s76, s76, exec_lo
                                        ; implicit-def: $vgpr3
	s_or_saveexec_b32 s14, s14
	v_bfrev_b32_e32 v2, 1
	s_xor_b32 exec_lo, exec_lo, s14
	s_cbranch_execnz .LBB6_11379
.LBB6_11173:                            ;   in Loop: Header=BB6_10323 Depth=4
	s_or_b32 exec_lo, exec_lo, s14
	s_and_saveexec_b32 s14, s76
	s_cbranch_execz .LBB6_11175
.LBB6_11174:                            ;   in Loop: Header=BB6_10323 Depth=4
	v_and_b32_e32 v6, 3, v0
	v_bfe_u32 v29, v10, 18, 5
	s_delay_alu instid0(VALU_DEP_2) | instskip(NEXT) | instid1(VALU_DEP_2)
	v_clz_i32_u32_e32 v2, v6
	v_cmp_eq_u32_e32 vcc_lo, 0, v29
	s_delay_alu instid0(VALU_DEP_2) | instskip(NEXT) | instid1(VALU_DEP_1)
	v_min_u32_e32 v7, 32, v2
	v_subrev_nc_u32_e32 v2, 29, v7
	s_delay_alu instid0(VALU_DEP_1) | instskip(SKIP_2) | instid1(VALU_DEP_2)
	v_lshlrev_b64_e32 v[2:3], v2, v[0:1]
	v_dual_lshlrev_b32 v3, 24, v0 :: v_dual_sub_nc_u32 v7, 30, v7
	v_bfe_i32 v0, v0, 0, 8
	v_and_b32_e32 v3, 0x80000000, v3
	s_delay_alu instid0(VALU_DEP_3) | instskip(NEXT) | instid1(VALU_DEP_1)
	v_dual_cndmask_b32 v7, v29, v7, vcc_lo :: v_dual_bitop2_b32 v2, 3, v2 bitop3:0x40
	v_cndmask_b32_e32 v2, v6, v2, vcc_lo
	s_delay_alu instid0(VALU_DEP_2) | instskip(SKIP_2) | instid1(VALU_DEP_3)
	v_lshl_add_u32 v3, v7, 23, v3
	v_cmp_lt_i16_e32 vcc_lo, -1, v0
	v_mov_b32_e32 v0, 0x7f800000
	v_lshl_or_b32 v2, v2, 21, v3
	v_and_b32_e32 v3, 0x7c0000, v10
	s_delay_alu instid0(VALU_DEP_3) | instskip(SKIP_1) | instid1(VALU_DEP_4)
	v_cndmask_b32_e32 v0, 0xff800000, v0, vcc_lo
	v_cmp_eq_u32_e32 vcc_lo, 0, v6
	v_add_nc_u32_e32 v2, 0x38000000, v2
	s_delay_alu instid0(VALU_DEP_3) | instskip(SKIP_1) | instid1(VALU_DEP_2)
	v_cndmask_b32_e32 v0, 0x7f800001, v0, vcc_lo
	v_cmp_eq_u32_e32 vcc_lo, 0x7c0000, v3
	v_cndmask_b32_e32 v2, v2, v0, vcc_lo
.LBB6_11175:                            ;   in Loop: Header=BB6_10323 Depth=4
	s_or_b32 exec_lo, exec_lo, s14
	s_delay_alu instid0(VALU_DEP_1) | instskip(SKIP_2) | instid1(VALU_DEP_2)
	v_add_f32_e32 v2, v1, v2
	v_dual_mov_b32 v7, v113 :: v_dual_mov_b32 v1, v113
                                        ; implicit-def: $vgpr29
	s_mov_b32 s14, exec_lo
	v_and_b32_e32 v6, 0x7f800000, v2
	v_and_b32_e32 v0, 0x7fffff, v2
	v_lshrrev_b32_e32 v3, 24, v2
	s_delay_alu instid0(VALU_DEP_3)
	v_cmpx_ne_u64_e32 0x7f800000, v[6:7]
	s_xor_b32 s76, exec_lo, s14
	s_cbranch_execz .LBB6_11189
; %bb.11176:                            ;   in Loop: Header=BB6_10323 Depth=4
	v_and_b32_e32 v6, 0x7fffffff, v2
	v_mov_b32_e32 v7, v113
                                        ; implicit-def: $vgpr29
	s_delay_alu instid0(VALU_DEP_1) | instskip(SKIP_2) | instid1(SALU_CYCLE_1)
	v_cmp_gt_u64_e32 vcc_lo, 0x47600001, v[6:7]
	v_and_b32_e32 v6, 0x80, v3
	s_and_saveexec_b32 s14, vcc_lo
	s_xor_b32 s77, exec_lo, s14
	s_cbranch_execz .LBB6_11186
; %bb.11177:                            ;   in Loop: Header=BB6_10323 Depth=4
	v_mov_b32_e32 v29, 0
	s_mov_b32 s78, exec_lo
	v_cmpx_ne_u32_e32 0, v2
	s_cbranch_execz .LBB6_11185
; %bb.11178:                            ;   in Loop: Header=BB6_10323 Depth=4
	v_bfe_u32 v7, v2, 23, 8
	v_or_b32_e32 v32, 0x800000, v0
	s_delay_alu instid0(VALU_DEP_2) | instskip(SKIP_1) | instid1(VALU_DEP_2)
	v_sub_nc_u32_e32 v2, 0x71, v7
	v_cmp_gt_u32_e32 vcc_lo, 0x72, v7
	v_cndmask_b32_e32 v2, 0, v2, vcc_lo
	v_cmp_eq_u32_e32 vcc_lo, 0, v7
	s_delay_alu instid0(VALU_DEP_2) | instskip(NEXT) | instid1(VALU_DEP_1)
	v_cndmask_b32_e64 v29, v2, 0x70, vcc_lo
	v_dual_cndmask_b32 v0, v32, v0, vcc_lo :: v_dual_add_nc_u32 v2, 21, v29
	v_add_nc_u32_e32 v34, 20, v29
	s_delay_alu instid0(VALU_DEP_2) | instskip(NEXT) | instid1(VALU_DEP_2)
	v_lshlrev_b64_e64 v[2:3], v2, -1
	v_lshlrev_b64_e64 v[38:39], v34, 1
	s_delay_alu instid0(VALU_DEP_2) | instskip(SKIP_1) | instid1(VALU_DEP_4)
	v_bfi_b32 v2, v2, 0, v0
	v_lshrrev_b64 v[0:1], v29, v[0:1]
	v_bfi_b32 v3, v3, 0, 0
	s_delay_alu instid0(VALU_DEP_1) | instskip(NEXT) | instid1(VALU_DEP_3)
	v_cmp_eq_u64_e64 s14, v[2:3], v[38:39]
	v_mov_b64_e32 v[2:3], v[0:1]
	s_and_saveexec_b32 s79, s14
; %bb.11179:                            ;   in Loop: Header=BB6_10323 Depth=4
	v_bfe_u32 v2, v0, 21, 1
	v_mov_b32_e32 v3, v113
	s_delay_alu instid0(VALU_DEP_1) | instskip(NEXT) | instid1(VALU_DEP_1)
	v_add_nc_u64_e32 v[2:3], v[0:1], v[2:3]
	v_add_nc_u64_e32 v[2:3], -1, v[2:3]
; %bb.11180:                            ;   in Loop: Header=BB6_10323 Depth=4
	s_or_b32 exec_lo, exec_lo, s79
	v_add_nc_u32_e32 v1, 0xffffff81, v7
	v_lshrrev_b32_e32 v3, 23, v0
	s_mov_b32 s14, exec_lo
	s_delay_alu instid0(VALU_DEP_2) | instskip(NEXT) | instid1(VALU_DEP_1)
	v_cndmask_b32_e64 v1, v1, 0xffffff82, vcc_lo
	v_add3_u32 v3, v29, v1, v3
	v_and_b32_e32 v1, 0x1fffff, v2
                                        ; implicit-def: $vgpr2
	s_delay_alu instid0(VALU_DEP_1) | instskip(SKIP_1) | instid1(VALU_DEP_2)
	v_dual_add_nc_u32 v7, 14, v3 :: v_dual_add_nc_u32 v0, v1, v0
	v_mov_b32_e32 v1, v113
	v_cmpx_ne_u32_e32 0, v7
	s_xor_b32 s14, exec_lo, s14
; %bb.11181:                            ;   in Loop: Header=BB6_10323 Depth=4
	s_delay_alu instid0(VALU_DEP_2) | instskip(SKIP_2) | instid1(VALU_DEP_2)
	v_cmp_lt_u64_e32 vcc_lo, 0xffffff, v[0:1]
	v_add_nc_u32_e32 v2, 15, v3
	v_cndmask_b32_e64 v3, 0, 1, vcc_lo
	v_cndmask_b32_e32 v2, v7, v2, vcc_lo
	s_delay_alu instid0(VALU_DEP_2)
	v_lshrrev_b64 v[0:1], v3, v[0:1]
; %bb.11182:                            ;   in Loop: Header=BB6_10323 Depth=4
	s_and_not1_saveexec_b32 s14, s14
; %bb.11183:                            ;   in Loop: Header=BB6_10323 Depth=4
	s_delay_alu instid0(VALU_DEP_1)
	v_bfe_u32 v2, v0, 23, 1
; %bb.11184:                            ;   in Loop: Header=BB6_10323 Depth=4
	s_or_b32 exec_lo, exec_lo, s14
	s_delay_alu instid0(VALU_DEP_2) | instskip(NEXT) | instid1(VALU_DEP_2)
	v_lshrrev_b64 v[0:1], 21, v[0:1]
	v_cmp_gt_i32_e32 vcc_lo, 32, v2
	v_min_i32_e32 v3, 31, v2
	v_cmp_eq_u32_e64 s14, 0, v2
	s_delay_alu instid0(VALU_DEP_2) | instskip(SKIP_1) | instid1(VALU_DEP_2)
	v_dual_cndmask_b32 v1, 0, v1, vcc_lo :: v_dual_lshlrev_b32 v3, 2, v3
	v_cndmask_b32_e32 v0, 3, v0, vcc_lo
	v_and_b32_e32 v3, 0xfc, v3
	s_delay_alu instid0(VALU_DEP_2) | instskip(NEXT) | instid1(VALU_DEP_2)
	v_cmp_eq_u64_e32 vcc_lo, 0, v[0:1]
	v_and_or_b32 v0, v0, 3, v3
	s_and_b32 s14, s14, vcc_lo
	s_delay_alu instid0(VALU_DEP_1) | instid1(SALU_CYCLE_1)
	v_cndmask_b32_e64 v0, v0, 0, s14
	s_delay_alu instid0(VALU_DEP_1)
	v_or_b32_e32 v29, v0, v6
.LBB6_11185:                            ;   in Loop: Header=BB6_10323 Depth=4
	s_or_b32 exec_lo, exec_lo, s78
                                        ; implicit-def: $vgpr6
.LBB6_11186:                            ;   in Loop: Header=BB6_10323 Depth=4
	s_and_not1_saveexec_b32 s14, s77
; %bb.11187:                            ;   in Loop: Header=BB6_10323 Depth=4
	v_or_b32_e32 v29, 0x7b, v6
; %bb.11188:                            ;   in Loop: Header=BB6_10323 Depth=4
	s_or_b32 exec_lo, exec_lo, s14
                                        ; implicit-def: $vgpr2
                                        ; implicit-def: $vgpr0_vgpr1
                                        ; implicit-def: $vgpr3
.LBB6_11189:                            ;   in Loop: Header=BB6_10323 Depth=4
	s_and_not1_saveexec_b32 s14, s76
	s_cbranch_execz .LBB6_11195
; %bb.11190:                            ;   in Loop: Header=BB6_10323 Depth=4
	s_mov_b32 s76, exec_lo
                                        ; implicit-def: $vgpr29
	v_cmpx_ne_u64_e32 0, v[0:1]
	s_xor_b32 s76, exec_lo, s76
; %bb.11191:                            ;   in Loop: Header=BB6_10323 Depth=4
	v_or_b32_e32 v29, 0x7f, v3
                                        ; implicit-def: $vgpr2
; %bb.11192:                            ;   in Loop: Header=BB6_10323 Depth=4
	s_and_not1_saveexec_b32 s76, s76
; %bb.11193:                            ;   in Loop: Header=BB6_10323 Depth=4
	v_cmp_lt_i32_e32 vcc_lo, -1, v2
	v_mov_b32_e32 v0, 0x7c
	s_delay_alu instid0(VALU_DEP_1)
	v_cndmask_b32_e32 v29, 0xfc, v0, vcc_lo
; %bb.11194:                            ;   in Loop: Header=BB6_10323 Depth=4
	s_or_b32 exec_lo, exec_lo, s76
.LBB6_11195:                            ;   in Loop: Header=BB6_10323 Depth=4
	s_delay_alu instid0(SALU_CYCLE_1)
	s_or_b32 exec_lo, exec_lo, s14
	v_mov_b32_e32 v1, 0
	s_mov_b32 s14, exec_lo
	v_cmpx_lt_u32_e32 0xffffff, v112
	s_cbranch_execz .LBB6_11205
; %bb.11196:                            ;   in Loop: Header=BB6_10323 Depth=4
	v_lshrrev_b32_e32 v0, 24, v112
	v_bfrev_b32_e32 v1, 1
	s_mov_b32 s76, exec_lo
	s_delay_alu instid0(VALU_DEP_2)
	v_cmpx_ne_u32_e32 0x80, v0
	s_cbranch_execz .LBB6_11204
; %bb.11197:                            ;   in Loop: Header=BB6_10323 Depth=4
	v_and_b32_e32 v1, 0x7c000000, v112
	v_bfe_u32 v2, v112, 24, 2
	s_delay_alu instid0(VALU_DEP_2) | instskip(SKIP_1) | instid1(SALU_CYCLE_1)
	v_cmp_ne_u32_e32 vcc_lo, 0x7c000000, v1
                                        ; implicit-def: $vgpr1
	s_and_saveexec_b32 s77, vcc_lo
	s_xor_b32 s77, exec_lo, s77
	s_cbranch_execz .LBB6_11201
; %bb.11198:                            ;   in Loop: Header=BB6_10323 Depth=4
	v_bfe_u32 v1, v112, 26, 5
	s_mov_b32 s78, exec_lo
	s_delay_alu instid0(VALU_DEP_1)
	v_cmpx_eq_u32_e32 0, v1
; %bb.11199:                            ;   in Loop: Header=BB6_10323 Depth=4
	v_clz_i32_u32_e32 v1, v2
	s_delay_alu instid0(VALU_DEP_1) | instskip(NEXT) | instid1(VALU_DEP_1)
	v_min_u32_e32 v2, 32, v1
	v_subrev_nc_u32_e32 v1, 29, v2
	s_delay_alu instid0(VALU_DEP_1) | instskip(NEXT) | instid1(VALU_DEP_1)
	v_lshlrev_b64_e32 v[0:1], v1, v[0:1]
	v_dual_sub_nc_u32 v1, 30, v2 :: v_dual_bitop2_b32 v2, 3, v0 bitop3:0x40
; %bb.11200:                            ;   in Loop: Header=BB6_10323 Depth=4
	s_or_b32 exec_lo, exec_lo, s78
	v_and_b32_e32 v0, 0x80000000, v112
	s_delay_alu instid0(VALU_DEP_1) | instskip(NEXT) | instid1(VALU_DEP_1)
	v_lshl_add_u32 v0, v1, 23, v0
	v_lshl_or_b32 v0, v2, 21, v0
                                        ; implicit-def: $vgpr2
	s_delay_alu instid0(VALU_DEP_1)
	v_add_nc_u32_e32 v1, 0x38000000, v0
.LBB6_11201:                            ;   in Loop: Header=BB6_10323 Depth=4
	s_and_not1_saveexec_b32 s77, s77
; %bb.11202:                            ;   in Loop: Header=BB6_10323 Depth=4
	v_cmp_lt_i32_e32 vcc_lo, -1, v112
	v_mov_b32_e32 v0, 0x7f800000
	s_delay_alu instid0(VALU_DEP_1) | instskip(SKIP_1) | instid1(VALU_DEP_2)
	v_cndmask_b32_e32 v0, 0xff800000, v0, vcc_lo
	v_cmp_eq_u32_e32 vcc_lo, 0, v2
	v_cndmask_b32_e32 v1, 0x7f800001, v0, vcc_lo
; %bb.11203:                            ;   in Loop: Header=BB6_10323 Depth=4
	s_or_b32 exec_lo, exec_lo, s77
.LBB6_11204:                            ;   in Loop: Header=BB6_10323 Depth=4
	s_delay_alu instid0(SALU_CYCLE_1)
	s_or_b32 exec_lo, exec_lo, s76
.LBB6_11205:                            ;   in Loop: Header=BB6_10323 Depth=4
	s_delay_alu instid0(SALU_CYCLE_1) | instskip(SKIP_3) | instid1(VALU_DEP_2)
	s_or_b32 exec_lo, exec_lo, s14
	v_bfe_u32 v6, v10, 24, 2
	v_bfe_u32 v32, v10, 26, 5
	s_mov_b32 s14, exec_lo
	v_clz_i32_u32_e32 v0, v6
	s_delay_alu instid0(VALU_DEP_2) | instskip(NEXT) | instid1(VALU_DEP_2)
	v_cmp_eq_u32_e32 vcc_lo, 0, v32
	v_min_u32_e32 v7, 32, v0
	v_lshrrev_b32_e32 v0, 24, v10
	s_delay_alu instid0(VALU_DEP_2) | instskip(NEXT) | instid1(VALU_DEP_1)
	v_subrev_nc_u32_e32 v2, 29, v7
	v_lshlrev_b64_e32 v[2:3], v2, v[0:1]
	v_sub_nc_u32_e32 v3, 30, v7
	v_and_b32_e32 v7, 0x80000000, v10
	s_delay_alu instid0(VALU_DEP_2) | instskip(NEXT) | instid1(VALU_DEP_1)
	v_dual_cndmask_b32 v3, v32, v3, vcc_lo :: v_dual_bitop2_b32 v2, 3, v2 bitop3:0x40
                                        ; implicit-def: $vgpr32
	v_lshl_add_u32 v3, v3, 23, v7
	s_delay_alu instid0(VALU_DEP_2) | instskip(SKIP_1) | instid1(VALU_DEP_2)
	v_dual_cndmask_b32 v2, v6, v2 :: v_dual_mov_b32 v7, 0x7f800000
	v_cmp_lt_i32_e32 vcc_lo, -1, v10
	v_lshl_or_b32 v2, v2, 21, v3
	v_and_b32_e32 v3, 0x7c000000, v10
	s_delay_alu instid0(VALU_DEP_4) | instskip(SKIP_1) | instid1(VALU_DEP_4)
	v_cndmask_b32_e32 v7, 0xff800000, v7, vcc_lo
	v_cmp_eq_u32_e32 vcc_lo, 0, v6
	v_add_nc_u32_e32 v2, 0x38000000, v2
	s_delay_alu instid0(VALU_DEP_3) | instskip(SKIP_1) | instid1(VALU_DEP_2)
	v_cndmask_b32_e32 v6, 0x7f800001, v7, vcc_lo
	v_cmp_eq_u32_e32 vcc_lo, 0x7c000000, v3
	v_dual_mov_b32 v3, v113 :: v_dual_cndmask_b32 v2, v2, v6
	v_cmp_ne_u32_e32 vcc_lo, 0x80, v0
	s_delay_alu instid0(VALU_DEP_2) | instskip(SKIP_1) | instid1(VALU_DEP_2)
	v_cndmask_b32_e32 v0, 0x80000000, v2, vcc_lo
	v_cmp_lt_u32_e32 vcc_lo, 0xffffff, v10
	v_cndmask_b32_e32 v0, 0, v0, vcc_lo
	s_delay_alu instid0(VALU_DEP_1) | instskip(NEXT) | instid1(VALU_DEP_1)
	v_add_f32_e32 v0, v0, v1
	v_and_b32_e32 v2, 0x7f800000, v0
	v_and_b32_e32 v112, 0x7fffff, v0
	v_lshrrev_b32_e32 v1, 24, v0
	s_delay_alu instid0(VALU_DEP_3)
	v_cmpx_ne_u64_e32 0x7f800000, v[2:3]
	s_xor_b32 s76, exec_lo, s14
	s_cbranch_execz .LBB6_11219
; %bb.11206:                            ;   in Loop: Header=BB6_10323 Depth=4
	v_and_b32_e32 v2, 0x7fffffff, v0
	v_mov_b32_e32 v3, v113
	v_and_b32_e32 v6, 0x80, v1
                                        ; implicit-def: $vgpr32
	s_mov_b32 s14, exec_lo
	s_delay_alu instid0(VALU_DEP_2)
	v_cmpx_gt_u64_e32 0x47600001, v[2:3]
	s_xor_b32 s77, exec_lo, s14
	s_cbranch_execz .LBB6_11216
; %bb.11207:                            ;   in Loop: Header=BB6_10323 Depth=4
	v_mov_b32_e32 v32, 0
	s_mov_b32 s78, exec_lo
	v_cmpx_ne_u32_e32 0, v0
	s_cbranch_execz .LBB6_11215
; %bb.11208:                            ;   in Loop: Header=BB6_10323 Depth=4
	v_bfe_u32 v7, v0, 23, 8
	v_or_b32_e32 v2, 0x800000, v112
	s_mov_b32 s79, exec_lo
	s_delay_alu instid0(VALU_DEP_2) | instskip(SKIP_1) | instid1(VALU_DEP_2)
	v_dual_mov_b32 v3, v113 :: v_dual_sub_nc_u32 v0, 0x71, v7
	v_cmp_gt_u32_e32 vcc_lo, 0x72, v7
	v_cndmask_b32_e32 v0, 0, v0, vcc_lo
	v_cmp_eq_u32_e32 vcc_lo, 0, v7
	s_delay_alu instid0(VALU_DEP_2) | instskip(SKIP_1) | instid1(VALU_DEP_2)
	v_cndmask_b32_e64 v32, v0, 0x70, vcc_lo
	v_cndmask_b32_e32 v2, v2, v112, vcc_lo
	v_dual_add_nc_u32 v0, 21, v32 :: v_dual_add_nc_u32 v34, 20, v32
	s_delay_alu instid0(VALU_DEP_1) | instskip(NEXT) | instid1(VALU_DEP_2)
	v_lshlrev_b64_e64 v[0:1], v0, -1
	v_lshlrev_b64_e64 v[38:39], v34, 1
	s_delay_alu instid0(VALU_DEP_2) | instskip(NEXT) | instid1(VALU_DEP_3)
	v_bfi_b32 v49, v1, 0, 0
	v_bfi_b32 v48, v0, 0, v2
	v_lshrrev_b64 v[0:1], v32, v[2:3]
	s_delay_alu instid0(VALU_DEP_1) | instskip(NEXT) | instid1(VALU_DEP_3)
	v_mov_b64_e32 v[2:3], v[0:1]
	v_cmpx_eq_u64_e64 v[48:49], v[38:39]
; %bb.11209:                            ;   in Loop: Header=BB6_10323 Depth=4
	v_bfe_u32 v2, v0, 21, 1
	v_mov_b32_e32 v3, v113
	s_delay_alu instid0(VALU_DEP_1) | instskip(NEXT) | instid1(VALU_DEP_1)
	v_add_nc_u64_e32 v[2:3], v[0:1], v[2:3]
	v_add_nc_u64_e32 v[2:3], -1, v[2:3]
; %bb.11210:                            ;   in Loop: Header=BB6_10323 Depth=4
	s_or_b32 exec_lo, exec_lo, s79
	v_add_nc_u32_e32 v1, 0xffffff81, v7
	s_delay_alu instid0(VALU_DEP_2) | instskip(SKIP_2) | instid1(VALU_DEP_3)
	v_and_b32_e32 v2, 0x1fffff, v2
	v_lshrrev_b32_e32 v3, 23, v0
	s_mov_b32 s14, exec_lo
	v_cndmask_b32_e64 v1, v1, 0xffffff82, vcc_lo
	s_delay_alu instid0(VALU_DEP_3) | instskip(NEXT) | instid1(VALU_DEP_2)
	v_add_nc_u32_e32 v112, v2, v0
                                        ; implicit-def: $vgpr2
	v_add3_u32 v3, v32, v1, v3
                                        ; implicit-def: $vgpr0_vgpr1
	s_delay_alu instid0(VALU_DEP_1) | instskip(NEXT) | instid1(VALU_DEP_1)
	v_add_nc_u32_e32 v7, 14, v3
	v_cmpx_ne_u32_e32 0, v7
	s_xor_b32 s14, exec_lo, s14
; %bb.11211:                            ;   in Loop: Header=BB6_10323 Depth=4
	v_cmp_lt_u64_e32 vcc_lo, 0xffffff, v[112:113]
	v_add_nc_u32_e32 v0, 15, v3
	s_delay_alu instid0(VALU_DEP_1) | instskip(SKIP_1) | instid1(VALU_DEP_1)
	v_cndmask_b32_e32 v2, v7, v0, vcc_lo
	v_cndmask_b32_e64 v0, 0, 1, vcc_lo
	v_lshrrev_b64 v[0:1], v0, v[112:113]
; %bb.11212:                            ;   in Loop: Header=BB6_10323 Depth=4
	s_and_not1_saveexec_b32 s14, s14
; %bb.11213:                            ;   in Loop: Header=BB6_10323 Depth=4
	v_mov_b64_e32 v[0:1], v[112:113]
	v_bfe_u32 v2, v112, 23, 1
; %bb.11214:                            ;   in Loop: Header=BB6_10323 Depth=4
	s_or_b32 exec_lo, exec_lo, s14
	s_delay_alu instid0(VALU_DEP_2) | instskip(NEXT) | instid1(VALU_DEP_2)
	v_lshrrev_b64 v[0:1], 21, v[0:1]
	v_cmp_gt_i32_e32 vcc_lo, 32, v2
	v_min_i32_e32 v3, 31, v2
	v_cmp_eq_u32_e64 s14, 0, v2
	s_delay_alu instid0(VALU_DEP_2) | instskip(SKIP_1) | instid1(VALU_DEP_2)
	v_dual_cndmask_b32 v1, 0, v1, vcc_lo :: v_dual_lshlrev_b32 v3, 2, v3
	v_cndmask_b32_e32 v0, 3, v0, vcc_lo
	v_and_b32_e32 v3, 0xfc, v3
	s_delay_alu instid0(VALU_DEP_2) | instskip(NEXT) | instid1(VALU_DEP_2)
	v_cmp_eq_u64_e32 vcc_lo, 0, v[0:1]
	v_and_or_b32 v0, v0, 3, v3
	s_and_b32 s14, s14, vcc_lo
	s_delay_alu instid0(VALU_DEP_1) | instid1(SALU_CYCLE_1)
	v_cndmask_b32_e64 v0, v0, 0, s14
	s_delay_alu instid0(VALU_DEP_1)
	v_or_b32_e32 v32, v0, v6
.LBB6_11215:                            ;   in Loop: Header=BB6_10323 Depth=4
	s_or_b32 exec_lo, exec_lo, s78
                                        ; implicit-def: $vgpr6
.LBB6_11216:                            ;   in Loop: Header=BB6_10323 Depth=4
	s_and_not1_saveexec_b32 s14, s77
; %bb.11217:                            ;   in Loop: Header=BB6_10323 Depth=4
	v_or_b32_e32 v32, 0x7b, v6
; %bb.11218:                            ;   in Loop: Header=BB6_10323 Depth=4
	s_or_b32 exec_lo, exec_lo, s14
                                        ; implicit-def: $vgpr0
                                        ; implicit-def: $vgpr1
.LBB6_11219:                            ;   in Loop: Header=BB6_10323 Depth=4
	s_and_not1_saveexec_b32 s14, s76
	s_cbranch_execz .LBB6_11225
; %bb.11220:                            ;   in Loop: Header=BB6_10323 Depth=4
	s_mov_b32 s76, exec_lo
                                        ; implicit-def: $vgpr32
	v_cmpx_ne_u64_e32 0, v[112:113]
	s_xor_b32 s76, exec_lo, s76
; %bb.11221:                            ;   in Loop: Header=BB6_10323 Depth=4
	v_or_b32_e32 v32, 0x7f, v1
                                        ; implicit-def: $vgpr0
; %bb.11222:                            ;   in Loop: Header=BB6_10323 Depth=4
	s_and_not1_saveexec_b32 s76, s76
; %bb.11223:                            ;   in Loop: Header=BB6_10323 Depth=4
	v_cmp_lt_i32_e32 vcc_lo, -1, v0
	v_mov_b32_e32 v0, 0x7c
	s_delay_alu instid0(VALU_DEP_1)
	v_cndmask_b32_e32 v32, 0xfc, v0, vcc_lo
; %bb.11224:                            ;   in Loop: Header=BB6_10323 Depth=4
	s_or_b32 exec_lo, exec_lo, s76
.LBB6_11225:                            ;   in Loop: Header=BB6_10323 Depth=4
	s_delay_alu instid0(SALU_CYCLE_1) | instskip(SKIP_4) | instid1(VALU_DEP_2)
	s_or_b32 exec_lo, exec_lo, s14
	v_dual_lshlrev_b32 v0, 24, v31 :: v_dual_lshlrev_b32 v1, 16, v28
	v_lshl_or_b32 v26, v26, 8, v23
	v_mov_b32_e32 v2, 0
	s_mov_b32 s14, exec_lo
	v_or3_b32 v112, v1, v0, v26
	v_cmpx_ne_u32_e32 0, v23
	s_cbranch_execz .LBB6_11235
; %bb.11226:                            ;   in Loop: Header=BB6_10323 Depth=4
	v_bfrev_b32_e32 v2, 1
	s_mov_b32 s76, exec_lo
	v_cmpx_ne_u32_e32 0x80, v23
	s_cbranch_execz .LBB6_11234
; %bb.11227:                            ;   in Loop: Header=BB6_10323 Depth=4
	v_and_b32_e32 v1, 0x7c, v23
	v_and_b32_e32 v0, 3, v23
	s_mov_b32 s77, exec_lo
                                        ; implicit-def: $vgpr2
	s_delay_alu instid0(VALU_DEP_2)
	v_cmpx_ne_u32_e32 0x7c, v1
	s_xor_b32 s77, exec_lo, s77
	s_cbranch_execz .LBB6_11231
; %bb.11228:                            ;   in Loop: Header=BB6_10323 Depth=4
	v_bfe_u32 v1, v23, 2, 5
	s_mov_b32 s78, exec_lo
	s_delay_alu instid0(VALU_DEP_1)
	v_cmpx_eq_u32_e32 0, v1
; %bb.11229:                            ;   in Loop: Header=BB6_10323 Depth=4
	v_clz_i32_u32_e32 v0, v0
	s_delay_alu instid0(VALU_DEP_1) | instskip(NEXT) | instid1(VALU_DEP_1)
	v_min_u32_e32 v2, 32, v0
	v_subrev_nc_u32_e32 v0, 29, v2
	s_delay_alu instid0(VALU_DEP_1) | instskip(NEXT) | instid1(VALU_DEP_1)
	v_lshlrev_b64_e32 v[0:1], v0, v[112:113]
	v_dual_sub_nc_u32 v1, 30, v2 :: v_dual_bitop2_b32 v0, 3, v0 bitop3:0x40
; %bb.11230:                            ;   in Loop: Header=BB6_10323 Depth=4
	s_or_b32 exec_lo, exec_lo, s78
	v_lshlrev_b32_e32 v2, 24, v23
                                        ; implicit-def: $vgpr23
	s_delay_alu instid0(VALU_DEP_1) | instskip(NEXT) | instid1(VALU_DEP_1)
	v_and_b32_e32 v2, 0x80000000, v2
	v_lshl_add_u32 v1, v1, 23, v2
	s_delay_alu instid0(VALU_DEP_1) | instskip(NEXT) | instid1(VALU_DEP_1)
	v_lshl_or_b32 v0, v0, 21, v1
	v_add_nc_u32_e32 v2, 0x38000000, v0
                                        ; implicit-def: $vgpr0
.LBB6_11231:                            ;   in Loop: Header=BB6_10323 Depth=4
	s_and_not1_saveexec_b32 s77, s77
; %bb.11232:                            ;   in Loop: Header=BB6_10323 Depth=4
	v_and_b32_e32 v1, 0x80, v23
	s_delay_alu instid0(VALU_DEP_1) | instskip(SKIP_1) | instid1(VALU_DEP_1)
	v_cmp_eq_u32_e32 vcc_lo, 0, v1
	v_mov_b32_e32 v1, 0x7f800000
	v_cndmask_b32_e32 v1, 0xff800000, v1, vcc_lo
	v_cmp_eq_u32_e32 vcc_lo, 0, v0
	s_delay_alu instid0(VALU_DEP_2)
	v_cndmask_b32_e32 v2, 0x7f800001, v1, vcc_lo
; %bb.11233:                            ;   in Loop: Header=BB6_10323 Depth=4
	s_or_b32 exec_lo, exec_lo, s77
.LBB6_11234:                            ;   in Loop: Header=BB6_10323 Depth=4
	s_delay_alu instid0(SALU_CYCLE_1)
	s_or_b32 exec_lo, exec_lo, s76
.LBB6_11235:                            ;   in Loop: Header=BB6_10323 Depth=4
	s_delay_alu instid0(SALU_CYCLE_1) | instskip(SKIP_4) | instid1(VALU_DEP_2)
	s_or_b32 exec_lo, exec_lo, s14
	v_and_b32_e32 v1, 0xff, v11
	v_mov_b32_e32 v0, v11
	s_mov_b32 s76, 0
	s_mov_b32 s14, exec_lo
	v_cmpx_lt_i16_e32 0x7f, v1
	s_xor_b32 s14, exec_lo, s14
	s_cbranch_execz .LBB6_11380
; %bb.11236:                            ;   in Loop: Header=BB6_10323 Depth=4
	s_mov_b32 s76, -1
	s_mov_b32 s77, exec_lo
	v_cmpx_eq_u16_e32 0x80, v1
; %bb.11237:                            ;   in Loop: Header=BB6_10323 Depth=4
	s_xor_b32 s76, exec_lo, -1
; %bb.11238:                            ;   in Loop: Header=BB6_10323 Depth=4
	s_or_b32 exec_lo, exec_lo, s77
	s_delay_alu instid0(SALU_CYCLE_1)
	s_and_b32 s76, s76, exec_lo
                                        ; implicit-def: $vgpr1
	s_or_saveexec_b32 s14, s14
	v_bfrev_b32_e32 v3, 1
	s_xor_b32 exec_lo, exec_lo, s14
	s_cbranch_execnz .LBB6_11381
.LBB6_11239:                            ;   in Loop: Header=BB6_10323 Depth=4
	s_or_b32 exec_lo, exec_lo, s14
	v_mov_b32_e32 v1, v113
	s_and_saveexec_b32 s14, s76
	s_cbranch_execz .LBB6_11241
.LBB6_11240:                            ;   in Loop: Header=BB6_10323 Depth=4
	v_and_b32_e32 v3, 3, v11
	s_delay_alu instid0(VALU_DEP_1) | instskip(NEXT) | instid1(VALU_DEP_1)
	v_clz_i32_u32_e32 v6, v3
	v_min_u32_e32 v23, 32, v6
	s_delay_alu instid0(VALU_DEP_1) | instskip(NEXT) | instid1(VALU_DEP_1)
	v_subrev_nc_u32_e32 v6, 29, v23
	v_lshlrev_b64_e32 v[6:7], v6, v[0:1]
	v_bfe_u32 v7, v11, 2, 5
	v_lshlrev_b32_e32 v1, 24, v11
	v_sub_nc_u32_e32 v23, 30, v23
	s_delay_alu instid0(VALU_DEP_3) | instskip(NEXT) | instid1(VALU_DEP_3)
	v_cmp_eq_u32_e32 vcc_lo, 0, v7
	v_and_b32_e32 v1, 0x80000000, v1
	s_delay_alu instid0(VALU_DEP_3) | instskip(SKIP_1) | instid1(VALU_DEP_2)
	v_dual_cndmask_b32 v7, v7, v23, vcc_lo :: v_dual_bitop2_b32 v6, 3, v6 bitop3:0x40
	v_bfe_i32 v23, v11, 0, 8
	v_cndmask_b32_e32 v6, v3, v6, vcc_lo
	s_delay_alu instid0(VALU_DEP_3) | instskip(NEXT) | instid1(VALU_DEP_3)
	v_lshl_add_u32 v1, v7, 23, v1
	v_cmp_lt_i16_e32 vcc_lo, -1, v23
	v_mov_b32_e32 v7, 0x7f800000
	s_delay_alu instid0(VALU_DEP_3) | instskip(SKIP_1) | instid1(VALU_DEP_3)
	v_lshl_or_b32 v1, v6, 21, v1
	v_and_b32_e32 v6, 0x7c, v11
	v_cndmask_b32_e32 v7, 0xff800000, v7, vcc_lo
	v_cmp_eq_u32_e32 vcc_lo, 0, v3
	s_delay_alu instid0(VALU_DEP_4) | instskip(NEXT) | instid1(VALU_DEP_3)
	v_add_nc_u32_e32 v1, 0x38000000, v1
	v_cndmask_b32_e32 v3, 0x7f800001, v7, vcc_lo
	v_cmp_eq_u32_e32 vcc_lo, 0x7c, v6
	s_delay_alu instid0(VALU_DEP_2)
	v_cndmask_b32_e32 v3, v1, v3, vcc_lo
.LBB6_11241:                            ;   in Loop: Header=BB6_10323 Depth=4
	s_or_b32 exec_lo, exec_lo, s14
	s_delay_alu instid0(VALU_DEP_1) | instskip(SKIP_2) | instid1(VALU_DEP_2)
	v_dual_add_f32 v7, v2, v3 :: v_dual_mov_b32 v39, v113
	v_mov_b32_e32 v3, v113
                                        ; implicit-def: $vgpr6
	s_mov_b32 s14, exec_lo
	v_and_b32_e32 v38, 0x7f800000, v7
	v_and_b32_e32 v2, 0x7fffff, v7
	v_lshrrev_b32_e32 v1, 24, v7
	s_delay_alu instid0(VALU_DEP_3)
	v_cmpx_ne_u64_e32 0x7f800000, v[38:39]
	s_xor_b32 s76, exec_lo, s14
	s_cbranch_execz .LBB6_11255
; %bb.11242:                            ;   in Loop: Header=BB6_10323 Depth=4
	v_and_b32_e32 v38, 0x7fffffff, v7
	v_mov_b32_e32 v39, v113
	v_and_b32_e32 v1, 0x80, v1
                                        ; implicit-def: $vgpr6
	s_mov_b32 s14, exec_lo
	s_delay_alu instid0(VALU_DEP_2)
	v_cmpx_gt_u64_e32 0x47600001, v[38:39]
	s_xor_b32 s77, exec_lo, s14
	s_cbranch_execz .LBB6_11252
; %bb.11243:                            ;   in Loop: Header=BB6_10323 Depth=4
	v_mov_b32_e32 v6, 0
	s_mov_b32 s78, exec_lo
	v_cmpx_ne_u32_e32 0, v7
	s_cbranch_execz .LBB6_11251
; %bb.11244:                            ;   in Loop: Header=BB6_10323 Depth=4
	v_bfe_u32 v23, v7, 23, 8
	v_or_b32_e32 v31, 0x800000, v2
	s_delay_alu instid0(VALU_DEP_2) | instskip(SKIP_1) | instid1(VALU_DEP_2)
	v_sub_nc_u32_e32 v6, 0x71, v23
	v_cmp_gt_u32_e32 vcc_lo, 0x72, v23
	v_cndmask_b32_e32 v6, 0, v6, vcc_lo
	v_cmp_eq_u32_e32 vcc_lo, 0, v23
	s_delay_alu instid0(VALU_DEP_2) | instskip(NEXT) | instid1(VALU_DEP_1)
	v_cndmask_b32_e64 v28, v6, 0x70, vcc_lo
	v_dual_cndmask_b32 v2, v31, v2, vcc_lo :: v_dual_add_nc_u32 v6, 21, v28
	v_add_nc_u32_e32 v34, 20, v28
	s_delay_alu instid0(VALU_DEP_2) | instskip(NEXT) | instid1(VALU_DEP_2)
	v_lshlrev_b64_e64 v[6:7], v6, -1
	v_lshlrev_b64_e64 v[38:39], v34, 1
	s_delay_alu instid0(VALU_DEP_2) | instskip(SKIP_1) | instid1(VALU_DEP_4)
	v_bfi_b32 v6, v6, 0, v2
	v_lshrrev_b64 v[2:3], v28, v[2:3]
	v_bfi_b32 v7, v7, 0, 0
	s_delay_alu instid0(VALU_DEP_1) | instskip(NEXT) | instid1(VALU_DEP_3)
	v_cmp_eq_u64_e64 s14, v[6:7], v[38:39]
	v_mov_b64_e32 v[6:7], v[2:3]
	s_and_saveexec_b32 s79, s14
; %bb.11245:                            ;   in Loop: Header=BB6_10323 Depth=4
	v_bfe_u32 v6, v2, 21, 1
	v_mov_b32_e32 v7, v113
	s_delay_alu instid0(VALU_DEP_1) | instskip(NEXT) | instid1(VALU_DEP_1)
	v_add_nc_u64_e32 v[6:7], v[2:3], v[6:7]
	v_add_nc_u64_e32 v[6:7], -1, v[6:7]
; %bb.11246:                            ;   in Loop: Header=BB6_10323 Depth=4
	s_or_b32 exec_lo, exec_lo, s79
	v_add_nc_u32_e32 v3, 0xffffff81, v23
	v_lshrrev_b32_e32 v7, 23, v2
	s_mov_b32 s14, exec_lo
	s_delay_alu instid0(VALU_DEP_2) | instskip(NEXT) | instid1(VALU_DEP_1)
	v_cndmask_b32_e64 v3, v3, 0xffffff82, vcc_lo
	v_add3_u32 v7, v28, v3, v7
	v_and_b32_e32 v3, 0x1fffff, v6
                                        ; implicit-def: $vgpr6
	s_delay_alu instid0(VALU_DEP_1) | instskip(SKIP_1) | instid1(VALU_DEP_2)
	v_dual_add_nc_u32 v23, 14, v7 :: v_dual_add_nc_u32 v2, v3, v2
	v_mov_b32_e32 v3, v113
	v_cmpx_ne_u32_e32 0, v23
	s_xor_b32 s14, exec_lo, s14
; %bb.11247:                            ;   in Loop: Header=BB6_10323 Depth=4
	s_delay_alu instid0(VALU_DEP_2) | instskip(SKIP_2) | instid1(VALU_DEP_2)
	v_cmp_lt_u64_e32 vcc_lo, 0xffffff, v[2:3]
	v_add_nc_u32_e32 v6, 15, v7
	v_cndmask_b32_e64 v7, 0, 1, vcc_lo
	v_cndmask_b32_e32 v6, v23, v6, vcc_lo
	s_delay_alu instid0(VALU_DEP_2)
	v_lshrrev_b64 v[2:3], v7, v[2:3]
; %bb.11248:                            ;   in Loop: Header=BB6_10323 Depth=4
	s_and_not1_saveexec_b32 s14, s14
; %bb.11249:                            ;   in Loop: Header=BB6_10323 Depth=4
	s_delay_alu instid0(VALU_DEP_1)
	v_bfe_u32 v6, v2, 23, 1
; %bb.11250:                            ;   in Loop: Header=BB6_10323 Depth=4
	s_or_b32 exec_lo, exec_lo, s14
	s_delay_alu instid0(VALU_DEP_2) | instskip(NEXT) | instid1(VALU_DEP_2)
	v_lshrrev_b64 v[2:3], 21, v[2:3]
	v_cmp_gt_i32_e32 vcc_lo, 32, v6
	v_min_i32_e32 v7, 31, v6
	v_cmp_eq_u32_e64 s14, 0, v6
	s_delay_alu instid0(VALU_DEP_4) | instskip(NEXT) | instid1(VALU_DEP_3)
	v_cndmask_b32_e32 v3, 0, v3, vcc_lo
	v_dual_cndmask_b32 v2, 3, v2 :: v_dual_lshlrev_b32 v7, 2, v7
	s_delay_alu instid0(VALU_DEP_1) | instskip(NEXT) | instid1(VALU_DEP_2)
	v_and_b32_e32 v7, 0xfc, v7
	v_cmp_eq_u64_e32 vcc_lo, 0, v[2:3]
	s_delay_alu instid0(VALU_DEP_2)
	v_and_or_b32 v2, v2, 3, v7
	s_and_b32 s14, s14, vcc_lo
	s_delay_alu instid0(VALU_DEP_1) | instid1(SALU_CYCLE_1)
	v_cndmask_b32_e64 v2, v2, 0, s14
	s_delay_alu instid0(VALU_DEP_1)
	v_or_b32_e32 v6, v2, v1
.LBB6_11251:                            ;   in Loop: Header=BB6_10323 Depth=4
	s_or_b32 exec_lo, exec_lo, s78
                                        ; implicit-def: $vgpr1
.LBB6_11252:                            ;   in Loop: Header=BB6_10323 Depth=4
	s_and_not1_saveexec_b32 s14, s77
; %bb.11253:                            ;   in Loop: Header=BB6_10323 Depth=4
	v_or_b32_e32 v6, 0x7b, v1
; %bb.11254:                            ;   in Loop: Header=BB6_10323 Depth=4
	s_or_b32 exec_lo, exec_lo, s14
                                        ; implicit-def: $vgpr7
                                        ; implicit-def: $vgpr2_vgpr3
                                        ; implicit-def: $vgpr1
.LBB6_11255:                            ;   in Loop: Header=BB6_10323 Depth=4
	s_and_not1_saveexec_b32 s14, s76
	s_cbranch_execz .LBB6_11261
; %bb.11256:                            ;   in Loop: Header=BB6_10323 Depth=4
	s_mov_b32 s76, exec_lo
                                        ; implicit-def: $vgpr6
	v_cmpx_ne_u64_e32 0, v[2:3]
	s_xor_b32 s76, exec_lo, s76
; %bb.11257:                            ;   in Loop: Header=BB6_10323 Depth=4
	v_or_b32_e32 v6, 0x7f, v1
                                        ; implicit-def: $vgpr7
; %bb.11258:                            ;   in Loop: Header=BB6_10323 Depth=4
	s_and_not1_saveexec_b32 s76, s76
; %bb.11259:                            ;   in Loop: Header=BB6_10323 Depth=4
	v_cmp_lt_i32_e32 vcc_lo, -1, v7
	v_mov_b32_e32 v1, 0x7c
	s_delay_alu instid0(VALU_DEP_1)
	v_cndmask_b32_e32 v6, 0xfc, v1, vcc_lo
; %bb.11260:                            ;   in Loop: Header=BB6_10323 Depth=4
	s_or_b32 exec_lo, exec_lo, s76
.LBB6_11261:                            ;   in Loop: Header=BB6_10323 Depth=4
	s_delay_alu instid0(SALU_CYCLE_1) | instskip(SKIP_3) | instid1(VALU_DEP_2)
	s_or_b32 exec_lo, exec_lo, s14
	v_lshrrev_b16 v2, 8, v26
	v_mov_b32_e32 v1, 0
	s_mov_b32 s14, exec_lo
	v_cmpx_ne_u16_e32 0, v2
	s_cbranch_execz .LBB6_11271
; %bb.11262:                            ;   in Loop: Header=BB6_10323 Depth=4
	v_bfrev_b32_e32 v1, 1
	s_mov_b32 s76, exec_lo
	v_cmpx_ne_u16_e32 0x80, v2
	s_cbranch_execz .LBB6_11270
; %bb.11263:                            ;   in Loop: Header=BB6_10323 Depth=4
	v_and_b32_e32 v7, 0xffff, v2
	s_delay_alu instid0(VALU_DEP_1) | instskip(SKIP_1) | instid1(VALU_DEP_2)
	v_and_b32_e32 v1, 0x7c, v7
	v_and_b32_e32 v3, 3, v7
	v_cmp_ne_u32_e32 vcc_lo, 0x7c, v1
                                        ; implicit-def: $vgpr1
	s_and_saveexec_b32 s77, vcc_lo
	s_delay_alu instid0(SALU_CYCLE_1)
	s_xor_b32 s77, exec_lo, s77
	s_cbranch_execz .LBB6_11267
; %bb.11264:                            ;   in Loop: Header=BB6_10323 Depth=4
	v_bfe_u32 v1, v7, 2, 5
	s_mov_b32 s78, exec_lo
	s_delay_alu instid0(VALU_DEP_1)
	v_cmpx_eq_u32_e32 0, v1
	s_cbranch_execz .LBB6_11266
; %bb.11265:                            ;   in Loop: Header=BB6_10323 Depth=4
	v_clz_i32_u32_e32 v1, v3
	s_delay_alu instid0(VALU_DEP_1) | instskip(SKIP_1) | instid1(VALU_DEP_2)
	v_min_u32_e32 v1, 32, v1
	v_mov_b32_e32 v3, v113
	v_subrev_nc_u32_e32 v7, 29, v1
	v_sub_nc_u32_e32 v1, 30, v1
	s_delay_alu instid0(VALU_DEP_2) | instskip(NEXT) | instid1(VALU_DEP_1)
	v_lshlrev_b64_e32 v[2:3], v7, v[2:3]
	v_and_b32_e32 v3, 3, v2
.LBB6_11266:                            ;   in Loop: Header=BB6_10323 Depth=4
	s_or_b32 exec_lo, exec_lo, s78
	v_lshlrev_b32_e32 v2, 16, v26
                                        ; implicit-def: $vgpr26
	s_delay_alu instid0(VALU_DEP_1) | instskip(NEXT) | instid1(VALU_DEP_1)
	v_and_b32_e32 v2, 0x80000000, v2
	v_lshl_add_u32 v1, v1, 23, v2
	s_delay_alu instid0(VALU_DEP_1) | instskip(NEXT) | instid1(VALU_DEP_1)
	v_lshl_or_b32 v1, v3, 21, v1
                                        ; implicit-def: $vgpr3
	v_add_nc_u32_e32 v1, 0x38000000, v1
.LBB6_11267:                            ;   in Loop: Header=BB6_10323 Depth=4
	s_and_not1_saveexec_b32 s77, s77
; %bb.11268:                            ;   in Loop: Header=BB6_10323 Depth=4
	v_cmp_lt_i16_e32 vcc_lo, -1, v26
	v_mov_b32_e32 v1, 0x7f800000
	s_delay_alu instid0(VALU_DEP_1) | instskip(SKIP_1) | instid1(VALU_DEP_2)
	v_cndmask_b32_e32 v1, 0xff800000, v1, vcc_lo
	v_cmp_eq_u32_e32 vcc_lo, 0, v3
	v_cndmask_b32_e32 v1, 0x7f800001, v1, vcc_lo
; %bb.11269:                            ;   in Loop: Header=BB6_10323 Depth=4
	s_or_b32 exec_lo, exec_lo, s77
.LBB6_11270:                            ;   in Loop: Header=BB6_10323 Depth=4
	s_delay_alu instid0(SALU_CYCLE_1)
	s_or_b32 exec_lo, exec_lo, s76
.LBB6_11271:                            ;   in Loop: Header=BB6_10323 Depth=4
	s_delay_alu instid0(SALU_CYCLE_1) | instskip(SKIP_3) | instid1(VALU_DEP_1)
	s_or_b32 exec_lo, exec_lo, s14
	v_lshrrev_b16 v2, 8, v0
	s_mov_b32 s76, 0
	s_mov_b32 s14, exec_lo
	v_cmpx_lt_i16_e32 0x7f, v2
	s_xor_b32 s14, exec_lo, s14
	s_cbranch_execz .LBB6_11382
; %bb.11272:                            ;   in Loop: Header=BB6_10323 Depth=4
	s_mov_b32 s76, -1
	s_mov_b32 s77, exec_lo
	v_cmpx_eq_u16_e32 0x80, v2
; %bb.11273:                            ;   in Loop: Header=BB6_10323 Depth=4
	s_xor_b32 s76, exec_lo, -1
; %bb.11274:                            ;   in Loop: Header=BB6_10323 Depth=4
	s_or_b32 exec_lo, exec_lo, s77
	s_delay_alu instid0(SALU_CYCLE_1)
	s_and_b32 s76, s76, exec_lo
	s_or_saveexec_b32 s14, s14
	v_bfrev_b32_e32 v3, 1
	s_xor_b32 exec_lo, exec_lo, s14
	s_cbranch_execnz .LBB6_11383
.LBB6_11275:                            ;   in Loop: Header=BB6_10323 Depth=4
	s_or_b32 exec_lo, exec_lo, s14
	s_and_saveexec_b32 s14, s76
	s_cbranch_execz .LBB6_11277
.LBB6_11276:                            ;   in Loop: Header=BB6_10323 Depth=4
	v_and_b32_e32 v7, 0xffff, v2
	s_delay_alu instid0(VALU_DEP_1) | instskip(NEXT) | instid1(VALU_DEP_1)
	v_and_b32_e32 v23, 3, v7
	v_clz_i32_u32_e32 v3, v23
	s_delay_alu instid0(VALU_DEP_1) | instskip(SKIP_1) | instid1(VALU_DEP_2)
	v_min_u32_e32 v26, 32, v3
	v_mov_b32_e32 v3, v113
	v_subrev_nc_u32_e32 v28, 29, v26
	v_sub_nc_u32_e32 v26, 30, v26
	s_delay_alu instid0(VALU_DEP_2) | instskip(SKIP_1) | instid1(VALU_DEP_1)
	v_lshlrev_b64_e32 v[38:39], v28, v[2:3]
	v_bfe_u32 v3, v7, 2, 5
	v_cmp_eq_u32_e32 vcc_lo, 0, v3
	s_delay_alu instid0(VALU_DEP_3) | instskip(SKIP_2) | instid1(VALU_DEP_3)
	v_and_b32_e32 v28, 3, v38
	v_lshlrev_b32_e32 v2, 24, v2
	v_cndmask_b32_e32 v3, v3, v26, vcc_lo
	v_cndmask_b32_e32 v26, v23, v28, vcc_lo
	s_delay_alu instid0(VALU_DEP_3) | instskip(SKIP_2) | instid1(VALU_DEP_3)
	v_and_b32_e32 v2, 0x80000000, v2
	v_cmp_lt_i16_e32 vcc_lo, -1, v0
	v_mov_b32_e32 v0, 0x7f800000
	v_lshl_add_u32 v2, v3, 23, v2
	v_and_b32_e32 v3, 0x7c, v7
	s_delay_alu instid0(VALU_DEP_3) | instskip(SKIP_1) | instid1(VALU_DEP_4)
	v_cndmask_b32_e32 v0, 0xff800000, v0, vcc_lo
	v_cmp_eq_u32_e32 vcc_lo, 0, v23
	v_lshl_or_b32 v2, v26, 21, v2
	s_delay_alu instid0(VALU_DEP_3) | instskip(SKIP_1) | instid1(VALU_DEP_3)
	v_cndmask_b32_e32 v0, 0x7f800001, v0, vcc_lo
	v_cmp_eq_u32_e32 vcc_lo, 0x7c, v3
	v_add_nc_u32_e32 v2, 0x38000000, v2
	s_delay_alu instid0(VALU_DEP_1)
	v_cndmask_b32_e32 v3, v2, v0, vcc_lo
.LBB6_11277:                            ;   in Loop: Header=BB6_10323 Depth=4
	s_or_b32 exec_lo, exec_lo, s14
	s_delay_alu instid0(VALU_DEP_1) | instskip(SKIP_2) | instid1(VALU_DEP_2)
	v_add_f32_e32 v2, v1, v3
	v_dual_mov_b32 v39, v113 :: v_dual_mov_b32 v1, v113
                                        ; implicit-def: $vgpr7
	s_mov_b32 s14, exec_lo
	v_and_b32_e32 v38, 0x7f800000, v2
	v_and_b32_e32 v0, 0x7fffff, v2
	v_lshrrev_b32_e32 v3, 24, v2
	s_delay_alu instid0(VALU_DEP_3)
	v_cmpx_ne_u64_e32 0x7f800000, v[38:39]
	s_xor_b32 s76, exec_lo, s14
	s_cbranch_execz .LBB6_11291
; %bb.11278:                            ;   in Loop: Header=BB6_10323 Depth=4
	v_and_b32_e32 v38, 0x7fffffff, v2
	v_mov_b32_e32 v39, v113
	v_and_b32_e32 v23, 0x80, v3
                                        ; implicit-def: $vgpr7
	s_mov_b32 s14, exec_lo
	s_delay_alu instid0(VALU_DEP_2)
	v_cmpx_gt_u64_e32 0x47600001, v[38:39]
	s_xor_b32 s77, exec_lo, s14
	s_cbranch_execz .LBB6_11288
; %bb.11279:                            ;   in Loop: Header=BB6_10323 Depth=4
	v_mov_b32_e32 v7, 0
	s_mov_b32 s78, exec_lo
	v_cmpx_ne_u32_e32 0, v2
	s_cbranch_execz .LBB6_11287
; %bb.11280:                            ;   in Loop: Header=BB6_10323 Depth=4
	v_bfe_u32 v7, v2, 23, 8
	v_or_b32_e32 v28, 0x800000, v0
	s_delay_alu instid0(VALU_DEP_2) | instskip(SKIP_1) | instid1(VALU_DEP_2)
	v_sub_nc_u32_e32 v2, 0x71, v7
	v_cmp_gt_u32_e32 vcc_lo, 0x72, v7
	v_cndmask_b32_e32 v2, 0, v2, vcc_lo
	v_cmp_eq_u32_e32 vcc_lo, 0, v7
	v_cndmask_b32_e32 v0, v28, v0, vcc_lo
	s_delay_alu instid0(VALU_DEP_3) | instskip(NEXT) | instid1(VALU_DEP_1)
	v_cndmask_b32_e64 v26, v2, 0x70, vcc_lo
	v_dual_add_nc_u32 v2, 21, v26 :: v_dual_add_nc_u32 v31, 20, v26
	s_delay_alu instid0(VALU_DEP_1) | instskip(NEXT) | instid1(VALU_DEP_2)
	v_lshlrev_b64_e64 v[2:3], v2, -1
	v_lshlrev_b64_e64 v[38:39], v31, 1
	s_delay_alu instid0(VALU_DEP_2) | instskip(SKIP_1) | instid1(VALU_DEP_4)
	v_bfi_b32 v2, v2, 0, v0
	v_lshrrev_b64 v[0:1], v26, v[0:1]
	v_bfi_b32 v3, v3, 0, 0
	s_delay_alu instid0(VALU_DEP_1) | instskip(NEXT) | instid1(VALU_DEP_3)
	v_cmp_eq_u64_e64 s14, v[2:3], v[38:39]
	v_mov_b64_e32 v[2:3], v[0:1]
	s_and_saveexec_b32 s79, s14
; %bb.11281:                            ;   in Loop: Header=BB6_10323 Depth=4
	v_bfe_u32 v2, v0, 21, 1
	v_mov_b32_e32 v3, v113
	s_delay_alu instid0(VALU_DEP_1) | instskip(NEXT) | instid1(VALU_DEP_1)
	v_add_nc_u64_e32 v[2:3], v[0:1], v[2:3]
	v_add_nc_u64_e32 v[2:3], -1, v[2:3]
; %bb.11282:                            ;   in Loop: Header=BB6_10323 Depth=4
	s_or_b32 exec_lo, exec_lo, s79
	v_add_nc_u32_e32 v1, 0xffffff81, v7
	v_lshrrev_b32_e32 v3, 23, v0
	s_mov_b32 s14, exec_lo
	s_delay_alu instid0(VALU_DEP_2) | instskip(NEXT) | instid1(VALU_DEP_1)
	v_cndmask_b32_e64 v1, v1, 0xffffff82, vcc_lo
	v_add3_u32 v3, v26, v1, v3
	v_and_b32_e32 v1, 0x1fffff, v2
                                        ; implicit-def: $vgpr2
	s_delay_alu instid0(VALU_DEP_1) | instskip(SKIP_1) | instid1(VALU_DEP_2)
	v_dual_add_nc_u32 v7, 14, v3 :: v_dual_add_nc_u32 v0, v1, v0
	v_mov_b32_e32 v1, v113
	v_cmpx_ne_u32_e32 0, v7
	s_xor_b32 s14, exec_lo, s14
; %bb.11283:                            ;   in Loop: Header=BB6_10323 Depth=4
	s_delay_alu instid0(VALU_DEP_2) | instskip(SKIP_2) | instid1(VALU_DEP_2)
	v_cmp_lt_u64_e32 vcc_lo, 0xffffff, v[0:1]
	v_add_nc_u32_e32 v2, 15, v3
	v_cndmask_b32_e64 v3, 0, 1, vcc_lo
	v_cndmask_b32_e32 v2, v7, v2, vcc_lo
	s_delay_alu instid0(VALU_DEP_2)
	v_lshrrev_b64 v[0:1], v3, v[0:1]
; %bb.11284:                            ;   in Loop: Header=BB6_10323 Depth=4
	s_and_not1_saveexec_b32 s14, s14
; %bb.11285:                            ;   in Loop: Header=BB6_10323 Depth=4
	s_delay_alu instid0(VALU_DEP_1)
	v_bfe_u32 v2, v0, 23, 1
; %bb.11286:                            ;   in Loop: Header=BB6_10323 Depth=4
	s_or_b32 exec_lo, exec_lo, s14
	s_delay_alu instid0(VALU_DEP_2) | instskip(NEXT) | instid1(VALU_DEP_2)
	v_lshrrev_b64 v[0:1], 21, v[0:1]
	v_cmp_gt_i32_e32 vcc_lo, 32, v2
	v_min_i32_e32 v3, 31, v2
	v_cmp_eq_u32_e64 s14, 0, v2
	s_delay_alu instid0(VALU_DEP_2) | instskip(SKIP_1) | instid1(VALU_DEP_2)
	v_dual_cndmask_b32 v1, 0, v1, vcc_lo :: v_dual_lshlrev_b32 v3, 2, v3
	v_cndmask_b32_e32 v0, 3, v0, vcc_lo
	v_and_b32_e32 v3, 0xfc, v3
	s_delay_alu instid0(VALU_DEP_2) | instskip(NEXT) | instid1(VALU_DEP_2)
	v_cmp_eq_u64_e32 vcc_lo, 0, v[0:1]
	v_and_or_b32 v0, v0, 3, v3
	s_and_b32 s14, s14, vcc_lo
	s_delay_alu instid0(VALU_DEP_1) | instid1(SALU_CYCLE_1)
	v_cndmask_b32_e64 v0, v0, 0, s14
	s_delay_alu instid0(VALU_DEP_1)
	v_or_b32_e32 v7, v0, v23
.LBB6_11287:                            ;   in Loop: Header=BB6_10323 Depth=4
	s_or_b32 exec_lo, exec_lo, s78
                                        ; implicit-def: $vgpr23
.LBB6_11288:                            ;   in Loop: Header=BB6_10323 Depth=4
	s_and_not1_saveexec_b32 s14, s77
; %bb.11289:                            ;   in Loop: Header=BB6_10323 Depth=4
	v_or_b32_e32 v7, 0x7b, v23
; %bb.11290:                            ;   in Loop: Header=BB6_10323 Depth=4
	s_or_b32 exec_lo, exec_lo, s14
                                        ; implicit-def: $vgpr2
                                        ; implicit-def: $vgpr0_vgpr1
                                        ; implicit-def: $vgpr3
.LBB6_11291:                            ;   in Loop: Header=BB6_10323 Depth=4
	s_and_not1_saveexec_b32 s14, s76
	s_cbranch_execz .LBB6_11297
; %bb.11292:                            ;   in Loop: Header=BB6_10323 Depth=4
	s_mov_b32 s76, exec_lo
                                        ; implicit-def: $vgpr7
	v_cmpx_ne_u64_e32 0, v[0:1]
	s_xor_b32 s76, exec_lo, s76
; %bb.11293:                            ;   in Loop: Header=BB6_10323 Depth=4
	v_or_b32_e32 v7, 0x7f, v3
                                        ; implicit-def: $vgpr2
; %bb.11294:                            ;   in Loop: Header=BB6_10323 Depth=4
	s_and_not1_saveexec_b32 s76, s76
; %bb.11295:                            ;   in Loop: Header=BB6_10323 Depth=4
	v_cmp_lt_i32_e32 vcc_lo, -1, v2
	v_mov_b32_e32 v0, 0x7c
	s_delay_alu instid0(VALU_DEP_1)
	v_cndmask_b32_e32 v7, 0xfc, v0, vcc_lo
; %bb.11296:                            ;   in Loop: Header=BB6_10323 Depth=4
	s_or_b32 exec_lo, exec_lo, s76
.LBB6_11297:                            ;   in Loop: Header=BB6_10323 Depth=4
	s_delay_alu instid0(SALU_CYCLE_1) | instskip(SKIP_2) | instid1(VALU_DEP_1)
	s_or_b32 exec_lo, exec_lo, s14
	v_dual_mov_b32 v1, 0 :: v_dual_lshrrev_b32 v0, 16, v112
	s_mov_b32 s14, exec_lo
	v_and_b32_e32 v2, 0xff, v0
	s_delay_alu instid0(VALU_DEP_1)
	v_cmpx_ne_u16_e32 0, v2
	s_cbranch_execz .LBB6_11307
; %bb.11298:                            ;   in Loop: Header=BB6_10323 Depth=4
	v_bfrev_b32_e32 v1, 1
	s_mov_b32 s76, exec_lo
	v_cmpx_ne_u16_e32 0x80, v2
	s_cbranch_execz .LBB6_11306
; %bb.11299:                            ;   in Loop: Header=BB6_10323 Depth=4
	v_and_b32_e32 v1, 0x7c0000, v112
	v_bfe_u32 v2, v112, 16, 2
	s_delay_alu instid0(VALU_DEP_2) | instskip(SKIP_1) | instid1(SALU_CYCLE_1)
	v_cmp_ne_u32_e32 vcc_lo, 0x7c0000, v1
                                        ; implicit-def: $vgpr1
	s_and_saveexec_b32 s77, vcc_lo
	s_xor_b32 s77, exec_lo, s77
	s_cbranch_execz .LBB6_11303
; %bb.11300:                            ;   in Loop: Header=BB6_10323 Depth=4
	v_bfe_u32 v1, v112, 18, 5
	s_mov_b32 s78, exec_lo
	s_delay_alu instid0(VALU_DEP_1)
	v_cmpx_eq_u32_e32 0, v1
; %bb.11301:                            ;   in Loop: Header=BB6_10323 Depth=4
	v_clz_i32_u32_e32 v1, v2
	s_delay_alu instid0(VALU_DEP_1) | instskip(NEXT) | instid1(VALU_DEP_1)
	v_min_u32_e32 v1, 32, v1
	v_subrev_nc_u32_e32 v2, 29, v1
	s_delay_alu instid0(VALU_DEP_1) | instskip(NEXT) | instid1(VALU_DEP_1)
	v_lshlrev_b64_e32 v[2:3], v2, v[0:1]
	v_dual_sub_nc_u32 v1, 30, v1 :: v_dual_bitop2_b32 v2, 3, v2 bitop3:0x40
; %bb.11302:                            ;   in Loop: Header=BB6_10323 Depth=4
	s_or_b32 exec_lo, exec_lo, s78
	v_lshlrev_b32_e32 v0, 24, v0
	s_delay_alu instid0(VALU_DEP_1) | instskip(NEXT) | instid1(VALU_DEP_1)
	v_and_b32_e32 v0, 0x80000000, v0
	v_lshl_add_u32 v0, v1, 23, v0
	s_delay_alu instid0(VALU_DEP_1) | instskip(NEXT) | instid1(VALU_DEP_1)
	v_lshl_or_b32 v0, v2, 21, v0
                                        ; implicit-def: $vgpr2
	v_add_nc_u32_e32 v1, 0x38000000, v0
                                        ; implicit-def: $vgpr0
.LBB6_11303:                            ;   in Loop: Header=BB6_10323 Depth=4
	s_and_not1_saveexec_b32 s77, s77
; %bb.11304:                            ;   in Loop: Header=BB6_10323 Depth=4
	v_bfe_i32 v0, v0, 0, 8
	s_delay_alu instid0(VALU_DEP_1) | instskip(SKIP_1) | instid1(VALU_DEP_1)
	v_cmp_lt_i16_e32 vcc_lo, -1, v0
	v_mov_b32_e32 v0, 0x7f800000
	v_cndmask_b32_e32 v0, 0xff800000, v0, vcc_lo
	v_cmp_eq_u32_e32 vcc_lo, 0, v2
	s_delay_alu instid0(VALU_DEP_2)
	v_cndmask_b32_e32 v1, 0x7f800001, v0, vcc_lo
; %bb.11305:                            ;   in Loop: Header=BB6_10323 Depth=4
	s_or_b32 exec_lo, exec_lo, s77
.LBB6_11306:                            ;   in Loop: Header=BB6_10323 Depth=4
	s_delay_alu instid0(SALU_CYCLE_1)
	s_or_b32 exec_lo, exec_lo, s76
.LBB6_11307:                            ;   in Loop: Header=BB6_10323 Depth=4
	s_delay_alu instid0(SALU_CYCLE_1) | instskip(SKIP_3) | instid1(VALU_DEP_1)
	s_or_b32 exec_lo, exec_lo, s14
	v_lshrrev_b32_e32 v0, 16, v11
	s_mov_b32 s76, 0
	s_mov_b32 s14, exec_lo
	v_and_b32_e32 v3, 0xff, v0
	s_delay_alu instid0(VALU_DEP_1)
	v_cmpx_lt_i16_e32 0x7f, v3
	s_xor_b32 s14, exec_lo, s14
	s_cbranch_execz .LBB6_11384
; %bb.11308:                            ;   in Loop: Header=BB6_10323 Depth=4
	s_mov_b32 s76, -1
	s_mov_b32 s77, exec_lo
	v_cmpx_eq_u16_e32 0x80, v3
; %bb.11309:                            ;   in Loop: Header=BB6_10323 Depth=4
	s_xor_b32 s76, exec_lo, -1
; %bb.11310:                            ;   in Loop: Header=BB6_10323 Depth=4
	s_or_b32 exec_lo, exec_lo, s77
	s_delay_alu instid0(SALU_CYCLE_1)
	s_and_b32 s76, s76, exec_lo
                                        ; implicit-def: $vgpr3
	s_or_saveexec_b32 s14, s14
	v_bfrev_b32_e32 v2, 1
	s_xor_b32 exec_lo, exec_lo, s14
	s_cbranch_execnz .LBB6_11385
.LBB6_11311:                            ;   in Loop: Header=BB6_10323 Depth=4
	s_or_b32 exec_lo, exec_lo, s14
	s_and_saveexec_b32 s14, s76
	s_cbranch_execz .LBB6_11313
.LBB6_11312:                            ;   in Loop: Header=BB6_10323 Depth=4
	v_and_b32_e32 v23, 3, v0
	v_bfe_u32 v28, v11, 18, 5
	s_delay_alu instid0(VALU_DEP_2) | instskip(NEXT) | instid1(VALU_DEP_2)
	v_clz_i32_u32_e32 v2, v23
	v_cmp_eq_u32_e32 vcc_lo, 0, v28
	s_delay_alu instid0(VALU_DEP_2) | instskip(NEXT) | instid1(VALU_DEP_1)
	v_min_u32_e32 v26, 32, v2
	v_subrev_nc_u32_e32 v2, 29, v26
	v_sub_nc_u32_e32 v26, 30, v26
	s_delay_alu instid0(VALU_DEP_2) | instskip(NEXT) | instid1(VALU_DEP_2)
	v_lshlrev_b64_e32 v[2:3], v2, v[0:1]
	v_dual_cndmask_b32 v26, v28, v26 :: v_dual_lshlrev_b32 v3, 24, v0
	v_bfe_i32 v0, v0, 0, 8
	s_delay_alu instid0(VALU_DEP_2) | instskip(NEXT) | instid1(VALU_DEP_4)
	v_and_b32_e32 v3, 0x80000000, v3
	v_and_b32_e32 v2, 3, v2
	s_delay_alu instid0(VALU_DEP_2) | instskip(NEXT) | instid1(VALU_DEP_2)
	v_lshl_add_u32 v3, v26, 23, v3
	v_cndmask_b32_e32 v2, v23, v2, vcc_lo
	v_cmp_lt_i16_e32 vcc_lo, -1, v0
	v_mov_b32_e32 v0, 0x7f800000
	s_delay_alu instid0(VALU_DEP_3) | instskip(SKIP_1) | instid1(VALU_DEP_3)
	v_lshl_or_b32 v2, v2, 21, v3
	v_and_b32_e32 v3, 0x7c0000, v11
	v_cndmask_b32_e32 v0, 0xff800000, v0, vcc_lo
	v_cmp_eq_u32_e32 vcc_lo, 0, v23
	s_delay_alu instid0(VALU_DEP_4) | instskip(NEXT) | instid1(VALU_DEP_3)
	v_add_nc_u32_e32 v2, 0x38000000, v2
	v_cndmask_b32_e32 v0, 0x7f800001, v0, vcc_lo
	v_cmp_eq_u32_e32 vcc_lo, 0x7c0000, v3
	s_delay_alu instid0(VALU_DEP_2)
	v_cndmask_b32_e32 v2, v2, v0, vcc_lo
.LBB6_11313:                            ;   in Loop: Header=BB6_10323 Depth=4
	s_or_b32 exec_lo, exec_lo, s14
	s_delay_alu instid0(VALU_DEP_1) | instskip(SKIP_2) | instid1(VALU_DEP_2)
	v_add_f32_e32 v2, v1, v2
	v_dual_mov_b32 v39, v113 :: v_dual_mov_b32 v1, v113
                                        ; implicit-def: $vgpr23
	s_mov_b32 s14, exec_lo
	v_and_b32_e32 v38, 0x7f800000, v2
	v_and_b32_e32 v0, 0x7fffff, v2
	v_lshrrev_b32_e32 v3, 24, v2
	s_delay_alu instid0(VALU_DEP_3)
	v_cmpx_ne_u64_e32 0x7f800000, v[38:39]
	s_xor_b32 s76, exec_lo, s14
	s_cbranch_execz .LBB6_11327
; %bb.11314:                            ;   in Loop: Header=BB6_10323 Depth=4
	v_and_b32_e32 v38, 0x7fffffff, v2
	v_mov_b32_e32 v39, v113
	v_and_b32_e32 v26, 0x80, v3
                                        ; implicit-def: $vgpr23
	s_mov_b32 s14, exec_lo
	s_delay_alu instid0(VALU_DEP_2)
	v_cmpx_gt_u64_e32 0x47600001, v[38:39]
	s_xor_b32 s77, exec_lo, s14
	s_cbranch_execz .LBB6_11324
; %bb.11315:                            ;   in Loop: Header=BB6_10323 Depth=4
	v_mov_b32_e32 v23, 0
	s_mov_b32 s78, exec_lo
	v_cmpx_ne_u32_e32 0, v2
	s_cbranch_execz .LBB6_11323
; %bb.11316:                            ;   in Loop: Header=BB6_10323 Depth=4
	v_bfe_u32 v23, v2, 23, 8
	v_or_b32_e32 v31, 0x800000, v0
	s_delay_alu instid0(VALU_DEP_2) | instskip(SKIP_1) | instid1(VALU_DEP_2)
	v_sub_nc_u32_e32 v2, 0x71, v23
	v_cmp_gt_u32_e32 vcc_lo, 0x72, v23
	v_cndmask_b32_e32 v2, 0, v2, vcc_lo
	v_cmp_eq_u32_e32 vcc_lo, 0, v23
	s_delay_alu instid0(VALU_DEP_2) | instskip(SKIP_1) | instid1(VALU_DEP_2)
	v_cndmask_b32_e64 v28, v2, 0x70, vcc_lo
	v_cndmask_b32_e32 v0, v31, v0, vcc_lo
	v_dual_add_nc_u32 v2, 21, v28 :: v_dual_add_nc_u32 v34, 20, v28
	s_delay_alu instid0(VALU_DEP_1) | instskip(NEXT) | instid1(VALU_DEP_2)
	v_lshlrev_b64_e64 v[2:3], v2, -1
	v_lshlrev_b64_e64 v[38:39], v34, 1
	s_delay_alu instid0(VALU_DEP_2) | instskip(SKIP_1) | instid1(VALU_DEP_4)
	v_bfi_b32 v2, v2, 0, v0
	v_lshrrev_b64 v[0:1], v28, v[0:1]
	v_bfi_b32 v3, v3, 0, 0
	s_delay_alu instid0(VALU_DEP_1) | instskip(NEXT) | instid1(VALU_DEP_3)
	v_cmp_eq_u64_e64 s14, v[2:3], v[38:39]
	v_mov_b64_e32 v[2:3], v[0:1]
	s_and_saveexec_b32 s79, s14
; %bb.11317:                            ;   in Loop: Header=BB6_10323 Depth=4
	v_bfe_u32 v2, v0, 21, 1
	v_mov_b32_e32 v3, v113
	s_delay_alu instid0(VALU_DEP_1) | instskip(NEXT) | instid1(VALU_DEP_1)
	v_add_nc_u64_e32 v[2:3], v[0:1], v[2:3]
	v_add_nc_u64_e32 v[2:3], -1, v[2:3]
; %bb.11318:                            ;   in Loop: Header=BB6_10323 Depth=4
	s_or_b32 exec_lo, exec_lo, s79
	v_add_nc_u32_e32 v1, 0xffffff81, v23
	v_lshrrev_b32_e32 v3, 23, v0
	s_mov_b32 s14, exec_lo
	s_delay_alu instid0(VALU_DEP_2) | instskip(NEXT) | instid1(VALU_DEP_1)
	v_cndmask_b32_e64 v1, v1, 0xffffff82, vcc_lo
	v_add3_u32 v3, v28, v1, v3
	v_and_b32_e32 v1, 0x1fffff, v2
                                        ; implicit-def: $vgpr2
	s_delay_alu instid0(VALU_DEP_1) | instskip(SKIP_1) | instid1(VALU_DEP_2)
	v_dual_add_nc_u32 v23, 14, v3 :: v_dual_add_nc_u32 v0, v1, v0
	v_mov_b32_e32 v1, v113
	v_cmpx_ne_u32_e32 0, v23
	s_xor_b32 s14, exec_lo, s14
; %bb.11319:                            ;   in Loop: Header=BB6_10323 Depth=4
	s_delay_alu instid0(VALU_DEP_2) | instskip(SKIP_2) | instid1(VALU_DEP_2)
	v_cmp_lt_u64_e32 vcc_lo, 0xffffff, v[0:1]
	v_add_nc_u32_e32 v2, 15, v3
	v_cndmask_b32_e64 v3, 0, 1, vcc_lo
	v_cndmask_b32_e32 v2, v23, v2, vcc_lo
	s_delay_alu instid0(VALU_DEP_2)
	v_lshrrev_b64 v[0:1], v3, v[0:1]
; %bb.11320:                            ;   in Loop: Header=BB6_10323 Depth=4
	s_and_not1_saveexec_b32 s14, s14
; %bb.11321:                            ;   in Loop: Header=BB6_10323 Depth=4
	s_delay_alu instid0(VALU_DEP_1)
	v_bfe_u32 v2, v0, 23, 1
; %bb.11322:                            ;   in Loop: Header=BB6_10323 Depth=4
	s_or_b32 exec_lo, exec_lo, s14
	s_delay_alu instid0(VALU_DEP_2) | instskip(NEXT) | instid1(VALU_DEP_2)
	v_lshrrev_b64 v[0:1], 21, v[0:1]
	v_cmp_gt_i32_e32 vcc_lo, 32, v2
	v_min_i32_e32 v3, 31, v2
	v_cmp_eq_u32_e64 s14, 0, v2
	s_delay_alu instid0(VALU_DEP_2) | instskip(SKIP_1) | instid1(VALU_DEP_2)
	v_dual_cndmask_b32 v1, 0, v1, vcc_lo :: v_dual_lshlrev_b32 v3, 2, v3
	v_cndmask_b32_e32 v0, 3, v0, vcc_lo
	v_and_b32_e32 v3, 0xfc, v3
	s_delay_alu instid0(VALU_DEP_2) | instskip(NEXT) | instid1(VALU_DEP_2)
	v_cmp_eq_u64_e32 vcc_lo, 0, v[0:1]
	v_and_or_b32 v0, v0, 3, v3
	s_and_b32 s14, s14, vcc_lo
	s_delay_alu instid0(VALU_DEP_1) | instid1(SALU_CYCLE_1)
	v_cndmask_b32_e64 v0, v0, 0, s14
	s_delay_alu instid0(VALU_DEP_1)
	v_or_b32_e32 v23, v0, v26
.LBB6_11323:                            ;   in Loop: Header=BB6_10323 Depth=4
	s_or_b32 exec_lo, exec_lo, s78
                                        ; implicit-def: $vgpr26
.LBB6_11324:                            ;   in Loop: Header=BB6_10323 Depth=4
	s_and_not1_saveexec_b32 s14, s77
; %bb.11325:                            ;   in Loop: Header=BB6_10323 Depth=4
	v_or_b32_e32 v23, 0x7b, v26
; %bb.11326:                            ;   in Loop: Header=BB6_10323 Depth=4
	s_or_b32 exec_lo, exec_lo, s14
                                        ; implicit-def: $vgpr2
                                        ; implicit-def: $vgpr0_vgpr1
                                        ; implicit-def: $vgpr3
.LBB6_11327:                            ;   in Loop: Header=BB6_10323 Depth=4
	s_and_not1_saveexec_b32 s14, s76
	s_cbranch_execz .LBB6_11333
; %bb.11328:                            ;   in Loop: Header=BB6_10323 Depth=4
	s_mov_b32 s76, exec_lo
                                        ; implicit-def: $vgpr23
	v_cmpx_ne_u64_e32 0, v[0:1]
	s_xor_b32 s76, exec_lo, s76
; %bb.11329:                            ;   in Loop: Header=BB6_10323 Depth=4
	v_or_b32_e32 v23, 0x7f, v3
                                        ; implicit-def: $vgpr2
; %bb.11330:                            ;   in Loop: Header=BB6_10323 Depth=4
	s_and_not1_saveexec_b32 s76, s76
; %bb.11331:                            ;   in Loop: Header=BB6_10323 Depth=4
	v_cmp_lt_i32_e32 vcc_lo, -1, v2
	v_mov_b32_e32 v0, 0x7c
	s_delay_alu instid0(VALU_DEP_1)
	v_cndmask_b32_e32 v23, 0xfc, v0, vcc_lo
; %bb.11332:                            ;   in Loop: Header=BB6_10323 Depth=4
	s_or_b32 exec_lo, exec_lo, s76
.LBB6_11333:                            ;   in Loop: Header=BB6_10323 Depth=4
	s_delay_alu instid0(SALU_CYCLE_1)
	s_or_b32 exec_lo, exec_lo, s14
	v_mov_b32_e32 v1, 0
	s_mov_b32 s14, exec_lo
	v_cmpx_lt_u32_e32 0xffffff, v112
	s_cbranch_execz .LBB6_11343
; %bb.11334:                            ;   in Loop: Header=BB6_10323 Depth=4
	v_lshrrev_b32_e32 v0, 24, v112
	v_bfrev_b32_e32 v1, 1
	s_mov_b32 s76, exec_lo
	s_delay_alu instid0(VALU_DEP_2)
	v_cmpx_ne_u32_e32 0x80, v0
	s_cbranch_execz .LBB6_11342
; %bb.11335:                            ;   in Loop: Header=BB6_10323 Depth=4
	v_and_b32_e32 v1, 0x7c000000, v112
	v_bfe_u32 v2, v112, 24, 2
	s_delay_alu instid0(VALU_DEP_2) | instskip(SKIP_1) | instid1(SALU_CYCLE_1)
	v_cmp_ne_u32_e32 vcc_lo, 0x7c000000, v1
                                        ; implicit-def: $vgpr1
	s_and_saveexec_b32 s77, vcc_lo
	s_xor_b32 s77, exec_lo, s77
	s_cbranch_execz .LBB6_11339
; %bb.11336:                            ;   in Loop: Header=BB6_10323 Depth=4
	v_bfe_u32 v1, v112, 26, 5
	s_mov_b32 s78, exec_lo
	s_delay_alu instid0(VALU_DEP_1)
	v_cmpx_eq_u32_e32 0, v1
; %bb.11337:                            ;   in Loop: Header=BB6_10323 Depth=4
	v_clz_i32_u32_e32 v1, v2
	s_delay_alu instid0(VALU_DEP_1) | instskip(NEXT) | instid1(VALU_DEP_1)
	v_min_u32_e32 v2, 32, v1
	v_subrev_nc_u32_e32 v1, 29, v2
	s_delay_alu instid0(VALU_DEP_1) | instskip(NEXT) | instid1(VALU_DEP_1)
	v_lshlrev_b64_e32 v[0:1], v1, v[0:1]
	v_dual_sub_nc_u32 v1, 30, v2 :: v_dual_bitop2_b32 v2, 3, v0 bitop3:0x40
; %bb.11338:                            ;   in Loop: Header=BB6_10323 Depth=4
	s_or_b32 exec_lo, exec_lo, s78
	v_and_b32_e32 v0, 0x80000000, v112
	s_delay_alu instid0(VALU_DEP_1) | instskip(NEXT) | instid1(VALU_DEP_1)
	v_lshl_add_u32 v0, v1, 23, v0
	v_lshl_or_b32 v0, v2, 21, v0
                                        ; implicit-def: $vgpr2
	s_delay_alu instid0(VALU_DEP_1)
	v_add_nc_u32_e32 v1, 0x38000000, v0
.LBB6_11339:                            ;   in Loop: Header=BB6_10323 Depth=4
	s_and_not1_saveexec_b32 s77, s77
; %bb.11340:                            ;   in Loop: Header=BB6_10323 Depth=4
	v_cmp_lt_i32_e32 vcc_lo, -1, v112
	v_mov_b32_e32 v0, 0x7f800000
	s_delay_alu instid0(VALU_DEP_1) | instskip(SKIP_1) | instid1(VALU_DEP_2)
	v_cndmask_b32_e32 v0, 0xff800000, v0, vcc_lo
	v_cmp_eq_u32_e32 vcc_lo, 0, v2
	v_cndmask_b32_e32 v1, 0x7f800001, v0, vcc_lo
; %bb.11341:                            ;   in Loop: Header=BB6_10323 Depth=4
	s_or_b32 exec_lo, exec_lo, s77
.LBB6_11342:                            ;   in Loop: Header=BB6_10323 Depth=4
	s_delay_alu instid0(SALU_CYCLE_1)
	s_or_b32 exec_lo, exec_lo, s76
.LBB6_11343:                            ;   in Loop: Header=BB6_10323 Depth=4
	s_delay_alu instid0(SALU_CYCLE_1) | instskip(SKIP_2) | instid1(VALU_DEP_2)
	s_or_b32 exec_lo, exec_lo, s14
	v_bfe_u32 v26, v11, 24, 2
	v_bfe_u32 v31, v11, 26, 5
	v_clz_i32_u32_e32 v0, v26
	s_delay_alu instid0(VALU_DEP_2) | instskip(NEXT) | instid1(VALU_DEP_2)
	v_cmp_eq_u32_e32 vcc_lo, 0, v31
	v_min_u32_e32 v28, 32, v0
	v_lshrrev_b32_e32 v0, 24, v11
	s_delay_alu instid0(VALU_DEP_2) | instskip(NEXT) | instid1(VALU_DEP_1)
	v_subrev_nc_u32_e32 v2, 29, v28
	v_lshlrev_b64_e32 v[2:3], v2, v[0:1]
	v_sub_nc_u32_e32 v3, 30, v28
	v_and_b32_e32 v28, 0x80000000, v11
	s_delay_alu instid0(VALU_DEP_2) | instskip(NEXT) | instid1(VALU_DEP_1)
	v_dual_cndmask_b32 v3, v31, v3, vcc_lo :: v_dual_bitop2_b32 v2, 3, v2 bitop3:0x40
	v_lshl_add_u32 v3, v3, 23, v28
	s_delay_alu instid0(VALU_DEP_2) | instskip(SKIP_2) | instid1(VALU_DEP_3)
	v_cndmask_b32_e32 v2, v26, v2, vcc_lo
	v_cmp_lt_i64_e32 vcc_lo, -1, v[10:11]
	v_mov_b32_e32 v28, 0x7f800000
	v_lshl_or_b32 v2, v2, 21, v3
	v_and_b32_e32 v3, 0x7c000000, v11
	s_delay_alu instid0(VALU_DEP_3) | instskip(SKIP_1) | instid1(VALU_DEP_4)
	v_cndmask_b32_e32 v28, 0xff800000, v28, vcc_lo
	v_cmp_eq_u32_e32 vcc_lo, 0, v26
	v_add_nc_u32_e32 v2, 0x38000000, v2
	s_delay_alu instid0(VALU_DEP_3) | instskip(SKIP_1) | instid1(VALU_DEP_2)
	v_cndmask_b32_e32 v26, 0x7f800001, v28, vcc_lo
	v_cmp_eq_u32_e32 vcc_lo, 0x7c000000, v3
	v_dual_mov_b32 v3, v113 :: v_dual_cndmask_b32 v2, v2, v26
	v_cmp_ne_u32_e32 vcc_lo, 0x80, v0
	s_delay_alu instid0(VALU_DEP_2) | instskip(SKIP_1) | instid1(VALU_DEP_2)
	v_cndmask_b32_e32 v0, 0x80000000, v2, vcc_lo
	v_cmp_lt_u64_e32 vcc_lo, s[22:23], v[10:11]
	v_cndmask_b32_e32 v0, 0, v0, vcc_lo
	s_delay_alu instid0(VALU_DEP_1) | instskip(NEXT) | instid1(VALU_DEP_1)
	v_add_f32_e32 v1, v0, v1
                                        ; implicit-def: $vgpr0
	v_and_b32_e32 v2, 0x7f800000, v1
	v_and_b32_e32 v112, 0x7fffff, v1
	s_delay_alu instid0(VALU_DEP_2) | instskip(SKIP_2) | instid1(SALU_CYCLE_1)
	v_cmp_ne_u64_e32 vcc_lo, 0x7f800000, v[2:3]
	v_lshrrev_b32_e32 v2, 24, v1
	s_and_saveexec_b32 s14, vcc_lo
	s_xor_b32 s76, exec_lo, s14
	s_cbranch_execz .LBB6_11357
; %bb.11344:                            ;   in Loop: Header=BB6_10323 Depth=4
	v_and_b32_e32 v10, 0x7fffffff, v1
	v_mov_b32_e32 v11, v113
                                        ; implicit-def: $vgpr0
	s_delay_alu instid0(VALU_DEP_1) | instskip(SKIP_2) | instid1(SALU_CYCLE_1)
	v_cmp_gt_u64_e32 vcc_lo, 0x47600001, v[10:11]
	v_and_b32_e32 v10, 0x80, v2
	s_and_saveexec_b32 s14, vcc_lo
	s_xor_b32 s77, exec_lo, s14
	s_cbranch_execz .LBB6_11354
; %bb.11345:                            ;   in Loop: Header=BB6_10323 Depth=4
	v_mov_b32_e32 v0, 0
	s_mov_b32 s78, exec_lo
	v_cmpx_ne_u32_e32 0, v1
	s_cbranch_execz .LBB6_11353
; %bb.11346:                            ;   in Loop: Header=BB6_10323 Depth=4
	v_bfe_u32 v11, v1, 23, 8
	v_or_b32_e32 v2, 0x800000, v112
	s_mov_b32 s79, exec_lo
	s_delay_alu instid0(VALU_DEP_2) | instskip(SKIP_1) | instid1(VALU_DEP_2)
	v_dual_mov_b32 v3, v113 :: v_dual_sub_nc_u32 v0, 0x71, v11
	v_cmp_gt_u32_e32 vcc_lo, 0x72, v11
	v_cndmask_b32_e32 v0, 0, v0, vcc_lo
	v_cmp_eq_u32_e32 vcc_lo, 0, v11
	s_delay_alu instid0(VALU_DEP_2) | instskip(NEXT) | instid1(VALU_DEP_1)
	v_cndmask_b32_e64 v26, v0, 0x70, vcc_lo
	v_dual_cndmask_b32 v2, v2, v112, vcc_lo :: v_dual_add_nc_u32 v0, 21, v26
	v_add_nc_u32_e32 v28, 20, v26
	s_delay_alu instid0(VALU_DEP_2) | instskip(NEXT) | instid1(VALU_DEP_2)
	v_lshlrev_b64_e64 v[0:1], v0, -1
	v_lshlrev_b64_e64 v[38:39], v28, 1
	s_delay_alu instid0(VALU_DEP_2) | instskip(NEXT) | instid1(VALU_DEP_3)
	v_bfi_b32 v49, v1, 0, 0
	v_bfi_b32 v48, v0, 0, v2
	v_lshrrev_b64 v[0:1], v26, v[2:3]
	s_delay_alu instid0(VALU_DEP_1) | instskip(NEXT) | instid1(VALU_DEP_3)
	v_mov_b64_e32 v[2:3], v[0:1]
	v_cmpx_eq_u64_e64 v[48:49], v[38:39]
; %bb.11347:                            ;   in Loop: Header=BB6_10323 Depth=4
	v_bfe_u32 v2, v0, 21, 1
	v_mov_b32_e32 v3, v113
	s_delay_alu instid0(VALU_DEP_1) | instskip(NEXT) | instid1(VALU_DEP_1)
	v_add_nc_u64_e32 v[2:3], v[0:1], v[2:3]
	v_add_nc_u64_e32 v[2:3], -1, v[2:3]
; %bb.11348:                            ;   in Loop: Header=BB6_10323 Depth=4
	s_or_b32 exec_lo, exec_lo, s79
	v_add_nc_u32_e32 v1, 0xffffff81, v11
	s_delay_alu instid0(VALU_DEP_2) | instskip(SKIP_2) | instid1(VALU_DEP_3)
	v_and_b32_e32 v2, 0x1fffff, v2
	v_lshrrev_b32_e32 v3, 23, v0
	s_mov_b32 s14, exec_lo
	v_cndmask_b32_e64 v1, v1, 0xffffff82, vcc_lo
	s_delay_alu instid0(VALU_DEP_3) | instskip(NEXT) | instid1(VALU_DEP_2)
	v_add_nc_u32_e32 v112, v2, v0
                                        ; implicit-def: $vgpr2
	v_add3_u32 v3, v26, v1, v3
                                        ; implicit-def: $vgpr0_vgpr1
	s_delay_alu instid0(VALU_DEP_1) | instskip(NEXT) | instid1(VALU_DEP_1)
	v_add_nc_u32_e32 v11, 14, v3
	v_cmpx_ne_u32_e32 0, v11
	s_xor_b32 s14, exec_lo, s14
; %bb.11349:                            ;   in Loop: Header=BB6_10323 Depth=4
	v_cmp_lt_u64_e32 vcc_lo, 0xffffff, v[112:113]
	v_add_nc_u32_e32 v0, 15, v3
	s_delay_alu instid0(VALU_DEP_1) | instskip(SKIP_1) | instid1(VALU_DEP_1)
	v_cndmask_b32_e32 v2, v11, v0, vcc_lo
	v_cndmask_b32_e64 v0, 0, 1, vcc_lo
	v_lshrrev_b64 v[0:1], v0, v[112:113]
; %bb.11350:                            ;   in Loop: Header=BB6_10323 Depth=4
	s_and_not1_saveexec_b32 s14, s14
; %bb.11351:                            ;   in Loop: Header=BB6_10323 Depth=4
	v_mov_b64_e32 v[0:1], v[112:113]
	v_bfe_u32 v2, v112, 23, 1
; %bb.11352:                            ;   in Loop: Header=BB6_10323 Depth=4
	s_or_b32 exec_lo, exec_lo, s14
	s_delay_alu instid0(VALU_DEP_2) | instskip(NEXT) | instid1(VALU_DEP_2)
	v_lshrrev_b64 v[0:1], 21, v[0:1]
	v_cmp_gt_i32_e32 vcc_lo, 32, v2
	v_min_i32_e32 v3, 31, v2
	v_cmp_eq_u32_e64 s14, 0, v2
	s_delay_alu instid0(VALU_DEP_2) | instskip(SKIP_1) | instid1(VALU_DEP_2)
	v_dual_cndmask_b32 v1, 0, v1, vcc_lo :: v_dual_lshlrev_b32 v3, 2, v3
	v_cndmask_b32_e32 v0, 3, v0, vcc_lo
	v_and_b32_e32 v3, 0xfc, v3
	s_delay_alu instid0(VALU_DEP_2) | instskip(NEXT) | instid1(VALU_DEP_2)
	v_cmp_eq_u64_e32 vcc_lo, 0, v[0:1]
	v_and_or_b32 v0, v0, 3, v3
	s_and_b32 s14, s14, vcc_lo
	s_delay_alu instid0(VALU_DEP_1) | instid1(SALU_CYCLE_1)
	v_cndmask_b32_e64 v0, v0, 0, s14
	s_delay_alu instid0(VALU_DEP_1)
	v_or_b32_e32 v0, v0, v10
.LBB6_11353:                            ;   in Loop: Header=BB6_10323 Depth=4
	s_or_b32 exec_lo, exec_lo, s78
                                        ; implicit-def: $vgpr10
.LBB6_11354:                            ;   in Loop: Header=BB6_10323 Depth=4
	s_and_not1_saveexec_b32 s14, s77
; %bb.11355:                            ;   in Loop: Header=BB6_10323 Depth=4
	v_or_b32_e32 v0, 0x7b, v10
; %bb.11356:                            ;   in Loop: Header=BB6_10323 Depth=4
	s_or_b32 exec_lo, exec_lo, s14
                                        ; implicit-def: $vgpr1
                                        ; implicit-def: $vgpr2
.LBB6_11357:                            ;   in Loop: Header=BB6_10323 Depth=4
	s_and_not1_saveexec_b32 s14, s76
	s_cbranch_execz .LBB6_10322
; %bb.11358:                            ;   in Loop: Header=BB6_10323 Depth=4
	s_mov_b32 s76, exec_lo
                                        ; implicit-def: $vgpr0
	v_cmpx_ne_u64_e32 0, v[112:113]
	s_xor_b32 s76, exec_lo, s76
; %bb.11359:                            ;   in Loop: Header=BB6_10323 Depth=4
	v_or_b32_e32 v0, 0x7f, v2
                                        ; implicit-def: $vgpr1
; %bb.11360:                            ;   in Loop: Header=BB6_10323 Depth=4
	s_and_not1_saveexec_b32 s76, s76
	s_cbranch_execz .LBB6_10321
; %bb.11361:                            ;   in Loop: Header=BB6_10323 Depth=4
	v_cmp_lt_i32_e32 vcc_lo, -1, v1
	v_mov_b32_e32 v0, 0x7c
	s_delay_alu instid0(VALU_DEP_1)
	v_cndmask_b32_e32 v0, 0xfc, v0, vcc_lo
	s_branch .LBB6_10321
.LBB6_11362:                            ;   in Loop: Header=BB6_10323 Depth=4
	s_or_saveexec_b32 s14, s14
	v_bfrev_b32_e32 v1, 1
	s_xor_b32 exec_lo, exec_lo, s14
	s_cbranch_execz .LBB6_10825
.LBB6_11363:                            ;   in Loop: Header=BB6_10323 Depth=4
	v_cmp_ne_u16_e32 vcc_lo, 0, v2
	v_mov_b32_e32 v1, 0
	s_and_not1_b32 s76, s76, exec_lo
	s_and_b32 s77, vcc_lo, exec_lo
	s_delay_alu instid0(SALU_CYCLE_1)
	s_or_b32 s76, s76, s77
	s_or_b32 exec_lo, exec_lo, s14
	s_and_saveexec_b32 s14, s76
	s_cbranch_execnz .LBB6_10826
	s_branch .LBB6_10827
.LBB6_11364:                            ;   in Loop: Header=BB6_10323 Depth=4
	s_or_saveexec_b32 s14, s14
	v_bfrev_b32_e32 v1, 1
	s_xor_b32 exec_lo, exec_lo, s14
	s_cbranch_execz .LBB6_10861
.LBB6_11365:                            ;   in Loop: Header=BB6_10323 Depth=4
	v_cmp_ne_u16_e32 vcc_lo, 0, v0
	v_mov_b32_e32 v1, 0
	s_and_not1_b32 s76, s76, exec_lo
	s_and_b32 s77, vcc_lo, exec_lo
	s_delay_alu instid0(SALU_CYCLE_1)
	s_or_b32 s76, s76, s77
	s_or_b32 exec_lo, exec_lo, s14
	s_and_saveexec_b32 s14, s76
	s_cbranch_execnz .LBB6_10862
	s_branch .LBB6_10863
.LBB6_11366:                            ;   in Loop: Header=BB6_10323 Depth=4
	s_or_saveexec_b32 s14, s14
	v_bfrev_b32_e32 v2, 1
	s_xor_b32 exec_lo, exec_lo, s14
	s_cbranch_execz .LBB6_10897
.LBB6_11367:                            ;   in Loop: Header=BB6_10323 Depth=4
	v_cmp_ne_u16_e32 vcc_lo, 0, v3
	v_mov_b32_e32 v2, 0
	s_and_not1_b32 s76, s76, exec_lo
	s_and_b32 s77, vcc_lo, exec_lo
	s_delay_alu instid0(SALU_CYCLE_1)
	s_or_b32 s76, s76, s77
	s_or_b32 exec_lo, exec_lo, s14
	s_and_saveexec_b32 s14, s76
	s_cbranch_execnz .LBB6_10898
	s_branch .LBB6_10899
.LBB6_11368:                            ;   in Loop: Header=BB6_10323 Depth=4
	s_or_saveexec_b32 s14, s14
	v_bfrev_b32_e32 v3, 1
	s_xor_b32 exec_lo, exec_lo, s14
	s_cbranch_execz .LBB6_10963
.LBB6_11369:                            ;   in Loop: Header=BB6_10323 Depth=4
	v_cmp_ne_u16_e32 vcc_lo, 0, v1
	v_mov_b32_e32 v3, 0
	s_and_not1_b32 s76, s76, exec_lo
	s_and_b32 s77, vcc_lo, exec_lo
	s_delay_alu instid0(SALU_CYCLE_1)
	s_or_b32 s76, s76, s77
	s_or_b32 exec_lo, exec_lo, s14
	v_mov_b32_e32 v1, v113
	s_and_saveexec_b32 s14, s76
	s_cbranch_execnz .LBB6_10964
	s_branch .LBB6_10965
.LBB6_11370:                            ;   in Loop: Header=BB6_10323 Depth=4
	s_or_saveexec_b32 s14, s14
	v_bfrev_b32_e32 v3, 1
	s_xor_b32 exec_lo, exec_lo, s14
	s_cbranch_execz .LBB6_10999
.LBB6_11371:                            ;   in Loop: Header=BB6_10323 Depth=4
	v_cmp_ne_u16_e32 vcc_lo, 0, v2
	v_mov_b32_e32 v3, 0
	s_and_not1_b32 s76, s76, exec_lo
	s_and_b32 s77, vcc_lo, exec_lo
	s_delay_alu instid0(SALU_CYCLE_1)
	s_or_b32 s76, s76, s77
	s_or_b32 exec_lo, exec_lo, s14
	s_and_saveexec_b32 s14, s76
	s_cbranch_execnz .LBB6_11000
	s_branch .LBB6_11001
.LBB6_11372:                            ;   in Loop: Header=BB6_10323 Depth=4
	s_or_saveexec_b32 s14, s14
	v_bfrev_b32_e32 v2, 1
	s_xor_b32 exec_lo, exec_lo, s14
	s_cbranch_execz .LBB6_11035
.LBB6_11373:                            ;   in Loop: Header=BB6_10323 Depth=4
	v_cmp_ne_u16_e32 vcc_lo, 0, v3
	v_mov_b32_e32 v2, 0
	s_and_not1_b32 s76, s76, exec_lo
	s_and_b32 s77, vcc_lo, exec_lo
	s_delay_alu instid0(SALU_CYCLE_1)
	s_or_b32 s76, s76, s77
	s_or_b32 exec_lo, exec_lo, s14
	s_and_saveexec_b32 s14, s76
	s_cbranch_execnz .LBB6_11036
	s_branch .LBB6_11037
.LBB6_11374:                            ;   in Loop: Header=BB6_10323 Depth=4
	s_or_saveexec_b32 s14, s14
	v_bfrev_b32_e32 v1, 1
	s_xor_b32 exec_lo, exec_lo, s14
	s_cbranch_execz .LBB6_11101
.LBB6_11375:                            ;   in Loop: Header=BB6_10323 Depth=4
	v_cmp_ne_u16_e32 vcc_lo, 0, v2
	v_mov_b32_e32 v1, 0
	s_and_not1_b32 s76, s76, exec_lo
	s_and_b32 s77, vcc_lo, exec_lo
	s_delay_alu instid0(SALU_CYCLE_1)
	s_or_b32 s76, s76, s77
	s_or_b32 exec_lo, exec_lo, s14
	s_and_saveexec_b32 s14, s76
	s_cbranch_execnz .LBB6_11102
	s_branch .LBB6_11103
.LBB6_11376:                            ;   in Loop: Header=BB6_10323 Depth=4
	s_or_saveexec_b32 s14, s14
	v_bfrev_b32_e32 v1, 1
	s_xor_b32 exec_lo, exec_lo, s14
	s_cbranch_execz .LBB6_11137
.LBB6_11377:                            ;   in Loop: Header=BB6_10323 Depth=4
	v_cmp_ne_u16_e32 vcc_lo, 0, v0
	v_mov_b32_e32 v1, 0
	s_and_not1_b32 s76, s76, exec_lo
	s_and_b32 s77, vcc_lo, exec_lo
	s_delay_alu instid0(SALU_CYCLE_1)
	s_or_b32 s76, s76, s77
	s_or_b32 exec_lo, exec_lo, s14
	s_and_saveexec_b32 s14, s76
	s_cbranch_execnz .LBB6_11138
	s_branch .LBB6_11139
.LBB6_11378:                            ;   in Loop: Header=BB6_10323 Depth=4
	s_or_saveexec_b32 s14, s14
	v_bfrev_b32_e32 v2, 1
	s_xor_b32 exec_lo, exec_lo, s14
	s_cbranch_execz .LBB6_11173
.LBB6_11379:                            ;   in Loop: Header=BB6_10323 Depth=4
	v_cmp_ne_u16_e32 vcc_lo, 0, v3
	v_mov_b32_e32 v2, 0
	s_and_not1_b32 s76, s76, exec_lo
	s_and_b32 s77, vcc_lo, exec_lo
	s_delay_alu instid0(SALU_CYCLE_1)
	s_or_b32 s76, s76, s77
	s_or_b32 exec_lo, exec_lo, s14
	s_and_saveexec_b32 s14, s76
	s_cbranch_execnz .LBB6_11174
	s_branch .LBB6_11175
.LBB6_11380:                            ;   in Loop: Header=BB6_10323 Depth=4
	s_or_saveexec_b32 s14, s14
	v_bfrev_b32_e32 v3, 1
	s_xor_b32 exec_lo, exec_lo, s14
	s_cbranch_execz .LBB6_11239
.LBB6_11381:                            ;   in Loop: Header=BB6_10323 Depth=4
	v_cmp_ne_u16_e32 vcc_lo, 0, v1
	v_mov_b32_e32 v3, 0
	s_and_not1_b32 s76, s76, exec_lo
	s_and_b32 s77, vcc_lo, exec_lo
	s_delay_alu instid0(SALU_CYCLE_1)
	s_or_b32 s76, s76, s77
	s_or_b32 exec_lo, exec_lo, s14
	v_mov_b32_e32 v1, v113
	s_and_saveexec_b32 s14, s76
	s_cbranch_execnz .LBB6_11240
	s_branch .LBB6_11241
.LBB6_11382:                            ;   in Loop: Header=BB6_10323 Depth=4
	s_or_saveexec_b32 s14, s14
	v_bfrev_b32_e32 v3, 1
	s_xor_b32 exec_lo, exec_lo, s14
	s_cbranch_execz .LBB6_11275
.LBB6_11383:                            ;   in Loop: Header=BB6_10323 Depth=4
	v_cmp_ne_u16_e32 vcc_lo, 0, v2
	v_mov_b32_e32 v3, 0
	s_and_not1_b32 s76, s76, exec_lo
	s_and_b32 s77, vcc_lo, exec_lo
	s_delay_alu instid0(SALU_CYCLE_1)
	s_or_b32 s76, s76, s77
	s_or_b32 exec_lo, exec_lo, s14
	s_and_saveexec_b32 s14, s76
	s_cbranch_execnz .LBB6_11276
	s_branch .LBB6_11277
.LBB6_11384:                            ;   in Loop: Header=BB6_10323 Depth=4
	s_or_saveexec_b32 s14, s14
	v_bfrev_b32_e32 v2, 1
	s_xor_b32 exec_lo, exec_lo, s14
	s_cbranch_execz .LBB6_11311
.LBB6_11385:                            ;   in Loop: Header=BB6_10323 Depth=4
	v_cmp_ne_u16_e32 vcc_lo, 0, v3
	v_mov_b32_e32 v2, 0
	s_and_not1_b32 s76, s76, exec_lo
	s_and_b32 s77, vcc_lo, exec_lo
	s_delay_alu instid0(SALU_CYCLE_1)
	s_or_b32 s76, s76, s77
	s_or_b32 exec_lo, exec_lo, s14
	s_and_saveexec_b32 s14, s76
	s_cbranch_execnz .LBB6_11312
	s_branch .LBB6_11313
.LBB6_11386:                            ;   in Loop: Header=BB6_5746 Depth=3
	s_or_b32 exec_lo, exec_lo, s73
.LBB6_11387:                            ;   in Loop: Header=BB6_5746 Depth=3
	s_delay_alu instid0(SALU_CYCLE_1) | instskip(SKIP_4) | instid1(VALU_DEP_1)
	s_or_b32 exec_lo, exec_lo, s72
	scratch_load_b64 v[2:3], off, s33 offset:272 ; 8-byte Folded Reload
	v_cmp_lt_i32_e32 vcc_lo, 0, v20
	s_wait_loadcnt 0x0
	v_dual_cndmask_b32 v2, 0, v2, vcc_lo :: v_dual_bitop2_b32 v0, 15, v63 bitop3:0x40
	v_dual_sub_nc_u32 v1, v19, v0 :: v_dual_cndmask_b32 v3, v19, v0, s13
	s_delay_alu instid0(VALU_DEP_1) | instskip(NEXT) | instid1(VALU_DEP_2)
	v_dual_cndmask_b32 v0, 0, v1, s13 :: v_dual_sub_nc_u32 v1, v2, v20
	v_cmp_ne_u32_e32 vcc_lo, 0, v3
	s_delay_alu instid0(VALU_DEP_2) | instskip(NEXT) | instid1(VALU_DEP_3)
	v_add3_u32 v8, v18, v16, v0
	v_lshl_add_u32 v5, v1, 5, v17
	s_and_b32 s13, vcc_lo, exec_lo
.LBB6_11388:                            ;   in Loop: Header=BB6_5746 Depth=3
	s_wait_xcnt 0x0
	s_or_b32 exec_lo, exec_lo, s15
	s_and_saveexec_b32 s72, s13
	s_cbranch_execz .LBB6_13987
.LBB6_11389:                            ;   in Loop: Header=BB6_5746 Depth=3
	s_wait_loadcnt 0x0
	v_dual_ashrrev_i32 v0, 31, v5 :: v_dual_ashrrev_i32 v1, 31, v3
	s_mov_b32 s73, exec_lo
	s_delay_alu instid0(VALU_DEP_1) | instskip(NEXT) | instid1(VALU_DEP_1)
	v_dual_lshrrev_b32 v0, 27, v0 :: v_dual_lshrrev_b32 v1, 22, v1
	v_dual_add_nc_u32 v0, v5, v0 :: v_dual_add_nc_u32 v1, v3, v1
	s_delay_alu instid0(VALU_DEP_1) | instskip(NEXT) | instid1(VALU_DEP_1)
	v_dual_ashrrev_i32 v4, 5, v0 :: v_dual_ashrrev_i32 v1, 10, v1
	v_sub_nc_u32_e32 v126, v1, v4
	s_delay_alu instid0(VALU_DEP_1)
	v_cmpx_lt_i32_e32 0, v126
	s_cbranch_execz .LBB6_13897
; %bb.11390:                            ;   in Loop: Header=BB6_5746 Depth=3
	s_clause 0x1
	scratch_store_b32 off, v1, s33 offset:464
	scratch_store_b32 off, v3, s33 offset:444
	v_and_b32_e32 v2, 0xffffffe0, v0
	s_trap 2
	s_wait_xcnt 0x1
	ds_load_b64 v[0:1], v0
	s_wait_xcnt 0x0
	v_lshlrev_b32_e32 v3, 10, v4
	s_clause 0x2
	scratch_store_b32 off, v4, s33 offset:456
	scratch_store_b32 off, v5, s33 offset:452
	;; [unrolled: 1-line block ×3, first 2 shown]
	v_sub_nc_u32_e32 v2, v5, v2
	s_wait_xcnt 0x1
	v_add_nc_u64_e32 v[4:5], 0x3e0, v[58:59]
	s_mov_b32 s74, 0
	s_delay_alu instid0(VALU_DEP_2) | instskip(NEXT) | instid1(VALU_DEP_1)
	v_add3_u32 v2, v8, v2, v3
	v_ashrrev_i32_e32 v3, 31, v2
	s_wait_xcnt 0x0
	s_delay_alu instid0(VALU_DEP_1)
	v_add_nc_u64_e32 v[8:9], v[2:3], v[56:57]
	s_wait_dscnt 0x0
	v_add_nc_u64_e32 v[10:11], v[0:1], v[2:3]
	v_add_nc_u64_e32 v[12:13], v[4:5], v[2:3]
	s_branch .LBB6_11393
.LBB6_11391:                            ;   in Loop: Header=BB6_11393 Depth=4
	s_or_b32 exec_lo, exec_lo, s14
.LBB6_11392:                            ;   in Loop: Header=BB6_11393 Depth=4
	s_delay_alu instid0(SALU_CYCLE_1)
	s_or_b32 exec_lo, exec_lo, s13
	s_clause 0x17
	flat_store_b8 v[12:13], v34 offset:-992 th:TH_STORE_NT
	flat_store_b8 v[12:13], v20 offset:-960 th:TH_STORE_NT
	;; [unrolled: 1-line block ×24, first 2 shown]
	scratch_load_b64 v[2:3], off, s33 offset:272 ; 8-byte Folded Reload
	s_clause 0x7
	flat_store_b8 v[12:13], v38 offset:-224 th:TH_STORE_NT
	flat_store_b8 v[12:13], v39 offset:-192 th:TH_STORE_NT
	;; [unrolled: 1-line block ×7, first 2 shown]
	flat_store_b8 v[12:13], v1 th:TH_STORE_NT
	scratch_load_b64 v[0:1], off, s33 offset:280 ; 8-byte Folded Reload
	s_wait_loadcnt 0x1
	v_sub_nc_u32_e32 v126, v126, v2
	s_wait_loadcnt 0x0
	v_add_nc_u64_e32 v[8:9], v[8:9], v[0:1]
	v_add_nc_u64_e32 v[10:11], v[10:11], v[0:1]
	;; [unrolled: 1-line block ×3, first 2 shown]
	v_cmp_gt_i32_e32 vcc_lo, 1, v126
	s_or_b32 s74, vcc_lo, s74
	s_wait_xcnt 0x0
	s_and_not1_b32 exec_lo, exec_lo, s74
	s_cbranch_execz .LBB6_13896
.LBB6_11393:                            ;   Parent Loop BB6_47 Depth=1
                                        ;     Parent Loop BB6_5743 Depth=2
                                        ;       Parent Loop BB6_5746 Depth=3
                                        ; =>      This Inner Loop Header: Depth=4
	s_trap 2
	ds_load_b64 v[0:1], v0
	s_mov_b32 s75, 0
	s_wait_dscnt 0x0
	v_and_b32_e32 v2, 0xff, v0
	v_readfirstlane_b32 s14, v0
	v_readfirstlane_b32 s15, v1
	s_delay_alu instid0(VALU_DEP_3)
	v_cmp_eq_u32_e32 vcc_lo, 0, v2
	s_cbranch_vccnz .LBB6_11401
; %bb.11394:                            ;   in Loop: Header=BB6_11393 Depth=4
	s_bfe_i32 s76, s14, 0x80000
	s_brev_b32 s75, 1
	s_and_b32 s13, 0xffff, s76
	s_delay_alu instid0(SALU_CYCLE_1)
	s_cmp_eq_u32 s13, 0xff80
	s_cbranch_scc1 .LBB6_11401
; %bb.11395:                            ;   in Loop: Header=BB6_11393 Depth=4
	s_and_b32 s75, s14, 0x7c
	s_and_b32 s13, s14, 3
	s_mov_b32 s77, -1
	s_cmp_lg_u32 s75, 0x7c
	s_sext_i32_i16 s76, s76
                                        ; implicit-def: $sgpr75
	s_cbranch_scc0 .LBB6_11399
; %bb.11396:                            ;   in Loop: Header=BB6_11393 Depth=4
	s_bfe_u32 s75, s14, 0x50002
	s_mov_b32 s77, s13
	s_cmp_lg_u32 s75, 0
	s_cbranch_scc1 .LBB6_11398
; %bb.11397:                            ;   in Loop: Header=BB6_11393 Depth=4
	s_clz_i32_u32 s75, s13
	s_delay_alu instid0(SALU_CYCLE_1) | instskip(NEXT) | instid1(SALU_CYCLE_1)
	s_min_u32 s75, s75, 32
	s_sub_co_i32 s77, s75, 29
	s_sub_co_i32 s75, 30, s75
	s_lshl_b64 s[14:15], s[14:15], s77
	s_delay_alu instid0(SALU_CYCLE_1)
	s_and_b32 s77, s14, 3
.LBB6_11398:                            ;   in Loop: Header=BB6_11393 Depth=4
	s_and_b32 s14, s76, 0x80000000
	s_lshl_b32 s15, s75, 23
	s_lshl_b32 s75, s77, 21
	s_add_co_i32 s15, s15, s14
	s_mov_b32 s77, 0
	s_or_b32 s14, s15, s75
	s_delay_alu instid0(SALU_CYCLE_1)
	s_add_co_i32 s75, s14, 0x38000000
.LBB6_11399:                            ;   in Loop: Header=BB6_11393 Depth=4
	s_and_b32 vcc_lo, exec_lo, s77
	s_cbranch_vccz .LBB6_11401
; %bb.11400:                            ;   in Loop: Header=BB6_11393 Depth=4
	s_cmp_gt_i32 s76, -1
	s_cselect_b32 s14, s47, 0xff800000
	s_cmp_eq_u32 s13, 0
	s_cselect_b32 s75, s14, 0x7f800001
.LBB6_11401:                            ;   in Loop: Header=BB6_11393 Depth=4
	flat_load_i8 v0, v[8:9] th:TH_LOAD_NT
	v_mov_b32_e32 v2, 0
	s_mov_b32 s13, exec_lo
	s_wait_loadcnt_dscnt 0x0
	s_wait_xcnt 0x0
	v_cmpx_ne_u16_e32 0, v0
	s_cbranch_execz .LBB6_11411
; %bb.11402:                            ;   in Loop: Header=BB6_11393 Depth=4
	v_bfrev_b32_e32 v2, 1
	s_mov_b32 s14, exec_lo
	v_cmpx_ne_u16_e32 0xff80, v0
	s_cbranch_execz .LBB6_11410
; %bb.11403:                            ;   in Loop: Header=BB6_11393 Depth=4
	v_and_b32_e32 v2, 0x7c, v0
	v_and_b32_e32 v1, 3, v0
	s_delay_alu instid0(VALU_DEP_2) | instskip(SKIP_1) | instid1(SALU_CYCLE_1)
	v_cmp_ne_u32_e32 vcc_lo, 0x7c, v2
                                        ; implicit-def: $vgpr2
	s_and_saveexec_b32 s15, vcc_lo
	s_xor_b32 s15, exec_lo, s15
	s_cbranch_execz .LBB6_11407
; %bb.11404:                            ;   in Loop: Header=BB6_11393 Depth=4
	v_and_b32_e32 v2, 0xff, v0
	s_mov_b32 s76, exec_lo
	s_delay_alu instid0(VALU_DEP_1) | instskip(NEXT) | instid1(VALU_DEP_1)
	v_bfe_u32 v2, v2, 2, 5
	v_cmpx_eq_u32_e32 0, v2
	s_cbranch_execz .LBB6_11406
; %bb.11405:                            ;   in Loop: Header=BB6_11393 Depth=4
	v_clz_i32_u32_e32 v1, v1
	s_delay_alu instid0(VALU_DEP_1) | instskip(SKIP_1) | instid1(VALU_DEP_2)
	v_min_u32_e32 v2, 32, v1
	v_mov_b32_e32 v1, v113
	v_subrev_nc_u32_e32 v3, 29, v2
	v_sub_nc_u32_e32 v2, 30, v2
	s_delay_alu instid0(VALU_DEP_2) | instskip(NEXT) | instid1(VALU_DEP_1)
	v_lshlrev_b64_e32 v[4:5], v3, v[0:1]
	v_and_b32_e32 v1, 3, v4
.LBB6_11406:                            ;   in Loop: Header=BB6_11393 Depth=4
	s_or_b32 exec_lo, exec_lo, s76
	v_bfe_i32 v0, v0, 0, 16
	s_delay_alu instid0(VALU_DEP_1) | instskip(NEXT) | instid1(VALU_DEP_1)
	v_and_b32_e32 v0, 0x80000000, v0
	v_lshl_add_u32 v0, v2, 23, v0
	s_delay_alu instid0(VALU_DEP_1) | instskip(NEXT) | instid1(VALU_DEP_1)
	v_lshl_or_b32 v0, v1, 21, v0
                                        ; implicit-def: $vgpr1
	v_add_nc_u32_e32 v2, 0x38000000, v0
                                        ; implicit-def: $vgpr0
.LBB6_11407:                            ;   in Loop: Header=BB6_11393 Depth=4
	s_and_not1_saveexec_b32 s15, s15
; %bb.11408:                            ;   in Loop: Header=BB6_11393 Depth=4
	v_cmp_lt_i16_e32 vcc_lo, -1, v0
	v_mov_b32_e32 v0, 0x7f800000
	s_delay_alu instid0(VALU_DEP_1) | instskip(SKIP_1) | instid1(VALU_DEP_2)
	v_cndmask_b32_e32 v0, 0xff800000, v0, vcc_lo
	v_cmp_eq_u32_e32 vcc_lo, 0, v1
	v_cndmask_b32_e32 v2, 0x7f800001, v0, vcc_lo
; %bb.11409:                            ;   in Loop: Header=BB6_11393 Depth=4
	s_or_b32 exec_lo, exec_lo, s15
.LBB6_11410:                            ;   in Loop: Header=BB6_11393 Depth=4
	s_delay_alu instid0(SALU_CYCLE_1)
	s_or_b32 exec_lo, exec_lo, s14
.LBB6_11411:                            ;   in Loop: Header=BB6_11393 Depth=4
	s_delay_alu instid0(SALU_CYCLE_1) | instskip(NEXT) | instid1(VALU_DEP_1)
	s_or_b32 exec_lo, exec_lo, s13
	v_dual_mul_f32 v0, s75, v2 :: v_dual_mov_b32 v3, v113
                                        ; implicit-def: $vgpr20
	s_mov_b32 s13, exec_lo
	s_delay_alu instid0(VALU_DEP_1) | instskip(SKIP_1) | instid1(VALU_DEP_2)
	v_and_b32_e32 v2, 0x7f800000, v0
	v_and_b32_e32 v112, 0x7fffff, v0
	v_cmpx_ne_u64_e32 0x7f800000, v[2:3]
	s_xor_b32 s14, exec_lo, s13
	s_cbranch_execz .LBB6_11429
; %bb.11412:                            ;   in Loop: Header=BB6_11393 Depth=4
	v_dual_mov_b32 v3, v113 :: v_dual_lshrrev_b32 v1, 24, v0
	v_and_b32_e32 v2, 0x7fffffff, v0
                                        ; implicit-def: $vgpr20
	s_mov_b32 s13, exec_lo
	s_delay_alu instid0(VALU_DEP_2) | instskip(NEXT) | instid1(VALU_DEP_2)
	v_and_b32_e32 v4, 0x80, v1
	v_cmpx_gt_u64_e32 0x47600001, v[2:3]
	s_xor_b32 s15, exec_lo, s13
	s_cbranch_execz .LBB6_11426
; %bb.11413:                            ;   in Loop: Header=BB6_11393 Depth=4
	v_mov_b32_e32 v20, 0
	s_mov_b32 s76, exec_lo
	v_cmpx_ne_u32_e32 0, v0
	s_cbranch_execz .LBB6_11425
; %bb.11414:                            ;   in Loop: Header=BB6_11393 Depth=4
	v_bfe_u32 v5, v0, 23, 8
	v_or_b32_e32 v2, 0x800000, v112
	s_mov_b32 s77, exec_lo
	s_delay_alu instid0(VALU_DEP_2) | instskip(SKIP_1) | instid1(VALU_DEP_2)
	v_dual_mov_b32 v3, v113 :: v_dual_sub_nc_u32 v0, 0x71, v5
	v_cmp_gt_u32_e32 vcc_lo, 0x72, v5
	v_cndmask_b32_e32 v0, 0, v0, vcc_lo
	v_cmp_eq_u32_e32 vcc_lo, 0, v5
	s_delay_alu instid0(VALU_DEP_2) | instskip(NEXT) | instid1(VALU_DEP_1)
	v_cndmask_b32_e64 v6, v0, 0x70, vcc_lo
	v_dual_cndmask_b32 v2, v2, v112, vcc_lo :: v_dual_add_nc_u32 v0, 21, v6
	v_add_nc_u32_e32 v7, 20, v6
	s_delay_alu instid0(VALU_DEP_2) | instskip(NEXT) | instid1(VALU_DEP_2)
	v_lshlrev_b64_e64 v[0:1], v0, -1
	v_lshlrev_b64_e64 v[14:15], v7, 1
	s_delay_alu instid0(VALU_DEP_2) | instskip(NEXT) | instid1(VALU_DEP_3)
	v_bfi_b32 v17, v1, 0, 0
	v_bfi_b32 v16, v0, 0, v2
	v_lshrrev_b64 v[0:1], v6, v[2:3]
	s_delay_alu instid0(VALU_DEP_1) | instskip(NEXT) | instid1(VALU_DEP_3)
	v_mov_b64_e32 v[2:3], v[0:1]
	v_cmpx_eq_u64_e64 v[16:17], v[14:15]
; %bb.11415:                            ;   in Loop: Header=BB6_11393 Depth=4
	v_bfe_u32 v2, v0, 21, 1
	v_mov_b32_e32 v3, v113
	s_delay_alu instid0(VALU_DEP_1) | instskip(NEXT) | instid1(VALU_DEP_1)
	v_add_nc_u64_e32 v[2:3], v[0:1], v[2:3]
	v_add_nc_u64_e32 v[2:3], -1, v[2:3]
; %bb.11416:                            ;   in Loop: Header=BB6_11393 Depth=4
	s_or_b32 exec_lo, exec_lo, s77
	v_add_nc_u32_e32 v1, 0xffffff81, v5
	s_delay_alu instid0(VALU_DEP_2) | instskip(SKIP_2) | instid1(VALU_DEP_3)
	v_and_b32_e32 v2, 0x1fffff, v2
	v_lshrrev_b32_e32 v3, 23, v0
	s_mov_b32 s13, exec_lo
	v_cndmask_b32_e64 v1, v1, 0xffffff82, vcc_lo
	s_delay_alu instid0(VALU_DEP_3) | instskip(NEXT) | instid1(VALU_DEP_2)
	v_add_nc_u32_e32 v112, v2, v0
                                        ; implicit-def: $vgpr2
	v_add3_u32 v3, v6, v1, v3
                                        ; implicit-def: $vgpr0_vgpr1
	s_delay_alu instid0(VALU_DEP_1) | instskip(NEXT) | instid1(VALU_DEP_1)
	v_add_nc_u32_e32 v5, 14, v3
	v_cmpx_ne_u32_e32 0, v5
	s_xor_b32 s13, exec_lo, s13
; %bb.11417:                            ;   in Loop: Header=BB6_11393 Depth=4
	v_cmp_lt_u64_e32 vcc_lo, 0xffffff, v[112:113]
	v_add_nc_u32_e32 v0, 15, v3
	s_delay_alu instid0(VALU_DEP_1) | instskip(SKIP_1) | instid1(VALU_DEP_1)
	v_cndmask_b32_e32 v2, v5, v0, vcc_lo
	v_cndmask_b32_e64 v0, 0, 1, vcc_lo
	v_lshrrev_b64 v[0:1], v0, v[112:113]
; %bb.11418:                            ;   in Loop: Header=BB6_11393 Depth=4
	s_and_not1_saveexec_b32 s13, s13
; %bb.11419:                            ;   in Loop: Header=BB6_11393 Depth=4
	v_mov_b64_e32 v[0:1], v[112:113]
	v_bfe_u32 v2, v112, 23, 1
; %bb.11420:                            ;   in Loop: Header=BB6_11393 Depth=4
	s_or_b32 exec_lo, exec_lo, s13
	s_delay_alu instid0(VALU_DEP_2) | instskip(NEXT) | instid1(VALU_DEP_2)
	v_lshrrev_b64 v[0:1], 21, v[0:1]
	v_cmp_gt_i32_e32 vcc_lo, 32, v2
	v_cmp_ne_u32_e64 s13, 0, v2
                                        ; implicit-def: $vgpr20
	s_delay_alu instid0(VALU_DEP_3) | instskip(NEXT) | instid1(VALU_DEP_1)
	v_dual_cndmask_b32 v1, 0, v1 :: v_dual_cndmask_b32 v0, 3, v0
	v_cmp_ne_u64_e32 vcc_lo, 0, v[0:1]
	s_or_b32 s13, s13, vcc_lo
	s_delay_alu instid0(SALU_CYCLE_1) | instskip(NEXT) | instid1(SALU_CYCLE_1)
	s_and_saveexec_b32 s77, s13
	s_xor_b32 s13, exec_lo, s77
; %bb.11421:                            ;   in Loop: Header=BB6_11393 Depth=4
	v_min_i32_e32 v1, 31, v2
	s_delay_alu instid0(VALU_DEP_1) | instskip(NEXT) | instid1(VALU_DEP_1)
	v_lshl_or_b32 v1, v1, 2, v4
                                        ; implicit-def: $vgpr4
	v_and_or_b32 v20, v0, 3, v1
; %bb.11422:                            ;   in Loop: Header=BB6_11393 Depth=4
	s_and_not1_saveexec_b32 s13, s13
; %bb.11423:                            ;   in Loop: Header=BB6_11393 Depth=4
	v_mov_b32_e32 v20, v4
; %bb.11424:                            ;   in Loop: Header=BB6_11393 Depth=4
	s_or_b32 exec_lo, exec_lo, s13
.LBB6_11425:                            ;   in Loop: Header=BB6_11393 Depth=4
	s_delay_alu instid0(SALU_CYCLE_1)
	s_or_b32 exec_lo, exec_lo, s76
                                        ; implicit-def: $vgpr4
.LBB6_11426:                            ;   in Loop: Header=BB6_11393 Depth=4
	s_and_not1_saveexec_b32 s13, s15
; %bb.11427:                            ;   in Loop: Header=BB6_11393 Depth=4
	v_or_b32_e32 v20, 0x7b, v4
; %bb.11428:                            ;   in Loop: Header=BB6_11393 Depth=4
	s_or_b32 exec_lo, exec_lo, s13
                                        ; implicit-def: $vgpr0
.LBB6_11429:                            ;   in Loop: Header=BB6_11393 Depth=4
	s_and_not1_saveexec_b32 s13, s14
	s_cbranch_execz .LBB6_11435
; %bb.11430:                            ;   in Loop: Header=BB6_11393 Depth=4
	s_mov_b32 s14, exec_lo
                                        ; implicit-def: $vgpr20
	v_cmpx_ne_u64_e32 0, v[112:113]
	s_xor_b32 s14, exec_lo, s14
; %bb.11431:                            ;   in Loop: Header=BB6_11393 Depth=4
	v_lshrrev_b32_e32 v0, 24, v0
	s_delay_alu instid0(VALU_DEP_1)
	v_or_b32_e32 v20, 0x7f, v0
                                        ; implicit-def: $vgpr0
; %bb.11432:                            ;   in Loop: Header=BB6_11393 Depth=4
	s_and_not1_saveexec_b32 s14, s14
; %bb.11433:                            ;   in Loop: Header=BB6_11393 Depth=4
	v_cmp_lt_i32_e32 vcc_lo, -1, v0
	v_cndmask_b32_e64 v20, -4, 0x7c, vcc_lo
; %bb.11434:                            ;   in Loop: Header=BB6_11393 Depth=4
	s_or_b32 exec_lo, exec_lo, s14
.LBB6_11435:                            ;   in Loop: Header=BB6_11393 Depth=4
	s_delay_alu instid0(SALU_CYCLE_1)
	s_or_b32 exec_lo, exec_lo, s13
	flat_load_i8 v0, v[8:9] offset:32 th:TH_LOAD_NT
	v_mov_b32_e32 v2, 0
	s_mov_b32 s13, exec_lo
	s_wait_loadcnt_dscnt 0x0
	s_wait_xcnt 0x0
	v_cmpx_ne_u16_e32 0, v0
	s_cbranch_execz .LBB6_11445
; %bb.11436:                            ;   in Loop: Header=BB6_11393 Depth=4
	v_bfrev_b32_e32 v2, 1
	s_mov_b32 s14, exec_lo
	v_cmpx_ne_u16_e32 0xff80, v0
	s_cbranch_execz .LBB6_11444
; %bb.11437:                            ;   in Loop: Header=BB6_11393 Depth=4
	v_and_b32_e32 v2, 0x7c, v0
	v_and_b32_e32 v1, 3, v0
	s_delay_alu instid0(VALU_DEP_2) | instskip(SKIP_1) | instid1(SALU_CYCLE_1)
	v_cmp_ne_u32_e32 vcc_lo, 0x7c, v2
                                        ; implicit-def: $vgpr2
	s_and_saveexec_b32 s15, vcc_lo
	s_xor_b32 s15, exec_lo, s15
	s_cbranch_execz .LBB6_11441
; %bb.11438:                            ;   in Loop: Header=BB6_11393 Depth=4
	v_and_b32_e32 v2, 0xff, v0
	s_mov_b32 s76, exec_lo
	s_delay_alu instid0(VALU_DEP_1) | instskip(NEXT) | instid1(VALU_DEP_1)
	v_bfe_u32 v2, v2, 2, 5
	v_cmpx_eq_u32_e32 0, v2
	s_cbranch_execz .LBB6_11440
; %bb.11439:                            ;   in Loop: Header=BB6_11393 Depth=4
	v_clz_i32_u32_e32 v1, v1
	s_delay_alu instid0(VALU_DEP_1) | instskip(SKIP_1) | instid1(VALU_DEP_2)
	v_min_u32_e32 v2, 32, v1
	v_mov_b32_e32 v1, v113
	v_subrev_nc_u32_e32 v3, 29, v2
	v_sub_nc_u32_e32 v2, 30, v2
	s_delay_alu instid0(VALU_DEP_2) | instskip(NEXT) | instid1(VALU_DEP_1)
	v_lshlrev_b64_e32 v[4:5], v3, v[0:1]
	v_and_b32_e32 v1, 3, v4
.LBB6_11440:                            ;   in Loop: Header=BB6_11393 Depth=4
	s_or_b32 exec_lo, exec_lo, s76
	v_bfe_i32 v0, v0, 0, 16
	s_delay_alu instid0(VALU_DEP_1) | instskip(NEXT) | instid1(VALU_DEP_1)
	v_and_b32_e32 v0, 0x80000000, v0
	v_lshl_add_u32 v0, v2, 23, v0
	s_delay_alu instid0(VALU_DEP_1) | instskip(NEXT) | instid1(VALU_DEP_1)
	v_lshl_or_b32 v0, v1, 21, v0
                                        ; implicit-def: $vgpr1
	v_add_nc_u32_e32 v2, 0x38000000, v0
                                        ; implicit-def: $vgpr0
.LBB6_11441:                            ;   in Loop: Header=BB6_11393 Depth=4
	s_and_not1_saveexec_b32 s15, s15
; %bb.11442:                            ;   in Loop: Header=BB6_11393 Depth=4
	v_cmp_lt_i16_e32 vcc_lo, -1, v0
	v_mov_b32_e32 v0, 0x7f800000
	s_delay_alu instid0(VALU_DEP_1) | instskip(SKIP_1) | instid1(VALU_DEP_2)
	v_cndmask_b32_e32 v0, 0xff800000, v0, vcc_lo
	v_cmp_eq_u32_e32 vcc_lo, 0, v1
	v_cndmask_b32_e32 v2, 0x7f800001, v0, vcc_lo
; %bb.11443:                            ;   in Loop: Header=BB6_11393 Depth=4
	s_or_b32 exec_lo, exec_lo, s15
.LBB6_11444:                            ;   in Loop: Header=BB6_11393 Depth=4
	s_delay_alu instid0(SALU_CYCLE_1)
	s_or_b32 exec_lo, exec_lo, s14
.LBB6_11445:                            ;   in Loop: Header=BB6_11393 Depth=4
	s_delay_alu instid0(SALU_CYCLE_1) | instskip(NEXT) | instid1(VALU_DEP_1)
	s_or_b32 exec_lo, exec_lo, s13
	v_dual_mul_f32 v1, s75, v2 :: v_dual_mov_b32 v3, v113
                                        ; implicit-def: $vgpr0
	s_mov_b32 s13, exec_lo
	s_delay_alu instid0(VALU_DEP_1) | instskip(SKIP_1) | instid1(VALU_DEP_2)
	v_and_b32_e32 v2, 0x7f800000, v1
	v_and_b32_e32 v112, 0x7fffff, v1
	v_cmpx_ne_u64_e32 0x7f800000, v[2:3]
	s_xor_b32 s14, exec_lo, s13
	s_cbranch_execz .LBB6_11463
; %bb.11446:                            ;   in Loop: Header=BB6_11393 Depth=4
	v_dual_mov_b32 v3, v113 :: v_dual_lshrrev_b32 v0, 24, v1
	v_and_b32_e32 v2, 0x7fffffff, v1
	s_mov_b32 s13, exec_lo
	s_delay_alu instid0(VALU_DEP_2) | instskip(NEXT) | instid1(VALU_DEP_2)
	v_and_b32_e32 v4, 0x80, v0
                                        ; implicit-def: $vgpr0
	v_cmpx_gt_u64_e32 0x47600001, v[2:3]
	s_xor_b32 s15, exec_lo, s13
	s_cbranch_execz .LBB6_11460
; %bb.11447:                            ;   in Loop: Header=BB6_11393 Depth=4
	v_mov_b32_e32 v0, 0
	s_mov_b32 s76, exec_lo
	v_cmpx_ne_u32_e32 0, v1
	s_cbranch_execz .LBB6_11459
; %bb.11448:                            ;   in Loop: Header=BB6_11393 Depth=4
	v_bfe_u32 v5, v1, 23, 8
	v_or_b32_e32 v2, 0x800000, v112
	s_mov_b32 s77, exec_lo
	s_delay_alu instid0(VALU_DEP_2) | instskip(SKIP_1) | instid1(VALU_DEP_2)
	v_dual_mov_b32 v3, v113 :: v_dual_sub_nc_u32 v0, 0x71, v5
	v_cmp_gt_u32_e32 vcc_lo, 0x72, v5
	v_cndmask_b32_e32 v0, 0, v0, vcc_lo
	v_cmp_eq_u32_e32 vcc_lo, 0, v5
	s_delay_alu instid0(VALU_DEP_2) | instskip(NEXT) | instid1(VALU_DEP_1)
	v_cndmask_b32_e64 v6, v0, 0x70, vcc_lo
	v_dual_cndmask_b32 v2, v2, v112, vcc_lo :: v_dual_add_nc_u32 v0, 21, v6
	v_add_nc_u32_e32 v7, 20, v6
	s_delay_alu instid0(VALU_DEP_2) | instskip(NEXT) | instid1(VALU_DEP_2)
	v_lshlrev_b64_e64 v[0:1], v0, -1
	v_lshlrev_b64_e64 v[14:15], v7, 1
	s_delay_alu instid0(VALU_DEP_2) | instskip(NEXT) | instid1(VALU_DEP_3)
	v_bfi_b32 v17, v1, 0, 0
	v_bfi_b32 v16, v0, 0, v2
	v_lshrrev_b64 v[0:1], v6, v[2:3]
	s_delay_alu instid0(VALU_DEP_1) | instskip(NEXT) | instid1(VALU_DEP_3)
	v_mov_b64_e32 v[2:3], v[0:1]
	v_cmpx_eq_u64_e64 v[16:17], v[14:15]
; %bb.11449:                            ;   in Loop: Header=BB6_11393 Depth=4
	v_bfe_u32 v2, v0, 21, 1
	v_mov_b32_e32 v3, v113
	s_delay_alu instid0(VALU_DEP_1) | instskip(NEXT) | instid1(VALU_DEP_1)
	v_add_nc_u64_e32 v[2:3], v[0:1], v[2:3]
	v_add_nc_u64_e32 v[2:3], -1, v[2:3]
; %bb.11450:                            ;   in Loop: Header=BB6_11393 Depth=4
	s_or_b32 exec_lo, exec_lo, s77
	v_add_nc_u32_e32 v1, 0xffffff81, v5
	s_delay_alu instid0(VALU_DEP_2) | instskip(SKIP_2) | instid1(VALU_DEP_3)
	v_and_b32_e32 v5, 0x1fffff, v2
	v_lshrrev_b32_e32 v3, 23, v0
	s_mov_b32 s13, exec_lo
	v_cndmask_b32_e64 v1, v1, 0xffffff82, vcc_lo
	s_delay_alu instid0(VALU_DEP_3) | instskip(NEXT) | instid1(VALU_DEP_2)
	v_add_nc_u32_e32 v112, v5, v0
                                        ; implicit-def: $vgpr5
	v_add3_u32 v2, v6, v1, v3
                                        ; implicit-def: $vgpr0_vgpr1
	s_delay_alu instid0(VALU_DEP_1) | instskip(NEXT) | instid1(VALU_DEP_1)
	v_add_nc_u32_e32 v3, 14, v2
	v_cmpx_ne_u32_e32 0, v3
	s_xor_b32 s13, exec_lo, s13
; %bb.11451:                            ;   in Loop: Header=BB6_11393 Depth=4
	v_cmp_lt_u64_e32 vcc_lo, 0xffffff, v[112:113]
	v_add_nc_u32_e32 v0, 15, v2
	s_delay_alu instid0(VALU_DEP_1) | instskip(SKIP_1) | instid1(VALU_DEP_1)
	v_cndmask_b32_e32 v5, v3, v0, vcc_lo
	v_cndmask_b32_e64 v0, 0, 1, vcc_lo
	v_lshrrev_b64 v[0:1], v0, v[112:113]
; %bb.11452:                            ;   in Loop: Header=BB6_11393 Depth=4
	s_and_not1_saveexec_b32 s13, s13
; %bb.11453:                            ;   in Loop: Header=BB6_11393 Depth=4
	v_mov_b64_e32 v[0:1], v[112:113]
	v_bfe_u32 v5, v112, 23, 1
; %bb.11454:                            ;   in Loop: Header=BB6_11393 Depth=4
	s_or_b32 exec_lo, exec_lo, s13
	s_delay_alu instid0(VALU_DEP_2) | instskip(NEXT) | instid1(VALU_DEP_2)
	v_lshrrev_b64 v[0:1], 21, v[0:1]
	v_cmp_gt_i32_e32 vcc_lo, 32, v5
	v_cmp_ne_u32_e64 s13, 0, v5
	s_delay_alu instid0(VALU_DEP_3) | instskip(NEXT) | instid1(VALU_DEP_1)
	v_dual_cndmask_b32 v3, 0, v1 :: v_dual_cndmask_b32 v2, 3, v0
                                        ; implicit-def: $vgpr0
	v_cmp_ne_u64_e32 vcc_lo, 0, v[2:3]
	s_or_b32 s13, s13, vcc_lo
	s_delay_alu instid0(SALU_CYCLE_1) | instskip(NEXT) | instid1(SALU_CYCLE_1)
	s_and_saveexec_b32 s77, s13
	s_xor_b32 s13, exec_lo, s77
; %bb.11455:                            ;   in Loop: Header=BB6_11393 Depth=4
	v_min_i32_e32 v0, 31, v5
	s_delay_alu instid0(VALU_DEP_1) | instskip(NEXT) | instid1(VALU_DEP_1)
	v_lshl_or_b32 v0, v0, 2, v4
                                        ; implicit-def: $vgpr4
	v_and_or_b32 v0, v2, 3, v0
; %bb.11456:                            ;   in Loop: Header=BB6_11393 Depth=4
	s_and_not1_saveexec_b32 s13, s13
; %bb.11457:                            ;   in Loop: Header=BB6_11393 Depth=4
	v_mov_b32_e32 v0, v4
; %bb.11458:                            ;   in Loop: Header=BB6_11393 Depth=4
	s_or_b32 exec_lo, exec_lo, s13
.LBB6_11459:                            ;   in Loop: Header=BB6_11393 Depth=4
	s_delay_alu instid0(SALU_CYCLE_1)
	s_or_b32 exec_lo, exec_lo, s76
                                        ; implicit-def: $vgpr4
.LBB6_11460:                            ;   in Loop: Header=BB6_11393 Depth=4
	s_and_not1_saveexec_b32 s13, s15
; %bb.11461:                            ;   in Loop: Header=BB6_11393 Depth=4
	v_or_b32_e32 v0, 0x7b, v4
; %bb.11462:                            ;   in Loop: Header=BB6_11393 Depth=4
	s_or_b32 exec_lo, exec_lo, s13
                                        ; implicit-def: $vgpr1
.LBB6_11463:                            ;   in Loop: Header=BB6_11393 Depth=4
	s_and_not1_saveexec_b32 s13, s14
	s_cbranch_execz .LBB6_11469
; %bb.11464:                            ;   in Loop: Header=BB6_11393 Depth=4
	s_mov_b32 s14, exec_lo
                                        ; implicit-def: $vgpr0
	v_cmpx_ne_u64_e32 0, v[112:113]
	s_xor_b32 s14, exec_lo, s14
; %bb.11465:                            ;   in Loop: Header=BB6_11393 Depth=4
	v_lshrrev_b32_e32 v0, 24, v1
                                        ; implicit-def: $vgpr1
	s_delay_alu instid0(VALU_DEP_1)
	v_or_b32_e32 v0, 0x7f, v0
; %bb.11466:                            ;   in Loop: Header=BB6_11393 Depth=4
	s_and_not1_saveexec_b32 s14, s14
; %bb.11467:                            ;   in Loop: Header=BB6_11393 Depth=4
	v_cmp_lt_i32_e32 vcc_lo, -1, v1
	v_cndmask_b32_e64 v0, -4, 0x7c, vcc_lo
; %bb.11468:                            ;   in Loop: Header=BB6_11393 Depth=4
	s_or_b32 exec_lo, exec_lo, s14
.LBB6_11469:                            ;   in Loop: Header=BB6_11393 Depth=4
	s_delay_alu instid0(SALU_CYCLE_1)
	s_or_b32 exec_lo, exec_lo, s13
	flat_load_i8 v2, v[8:9] offset:64 th:TH_LOAD_NT
	v_mov_b32_e32 v3, 0
	s_mov_b32 s13, exec_lo
	s_wait_loadcnt_dscnt 0x0
	s_wait_xcnt 0x0
	v_cmpx_ne_u16_e32 0, v2
	s_cbranch_execz .LBB6_11479
; %bb.11470:                            ;   in Loop: Header=BB6_11393 Depth=4
	v_bfrev_b32_e32 v3, 1
	s_mov_b32 s14, exec_lo
	v_cmpx_ne_u16_e32 0xff80, v2
	s_cbranch_execz .LBB6_11478
; %bb.11471:                            ;   in Loop: Header=BB6_11393 Depth=4
	v_and_b32_e32 v3, 0x7c, v2
	v_and_b32_e32 v1, 3, v2
	s_delay_alu instid0(VALU_DEP_2) | instskip(SKIP_1) | instid1(SALU_CYCLE_1)
	v_cmp_ne_u32_e32 vcc_lo, 0x7c, v3
                                        ; implicit-def: $vgpr3
	s_and_saveexec_b32 s15, vcc_lo
	s_xor_b32 s15, exec_lo, s15
	s_cbranch_execz .LBB6_11475
; %bb.11472:                            ;   in Loop: Header=BB6_11393 Depth=4
	v_and_b32_e32 v3, 0xff, v2
	s_mov_b32 s76, exec_lo
	s_delay_alu instid0(VALU_DEP_1) | instskip(NEXT) | instid1(VALU_DEP_1)
	v_bfe_u32 v3, v3, 2, 5
	v_cmpx_eq_u32_e32 0, v3
; %bb.11473:                            ;   in Loop: Header=BB6_11393 Depth=4
	v_clz_i32_u32_e32 v1, v1
	v_mov_b32_e32 v3, v113
	s_delay_alu instid0(VALU_DEP_2) | instskip(NEXT) | instid1(VALU_DEP_1)
	v_min_u32_e32 v1, 32, v1
	v_subrev_nc_u32_e32 v4, 29, v1
	s_delay_alu instid0(VALU_DEP_1) | instskip(NEXT) | instid1(VALU_DEP_1)
	v_lshlrev_b64_e32 v[4:5], v4, v[2:3]
	v_dual_sub_nc_u32 v3, 30, v1 :: v_dual_bitop2_b32 v1, 3, v4 bitop3:0x40
; %bb.11474:                            ;   in Loop: Header=BB6_11393 Depth=4
	s_or_b32 exec_lo, exec_lo, s76
	v_bfe_i32 v2, v2, 0, 16
	s_delay_alu instid0(VALU_DEP_1) | instskip(NEXT) | instid1(VALU_DEP_1)
	v_and_b32_e32 v2, 0x80000000, v2
	v_lshl_add_u32 v2, v3, 23, v2
	s_delay_alu instid0(VALU_DEP_1) | instskip(NEXT) | instid1(VALU_DEP_1)
	v_lshl_or_b32 v1, v1, 21, v2
                                        ; implicit-def: $vgpr2
	v_add_nc_u32_e32 v3, 0x38000000, v1
                                        ; implicit-def: $vgpr1
.LBB6_11475:                            ;   in Loop: Header=BB6_11393 Depth=4
	s_and_not1_saveexec_b32 s15, s15
; %bb.11476:                            ;   in Loop: Header=BB6_11393 Depth=4
	v_cmp_lt_i16_e32 vcc_lo, -1, v2
	v_mov_b32_e32 v2, 0x7f800000
	s_delay_alu instid0(VALU_DEP_1) | instskip(SKIP_1) | instid1(VALU_DEP_2)
	v_cndmask_b32_e32 v2, 0xff800000, v2, vcc_lo
	v_cmp_eq_u32_e32 vcc_lo, 0, v1
	v_cndmask_b32_e32 v3, 0x7f800001, v2, vcc_lo
; %bb.11477:                            ;   in Loop: Header=BB6_11393 Depth=4
	s_or_b32 exec_lo, exec_lo, s15
.LBB6_11478:                            ;   in Loop: Header=BB6_11393 Depth=4
	s_delay_alu instid0(SALU_CYCLE_1)
	s_or_b32 exec_lo, exec_lo, s14
.LBB6_11479:                            ;   in Loop: Header=BB6_11393 Depth=4
	s_delay_alu instid0(SALU_CYCLE_1) | instskip(NEXT) | instid1(VALU_DEP_1)
	s_or_b32 exec_lo, exec_lo, s13
	v_dual_mul_f32 v2, s75, v3 :: v_dual_mov_b32 v5, v113
                                        ; implicit-def: $vgpr22
	s_mov_b32 s13, exec_lo
	s_delay_alu instid0(VALU_DEP_1) | instskip(SKIP_1) | instid1(VALU_DEP_2)
	v_and_b32_e32 v4, 0x7f800000, v2
	v_and_b32_e32 v112, 0x7fffff, v2
	v_cmpx_ne_u64_e32 0x7f800000, v[4:5]
	s_xor_b32 s14, exec_lo, s13
	s_cbranch_execz .LBB6_11497
; %bb.11480:                            ;   in Loop: Header=BB6_11393 Depth=4
	v_dual_mov_b32 v5, v113 :: v_dual_lshrrev_b32 v1, 24, v2
	v_and_b32_e32 v4, 0x7fffffff, v2
                                        ; implicit-def: $vgpr22
	s_mov_b32 s13, exec_lo
	s_delay_alu instid0(VALU_DEP_2) | instskip(NEXT) | instid1(VALU_DEP_2)
	v_and_b32_e32 v1, 0x80, v1
	v_cmpx_gt_u64_e32 0x47600001, v[4:5]
	s_xor_b32 s15, exec_lo, s13
	s_cbranch_execz .LBB6_11494
; %bb.11481:                            ;   in Loop: Header=BB6_11393 Depth=4
	v_mov_b32_e32 v22, 0
	s_mov_b32 s76, exec_lo
	v_cmpx_ne_u32_e32 0, v2
	s_cbranch_execz .LBB6_11493
; %bb.11482:                            ;   in Loop: Header=BB6_11393 Depth=4
	v_bfe_u32 v6, v2, 23, 8
	v_or_b32_e32 v4, 0x800000, v112
	s_mov_b32 s77, exec_lo
	s_delay_alu instid0(VALU_DEP_2) | instskip(SKIP_1) | instid1(VALU_DEP_2)
	v_dual_mov_b32 v5, v113 :: v_dual_sub_nc_u32 v2, 0x71, v6
	v_cmp_gt_u32_e32 vcc_lo, 0x72, v6
	v_cndmask_b32_e32 v2, 0, v2, vcc_lo
	v_cmp_eq_u32_e32 vcc_lo, 0, v6
	s_delay_alu instid0(VALU_DEP_2) | instskip(NEXT) | instid1(VALU_DEP_1)
	v_cndmask_b32_e64 v7, v2, 0x70, vcc_lo
	v_dual_cndmask_b32 v4, v4, v112, vcc_lo :: v_dual_add_nc_u32 v2, 21, v7
	v_add_nc_u32_e32 v14, 20, v7
	s_delay_alu instid0(VALU_DEP_2) | instskip(NEXT) | instid1(VALU_DEP_2)
	v_lshlrev_b64_e64 v[2:3], v2, -1
	v_lshlrev_b64_e64 v[14:15], v14, 1
	s_delay_alu instid0(VALU_DEP_2) | instskip(NEXT) | instid1(VALU_DEP_3)
	v_bfi_b32 v17, v3, 0, 0
	v_bfi_b32 v16, v2, 0, v4
	v_lshrrev_b64 v[2:3], v7, v[4:5]
	s_delay_alu instid0(VALU_DEP_1) | instskip(NEXT) | instid1(VALU_DEP_3)
	v_mov_b64_e32 v[4:5], v[2:3]
	v_cmpx_eq_u64_e64 v[16:17], v[14:15]
; %bb.11483:                            ;   in Loop: Header=BB6_11393 Depth=4
	v_bfe_u32 v4, v2, 21, 1
	v_mov_b32_e32 v5, v113
	s_delay_alu instid0(VALU_DEP_1) | instskip(NEXT) | instid1(VALU_DEP_1)
	v_add_nc_u64_e32 v[4:5], v[2:3], v[4:5]
	v_add_nc_u64_e32 v[4:5], -1, v[4:5]
; %bb.11484:                            ;   in Loop: Header=BB6_11393 Depth=4
	s_or_b32 exec_lo, exec_lo, s77
	v_add_nc_u32_e32 v3, 0xffffff81, v6
	s_delay_alu instid0(VALU_DEP_2) | instskip(SKIP_2) | instid1(VALU_DEP_3)
	v_and_b32_e32 v4, 0x1fffff, v4
	v_lshrrev_b32_e32 v5, 23, v2
	s_mov_b32 s13, exec_lo
	v_cndmask_b32_e64 v3, v3, 0xffffff82, vcc_lo
	s_delay_alu instid0(VALU_DEP_3) | instskip(NEXT) | instid1(VALU_DEP_2)
	v_add_nc_u32_e32 v112, v4, v2
                                        ; implicit-def: $vgpr4
	v_add3_u32 v5, v7, v3, v5
                                        ; implicit-def: $vgpr2_vgpr3
	s_delay_alu instid0(VALU_DEP_1) | instskip(NEXT) | instid1(VALU_DEP_1)
	v_add_nc_u32_e32 v6, 14, v5
	v_cmpx_ne_u32_e32 0, v6
	s_xor_b32 s13, exec_lo, s13
; %bb.11485:                            ;   in Loop: Header=BB6_11393 Depth=4
	v_cmp_lt_u64_e32 vcc_lo, 0xffffff, v[112:113]
	v_add_nc_u32_e32 v2, 15, v5
	s_delay_alu instid0(VALU_DEP_1) | instskip(SKIP_1) | instid1(VALU_DEP_1)
	v_cndmask_b32_e32 v4, v6, v2, vcc_lo
	v_cndmask_b32_e64 v2, 0, 1, vcc_lo
	v_lshrrev_b64 v[2:3], v2, v[112:113]
; %bb.11486:                            ;   in Loop: Header=BB6_11393 Depth=4
	s_and_not1_saveexec_b32 s13, s13
; %bb.11487:                            ;   in Loop: Header=BB6_11393 Depth=4
	v_mov_b64_e32 v[2:3], v[112:113]
	v_bfe_u32 v4, v112, 23, 1
; %bb.11488:                            ;   in Loop: Header=BB6_11393 Depth=4
	s_or_b32 exec_lo, exec_lo, s13
	s_delay_alu instid0(VALU_DEP_2) | instskip(NEXT) | instid1(VALU_DEP_2)
	v_lshrrev_b64 v[2:3], 21, v[2:3]
	v_cmp_gt_i32_e32 vcc_lo, 32, v4
	v_cmp_ne_u32_e64 s13, 0, v4
                                        ; implicit-def: $vgpr22
	s_delay_alu instid0(VALU_DEP_3) | instskip(NEXT) | instid1(VALU_DEP_1)
	v_dual_cndmask_b32 v3, 0, v3 :: v_dual_cndmask_b32 v2, 3, v2
	v_cmp_ne_u64_e32 vcc_lo, 0, v[2:3]
	s_or_b32 s13, s13, vcc_lo
	s_delay_alu instid0(SALU_CYCLE_1) | instskip(NEXT) | instid1(SALU_CYCLE_1)
	s_and_saveexec_b32 s77, s13
	s_xor_b32 s13, exec_lo, s77
; %bb.11489:                            ;   in Loop: Header=BB6_11393 Depth=4
	v_min_i32_e32 v3, 31, v4
	s_delay_alu instid0(VALU_DEP_1) | instskip(NEXT) | instid1(VALU_DEP_1)
	v_lshl_or_b32 v1, v3, 2, v1
	v_and_or_b32 v22, v2, 3, v1
                                        ; implicit-def: $vgpr1
; %bb.11490:                            ;   in Loop: Header=BB6_11393 Depth=4
	s_and_not1_saveexec_b32 s13, s13
; %bb.11491:                            ;   in Loop: Header=BB6_11393 Depth=4
	v_mov_b32_e32 v22, v1
; %bb.11492:                            ;   in Loop: Header=BB6_11393 Depth=4
	s_or_b32 exec_lo, exec_lo, s13
.LBB6_11493:                            ;   in Loop: Header=BB6_11393 Depth=4
	s_delay_alu instid0(SALU_CYCLE_1)
	s_or_b32 exec_lo, exec_lo, s76
                                        ; implicit-def: $vgpr1
.LBB6_11494:                            ;   in Loop: Header=BB6_11393 Depth=4
	s_and_not1_saveexec_b32 s13, s15
; %bb.11495:                            ;   in Loop: Header=BB6_11393 Depth=4
	v_or_b32_e32 v22, 0x7b, v1
; %bb.11496:                            ;   in Loop: Header=BB6_11393 Depth=4
	s_or_b32 exec_lo, exec_lo, s13
                                        ; implicit-def: $vgpr2
.LBB6_11497:                            ;   in Loop: Header=BB6_11393 Depth=4
	s_and_not1_saveexec_b32 s13, s14
	s_cbranch_execz .LBB6_11503
; %bb.11498:                            ;   in Loop: Header=BB6_11393 Depth=4
	s_mov_b32 s14, exec_lo
                                        ; implicit-def: $vgpr22
	v_cmpx_ne_u64_e32 0, v[112:113]
	s_xor_b32 s14, exec_lo, s14
; %bb.11499:                            ;   in Loop: Header=BB6_11393 Depth=4
	v_lshrrev_b32_e32 v1, 24, v2
                                        ; implicit-def: $vgpr2
	s_delay_alu instid0(VALU_DEP_1)
	v_or_b32_e32 v22, 0x7f, v1
; %bb.11500:                            ;   in Loop: Header=BB6_11393 Depth=4
	s_and_not1_saveexec_b32 s14, s14
; %bb.11501:                            ;   in Loop: Header=BB6_11393 Depth=4
	v_cmp_lt_i32_e32 vcc_lo, -1, v2
	v_cndmask_b32_e64 v22, -4, 0x7c, vcc_lo
; %bb.11502:                            ;   in Loop: Header=BB6_11393 Depth=4
	s_or_b32 exec_lo, exec_lo, s14
.LBB6_11503:                            ;   in Loop: Header=BB6_11393 Depth=4
	s_delay_alu instid0(SALU_CYCLE_1)
	s_or_b32 exec_lo, exec_lo, s13
	flat_load_i8 v2, v[8:9] offset:96 th:TH_LOAD_NT
	v_mov_b32_e32 v3, 0
	s_mov_b32 s13, exec_lo
	s_wait_loadcnt_dscnt 0x0
	s_wait_xcnt 0x0
	v_cmpx_ne_u16_e32 0, v2
	s_cbranch_execz .LBB6_11513
; %bb.11504:                            ;   in Loop: Header=BB6_11393 Depth=4
	v_bfrev_b32_e32 v3, 1
	s_mov_b32 s14, exec_lo
	v_cmpx_ne_u16_e32 0xff80, v2
	s_cbranch_execz .LBB6_11512
; %bb.11505:                            ;   in Loop: Header=BB6_11393 Depth=4
	v_and_b32_e32 v3, 0x7c, v2
	v_and_b32_e32 v1, 3, v2
	s_delay_alu instid0(VALU_DEP_2) | instskip(SKIP_1) | instid1(SALU_CYCLE_1)
	v_cmp_ne_u32_e32 vcc_lo, 0x7c, v3
                                        ; implicit-def: $vgpr3
	s_and_saveexec_b32 s15, vcc_lo
	s_xor_b32 s15, exec_lo, s15
	s_cbranch_execz .LBB6_11509
; %bb.11506:                            ;   in Loop: Header=BB6_11393 Depth=4
	v_and_b32_e32 v3, 0xff, v2
	s_mov_b32 s76, exec_lo
	s_delay_alu instid0(VALU_DEP_1) | instskip(NEXT) | instid1(VALU_DEP_1)
	v_bfe_u32 v3, v3, 2, 5
	v_cmpx_eq_u32_e32 0, v3
; %bb.11507:                            ;   in Loop: Header=BB6_11393 Depth=4
	v_clz_i32_u32_e32 v1, v1
	v_mov_b32_e32 v3, v113
	s_delay_alu instid0(VALU_DEP_2) | instskip(NEXT) | instid1(VALU_DEP_1)
	v_min_u32_e32 v1, 32, v1
	v_subrev_nc_u32_e32 v4, 29, v1
	s_delay_alu instid0(VALU_DEP_1) | instskip(NEXT) | instid1(VALU_DEP_1)
	v_lshlrev_b64_e32 v[4:5], v4, v[2:3]
	v_dual_sub_nc_u32 v3, 30, v1 :: v_dual_bitop2_b32 v1, 3, v4 bitop3:0x40
; %bb.11508:                            ;   in Loop: Header=BB6_11393 Depth=4
	s_or_b32 exec_lo, exec_lo, s76
	v_bfe_i32 v2, v2, 0, 16
	s_delay_alu instid0(VALU_DEP_1) | instskip(NEXT) | instid1(VALU_DEP_1)
	v_and_b32_e32 v2, 0x80000000, v2
	v_lshl_add_u32 v2, v3, 23, v2
	s_delay_alu instid0(VALU_DEP_1) | instskip(NEXT) | instid1(VALU_DEP_1)
	v_lshl_or_b32 v1, v1, 21, v2
                                        ; implicit-def: $vgpr2
	v_add_nc_u32_e32 v3, 0x38000000, v1
                                        ; implicit-def: $vgpr1
.LBB6_11509:                            ;   in Loop: Header=BB6_11393 Depth=4
	s_and_not1_saveexec_b32 s15, s15
; %bb.11510:                            ;   in Loop: Header=BB6_11393 Depth=4
	v_cmp_lt_i16_e32 vcc_lo, -1, v2
	v_mov_b32_e32 v2, 0x7f800000
	s_delay_alu instid0(VALU_DEP_1) | instskip(SKIP_1) | instid1(VALU_DEP_2)
	v_cndmask_b32_e32 v2, 0xff800000, v2, vcc_lo
	v_cmp_eq_u32_e32 vcc_lo, 0, v1
	v_cndmask_b32_e32 v3, 0x7f800001, v2, vcc_lo
; %bb.11511:                            ;   in Loop: Header=BB6_11393 Depth=4
	s_or_b32 exec_lo, exec_lo, s15
.LBB6_11512:                            ;   in Loop: Header=BB6_11393 Depth=4
	s_delay_alu instid0(SALU_CYCLE_1)
	s_or_b32 exec_lo, exec_lo, s14
.LBB6_11513:                            ;   in Loop: Header=BB6_11393 Depth=4
	s_delay_alu instid0(SALU_CYCLE_1) | instskip(NEXT) | instid1(VALU_DEP_1)
	s_or_b32 exec_lo, exec_lo, s13
	v_dual_mul_f32 v2, s75, v3 :: v_dual_mov_b32 v5, v113
                                        ; implicit-def: $vgpr56
	s_mov_b32 s13, exec_lo
	s_delay_alu instid0(VALU_DEP_1) | instskip(SKIP_1) | instid1(VALU_DEP_2)
	v_and_b32_e32 v4, 0x7f800000, v2
	v_and_b32_e32 v112, 0x7fffff, v2
	v_cmpx_ne_u64_e32 0x7f800000, v[4:5]
	s_xor_b32 s14, exec_lo, s13
	s_cbranch_execz .LBB6_11531
; %bb.11514:                            ;   in Loop: Header=BB6_11393 Depth=4
	v_dual_mov_b32 v5, v113 :: v_dual_lshrrev_b32 v1, 24, v2
	v_and_b32_e32 v4, 0x7fffffff, v2
                                        ; implicit-def: $vgpr56
	s_mov_b32 s13, exec_lo
	s_delay_alu instid0(VALU_DEP_2) | instskip(NEXT) | instid1(VALU_DEP_2)
	v_and_b32_e32 v1, 0x80, v1
	v_cmpx_gt_u64_e32 0x47600001, v[4:5]
	s_xor_b32 s15, exec_lo, s13
	s_cbranch_execz .LBB6_11528
; %bb.11515:                            ;   in Loop: Header=BB6_11393 Depth=4
	v_mov_b32_e32 v56, 0
	s_mov_b32 s76, exec_lo
	v_cmpx_ne_u32_e32 0, v2
	s_cbranch_execz .LBB6_11527
; %bb.11516:                            ;   in Loop: Header=BB6_11393 Depth=4
	v_bfe_u32 v6, v2, 23, 8
	v_or_b32_e32 v4, 0x800000, v112
	s_mov_b32 s77, exec_lo
	s_delay_alu instid0(VALU_DEP_2) | instskip(SKIP_1) | instid1(VALU_DEP_2)
	v_dual_mov_b32 v5, v113 :: v_dual_sub_nc_u32 v2, 0x71, v6
	v_cmp_gt_u32_e32 vcc_lo, 0x72, v6
	v_cndmask_b32_e32 v2, 0, v2, vcc_lo
	v_cmp_eq_u32_e32 vcc_lo, 0, v6
	s_delay_alu instid0(VALU_DEP_2) | instskip(NEXT) | instid1(VALU_DEP_1)
	v_cndmask_b32_e64 v7, v2, 0x70, vcc_lo
	v_dual_cndmask_b32 v4, v4, v112, vcc_lo :: v_dual_add_nc_u32 v2, 21, v7
	v_add_nc_u32_e32 v14, 20, v7
	s_delay_alu instid0(VALU_DEP_2) | instskip(NEXT) | instid1(VALU_DEP_2)
	v_lshlrev_b64_e64 v[2:3], v2, -1
	v_lshlrev_b64_e64 v[14:15], v14, 1
	s_delay_alu instid0(VALU_DEP_2) | instskip(NEXT) | instid1(VALU_DEP_3)
	v_bfi_b32 v17, v3, 0, 0
	v_bfi_b32 v16, v2, 0, v4
	v_lshrrev_b64 v[2:3], v7, v[4:5]
	s_delay_alu instid0(VALU_DEP_1) | instskip(NEXT) | instid1(VALU_DEP_3)
	v_mov_b64_e32 v[4:5], v[2:3]
	v_cmpx_eq_u64_e64 v[16:17], v[14:15]
; %bb.11517:                            ;   in Loop: Header=BB6_11393 Depth=4
	v_bfe_u32 v4, v2, 21, 1
	v_mov_b32_e32 v5, v113
	s_delay_alu instid0(VALU_DEP_1) | instskip(NEXT) | instid1(VALU_DEP_1)
	v_add_nc_u64_e32 v[4:5], v[2:3], v[4:5]
	v_add_nc_u64_e32 v[4:5], -1, v[4:5]
; %bb.11518:                            ;   in Loop: Header=BB6_11393 Depth=4
	s_or_b32 exec_lo, exec_lo, s77
	v_add_nc_u32_e32 v3, 0xffffff81, v6
	s_delay_alu instid0(VALU_DEP_2) | instskip(SKIP_2) | instid1(VALU_DEP_3)
	v_and_b32_e32 v4, 0x1fffff, v4
	v_lshrrev_b32_e32 v5, 23, v2
	s_mov_b32 s13, exec_lo
	v_cndmask_b32_e64 v3, v3, 0xffffff82, vcc_lo
	s_delay_alu instid0(VALU_DEP_3) | instskip(NEXT) | instid1(VALU_DEP_2)
	v_add_nc_u32_e32 v112, v4, v2
                                        ; implicit-def: $vgpr4
	v_add3_u32 v5, v7, v3, v5
                                        ; implicit-def: $vgpr2_vgpr3
	s_delay_alu instid0(VALU_DEP_1) | instskip(NEXT) | instid1(VALU_DEP_1)
	v_add_nc_u32_e32 v6, 14, v5
	v_cmpx_ne_u32_e32 0, v6
	s_xor_b32 s13, exec_lo, s13
; %bb.11519:                            ;   in Loop: Header=BB6_11393 Depth=4
	v_cmp_lt_u64_e32 vcc_lo, 0xffffff, v[112:113]
	v_add_nc_u32_e32 v2, 15, v5
	s_delay_alu instid0(VALU_DEP_1) | instskip(SKIP_1) | instid1(VALU_DEP_1)
	v_cndmask_b32_e32 v4, v6, v2, vcc_lo
	v_cndmask_b32_e64 v2, 0, 1, vcc_lo
	v_lshrrev_b64 v[2:3], v2, v[112:113]
; %bb.11520:                            ;   in Loop: Header=BB6_11393 Depth=4
	s_and_not1_saveexec_b32 s13, s13
; %bb.11521:                            ;   in Loop: Header=BB6_11393 Depth=4
	v_mov_b64_e32 v[2:3], v[112:113]
	v_bfe_u32 v4, v112, 23, 1
; %bb.11522:                            ;   in Loop: Header=BB6_11393 Depth=4
	s_or_b32 exec_lo, exec_lo, s13
	s_delay_alu instid0(VALU_DEP_2) | instskip(NEXT) | instid1(VALU_DEP_2)
	v_lshrrev_b64 v[2:3], 21, v[2:3]
	v_cmp_gt_i32_e32 vcc_lo, 32, v4
	v_cmp_ne_u32_e64 s13, 0, v4
                                        ; implicit-def: $vgpr56
	s_delay_alu instid0(VALU_DEP_3) | instskip(NEXT) | instid1(VALU_DEP_1)
	v_dual_cndmask_b32 v3, 0, v3 :: v_dual_cndmask_b32 v2, 3, v2
	v_cmp_ne_u64_e32 vcc_lo, 0, v[2:3]
	s_or_b32 s13, s13, vcc_lo
	s_delay_alu instid0(SALU_CYCLE_1) | instskip(NEXT) | instid1(SALU_CYCLE_1)
	s_and_saveexec_b32 s77, s13
	s_xor_b32 s13, exec_lo, s77
; %bb.11523:                            ;   in Loop: Header=BB6_11393 Depth=4
	v_min_i32_e32 v3, 31, v4
	s_delay_alu instid0(VALU_DEP_1) | instskip(NEXT) | instid1(VALU_DEP_1)
	v_lshl_or_b32 v1, v3, 2, v1
	v_and_or_b32 v56, v2, 3, v1
                                        ; implicit-def: $vgpr1
; %bb.11524:                            ;   in Loop: Header=BB6_11393 Depth=4
	s_and_not1_saveexec_b32 s13, s13
; %bb.11525:                            ;   in Loop: Header=BB6_11393 Depth=4
	v_mov_b32_e32 v56, v1
; %bb.11526:                            ;   in Loop: Header=BB6_11393 Depth=4
	s_or_b32 exec_lo, exec_lo, s13
.LBB6_11527:                            ;   in Loop: Header=BB6_11393 Depth=4
	s_delay_alu instid0(SALU_CYCLE_1)
	s_or_b32 exec_lo, exec_lo, s76
                                        ; implicit-def: $vgpr1
.LBB6_11528:                            ;   in Loop: Header=BB6_11393 Depth=4
	s_and_not1_saveexec_b32 s13, s15
; %bb.11529:                            ;   in Loop: Header=BB6_11393 Depth=4
	v_or_b32_e32 v56, 0x7b, v1
; %bb.11530:                            ;   in Loop: Header=BB6_11393 Depth=4
	s_or_b32 exec_lo, exec_lo, s13
                                        ; implicit-def: $vgpr2
.LBB6_11531:                            ;   in Loop: Header=BB6_11393 Depth=4
	s_and_not1_saveexec_b32 s13, s14
	s_cbranch_execz .LBB6_11537
; %bb.11532:                            ;   in Loop: Header=BB6_11393 Depth=4
	s_mov_b32 s14, exec_lo
                                        ; implicit-def: $vgpr56
	v_cmpx_ne_u64_e32 0, v[112:113]
	s_xor_b32 s14, exec_lo, s14
; %bb.11533:                            ;   in Loop: Header=BB6_11393 Depth=4
	v_lshrrev_b32_e32 v1, 24, v2
                                        ; implicit-def: $vgpr2
	s_delay_alu instid0(VALU_DEP_1)
	v_or_b32_e32 v56, 0x7f, v1
; %bb.11534:                            ;   in Loop: Header=BB6_11393 Depth=4
	s_and_not1_saveexec_b32 s14, s14
; %bb.11535:                            ;   in Loop: Header=BB6_11393 Depth=4
	v_cmp_lt_i32_e32 vcc_lo, -1, v2
	v_cndmask_b32_e64 v56, -4, 0x7c, vcc_lo
; %bb.11536:                            ;   in Loop: Header=BB6_11393 Depth=4
	s_or_b32 exec_lo, exec_lo, s14
.LBB6_11537:                            ;   in Loop: Header=BB6_11393 Depth=4
	s_delay_alu instid0(SALU_CYCLE_1)
	s_or_b32 exec_lo, exec_lo, s13
	flat_load_i8 v2, v[8:9] offset:128 th:TH_LOAD_NT
	v_mov_b32_e32 v3, 0
	s_mov_b32 s13, exec_lo
	s_wait_loadcnt_dscnt 0x0
	s_wait_xcnt 0x0
	v_cmpx_ne_u16_e32 0, v2
	s_cbranch_execz .LBB6_11547
; %bb.11538:                            ;   in Loop: Header=BB6_11393 Depth=4
	v_bfrev_b32_e32 v3, 1
	s_mov_b32 s14, exec_lo
	v_cmpx_ne_u16_e32 0xff80, v2
	s_cbranch_execz .LBB6_11546
; %bb.11539:                            ;   in Loop: Header=BB6_11393 Depth=4
	v_and_b32_e32 v3, 0x7c, v2
	v_and_b32_e32 v1, 3, v2
	s_delay_alu instid0(VALU_DEP_2) | instskip(SKIP_1) | instid1(SALU_CYCLE_1)
	v_cmp_ne_u32_e32 vcc_lo, 0x7c, v3
                                        ; implicit-def: $vgpr3
	s_and_saveexec_b32 s15, vcc_lo
	s_xor_b32 s15, exec_lo, s15
	s_cbranch_execz .LBB6_11543
; %bb.11540:                            ;   in Loop: Header=BB6_11393 Depth=4
	v_and_b32_e32 v3, 0xff, v2
	s_mov_b32 s76, exec_lo
	s_delay_alu instid0(VALU_DEP_1) | instskip(NEXT) | instid1(VALU_DEP_1)
	v_bfe_u32 v3, v3, 2, 5
	v_cmpx_eq_u32_e32 0, v3
; %bb.11541:                            ;   in Loop: Header=BB6_11393 Depth=4
	v_clz_i32_u32_e32 v1, v1
	v_mov_b32_e32 v3, v113
	s_delay_alu instid0(VALU_DEP_2) | instskip(NEXT) | instid1(VALU_DEP_1)
	v_min_u32_e32 v1, 32, v1
	v_subrev_nc_u32_e32 v4, 29, v1
	s_delay_alu instid0(VALU_DEP_1) | instskip(NEXT) | instid1(VALU_DEP_1)
	v_lshlrev_b64_e32 v[4:5], v4, v[2:3]
	v_dual_sub_nc_u32 v3, 30, v1 :: v_dual_bitop2_b32 v1, 3, v4 bitop3:0x40
; %bb.11542:                            ;   in Loop: Header=BB6_11393 Depth=4
	s_or_b32 exec_lo, exec_lo, s76
	v_bfe_i32 v2, v2, 0, 16
	s_delay_alu instid0(VALU_DEP_1) | instskip(NEXT) | instid1(VALU_DEP_1)
	v_and_b32_e32 v2, 0x80000000, v2
	v_lshl_add_u32 v2, v3, 23, v2
	s_delay_alu instid0(VALU_DEP_1) | instskip(NEXT) | instid1(VALU_DEP_1)
	v_lshl_or_b32 v1, v1, 21, v2
                                        ; implicit-def: $vgpr2
	v_add_nc_u32_e32 v3, 0x38000000, v1
                                        ; implicit-def: $vgpr1
.LBB6_11543:                            ;   in Loop: Header=BB6_11393 Depth=4
	s_and_not1_saveexec_b32 s15, s15
; %bb.11544:                            ;   in Loop: Header=BB6_11393 Depth=4
	v_cmp_lt_i16_e32 vcc_lo, -1, v2
	v_mov_b32_e32 v2, 0x7f800000
	s_delay_alu instid0(VALU_DEP_1) | instskip(SKIP_1) | instid1(VALU_DEP_2)
	v_cndmask_b32_e32 v2, 0xff800000, v2, vcc_lo
	v_cmp_eq_u32_e32 vcc_lo, 0, v1
	v_cndmask_b32_e32 v3, 0x7f800001, v2, vcc_lo
; %bb.11545:                            ;   in Loop: Header=BB6_11393 Depth=4
	s_or_b32 exec_lo, exec_lo, s15
.LBB6_11546:                            ;   in Loop: Header=BB6_11393 Depth=4
	s_delay_alu instid0(SALU_CYCLE_1)
	s_or_b32 exec_lo, exec_lo, s14
.LBB6_11547:                            ;   in Loop: Header=BB6_11393 Depth=4
	s_delay_alu instid0(SALU_CYCLE_1) | instskip(NEXT) | instid1(VALU_DEP_1)
	s_or_b32 exec_lo, exec_lo, s13
	v_dual_mul_f32 v2, s75, v3 :: v_dual_mov_b32 v5, v113
                                        ; implicit-def: $vgpr84
	s_mov_b32 s13, exec_lo
	s_delay_alu instid0(VALU_DEP_1) | instskip(SKIP_1) | instid1(VALU_DEP_2)
	v_and_b32_e32 v4, 0x7f800000, v2
	v_and_b32_e32 v112, 0x7fffff, v2
	v_cmpx_ne_u64_e32 0x7f800000, v[4:5]
	s_xor_b32 s14, exec_lo, s13
	s_cbranch_execz .LBB6_11565
; %bb.11548:                            ;   in Loop: Header=BB6_11393 Depth=4
	v_dual_mov_b32 v5, v113 :: v_dual_lshrrev_b32 v1, 24, v2
	v_and_b32_e32 v4, 0x7fffffff, v2
                                        ; implicit-def: $vgpr84
	s_mov_b32 s13, exec_lo
	s_delay_alu instid0(VALU_DEP_2) | instskip(NEXT) | instid1(VALU_DEP_2)
	v_and_b32_e32 v1, 0x80, v1
	v_cmpx_gt_u64_e32 0x47600001, v[4:5]
	s_xor_b32 s15, exec_lo, s13
	s_cbranch_execz .LBB6_11562
; %bb.11549:                            ;   in Loop: Header=BB6_11393 Depth=4
	v_mov_b32_e32 v84, 0
	s_mov_b32 s76, exec_lo
	v_cmpx_ne_u32_e32 0, v2
	s_cbranch_execz .LBB6_11561
; %bb.11550:                            ;   in Loop: Header=BB6_11393 Depth=4
	v_bfe_u32 v6, v2, 23, 8
	v_or_b32_e32 v4, 0x800000, v112
	s_mov_b32 s77, exec_lo
	s_delay_alu instid0(VALU_DEP_2) | instskip(SKIP_1) | instid1(VALU_DEP_2)
	v_dual_mov_b32 v5, v113 :: v_dual_sub_nc_u32 v2, 0x71, v6
	v_cmp_gt_u32_e32 vcc_lo, 0x72, v6
	v_cndmask_b32_e32 v2, 0, v2, vcc_lo
	v_cmp_eq_u32_e32 vcc_lo, 0, v6
	s_delay_alu instid0(VALU_DEP_2) | instskip(NEXT) | instid1(VALU_DEP_1)
	v_cndmask_b32_e64 v7, v2, 0x70, vcc_lo
	v_dual_cndmask_b32 v4, v4, v112, vcc_lo :: v_dual_add_nc_u32 v2, 21, v7
	v_add_nc_u32_e32 v14, 20, v7
	s_delay_alu instid0(VALU_DEP_2) | instskip(NEXT) | instid1(VALU_DEP_2)
	v_lshlrev_b64_e64 v[2:3], v2, -1
	v_lshlrev_b64_e64 v[14:15], v14, 1
	s_delay_alu instid0(VALU_DEP_2) | instskip(NEXT) | instid1(VALU_DEP_3)
	v_bfi_b32 v17, v3, 0, 0
	v_bfi_b32 v16, v2, 0, v4
	v_lshrrev_b64 v[2:3], v7, v[4:5]
	s_delay_alu instid0(VALU_DEP_1) | instskip(NEXT) | instid1(VALU_DEP_3)
	v_mov_b64_e32 v[4:5], v[2:3]
	v_cmpx_eq_u64_e64 v[16:17], v[14:15]
; %bb.11551:                            ;   in Loop: Header=BB6_11393 Depth=4
	v_bfe_u32 v4, v2, 21, 1
	v_mov_b32_e32 v5, v113
	s_delay_alu instid0(VALU_DEP_1) | instskip(NEXT) | instid1(VALU_DEP_1)
	v_add_nc_u64_e32 v[4:5], v[2:3], v[4:5]
	v_add_nc_u64_e32 v[4:5], -1, v[4:5]
; %bb.11552:                            ;   in Loop: Header=BB6_11393 Depth=4
	s_or_b32 exec_lo, exec_lo, s77
	v_add_nc_u32_e32 v3, 0xffffff81, v6
	s_delay_alu instid0(VALU_DEP_2) | instskip(SKIP_2) | instid1(VALU_DEP_3)
	v_and_b32_e32 v4, 0x1fffff, v4
	v_lshrrev_b32_e32 v5, 23, v2
	s_mov_b32 s13, exec_lo
	v_cndmask_b32_e64 v3, v3, 0xffffff82, vcc_lo
	s_delay_alu instid0(VALU_DEP_3) | instskip(NEXT) | instid1(VALU_DEP_2)
	v_add_nc_u32_e32 v112, v4, v2
                                        ; implicit-def: $vgpr4
	v_add3_u32 v5, v7, v3, v5
                                        ; implicit-def: $vgpr2_vgpr3
	s_delay_alu instid0(VALU_DEP_1) | instskip(NEXT) | instid1(VALU_DEP_1)
	v_add_nc_u32_e32 v6, 14, v5
	v_cmpx_ne_u32_e32 0, v6
	s_xor_b32 s13, exec_lo, s13
; %bb.11553:                            ;   in Loop: Header=BB6_11393 Depth=4
	v_cmp_lt_u64_e32 vcc_lo, 0xffffff, v[112:113]
	v_add_nc_u32_e32 v2, 15, v5
	s_delay_alu instid0(VALU_DEP_1) | instskip(SKIP_1) | instid1(VALU_DEP_1)
	v_cndmask_b32_e32 v4, v6, v2, vcc_lo
	v_cndmask_b32_e64 v2, 0, 1, vcc_lo
	v_lshrrev_b64 v[2:3], v2, v[112:113]
; %bb.11554:                            ;   in Loop: Header=BB6_11393 Depth=4
	s_and_not1_saveexec_b32 s13, s13
; %bb.11555:                            ;   in Loop: Header=BB6_11393 Depth=4
	v_mov_b64_e32 v[2:3], v[112:113]
	v_bfe_u32 v4, v112, 23, 1
; %bb.11556:                            ;   in Loop: Header=BB6_11393 Depth=4
	s_or_b32 exec_lo, exec_lo, s13
	s_delay_alu instid0(VALU_DEP_2) | instskip(NEXT) | instid1(VALU_DEP_2)
	v_lshrrev_b64 v[2:3], 21, v[2:3]
	v_cmp_gt_i32_e32 vcc_lo, 32, v4
	v_cmp_ne_u32_e64 s13, 0, v4
                                        ; implicit-def: $vgpr84
	s_delay_alu instid0(VALU_DEP_3) | instskip(NEXT) | instid1(VALU_DEP_1)
	v_dual_cndmask_b32 v3, 0, v3 :: v_dual_cndmask_b32 v2, 3, v2
	v_cmp_ne_u64_e32 vcc_lo, 0, v[2:3]
	s_or_b32 s13, s13, vcc_lo
	s_delay_alu instid0(SALU_CYCLE_1) | instskip(NEXT) | instid1(SALU_CYCLE_1)
	s_and_saveexec_b32 s77, s13
	s_xor_b32 s13, exec_lo, s77
; %bb.11557:                            ;   in Loop: Header=BB6_11393 Depth=4
	v_min_i32_e32 v3, 31, v4
	s_delay_alu instid0(VALU_DEP_1) | instskip(NEXT) | instid1(VALU_DEP_1)
	v_lshl_or_b32 v1, v3, 2, v1
	v_and_or_b32 v84, v2, 3, v1
                                        ; implicit-def: $vgpr1
; %bb.11558:                            ;   in Loop: Header=BB6_11393 Depth=4
	s_and_not1_saveexec_b32 s13, s13
; %bb.11559:                            ;   in Loop: Header=BB6_11393 Depth=4
	v_mov_b32_e32 v84, v1
; %bb.11560:                            ;   in Loop: Header=BB6_11393 Depth=4
	s_or_b32 exec_lo, exec_lo, s13
.LBB6_11561:                            ;   in Loop: Header=BB6_11393 Depth=4
	s_delay_alu instid0(SALU_CYCLE_1)
	s_or_b32 exec_lo, exec_lo, s76
                                        ; implicit-def: $vgpr1
.LBB6_11562:                            ;   in Loop: Header=BB6_11393 Depth=4
	s_and_not1_saveexec_b32 s13, s15
; %bb.11563:                            ;   in Loop: Header=BB6_11393 Depth=4
	v_or_b32_e32 v84, 0x7b, v1
; %bb.11564:                            ;   in Loop: Header=BB6_11393 Depth=4
	s_or_b32 exec_lo, exec_lo, s13
                                        ; implicit-def: $vgpr2
.LBB6_11565:                            ;   in Loop: Header=BB6_11393 Depth=4
	s_and_not1_saveexec_b32 s13, s14
	s_cbranch_execz .LBB6_11571
; %bb.11566:                            ;   in Loop: Header=BB6_11393 Depth=4
	s_mov_b32 s14, exec_lo
                                        ; implicit-def: $vgpr84
	v_cmpx_ne_u64_e32 0, v[112:113]
	s_xor_b32 s14, exec_lo, s14
; %bb.11567:                            ;   in Loop: Header=BB6_11393 Depth=4
	v_lshrrev_b32_e32 v1, 24, v2
                                        ; implicit-def: $vgpr2
	s_delay_alu instid0(VALU_DEP_1)
	v_or_b32_e32 v84, 0x7f, v1
; %bb.11568:                            ;   in Loop: Header=BB6_11393 Depth=4
	s_and_not1_saveexec_b32 s14, s14
; %bb.11569:                            ;   in Loop: Header=BB6_11393 Depth=4
	v_cmp_lt_i32_e32 vcc_lo, -1, v2
	v_cndmask_b32_e64 v84, -4, 0x7c, vcc_lo
; %bb.11570:                            ;   in Loop: Header=BB6_11393 Depth=4
	s_or_b32 exec_lo, exec_lo, s14
.LBB6_11571:                            ;   in Loop: Header=BB6_11393 Depth=4
	s_delay_alu instid0(SALU_CYCLE_1)
	s_or_b32 exec_lo, exec_lo, s13
	flat_load_i8 v2, v[8:9] offset:160 th:TH_LOAD_NT
	v_mov_b32_e32 v3, 0
	s_mov_b32 s13, exec_lo
	s_wait_loadcnt_dscnt 0x0
	s_wait_xcnt 0x0
	v_cmpx_ne_u16_e32 0, v2
	s_cbranch_execz .LBB6_11581
; %bb.11572:                            ;   in Loop: Header=BB6_11393 Depth=4
	v_bfrev_b32_e32 v3, 1
	s_mov_b32 s14, exec_lo
	v_cmpx_ne_u16_e32 0xff80, v2
	s_cbranch_execz .LBB6_11580
; %bb.11573:                            ;   in Loop: Header=BB6_11393 Depth=4
	v_and_b32_e32 v3, 0x7c, v2
	v_and_b32_e32 v1, 3, v2
	s_delay_alu instid0(VALU_DEP_2) | instskip(SKIP_1) | instid1(SALU_CYCLE_1)
	v_cmp_ne_u32_e32 vcc_lo, 0x7c, v3
                                        ; implicit-def: $vgpr3
	s_and_saveexec_b32 s15, vcc_lo
	s_xor_b32 s15, exec_lo, s15
	s_cbranch_execz .LBB6_11577
; %bb.11574:                            ;   in Loop: Header=BB6_11393 Depth=4
	v_and_b32_e32 v3, 0xff, v2
	s_mov_b32 s76, exec_lo
	s_delay_alu instid0(VALU_DEP_1) | instskip(NEXT) | instid1(VALU_DEP_1)
	v_bfe_u32 v3, v3, 2, 5
	v_cmpx_eq_u32_e32 0, v3
; %bb.11575:                            ;   in Loop: Header=BB6_11393 Depth=4
	v_clz_i32_u32_e32 v1, v1
	v_mov_b32_e32 v3, v113
	s_delay_alu instid0(VALU_DEP_2) | instskip(NEXT) | instid1(VALU_DEP_1)
	v_min_u32_e32 v1, 32, v1
	v_subrev_nc_u32_e32 v4, 29, v1
	s_delay_alu instid0(VALU_DEP_1) | instskip(NEXT) | instid1(VALU_DEP_1)
	v_lshlrev_b64_e32 v[4:5], v4, v[2:3]
	v_dual_sub_nc_u32 v3, 30, v1 :: v_dual_bitop2_b32 v1, 3, v4 bitop3:0x40
; %bb.11576:                            ;   in Loop: Header=BB6_11393 Depth=4
	s_or_b32 exec_lo, exec_lo, s76
	v_bfe_i32 v2, v2, 0, 16
	s_delay_alu instid0(VALU_DEP_1) | instskip(NEXT) | instid1(VALU_DEP_1)
	v_and_b32_e32 v2, 0x80000000, v2
	v_lshl_add_u32 v2, v3, 23, v2
	s_delay_alu instid0(VALU_DEP_1) | instskip(NEXT) | instid1(VALU_DEP_1)
	v_lshl_or_b32 v1, v1, 21, v2
                                        ; implicit-def: $vgpr2
	v_add_nc_u32_e32 v3, 0x38000000, v1
                                        ; implicit-def: $vgpr1
.LBB6_11577:                            ;   in Loop: Header=BB6_11393 Depth=4
	s_and_not1_saveexec_b32 s15, s15
; %bb.11578:                            ;   in Loop: Header=BB6_11393 Depth=4
	v_cmp_lt_i16_e32 vcc_lo, -1, v2
	v_mov_b32_e32 v2, 0x7f800000
	s_delay_alu instid0(VALU_DEP_1) | instskip(SKIP_1) | instid1(VALU_DEP_2)
	v_cndmask_b32_e32 v2, 0xff800000, v2, vcc_lo
	v_cmp_eq_u32_e32 vcc_lo, 0, v1
	v_cndmask_b32_e32 v3, 0x7f800001, v2, vcc_lo
; %bb.11579:                            ;   in Loop: Header=BB6_11393 Depth=4
	s_or_b32 exec_lo, exec_lo, s15
.LBB6_11580:                            ;   in Loop: Header=BB6_11393 Depth=4
	s_delay_alu instid0(SALU_CYCLE_1)
	s_or_b32 exec_lo, exec_lo, s14
.LBB6_11581:                            ;   in Loop: Header=BB6_11393 Depth=4
	s_delay_alu instid0(SALU_CYCLE_1) | instskip(NEXT) | instid1(VALU_DEP_1)
	s_or_b32 exec_lo, exec_lo, s13
	v_dual_mul_f32 v2, s75, v3 :: v_dual_mov_b32 v5, v113
                                        ; implicit-def: $vgpr124
	s_mov_b32 s13, exec_lo
	s_delay_alu instid0(VALU_DEP_1) | instskip(SKIP_1) | instid1(VALU_DEP_2)
	v_and_b32_e32 v4, 0x7f800000, v2
	v_and_b32_e32 v112, 0x7fffff, v2
	v_cmpx_ne_u64_e32 0x7f800000, v[4:5]
	s_xor_b32 s14, exec_lo, s13
	s_cbranch_execz .LBB6_11599
; %bb.11582:                            ;   in Loop: Header=BB6_11393 Depth=4
	v_dual_mov_b32 v5, v113 :: v_dual_lshrrev_b32 v1, 24, v2
	v_and_b32_e32 v4, 0x7fffffff, v2
                                        ; implicit-def: $vgpr124
	s_mov_b32 s13, exec_lo
	s_delay_alu instid0(VALU_DEP_2) | instskip(NEXT) | instid1(VALU_DEP_2)
	v_and_b32_e32 v1, 0x80, v1
	v_cmpx_gt_u64_e32 0x47600001, v[4:5]
	s_xor_b32 s15, exec_lo, s13
	s_cbranch_execz .LBB6_11596
; %bb.11583:                            ;   in Loop: Header=BB6_11393 Depth=4
	v_mov_b32_e32 v124, 0
	s_mov_b32 s76, exec_lo
	v_cmpx_ne_u32_e32 0, v2
	s_cbranch_execz .LBB6_11595
; %bb.11584:                            ;   in Loop: Header=BB6_11393 Depth=4
	v_bfe_u32 v6, v2, 23, 8
	v_or_b32_e32 v4, 0x800000, v112
	s_mov_b32 s77, exec_lo
	s_delay_alu instid0(VALU_DEP_2) | instskip(SKIP_1) | instid1(VALU_DEP_2)
	v_dual_mov_b32 v5, v113 :: v_dual_sub_nc_u32 v2, 0x71, v6
	v_cmp_gt_u32_e32 vcc_lo, 0x72, v6
	v_cndmask_b32_e32 v2, 0, v2, vcc_lo
	v_cmp_eq_u32_e32 vcc_lo, 0, v6
	s_delay_alu instid0(VALU_DEP_2) | instskip(NEXT) | instid1(VALU_DEP_1)
	v_cndmask_b32_e64 v7, v2, 0x70, vcc_lo
	v_dual_cndmask_b32 v4, v4, v112, vcc_lo :: v_dual_add_nc_u32 v2, 21, v7
	v_add_nc_u32_e32 v14, 20, v7
	s_delay_alu instid0(VALU_DEP_2) | instskip(NEXT) | instid1(VALU_DEP_2)
	v_lshlrev_b64_e64 v[2:3], v2, -1
	v_lshlrev_b64_e64 v[14:15], v14, 1
	s_delay_alu instid0(VALU_DEP_2) | instskip(NEXT) | instid1(VALU_DEP_3)
	v_bfi_b32 v17, v3, 0, 0
	v_bfi_b32 v16, v2, 0, v4
	v_lshrrev_b64 v[2:3], v7, v[4:5]
	s_delay_alu instid0(VALU_DEP_1) | instskip(NEXT) | instid1(VALU_DEP_3)
	v_mov_b64_e32 v[4:5], v[2:3]
	v_cmpx_eq_u64_e64 v[16:17], v[14:15]
; %bb.11585:                            ;   in Loop: Header=BB6_11393 Depth=4
	v_bfe_u32 v4, v2, 21, 1
	v_mov_b32_e32 v5, v113
	s_delay_alu instid0(VALU_DEP_1) | instskip(NEXT) | instid1(VALU_DEP_1)
	v_add_nc_u64_e32 v[4:5], v[2:3], v[4:5]
	v_add_nc_u64_e32 v[4:5], -1, v[4:5]
; %bb.11586:                            ;   in Loop: Header=BB6_11393 Depth=4
	s_or_b32 exec_lo, exec_lo, s77
	v_add_nc_u32_e32 v3, 0xffffff81, v6
	s_delay_alu instid0(VALU_DEP_2) | instskip(SKIP_2) | instid1(VALU_DEP_3)
	v_and_b32_e32 v4, 0x1fffff, v4
	v_lshrrev_b32_e32 v5, 23, v2
	s_mov_b32 s13, exec_lo
	v_cndmask_b32_e64 v3, v3, 0xffffff82, vcc_lo
	s_delay_alu instid0(VALU_DEP_3) | instskip(NEXT) | instid1(VALU_DEP_2)
	v_add_nc_u32_e32 v112, v4, v2
                                        ; implicit-def: $vgpr4
	v_add3_u32 v5, v7, v3, v5
                                        ; implicit-def: $vgpr2_vgpr3
	s_delay_alu instid0(VALU_DEP_1) | instskip(NEXT) | instid1(VALU_DEP_1)
	v_add_nc_u32_e32 v6, 14, v5
	v_cmpx_ne_u32_e32 0, v6
	s_xor_b32 s13, exec_lo, s13
; %bb.11587:                            ;   in Loop: Header=BB6_11393 Depth=4
	v_cmp_lt_u64_e32 vcc_lo, 0xffffff, v[112:113]
	v_add_nc_u32_e32 v2, 15, v5
	s_delay_alu instid0(VALU_DEP_1) | instskip(SKIP_1) | instid1(VALU_DEP_1)
	v_cndmask_b32_e32 v4, v6, v2, vcc_lo
	v_cndmask_b32_e64 v2, 0, 1, vcc_lo
	v_lshrrev_b64 v[2:3], v2, v[112:113]
; %bb.11588:                            ;   in Loop: Header=BB6_11393 Depth=4
	s_and_not1_saveexec_b32 s13, s13
; %bb.11589:                            ;   in Loop: Header=BB6_11393 Depth=4
	v_mov_b64_e32 v[2:3], v[112:113]
	v_bfe_u32 v4, v112, 23, 1
; %bb.11590:                            ;   in Loop: Header=BB6_11393 Depth=4
	s_or_b32 exec_lo, exec_lo, s13
	s_delay_alu instid0(VALU_DEP_2) | instskip(NEXT) | instid1(VALU_DEP_2)
	v_lshrrev_b64 v[2:3], 21, v[2:3]
	v_cmp_gt_i32_e32 vcc_lo, 32, v4
	v_cmp_ne_u32_e64 s13, 0, v4
                                        ; implicit-def: $vgpr124
	s_delay_alu instid0(VALU_DEP_3) | instskip(NEXT) | instid1(VALU_DEP_1)
	v_dual_cndmask_b32 v3, 0, v3 :: v_dual_cndmask_b32 v2, 3, v2
	v_cmp_ne_u64_e32 vcc_lo, 0, v[2:3]
	s_or_b32 s13, s13, vcc_lo
	s_delay_alu instid0(SALU_CYCLE_1) | instskip(NEXT) | instid1(SALU_CYCLE_1)
	s_and_saveexec_b32 s77, s13
	s_xor_b32 s13, exec_lo, s77
; %bb.11591:                            ;   in Loop: Header=BB6_11393 Depth=4
	v_min_i32_e32 v3, 31, v4
	s_delay_alu instid0(VALU_DEP_1) | instskip(NEXT) | instid1(VALU_DEP_1)
	v_lshl_or_b32 v1, v3, 2, v1
	v_and_or_b32 v124, v2, 3, v1
                                        ; implicit-def: $vgpr1
; %bb.11592:                            ;   in Loop: Header=BB6_11393 Depth=4
	s_and_not1_saveexec_b32 s13, s13
; %bb.11593:                            ;   in Loop: Header=BB6_11393 Depth=4
	v_mov_b32_e32 v124, v1
; %bb.11594:                            ;   in Loop: Header=BB6_11393 Depth=4
	s_or_b32 exec_lo, exec_lo, s13
.LBB6_11595:                            ;   in Loop: Header=BB6_11393 Depth=4
	s_delay_alu instid0(SALU_CYCLE_1)
	s_or_b32 exec_lo, exec_lo, s76
                                        ; implicit-def: $vgpr1
.LBB6_11596:                            ;   in Loop: Header=BB6_11393 Depth=4
	s_and_not1_saveexec_b32 s13, s15
; %bb.11597:                            ;   in Loop: Header=BB6_11393 Depth=4
	v_or_b32_e32 v124, 0x7b, v1
; %bb.11598:                            ;   in Loop: Header=BB6_11393 Depth=4
	s_or_b32 exec_lo, exec_lo, s13
                                        ; implicit-def: $vgpr2
.LBB6_11599:                            ;   in Loop: Header=BB6_11393 Depth=4
	s_and_not1_saveexec_b32 s13, s14
	s_cbranch_execz .LBB6_11605
; %bb.11600:                            ;   in Loop: Header=BB6_11393 Depth=4
	s_mov_b32 s14, exec_lo
                                        ; implicit-def: $vgpr124
	v_cmpx_ne_u64_e32 0, v[112:113]
	s_xor_b32 s14, exec_lo, s14
; %bb.11601:                            ;   in Loop: Header=BB6_11393 Depth=4
	v_lshrrev_b32_e32 v1, 24, v2
                                        ; implicit-def: $vgpr2
	s_delay_alu instid0(VALU_DEP_1)
	v_or_b32_e32 v124, 0x7f, v1
; %bb.11602:                            ;   in Loop: Header=BB6_11393 Depth=4
	s_and_not1_saveexec_b32 s14, s14
; %bb.11603:                            ;   in Loop: Header=BB6_11393 Depth=4
	v_cmp_lt_i32_e32 vcc_lo, -1, v2
	v_cndmask_b32_e64 v124, -4, 0x7c, vcc_lo
; %bb.11604:                            ;   in Loop: Header=BB6_11393 Depth=4
	s_or_b32 exec_lo, exec_lo, s14
.LBB6_11605:                            ;   in Loop: Header=BB6_11393 Depth=4
	s_delay_alu instid0(SALU_CYCLE_1)
	s_or_b32 exec_lo, exec_lo, s13
	flat_load_i8 v2, v[8:9] offset:192 th:TH_LOAD_NT
	v_mov_b32_e32 v3, 0
	s_mov_b32 s13, exec_lo
	s_wait_loadcnt_dscnt 0x0
	s_wait_xcnt 0x0
	v_cmpx_ne_u16_e32 0, v2
	s_cbranch_execz .LBB6_11615
; %bb.11606:                            ;   in Loop: Header=BB6_11393 Depth=4
	v_bfrev_b32_e32 v3, 1
	s_mov_b32 s14, exec_lo
	v_cmpx_ne_u16_e32 0xff80, v2
	s_cbranch_execz .LBB6_11614
; %bb.11607:                            ;   in Loop: Header=BB6_11393 Depth=4
	v_and_b32_e32 v3, 0x7c, v2
	v_and_b32_e32 v1, 3, v2
	s_delay_alu instid0(VALU_DEP_2) | instskip(SKIP_1) | instid1(SALU_CYCLE_1)
	v_cmp_ne_u32_e32 vcc_lo, 0x7c, v3
                                        ; implicit-def: $vgpr3
	s_and_saveexec_b32 s15, vcc_lo
	s_xor_b32 s15, exec_lo, s15
	s_cbranch_execz .LBB6_11611
; %bb.11608:                            ;   in Loop: Header=BB6_11393 Depth=4
	v_and_b32_e32 v3, 0xff, v2
	s_mov_b32 s76, exec_lo
	s_delay_alu instid0(VALU_DEP_1) | instskip(NEXT) | instid1(VALU_DEP_1)
	v_bfe_u32 v3, v3, 2, 5
	v_cmpx_eq_u32_e32 0, v3
; %bb.11609:                            ;   in Loop: Header=BB6_11393 Depth=4
	v_clz_i32_u32_e32 v1, v1
	v_mov_b32_e32 v3, v113
	s_delay_alu instid0(VALU_DEP_2) | instskip(NEXT) | instid1(VALU_DEP_1)
	v_min_u32_e32 v1, 32, v1
	v_subrev_nc_u32_e32 v4, 29, v1
	s_delay_alu instid0(VALU_DEP_1) | instskip(NEXT) | instid1(VALU_DEP_1)
	v_lshlrev_b64_e32 v[4:5], v4, v[2:3]
	v_dual_sub_nc_u32 v3, 30, v1 :: v_dual_bitop2_b32 v1, 3, v4 bitop3:0x40
; %bb.11610:                            ;   in Loop: Header=BB6_11393 Depth=4
	s_or_b32 exec_lo, exec_lo, s76
	v_bfe_i32 v2, v2, 0, 16
	s_delay_alu instid0(VALU_DEP_1) | instskip(NEXT) | instid1(VALU_DEP_1)
	v_and_b32_e32 v2, 0x80000000, v2
	v_lshl_add_u32 v2, v3, 23, v2
	s_delay_alu instid0(VALU_DEP_1) | instskip(NEXT) | instid1(VALU_DEP_1)
	v_lshl_or_b32 v1, v1, 21, v2
                                        ; implicit-def: $vgpr2
	v_add_nc_u32_e32 v3, 0x38000000, v1
                                        ; implicit-def: $vgpr1
.LBB6_11611:                            ;   in Loop: Header=BB6_11393 Depth=4
	s_and_not1_saveexec_b32 s15, s15
; %bb.11612:                            ;   in Loop: Header=BB6_11393 Depth=4
	v_cmp_lt_i16_e32 vcc_lo, -1, v2
	v_mov_b32_e32 v2, 0x7f800000
	s_delay_alu instid0(VALU_DEP_1) | instskip(SKIP_1) | instid1(VALU_DEP_2)
	v_cndmask_b32_e32 v2, 0xff800000, v2, vcc_lo
	v_cmp_eq_u32_e32 vcc_lo, 0, v1
	v_cndmask_b32_e32 v3, 0x7f800001, v2, vcc_lo
; %bb.11613:                            ;   in Loop: Header=BB6_11393 Depth=4
	s_or_b32 exec_lo, exec_lo, s15
.LBB6_11614:                            ;   in Loop: Header=BB6_11393 Depth=4
	s_delay_alu instid0(SALU_CYCLE_1)
	s_or_b32 exec_lo, exec_lo, s14
.LBB6_11615:                            ;   in Loop: Header=BB6_11393 Depth=4
	s_delay_alu instid0(SALU_CYCLE_1) | instskip(NEXT) | instid1(VALU_DEP_1)
	s_or_b32 exec_lo, exec_lo, s13
	v_dual_mul_f32 v2, s75, v3 :: v_dual_mov_b32 v5, v113
                                        ; implicit-def: $vgpr114
	s_mov_b32 s13, exec_lo
	s_delay_alu instid0(VALU_DEP_1) | instskip(SKIP_1) | instid1(VALU_DEP_2)
	v_and_b32_e32 v4, 0x7f800000, v2
	v_and_b32_e32 v112, 0x7fffff, v2
	v_cmpx_ne_u64_e32 0x7f800000, v[4:5]
	s_xor_b32 s14, exec_lo, s13
	s_cbranch_execz .LBB6_11633
; %bb.11616:                            ;   in Loop: Header=BB6_11393 Depth=4
	v_dual_mov_b32 v5, v113 :: v_dual_lshrrev_b32 v1, 24, v2
	v_and_b32_e32 v4, 0x7fffffff, v2
                                        ; implicit-def: $vgpr114
	s_mov_b32 s13, exec_lo
	s_delay_alu instid0(VALU_DEP_2) | instskip(NEXT) | instid1(VALU_DEP_2)
	v_and_b32_e32 v1, 0x80, v1
	v_cmpx_gt_u64_e32 0x47600001, v[4:5]
	s_xor_b32 s15, exec_lo, s13
	s_cbranch_execz .LBB6_11630
; %bb.11617:                            ;   in Loop: Header=BB6_11393 Depth=4
	v_mov_b32_e32 v114, 0
	s_mov_b32 s76, exec_lo
	v_cmpx_ne_u32_e32 0, v2
	s_cbranch_execz .LBB6_11629
; %bb.11618:                            ;   in Loop: Header=BB6_11393 Depth=4
	v_bfe_u32 v6, v2, 23, 8
	v_or_b32_e32 v4, 0x800000, v112
	s_mov_b32 s77, exec_lo
	s_delay_alu instid0(VALU_DEP_2) | instskip(SKIP_1) | instid1(VALU_DEP_2)
	v_dual_mov_b32 v5, v113 :: v_dual_sub_nc_u32 v2, 0x71, v6
	v_cmp_gt_u32_e32 vcc_lo, 0x72, v6
	v_cndmask_b32_e32 v2, 0, v2, vcc_lo
	v_cmp_eq_u32_e32 vcc_lo, 0, v6
	s_delay_alu instid0(VALU_DEP_2) | instskip(NEXT) | instid1(VALU_DEP_1)
	v_cndmask_b32_e64 v7, v2, 0x70, vcc_lo
	v_dual_cndmask_b32 v4, v4, v112, vcc_lo :: v_dual_add_nc_u32 v2, 21, v7
	v_add_nc_u32_e32 v14, 20, v7
	s_delay_alu instid0(VALU_DEP_2) | instskip(NEXT) | instid1(VALU_DEP_2)
	v_lshlrev_b64_e64 v[2:3], v2, -1
	v_lshlrev_b64_e64 v[14:15], v14, 1
	s_delay_alu instid0(VALU_DEP_2) | instskip(NEXT) | instid1(VALU_DEP_3)
	v_bfi_b32 v17, v3, 0, 0
	v_bfi_b32 v16, v2, 0, v4
	v_lshrrev_b64 v[2:3], v7, v[4:5]
	s_delay_alu instid0(VALU_DEP_1) | instskip(NEXT) | instid1(VALU_DEP_3)
	v_mov_b64_e32 v[4:5], v[2:3]
	v_cmpx_eq_u64_e64 v[16:17], v[14:15]
; %bb.11619:                            ;   in Loop: Header=BB6_11393 Depth=4
	v_bfe_u32 v4, v2, 21, 1
	v_mov_b32_e32 v5, v113
	s_delay_alu instid0(VALU_DEP_1) | instskip(NEXT) | instid1(VALU_DEP_1)
	v_add_nc_u64_e32 v[4:5], v[2:3], v[4:5]
	v_add_nc_u64_e32 v[4:5], -1, v[4:5]
; %bb.11620:                            ;   in Loop: Header=BB6_11393 Depth=4
	s_or_b32 exec_lo, exec_lo, s77
	v_add_nc_u32_e32 v3, 0xffffff81, v6
	s_delay_alu instid0(VALU_DEP_2) | instskip(SKIP_2) | instid1(VALU_DEP_3)
	v_and_b32_e32 v4, 0x1fffff, v4
	v_lshrrev_b32_e32 v5, 23, v2
	s_mov_b32 s13, exec_lo
	v_cndmask_b32_e64 v3, v3, 0xffffff82, vcc_lo
	s_delay_alu instid0(VALU_DEP_3) | instskip(NEXT) | instid1(VALU_DEP_2)
	v_add_nc_u32_e32 v112, v4, v2
                                        ; implicit-def: $vgpr4
	v_add3_u32 v5, v7, v3, v5
                                        ; implicit-def: $vgpr2_vgpr3
	s_delay_alu instid0(VALU_DEP_1) | instskip(NEXT) | instid1(VALU_DEP_1)
	v_add_nc_u32_e32 v6, 14, v5
	v_cmpx_ne_u32_e32 0, v6
	s_xor_b32 s13, exec_lo, s13
; %bb.11621:                            ;   in Loop: Header=BB6_11393 Depth=4
	v_cmp_lt_u64_e32 vcc_lo, 0xffffff, v[112:113]
	v_add_nc_u32_e32 v2, 15, v5
	s_delay_alu instid0(VALU_DEP_1) | instskip(SKIP_1) | instid1(VALU_DEP_1)
	v_cndmask_b32_e32 v4, v6, v2, vcc_lo
	v_cndmask_b32_e64 v2, 0, 1, vcc_lo
	v_lshrrev_b64 v[2:3], v2, v[112:113]
; %bb.11622:                            ;   in Loop: Header=BB6_11393 Depth=4
	s_and_not1_saveexec_b32 s13, s13
; %bb.11623:                            ;   in Loop: Header=BB6_11393 Depth=4
	v_mov_b64_e32 v[2:3], v[112:113]
	v_bfe_u32 v4, v112, 23, 1
; %bb.11624:                            ;   in Loop: Header=BB6_11393 Depth=4
	s_or_b32 exec_lo, exec_lo, s13
	s_delay_alu instid0(VALU_DEP_2) | instskip(NEXT) | instid1(VALU_DEP_2)
	v_lshrrev_b64 v[2:3], 21, v[2:3]
	v_cmp_gt_i32_e32 vcc_lo, 32, v4
	v_cmp_ne_u32_e64 s13, 0, v4
                                        ; implicit-def: $vgpr114
	s_delay_alu instid0(VALU_DEP_3) | instskip(NEXT) | instid1(VALU_DEP_1)
	v_dual_cndmask_b32 v3, 0, v3 :: v_dual_cndmask_b32 v2, 3, v2
	v_cmp_ne_u64_e32 vcc_lo, 0, v[2:3]
	s_or_b32 s13, s13, vcc_lo
	s_delay_alu instid0(SALU_CYCLE_1) | instskip(NEXT) | instid1(SALU_CYCLE_1)
	s_and_saveexec_b32 s77, s13
	s_xor_b32 s13, exec_lo, s77
; %bb.11625:                            ;   in Loop: Header=BB6_11393 Depth=4
	v_min_i32_e32 v3, 31, v4
	s_delay_alu instid0(VALU_DEP_1) | instskip(NEXT) | instid1(VALU_DEP_1)
	v_lshl_or_b32 v1, v3, 2, v1
	v_and_or_b32 v114, v2, 3, v1
                                        ; implicit-def: $vgpr1
; %bb.11626:                            ;   in Loop: Header=BB6_11393 Depth=4
	s_and_not1_saveexec_b32 s13, s13
; %bb.11627:                            ;   in Loop: Header=BB6_11393 Depth=4
	v_mov_b32_e32 v114, v1
; %bb.11628:                            ;   in Loop: Header=BB6_11393 Depth=4
	s_or_b32 exec_lo, exec_lo, s13
.LBB6_11629:                            ;   in Loop: Header=BB6_11393 Depth=4
	s_delay_alu instid0(SALU_CYCLE_1)
	s_or_b32 exec_lo, exec_lo, s76
                                        ; implicit-def: $vgpr1
.LBB6_11630:                            ;   in Loop: Header=BB6_11393 Depth=4
	s_and_not1_saveexec_b32 s13, s15
; %bb.11631:                            ;   in Loop: Header=BB6_11393 Depth=4
	v_or_b32_e32 v114, 0x7b, v1
; %bb.11632:                            ;   in Loop: Header=BB6_11393 Depth=4
	s_or_b32 exec_lo, exec_lo, s13
                                        ; implicit-def: $vgpr2
.LBB6_11633:                            ;   in Loop: Header=BB6_11393 Depth=4
	s_and_not1_saveexec_b32 s13, s14
	s_cbranch_execz .LBB6_11639
; %bb.11634:                            ;   in Loop: Header=BB6_11393 Depth=4
	s_mov_b32 s14, exec_lo
                                        ; implicit-def: $vgpr114
	v_cmpx_ne_u64_e32 0, v[112:113]
	s_xor_b32 s14, exec_lo, s14
; %bb.11635:                            ;   in Loop: Header=BB6_11393 Depth=4
	v_lshrrev_b32_e32 v1, 24, v2
                                        ; implicit-def: $vgpr2
	s_delay_alu instid0(VALU_DEP_1)
	v_or_b32_e32 v114, 0x7f, v1
; %bb.11636:                            ;   in Loop: Header=BB6_11393 Depth=4
	s_and_not1_saveexec_b32 s14, s14
; %bb.11637:                            ;   in Loop: Header=BB6_11393 Depth=4
	v_cmp_lt_i32_e32 vcc_lo, -1, v2
	v_cndmask_b32_e64 v114, -4, 0x7c, vcc_lo
; %bb.11638:                            ;   in Loop: Header=BB6_11393 Depth=4
	s_or_b32 exec_lo, exec_lo, s14
.LBB6_11639:                            ;   in Loop: Header=BB6_11393 Depth=4
	s_delay_alu instid0(SALU_CYCLE_1)
	s_or_b32 exec_lo, exec_lo, s13
	flat_load_i8 v2, v[8:9] offset:224 th:TH_LOAD_NT
	v_mov_b32_e32 v3, 0
	s_mov_b32 s13, exec_lo
	s_wait_loadcnt_dscnt 0x0
	s_wait_xcnt 0x0
	v_cmpx_ne_u16_e32 0, v2
	s_cbranch_execz .LBB6_11649
; %bb.11640:                            ;   in Loop: Header=BB6_11393 Depth=4
	v_bfrev_b32_e32 v3, 1
	s_mov_b32 s14, exec_lo
	v_cmpx_ne_u16_e32 0xff80, v2
	s_cbranch_execz .LBB6_11648
; %bb.11641:                            ;   in Loop: Header=BB6_11393 Depth=4
	v_and_b32_e32 v3, 0x7c, v2
	v_and_b32_e32 v1, 3, v2
	s_delay_alu instid0(VALU_DEP_2) | instskip(SKIP_1) | instid1(SALU_CYCLE_1)
	v_cmp_ne_u32_e32 vcc_lo, 0x7c, v3
                                        ; implicit-def: $vgpr3
	s_and_saveexec_b32 s15, vcc_lo
	s_xor_b32 s15, exec_lo, s15
	s_cbranch_execz .LBB6_11645
; %bb.11642:                            ;   in Loop: Header=BB6_11393 Depth=4
	v_and_b32_e32 v3, 0xff, v2
	s_mov_b32 s76, exec_lo
	s_delay_alu instid0(VALU_DEP_1) | instskip(NEXT) | instid1(VALU_DEP_1)
	v_bfe_u32 v3, v3, 2, 5
	v_cmpx_eq_u32_e32 0, v3
; %bb.11643:                            ;   in Loop: Header=BB6_11393 Depth=4
	v_clz_i32_u32_e32 v1, v1
	v_mov_b32_e32 v3, v113
	s_delay_alu instid0(VALU_DEP_2) | instskip(NEXT) | instid1(VALU_DEP_1)
	v_min_u32_e32 v1, 32, v1
	v_subrev_nc_u32_e32 v4, 29, v1
	s_delay_alu instid0(VALU_DEP_1) | instskip(NEXT) | instid1(VALU_DEP_1)
	v_lshlrev_b64_e32 v[4:5], v4, v[2:3]
	v_dual_sub_nc_u32 v3, 30, v1 :: v_dual_bitop2_b32 v1, 3, v4 bitop3:0x40
; %bb.11644:                            ;   in Loop: Header=BB6_11393 Depth=4
	s_or_b32 exec_lo, exec_lo, s76
	v_bfe_i32 v2, v2, 0, 16
	s_delay_alu instid0(VALU_DEP_1) | instskip(NEXT) | instid1(VALU_DEP_1)
	v_and_b32_e32 v2, 0x80000000, v2
	v_lshl_add_u32 v2, v3, 23, v2
	s_delay_alu instid0(VALU_DEP_1) | instskip(NEXT) | instid1(VALU_DEP_1)
	v_lshl_or_b32 v1, v1, 21, v2
                                        ; implicit-def: $vgpr2
	v_add_nc_u32_e32 v3, 0x38000000, v1
                                        ; implicit-def: $vgpr1
.LBB6_11645:                            ;   in Loop: Header=BB6_11393 Depth=4
	s_and_not1_saveexec_b32 s15, s15
; %bb.11646:                            ;   in Loop: Header=BB6_11393 Depth=4
	v_cmp_lt_i16_e32 vcc_lo, -1, v2
	v_mov_b32_e32 v2, 0x7f800000
	s_delay_alu instid0(VALU_DEP_1) | instskip(SKIP_1) | instid1(VALU_DEP_2)
	v_cndmask_b32_e32 v2, 0xff800000, v2, vcc_lo
	v_cmp_eq_u32_e32 vcc_lo, 0, v1
	v_cndmask_b32_e32 v3, 0x7f800001, v2, vcc_lo
; %bb.11647:                            ;   in Loop: Header=BB6_11393 Depth=4
	s_or_b32 exec_lo, exec_lo, s15
.LBB6_11648:                            ;   in Loop: Header=BB6_11393 Depth=4
	s_delay_alu instid0(SALU_CYCLE_1)
	s_or_b32 exec_lo, exec_lo, s14
.LBB6_11649:                            ;   in Loop: Header=BB6_11393 Depth=4
	s_delay_alu instid0(SALU_CYCLE_1) | instskip(NEXT) | instid1(VALU_DEP_1)
	s_or_b32 exec_lo, exec_lo, s13
	v_dual_mul_f32 v2, s75, v3 :: v_dual_mov_b32 v5, v113
                                        ; implicit-def: $vgpr64
	s_mov_b32 s13, exec_lo
	s_delay_alu instid0(VALU_DEP_1) | instskip(SKIP_1) | instid1(VALU_DEP_2)
	v_and_b32_e32 v4, 0x7f800000, v2
	v_and_b32_e32 v112, 0x7fffff, v2
	v_cmpx_ne_u64_e32 0x7f800000, v[4:5]
	s_xor_b32 s14, exec_lo, s13
	s_cbranch_execz .LBB6_11667
; %bb.11650:                            ;   in Loop: Header=BB6_11393 Depth=4
	v_dual_mov_b32 v5, v113 :: v_dual_lshrrev_b32 v1, 24, v2
	v_and_b32_e32 v4, 0x7fffffff, v2
                                        ; implicit-def: $vgpr64
	s_mov_b32 s13, exec_lo
	s_delay_alu instid0(VALU_DEP_2) | instskip(NEXT) | instid1(VALU_DEP_2)
	v_and_b32_e32 v1, 0x80, v1
	v_cmpx_gt_u64_e32 0x47600001, v[4:5]
	s_xor_b32 s15, exec_lo, s13
	s_cbranch_execz .LBB6_11664
; %bb.11651:                            ;   in Loop: Header=BB6_11393 Depth=4
	v_mov_b32_e32 v64, 0
	s_mov_b32 s76, exec_lo
	v_cmpx_ne_u32_e32 0, v2
	s_cbranch_execz .LBB6_11663
; %bb.11652:                            ;   in Loop: Header=BB6_11393 Depth=4
	v_bfe_u32 v6, v2, 23, 8
	v_or_b32_e32 v4, 0x800000, v112
	s_mov_b32 s77, exec_lo
	s_delay_alu instid0(VALU_DEP_2) | instskip(SKIP_1) | instid1(VALU_DEP_2)
	v_dual_mov_b32 v5, v113 :: v_dual_sub_nc_u32 v2, 0x71, v6
	v_cmp_gt_u32_e32 vcc_lo, 0x72, v6
	v_cndmask_b32_e32 v2, 0, v2, vcc_lo
	v_cmp_eq_u32_e32 vcc_lo, 0, v6
	s_delay_alu instid0(VALU_DEP_2) | instskip(NEXT) | instid1(VALU_DEP_1)
	v_cndmask_b32_e64 v7, v2, 0x70, vcc_lo
	v_dual_cndmask_b32 v4, v4, v112, vcc_lo :: v_dual_add_nc_u32 v2, 21, v7
	v_add_nc_u32_e32 v14, 20, v7
	s_delay_alu instid0(VALU_DEP_2) | instskip(NEXT) | instid1(VALU_DEP_2)
	v_lshlrev_b64_e64 v[2:3], v2, -1
	v_lshlrev_b64_e64 v[14:15], v14, 1
	s_delay_alu instid0(VALU_DEP_2) | instskip(NEXT) | instid1(VALU_DEP_3)
	v_bfi_b32 v17, v3, 0, 0
	v_bfi_b32 v16, v2, 0, v4
	v_lshrrev_b64 v[2:3], v7, v[4:5]
	s_delay_alu instid0(VALU_DEP_1) | instskip(NEXT) | instid1(VALU_DEP_3)
	v_mov_b64_e32 v[4:5], v[2:3]
	v_cmpx_eq_u64_e64 v[16:17], v[14:15]
; %bb.11653:                            ;   in Loop: Header=BB6_11393 Depth=4
	v_bfe_u32 v4, v2, 21, 1
	v_mov_b32_e32 v5, v113
	s_delay_alu instid0(VALU_DEP_1) | instskip(NEXT) | instid1(VALU_DEP_1)
	v_add_nc_u64_e32 v[4:5], v[2:3], v[4:5]
	v_add_nc_u64_e32 v[4:5], -1, v[4:5]
; %bb.11654:                            ;   in Loop: Header=BB6_11393 Depth=4
	s_or_b32 exec_lo, exec_lo, s77
	v_add_nc_u32_e32 v3, 0xffffff81, v6
	s_delay_alu instid0(VALU_DEP_2) | instskip(SKIP_2) | instid1(VALU_DEP_3)
	v_and_b32_e32 v4, 0x1fffff, v4
	v_lshrrev_b32_e32 v5, 23, v2
	s_mov_b32 s13, exec_lo
	v_cndmask_b32_e64 v3, v3, 0xffffff82, vcc_lo
	s_delay_alu instid0(VALU_DEP_3) | instskip(NEXT) | instid1(VALU_DEP_2)
	v_add_nc_u32_e32 v112, v4, v2
                                        ; implicit-def: $vgpr4
	v_add3_u32 v5, v7, v3, v5
                                        ; implicit-def: $vgpr2_vgpr3
	s_delay_alu instid0(VALU_DEP_1) | instskip(NEXT) | instid1(VALU_DEP_1)
	v_add_nc_u32_e32 v6, 14, v5
	v_cmpx_ne_u32_e32 0, v6
	s_xor_b32 s13, exec_lo, s13
; %bb.11655:                            ;   in Loop: Header=BB6_11393 Depth=4
	v_cmp_lt_u64_e32 vcc_lo, 0xffffff, v[112:113]
	v_add_nc_u32_e32 v2, 15, v5
	s_delay_alu instid0(VALU_DEP_1) | instskip(SKIP_1) | instid1(VALU_DEP_1)
	v_cndmask_b32_e32 v4, v6, v2, vcc_lo
	v_cndmask_b32_e64 v2, 0, 1, vcc_lo
	v_lshrrev_b64 v[2:3], v2, v[112:113]
; %bb.11656:                            ;   in Loop: Header=BB6_11393 Depth=4
	s_and_not1_saveexec_b32 s13, s13
; %bb.11657:                            ;   in Loop: Header=BB6_11393 Depth=4
	v_mov_b64_e32 v[2:3], v[112:113]
	v_bfe_u32 v4, v112, 23, 1
; %bb.11658:                            ;   in Loop: Header=BB6_11393 Depth=4
	s_or_b32 exec_lo, exec_lo, s13
	s_delay_alu instid0(VALU_DEP_2) | instskip(NEXT) | instid1(VALU_DEP_2)
	v_lshrrev_b64 v[2:3], 21, v[2:3]
	v_cmp_gt_i32_e32 vcc_lo, 32, v4
	v_cmp_ne_u32_e64 s13, 0, v4
                                        ; implicit-def: $vgpr64
	s_delay_alu instid0(VALU_DEP_3) | instskip(NEXT) | instid1(VALU_DEP_1)
	v_dual_cndmask_b32 v3, 0, v3 :: v_dual_cndmask_b32 v2, 3, v2
	v_cmp_ne_u64_e32 vcc_lo, 0, v[2:3]
	s_or_b32 s13, s13, vcc_lo
	s_delay_alu instid0(SALU_CYCLE_1) | instskip(NEXT) | instid1(SALU_CYCLE_1)
	s_and_saveexec_b32 s77, s13
	s_xor_b32 s13, exec_lo, s77
; %bb.11659:                            ;   in Loop: Header=BB6_11393 Depth=4
	v_min_i32_e32 v3, 31, v4
	s_delay_alu instid0(VALU_DEP_1) | instskip(NEXT) | instid1(VALU_DEP_1)
	v_lshl_or_b32 v1, v3, 2, v1
	v_and_or_b32 v64, v2, 3, v1
                                        ; implicit-def: $vgpr1
; %bb.11660:                            ;   in Loop: Header=BB6_11393 Depth=4
	s_and_not1_saveexec_b32 s13, s13
; %bb.11661:                            ;   in Loop: Header=BB6_11393 Depth=4
	v_mov_b32_e32 v64, v1
; %bb.11662:                            ;   in Loop: Header=BB6_11393 Depth=4
	s_or_b32 exec_lo, exec_lo, s13
.LBB6_11663:                            ;   in Loop: Header=BB6_11393 Depth=4
	s_delay_alu instid0(SALU_CYCLE_1)
	s_or_b32 exec_lo, exec_lo, s76
                                        ; implicit-def: $vgpr1
.LBB6_11664:                            ;   in Loop: Header=BB6_11393 Depth=4
	s_and_not1_saveexec_b32 s13, s15
; %bb.11665:                            ;   in Loop: Header=BB6_11393 Depth=4
	v_or_b32_e32 v64, 0x7b, v1
; %bb.11666:                            ;   in Loop: Header=BB6_11393 Depth=4
	s_or_b32 exec_lo, exec_lo, s13
                                        ; implicit-def: $vgpr2
.LBB6_11667:                            ;   in Loop: Header=BB6_11393 Depth=4
	s_and_not1_saveexec_b32 s13, s14
	s_cbranch_execz .LBB6_11673
; %bb.11668:                            ;   in Loop: Header=BB6_11393 Depth=4
	s_mov_b32 s14, exec_lo
                                        ; implicit-def: $vgpr64
	v_cmpx_ne_u64_e32 0, v[112:113]
	s_xor_b32 s14, exec_lo, s14
; %bb.11669:                            ;   in Loop: Header=BB6_11393 Depth=4
	v_lshrrev_b32_e32 v1, 24, v2
                                        ; implicit-def: $vgpr2
	s_delay_alu instid0(VALU_DEP_1)
	v_or_b32_e32 v64, 0x7f, v1
; %bb.11670:                            ;   in Loop: Header=BB6_11393 Depth=4
	s_and_not1_saveexec_b32 s14, s14
; %bb.11671:                            ;   in Loop: Header=BB6_11393 Depth=4
	v_cmp_lt_i32_e32 vcc_lo, -1, v2
	v_cndmask_b32_e64 v64, -4, 0x7c, vcc_lo
; %bb.11672:                            ;   in Loop: Header=BB6_11393 Depth=4
	s_or_b32 exec_lo, exec_lo, s14
.LBB6_11673:                            ;   in Loop: Header=BB6_11393 Depth=4
	s_delay_alu instid0(SALU_CYCLE_1)
	s_or_b32 exec_lo, exec_lo, s13
	flat_load_i8 v2, v[8:9] offset:256 th:TH_LOAD_NT
	v_mov_b32_e32 v3, 0
	s_mov_b32 s13, exec_lo
	s_wait_loadcnt_dscnt 0x0
	s_wait_xcnt 0x0
	v_cmpx_ne_u16_e32 0, v2
	s_cbranch_execz .LBB6_11683
; %bb.11674:                            ;   in Loop: Header=BB6_11393 Depth=4
	v_bfrev_b32_e32 v3, 1
	s_mov_b32 s14, exec_lo
	v_cmpx_ne_u16_e32 0xff80, v2
	s_cbranch_execz .LBB6_11682
; %bb.11675:                            ;   in Loop: Header=BB6_11393 Depth=4
	v_and_b32_e32 v3, 0x7c, v2
	v_and_b32_e32 v1, 3, v2
	s_delay_alu instid0(VALU_DEP_2) | instskip(SKIP_1) | instid1(SALU_CYCLE_1)
	v_cmp_ne_u32_e32 vcc_lo, 0x7c, v3
                                        ; implicit-def: $vgpr3
	s_and_saveexec_b32 s15, vcc_lo
	s_xor_b32 s15, exec_lo, s15
	s_cbranch_execz .LBB6_11679
; %bb.11676:                            ;   in Loop: Header=BB6_11393 Depth=4
	v_and_b32_e32 v3, 0xff, v2
	s_mov_b32 s76, exec_lo
	s_delay_alu instid0(VALU_DEP_1) | instskip(NEXT) | instid1(VALU_DEP_1)
	v_bfe_u32 v3, v3, 2, 5
	v_cmpx_eq_u32_e32 0, v3
; %bb.11677:                            ;   in Loop: Header=BB6_11393 Depth=4
	v_clz_i32_u32_e32 v1, v1
	v_mov_b32_e32 v3, v113
	s_delay_alu instid0(VALU_DEP_2) | instskip(NEXT) | instid1(VALU_DEP_1)
	v_min_u32_e32 v1, 32, v1
	v_subrev_nc_u32_e32 v4, 29, v1
	s_delay_alu instid0(VALU_DEP_1) | instskip(NEXT) | instid1(VALU_DEP_1)
	v_lshlrev_b64_e32 v[4:5], v4, v[2:3]
	v_dual_sub_nc_u32 v3, 30, v1 :: v_dual_bitop2_b32 v1, 3, v4 bitop3:0x40
; %bb.11678:                            ;   in Loop: Header=BB6_11393 Depth=4
	s_or_b32 exec_lo, exec_lo, s76
	v_bfe_i32 v2, v2, 0, 16
	s_delay_alu instid0(VALU_DEP_1) | instskip(NEXT) | instid1(VALU_DEP_1)
	v_and_b32_e32 v2, 0x80000000, v2
	v_lshl_add_u32 v2, v3, 23, v2
	s_delay_alu instid0(VALU_DEP_1) | instskip(NEXT) | instid1(VALU_DEP_1)
	v_lshl_or_b32 v1, v1, 21, v2
                                        ; implicit-def: $vgpr2
	v_add_nc_u32_e32 v3, 0x38000000, v1
                                        ; implicit-def: $vgpr1
.LBB6_11679:                            ;   in Loop: Header=BB6_11393 Depth=4
	s_and_not1_saveexec_b32 s15, s15
; %bb.11680:                            ;   in Loop: Header=BB6_11393 Depth=4
	v_cmp_lt_i16_e32 vcc_lo, -1, v2
	v_mov_b32_e32 v2, 0x7f800000
	s_delay_alu instid0(VALU_DEP_1) | instskip(SKIP_1) | instid1(VALU_DEP_2)
	v_cndmask_b32_e32 v2, 0xff800000, v2, vcc_lo
	v_cmp_eq_u32_e32 vcc_lo, 0, v1
	v_cndmask_b32_e32 v3, 0x7f800001, v2, vcc_lo
; %bb.11681:                            ;   in Loop: Header=BB6_11393 Depth=4
	s_or_b32 exec_lo, exec_lo, s15
.LBB6_11682:                            ;   in Loop: Header=BB6_11393 Depth=4
	s_delay_alu instid0(SALU_CYCLE_1)
	s_or_b32 exec_lo, exec_lo, s14
.LBB6_11683:                            ;   in Loop: Header=BB6_11393 Depth=4
	s_delay_alu instid0(SALU_CYCLE_1) | instskip(NEXT) | instid1(VALU_DEP_1)
	s_or_b32 exec_lo, exec_lo, s13
	v_dual_mul_f32 v2, s75, v3 :: v_dual_mov_b32 v5, v113
                                        ; implicit-def: $vgpr122
	s_mov_b32 s13, exec_lo
	s_delay_alu instid0(VALU_DEP_1) | instskip(SKIP_1) | instid1(VALU_DEP_2)
	v_and_b32_e32 v4, 0x7f800000, v2
	v_and_b32_e32 v112, 0x7fffff, v2
	v_cmpx_ne_u64_e32 0x7f800000, v[4:5]
	s_xor_b32 s14, exec_lo, s13
	s_cbranch_execz .LBB6_11701
; %bb.11684:                            ;   in Loop: Header=BB6_11393 Depth=4
	v_dual_mov_b32 v5, v113 :: v_dual_lshrrev_b32 v1, 24, v2
	v_and_b32_e32 v4, 0x7fffffff, v2
                                        ; implicit-def: $vgpr122
	s_mov_b32 s13, exec_lo
	s_delay_alu instid0(VALU_DEP_2) | instskip(NEXT) | instid1(VALU_DEP_2)
	v_and_b32_e32 v1, 0x80, v1
	v_cmpx_gt_u64_e32 0x47600001, v[4:5]
	s_xor_b32 s15, exec_lo, s13
	s_cbranch_execz .LBB6_11698
; %bb.11685:                            ;   in Loop: Header=BB6_11393 Depth=4
	v_mov_b32_e32 v122, 0
	s_mov_b32 s76, exec_lo
	v_cmpx_ne_u32_e32 0, v2
	s_cbranch_execz .LBB6_11697
; %bb.11686:                            ;   in Loop: Header=BB6_11393 Depth=4
	v_bfe_u32 v6, v2, 23, 8
	v_or_b32_e32 v4, 0x800000, v112
	s_mov_b32 s77, exec_lo
	s_delay_alu instid0(VALU_DEP_2) | instskip(SKIP_1) | instid1(VALU_DEP_2)
	v_dual_mov_b32 v5, v113 :: v_dual_sub_nc_u32 v2, 0x71, v6
	v_cmp_gt_u32_e32 vcc_lo, 0x72, v6
	v_cndmask_b32_e32 v2, 0, v2, vcc_lo
	v_cmp_eq_u32_e32 vcc_lo, 0, v6
	s_delay_alu instid0(VALU_DEP_2) | instskip(NEXT) | instid1(VALU_DEP_1)
	v_cndmask_b32_e64 v7, v2, 0x70, vcc_lo
	v_dual_cndmask_b32 v4, v4, v112, vcc_lo :: v_dual_add_nc_u32 v2, 21, v7
	v_add_nc_u32_e32 v14, 20, v7
	s_delay_alu instid0(VALU_DEP_2) | instskip(NEXT) | instid1(VALU_DEP_2)
	v_lshlrev_b64_e64 v[2:3], v2, -1
	v_lshlrev_b64_e64 v[14:15], v14, 1
	s_delay_alu instid0(VALU_DEP_2) | instskip(NEXT) | instid1(VALU_DEP_3)
	v_bfi_b32 v17, v3, 0, 0
	v_bfi_b32 v16, v2, 0, v4
	v_lshrrev_b64 v[2:3], v7, v[4:5]
	s_delay_alu instid0(VALU_DEP_1) | instskip(NEXT) | instid1(VALU_DEP_3)
	v_mov_b64_e32 v[4:5], v[2:3]
	v_cmpx_eq_u64_e64 v[16:17], v[14:15]
; %bb.11687:                            ;   in Loop: Header=BB6_11393 Depth=4
	v_bfe_u32 v4, v2, 21, 1
	v_mov_b32_e32 v5, v113
	s_delay_alu instid0(VALU_DEP_1) | instskip(NEXT) | instid1(VALU_DEP_1)
	v_add_nc_u64_e32 v[4:5], v[2:3], v[4:5]
	v_add_nc_u64_e32 v[4:5], -1, v[4:5]
; %bb.11688:                            ;   in Loop: Header=BB6_11393 Depth=4
	s_or_b32 exec_lo, exec_lo, s77
	v_add_nc_u32_e32 v3, 0xffffff81, v6
	s_delay_alu instid0(VALU_DEP_2) | instskip(SKIP_2) | instid1(VALU_DEP_3)
	v_and_b32_e32 v4, 0x1fffff, v4
	v_lshrrev_b32_e32 v5, 23, v2
	s_mov_b32 s13, exec_lo
	v_cndmask_b32_e64 v3, v3, 0xffffff82, vcc_lo
	s_delay_alu instid0(VALU_DEP_3) | instskip(NEXT) | instid1(VALU_DEP_2)
	v_add_nc_u32_e32 v112, v4, v2
                                        ; implicit-def: $vgpr4
	v_add3_u32 v5, v7, v3, v5
                                        ; implicit-def: $vgpr2_vgpr3
	s_delay_alu instid0(VALU_DEP_1) | instskip(NEXT) | instid1(VALU_DEP_1)
	v_add_nc_u32_e32 v6, 14, v5
	v_cmpx_ne_u32_e32 0, v6
	s_xor_b32 s13, exec_lo, s13
; %bb.11689:                            ;   in Loop: Header=BB6_11393 Depth=4
	v_cmp_lt_u64_e32 vcc_lo, 0xffffff, v[112:113]
	v_add_nc_u32_e32 v2, 15, v5
	s_delay_alu instid0(VALU_DEP_1) | instskip(SKIP_1) | instid1(VALU_DEP_1)
	v_cndmask_b32_e32 v4, v6, v2, vcc_lo
	v_cndmask_b32_e64 v2, 0, 1, vcc_lo
	v_lshrrev_b64 v[2:3], v2, v[112:113]
; %bb.11690:                            ;   in Loop: Header=BB6_11393 Depth=4
	s_and_not1_saveexec_b32 s13, s13
; %bb.11691:                            ;   in Loop: Header=BB6_11393 Depth=4
	v_mov_b64_e32 v[2:3], v[112:113]
	v_bfe_u32 v4, v112, 23, 1
; %bb.11692:                            ;   in Loop: Header=BB6_11393 Depth=4
	s_or_b32 exec_lo, exec_lo, s13
	s_delay_alu instid0(VALU_DEP_2) | instskip(NEXT) | instid1(VALU_DEP_2)
	v_lshrrev_b64 v[2:3], 21, v[2:3]
	v_cmp_gt_i32_e32 vcc_lo, 32, v4
	v_cmp_ne_u32_e64 s13, 0, v4
                                        ; implicit-def: $vgpr122
	s_delay_alu instid0(VALU_DEP_3) | instskip(NEXT) | instid1(VALU_DEP_1)
	v_dual_cndmask_b32 v3, 0, v3 :: v_dual_cndmask_b32 v2, 3, v2
	v_cmp_ne_u64_e32 vcc_lo, 0, v[2:3]
	s_or_b32 s13, s13, vcc_lo
	s_delay_alu instid0(SALU_CYCLE_1) | instskip(NEXT) | instid1(SALU_CYCLE_1)
	s_and_saveexec_b32 s77, s13
	s_xor_b32 s13, exec_lo, s77
; %bb.11693:                            ;   in Loop: Header=BB6_11393 Depth=4
	v_min_i32_e32 v3, 31, v4
	s_delay_alu instid0(VALU_DEP_1) | instskip(NEXT) | instid1(VALU_DEP_1)
	v_lshl_or_b32 v1, v3, 2, v1
	v_and_or_b32 v122, v2, 3, v1
                                        ; implicit-def: $vgpr1
; %bb.11694:                            ;   in Loop: Header=BB6_11393 Depth=4
	s_and_not1_saveexec_b32 s13, s13
; %bb.11695:                            ;   in Loop: Header=BB6_11393 Depth=4
	v_mov_b32_e32 v122, v1
; %bb.11696:                            ;   in Loop: Header=BB6_11393 Depth=4
	s_or_b32 exec_lo, exec_lo, s13
.LBB6_11697:                            ;   in Loop: Header=BB6_11393 Depth=4
	s_delay_alu instid0(SALU_CYCLE_1)
	s_or_b32 exec_lo, exec_lo, s76
                                        ; implicit-def: $vgpr1
.LBB6_11698:                            ;   in Loop: Header=BB6_11393 Depth=4
	s_and_not1_saveexec_b32 s13, s15
; %bb.11699:                            ;   in Loop: Header=BB6_11393 Depth=4
	v_or_b32_e32 v122, 0x7b, v1
; %bb.11700:                            ;   in Loop: Header=BB6_11393 Depth=4
	s_or_b32 exec_lo, exec_lo, s13
                                        ; implicit-def: $vgpr2
.LBB6_11701:                            ;   in Loop: Header=BB6_11393 Depth=4
	s_and_not1_saveexec_b32 s13, s14
	s_cbranch_execz .LBB6_11707
; %bb.11702:                            ;   in Loop: Header=BB6_11393 Depth=4
	s_mov_b32 s14, exec_lo
                                        ; implicit-def: $vgpr122
	v_cmpx_ne_u64_e32 0, v[112:113]
	s_xor_b32 s14, exec_lo, s14
; %bb.11703:                            ;   in Loop: Header=BB6_11393 Depth=4
	v_lshrrev_b32_e32 v1, 24, v2
                                        ; implicit-def: $vgpr2
	s_delay_alu instid0(VALU_DEP_1)
	v_or_b32_e32 v122, 0x7f, v1
; %bb.11704:                            ;   in Loop: Header=BB6_11393 Depth=4
	s_and_not1_saveexec_b32 s14, s14
; %bb.11705:                            ;   in Loop: Header=BB6_11393 Depth=4
	v_cmp_lt_i32_e32 vcc_lo, -1, v2
	v_cndmask_b32_e64 v122, -4, 0x7c, vcc_lo
; %bb.11706:                            ;   in Loop: Header=BB6_11393 Depth=4
	s_or_b32 exec_lo, exec_lo, s14
.LBB6_11707:                            ;   in Loop: Header=BB6_11393 Depth=4
	s_delay_alu instid0(SALU_CYCLE_1)
	s_or_b32 exec_lo, exec_lo, s13
	flat_load_i8 v2, v[8:9] offset:288 th:TH_LOAD_NT
	v_mov_b32_e32 v3, 0
	s_mov_b32 s13, exec_lo
	s_wait_loadcnt_dscnt 0x0
	s_wait_xcnt 0x0
	v_cmpx_ne_u16_e32 0, v2
	s_cbranch_execz .LBB6_11717
; %bb.11708:                            ;   in Loop: Header=BB6_11393 Depth=4
	v_bfrev_b32_e32 v3, 1
	s_mov_b32 s14, exec_lo
	v_cmpx_ne_u16_e32 0xff80, v2
	s_cbranch_execz .LBB6_11716
; %bb.11709:                            ;   in Loop: Header=BB6_11393 Depth=4
	v_and_b32_e32 v3, 0x7c, v2
	v_and_b32_e32 v1, 3, v2
	s_delay_alu instid0(VALU_DEP_2) | instskip(SKIP_1) | instid1(SALU_CYCLE_1)
	v_cmp_ne_u32_e32 vcc_lo, 0x7c, v3
                                        ; implicit-def: $vgpr3
	s_and_saveexec_b32 s15, vcc_lo
	s_xor_b32 s15, exec_lo, s15
	s_cbranch_execz .LBB6_11713
; %bb.11710:                            ;   in Loop: Header=BB6_11393 Depth=4
	v_and_b32_e32 v3, 0xff, v2
	s_mov_b32 s76, exec_lo
	s_delay_alu instid0(VALU_DEP_1) | instskip(NEXT) | instid1(VALU_DEP_1)
	v_bfe_u32 v3, v3, 2, 5
	v_cmpx_eq_u32_e32 0, v3
; %bb.11711:                            ;   in Loop: Header=BB6_11393 Depth=4
	v_clz_i32_u32_e32 v1, v1
	v_mov_b32_e32 v3, v113
	s_delay_alu instid0(VALU_DEP_2) | instskip(NEXT) | instid1(VALU_DEP_1)
	v_min_u32_e32 v1, 32, v1
	v_subrev_nc_u32_e32 v4, 29, v1
	s_delay_alu instid0(VALU_DEP_1) | instskip(NEXT) | instid1(VALU_DEP_1)
	v_lshlrev_b64_e32 v[4:5], v4, v[2:3]
	v_dual_sub_nc_u32 v3, 30, v1 :: v_dual_bitop2_b32 v1, 3, v4 bitop3:0x40
; %bb.11712:                            ;   in Loop: Header=BB6_11393 Depth=4
	s_or_b32 exec_lo, exec_lo, s76
	v_bfe_i32 v2, v2, 0, 16
	s_delay_alu instid0(VALU_DEP_1) | instskip(NEXT) | instid1(VALU_DEP_1)
	v_and_b32_e32 v2, 0x80000000, v2
	v_lshl_add_u32 v2, v3, 23, v2
	s_delay_alu instid0(VALU_DEP_1) | instskip(NEXT) | instid1(VALU_DEP_1)
	v_lshl_or_b32 v1, v1, 21, v2
                                        ; implicit-def: $vgpr2
	v_add_nc_u32_e32 v3, 0x38000000, v1
                                        ; implicit-def: $vgpr1
.LBB6_11713:                            ;   in Loop: Header=BB6_11393 Depth=4
	s_and_not1_saveexec_b32 s15, s15
; %bb.11714:                            ;   in Loop: Header=BB6_11393 Depth=4
	v_cmp_lt_i16_e32 vcc_lo, -1, v2
	v_mov_b32_e32 v2, 0x7f800000
	s_delay_alu instid0(VALU_DEP_1) | instskip(SKIP_1) | instid1(VALU_DEP_2)
	v_cndmask_b32_e32 v2, 0xff800000, v2, vcc_lo
	v_cmp_eq_u32_e32 vcc_lo, 0, v1
	v_cndmask_b32_e32 v3, 0x7f800001, v2, vcc_lo
; %bb.11715:                            ;   in Loop: Header=BB6_11393 Depth=4
	s_or_b32 exec_lo, exec_lo, s15
.LBB6_11716:                            ;   in Loop: Header=BB6_11393 Depth=4
	s_delay_alu instid0(SALU_CYCLE_1)
	s_or_b32 exec_lo, exec_lo, s14
.LBB6_11717:                            ;   in Loop: Header=BB6_11393 Depth=4
	s_delay_alu instid0(SALU_CYCLE_1) | instskip(NEXT) | instid1(VALU_DEP_1)
	s_or_b32 exec_lo, exec_lo, s13
	v_dual_mul_f32 v2, s75, v3 :: v_dual_mov_b32 v5, v113
                                        ; implicit-def: $vgpr66
	s_mov_b32 s13, exec_lo
	s_delay_alu instid0(VALU_DEP_1) | instskip(SKIP_1) | instid1(VALU_DEP_2)
	v_and_b32_e32 v4, 0x7f800000, v2
	v_and_b32_e32 v112, 0x7fffff, v2
	v_cmpx_ne_u64_e32 0x7f800000, v[4:5]
	s_xor_b32 s14, exec_lo, s13
	s_cbranch_execz .LBB6_11735
; %bb.11718:                            ;   in Loop: Header=BB6_11393 Depth=4
	v_dual_mov_b32 v5, v113 :: v_dual_lshrrev_b32 v1, 24, v2
	v_and_b32_e32 v4, 0x7fffffff, v2
                                        ; implicit-def: $vgpr66
	s_mov_b32 s13, exec_lo
	s_delay_alu instid0(VALU_DEP_2) | instskip(NEXT) | instid1(VALU_DEP_2)
	v_and_b32_e32 v1, 0x80, v1
	v_cmpx_gt_u64_e32 0x47600001, v[4:5]
	s_xor_b32 s15, exec_lo, s13
	s_cbranch_execz .LBB6_11732
; %bb.11719:                            ;   in Loop: Header=BB6_11393 Depth=4
	v_mov_b32_e32 v66, 0
	s_mov_b32 s76, exec_lo
	v_cmpx_ne_u32_e32 0, v2
	s_cbranch_execz .LBB6_11731
; %bb.11720:                            ;   in Loop: Header=BB6_11393 Depth=4
	v_bfe_u32 v6, v2, 23, 8
	v_or_b32_e32 v4, 0x800000, v112
	s_mov_b32 s77, exec_lo
	s_delay_alu instid0(VALU_DEP_2) | instskip(SKIP_1) | instid1(VALU_DEP_2)
	v_dual_mov_b32 v5, v113 :: v_dual_sub_nc_u32 v2, 0x71, v6
	v_cmp_gt_u32_e32 vcc_lo, 0x72, v6
	v_cndmask_b32_e32 v2, 0, v2, vcc_lo
	v_cmp_eq_u32_e32 vcc_lo, 0, v6
	s_delay_alu instid0(VALU_DEP_2) | instskip(NEXT) | instid1(VALU_DEP_1)
	v_cndmask_b32_e64 v7, v2, 0x70, vcc_lo
	v_dual_cndmask_b32 v4, v4, v112, vcc_lo :: v_dual_add_nc_u32 v2, 21, v7
	v_add_nc_u32_e32 v14, 20, v7
	s_delay_alu instid0(VALU_DEP_2) | instskip(NEXT) | instid1(VALU_DEP_2)
	v_lshlrev_b64_e64 v[2:3], v2, -1
	v_lshlrev_b64_e64 v[14:15], v14, 1
	s_delay_alu instid0(VALU_DEP_2) | instskip(NEXT) | instid1(VALU_DEP_3)
	v_bfi_b32 v17, v3, 0, 0
	v_bfi_b32 v16, v2, 0, v4
	v_lshrrev_b64 v[2:3], v7, v[4:5]
	s_delay_alu instid0(VALU_DEP_1) | instskip(NEXT) | instid1(VALU_DEP_3)
	v_mov_b64_e32 v[4:5], v[2:3]
	v_cmpx_eq_u64_e64 v[16:17], v[14:15]
; %bb.11721:                            ;   in Loop: Header=BB6_11393 Depth=4
	v_bfe_u32 v4, v2, 21, 1
	v_mov_b32_e32 v5, v113
	s_delay_alu instid0(VALU_DEP_1) | instskip(NEXT) | instid1(VALU_DEP_1)
	v_add_nc_u64_e32 v[4:5], v[2:3], v[4:5]
	v_add_nc_u64_e32 v[4:5], -1, v[4:5]
; %bb.11722:                            ;   in Loop: Header=BB6_11393 Depth=4
	s_or_b32 exec_lo, exec_lo, s77
	v_add_nc_u32_e32 v3, 0xffffff81, v6
	s_delay_alu instid0(VALU_DEP_2) | instskip(SKIP_2) | instid1(VALU_DEP_3)
	v_and_b32_e32 v4, 0x1fffff, v4
	v_lshrrev_b32_e32 v5, 23, v2
	s_mov_b32 s13, exec_lo
	v_cndmask_b32_e64 v3, v3, 0xffffff82, vcc_lo
	s_delay_alu instid0(VALU_DEP_3) | instskip(NEXT) | instid1(VALU_DEP_2)
	v_add_nc_u32_e32 v112, v4, v2
                                        ; implicit-def: $vgpr4
	v_add3_u32 v5, v7, v3, v5
                                        ; implicit-def: $vgpr2_vgpr3
	s_delay_alu instid0(VALU_DEP_1) | instskip(NEXT) | instid1(VALU_DEP_1)
	v_add_nc_u32_e32 v6, 14, v5
	v_cmpx_ne_u32_e32 0, v6
	s_xor_b32 s13, exec_lo, s13
; %bb.11723:                            ;   in Loop: Header=BB6_11393 Depth=4
	v_cmp_lt_u64_e32 vcc_lo, 0xffffff, v[112:113]
	v_add_nc_u32_e32 v2, 15, v5
	s_delay_alu instid0(VALU_DEP_1) | instskip(SKIP_1) | instid1(VALU_DEP_1)
	v_cndmask_b32_e32 v4, v6, v2, vcc_lo
	v_cndmask_b32_e64 v2, 0, 1, vcc_lo
	v_lshrrev_b64 v[2:3], v2, v[112:113]
; %bb.11724:                            ;   in Loop: Header=BB6_11393 Depth=4
	s_and_not1_saveexec_b32 s13, s13
; %bb.11725:                            ;   in Loop: Header=BB6_11393 Depth=4
	v_mov_b64_e32 v[2:3], v[112:113]
	v_bfe_u32 v4, v112, 23, 1
; %bb.11726:                            ;   in Loop: Header=BB6_11393 Depth=4
	s_or_b32 exec_lo, exec_lo, s13
	s_delay_alu instid0(VALU_DEP_2) | instskip(NEXT) | instid1(VALU_DEP_2)
	v_lshrrev_b64 v[2:3], 21, v[2:3]
	v_cmp_gt_i32_e32 vcc_lo, 32, v4
	v_cmp_ne_u32_e64 s13, 0, v4
                                        ; implicit-def: $vgpr66
	s_delay_alu instid0(VALU_DEP_3) | instskip(NEXT) | instid1(VALU_DEP_1)
	v_dual_cndmask_b32 v3, 0, v3 :: v_dual_cndmask_b32 v2, 3, v2
	v_cmp_ne_u64_e32 vcc_lo, 0, v[2:3]
	s_or_b32 s13, s13, vcc_lo
	s_delay_alu instid0(SALU_CYCLE_1) | instskip(NEXT) | instid1(SALU_CYCLE_1)
	s_and_saveexec_b32 s77, s13
	s_xor_b32 s13, exec_lo, s77
; %bb.11727:                            ;   in Loop: Header=BB6_11393 Depth=4
	v_min_i32_e32 v3, 31, v4
	s_delay_alu instid0(VALU_DEP_1) | instskip(NEXT) | instid1(VALU_DEP_1)
	v_lshl_or_b32 v1, v3, 2, v1
	v_and_or_b32 v66, v2, 3, v1
                                        ; implicit-def: $vgpr1
; %bb.11728:                            ;   in Loop: Header=BB6_11393 Depth=4
	s_and_not1_saveexec_b32 s13, s13
; %bb.11729:                            ;   in Loop: Header=BB6_11393 Depth=4
	v_mov_b32_e32 v66, v1
; %bb.11730:                            ;   in Loop: Header=BB6_11393 Depth=4
	s_or_b32 exec_lo, exec_lo, s13
.LBB6_11731:                            ;   in Loop: Header=BB6_11393 Depth=4
	s_delay_alu instid0(SALU_CYCLE_1)
	s_or_b32 exec_lo, exec_lo, s76
                                        ; implicit-def: $vgpr1
.LBB6_11732:                            ;   in Loop: Header=BB6_11393 Depth=4
	s_and_not1_saveexec_b32 s13, s15
; %bb.11733:                            ;   in Loop: Header=BB6_11393 Depth=4
	v_or_b32_e32 v66, 0x7b, v1
; %bb.11734:                            ;   in Loop: Header=BB6_11393 Depth=4
	s_or_b32 exec_lo, exec_lo, s13
                                        ; implicit-def: $vgpr2
.LBB6_11735:                            ;   in Loop: Header=BB6_11393 Depth=4
	s_and_not1_saveexec_b32 s13, s14
	s_cbranch_execz .LBB6_11741
; %bb.11736:                            ;   in Loop: Header=BB6_11393 Depth=4
	s_mov_b32 s14, exec_lo
                                        ; implicit-def: $vgpr66
	v_cmpx_ne_u64_e32 0, v[112:113]
	s_xor_b32 s14, exec_lo, s14
; %bb.11737:                            ;   in Loop: Header=BB6_11393 Depth=4
	v_lshrrev_b32_e32 v1, 24, v2
                                        ; implicit-def: $vgpr2
	s_delay_alu instid0(VALU_DEP_1)
	v_or_b32_e32 v66, 0x7f, v1
; %bb.11738:                            ;   in Loop: Header=BB6_11393 Depth=4
	s_and_not1_saveexec_b32 s14, s14
; %bb.11739:                            ;   in Loop: Header=BB6_11393 Depth=4
	v_cmp_lt_i32_e32 vcc_lo, -1, v2
	v_cndmask_b32_e64 v66, -4, 0x7c, vcc_lo
; %bb.11740:                            ;   in Loop: Header=BB6_11393 Depth=4
	s_or_b32 exec_lo, exec_lo, s14
.LBB6_11741:                            ;   in Loop: Header=BB6_11393 Depth=4
	s_delay_alu instid0(SALU_CYCLE_1)
	s_or_b32 exec_lo, exec_lo, s13
	flat_load_i8 v2, v[8:9] offset:320 th:TH_LOAD_NT
	v_mov_b32_e32 v3, 0
	s_mov_b32 s13, exec_lo
	s_wait_loadcnt_dscnt 0x0
	s_wait_xcnt 0x0
	v_cmpx_ne_u16_e32 0, v2
	s_cbranch_execz .LBB6_11751
; %bb.11742:                            ;   in Loop: Header=BB6_11393 Depth=4
	v_bfrev_b32_e32 v3, 1
	s_mov_b32 s14, exec_lo
	v_cmpx_ne_u16_e32 0xff80, v2
	s_cbranch_execz .LBB6_11750
; %bb.11743:                            ;   in Loop: Header=BB6_11393 Depth=4
	v_and_b32_e32 v3, 0x7c, v2
	v_and_b32_e32 v1, 3, v2
	s_delay_alu instid0(VALU_DEP_2) | instskip(SKIP_1) | instid1(SALU_CYCLE_1)
	v_cmp_ne_u32_e32 vcc_lo, 0x7c, v3
                                        ; implicit-def: $vgpr3
	s_and_saveexec_b32 s15, vcc_lo
	s_xor_b32 s15, exec_lo, s15
	s_cbranch_execz .LBB6_11747
; %bb.11744:                            ;   in Loop: Header=BB6_11393 Depth=4
	v_and_b32_e32 v3, 0xff, v2
	s_mov_b32 s76, exec_lo
	s_delay_alu instid0(VALU_DEP_1) | instskip(NEXT) | instid1(VALU_DEP_1)
	v_bfe_u32 v3, v3, 2, 5
	v_cmpx_eq_u32_e32 0, v3
; %bb.11745:                            ;   in Loop: Header=BB6_11393 Depth=4
	v_clz_i32_u32_e32 v1, v1
	v_mov_b32_e32 v3, v113
	s_delay_alu instid0(VALU_DEP_2) | instskip(NEXT) | instid1(VALU_DEP_1)
	v_min_u32_e32 v1, 32, v1
	v_subrev_nc_u32_e32 v4, 29, v1
	s_delay_alu instid0(VALU_DEP_1) | instskip(NEXT) | instid1(VALU_DEP_1)
	v_lshlrev_b64_e32 v[4:5], v4, v[2:3]
	v_dual_sub_nc_u32 v3, 30, v1 :: v_dual_bitop2_b32 v1, 3, v4 bitop3:0x40
; %bb.11746:                            ;   in Loop: Header=BB6_11393 Depth=4
	s_or_b32 exec_lo, exec_lo, s76
	v_bfe_i32 v2, v2, 0, 16
	s_delay_alu instid0(VALU_DEP_1) | instskip(NEXT) | instid1(VALU_DEP_1)
	v_and_b32_e32 v2, 0x80000000, v2
	v_lshl_add_u32 v2, v3, 23, v2
	s_delay_alu instid0(VALU_DEP_1) | instskip(NEXT) | instid1(VALU_DEP_1)
	v_lshl_or_b32 v1, v1, 21, v2
                                        ; implicit-def: $vgpr2
	v_add_nc_u32_e32 v3, 0x38000000, v1
                                        ; implicit-def: $vgpr1
.LBB6_11747:                            ;   in Loop: Header=BB6_11393 Depth=4
	s_and_not1_saveexec_b32 s15, s15
; %bb.11748:                            ;   in Loop: Header=BB6_11393 Depth=4
	v_cmp_lt_i16_e32 vcc_lo, -1, v2
	v_mov_b32_e32 v2, 0x7f800000
	s_delay_alu instid0(VALU_DEP_1) | instskip(SKIP_1) | instid1(VALU_DEP_2)
	v_cndmask_b32_e32 v2, 0xff800000, v2, vcc_lo
	v_cmp_eq_u32_e32 vcc_lo, 0, v1
	v_cndmask_b32_e32 v3, 0x7f800001, v2, vcc_lo
; %bb.11749:                            ;   in Loop: Header=BB6_11393 Depth=4
	s_or_b32 exec_lo, exec_lo, s15
.LBB6_11750:                            ;   in Loop: Header=BB6_11393 Depth=4
	s_delay_alu instid0(SALU_CYCLE_1)
	s_or_b32 exec_lo, exec_lo, s14
.LBB6_11751:                            ;   in Loop: Header=BB6_11393 Depth=4
	s_delay_alu instid0(SALU_CYCLE_1) | instskip(NEXT) | instid1(VALU_DEP_1)
	s_or_b32 exec_lo, exec_lo, s13
	v_dual_mul_f32 v2, s75, v3 :: v_dual_mov_b32 v5, v113
	s_delay_alu instid0(VALU_DEP_1) | instskip(SKIP_1) | instid1(VALU_DEP_2)
	v_and_b32_e32 v4, 0x7f800000, v2
	v_and_b32_e32 v112, 0x7fffff, v2
	v_cmp_ne_u64_e32 vcc_lo, 0x7f800000, v[4:5]
                                        ; implicit-def: $vgpr4
	s_and_saveexec_b32 s13, vcc_lo
	s_delay_alu instid0(SALU_CYCLE_1)
	s_xor_b32 s14, exec_lo, s13
	s_cbranch_execz .LBB6_11769
; %bb.11752:                            ;   in Loop: Header=BB6_11393 Depth=4
	v_and_b32_e32 v4, 0x7fffffff, v2
	v_dual_mov_b32 v5, v113 :: v_dual_lshrrev_b32 v1, 24, v2
	s_delay_alu instid0(VALU_DEP_1) | instskip(NEXT) | instid1(VALU_DEP_2)
	v_cmp_gt_u64_e32 vcc_lo, 0x47600001, v[4:5]
	v_and_b32_e32 v1, 0x80, v1
                                        ; implicit-def: $vgpr4
	s_and_saveexec_b32 s13, vcc_lo
	s_delay_alu instid0(SALU_CYCLE_1)
	s_xor_b32 s15, exec_lo, s13
	s_cbranch_execz .LBB6_11766
; %bb.11753:                            ;   in Loop: Header=BB6_11393 Depth=4
	v_mov_b32_e32 v4, 0
	s_mov_b32 s76, exec_lo
	v_cmpx_ne_u32_e32 0, v2
	s_cbranch_execz .LBB6_11765
; %bb.11754:                            ;   in Loop: Header=BB6_11393 Depth=4
	v_bfe_u32 v6, v2, 23, 8
	v_or_b32_e32 v4, 0x800000, v112
	s_mov_b32 s77, exec_lo
	s_delay_alu instid0(VALU_DEP_2) | instskip(SKIP_1) | instid1(VALU_DEP_2)
	v_dual_mov_b32 v5, v113 :: v_dual_sub_nc_u32 v2, 0x71, v6
	v_cmp_gt_u32_e32 vcc_lo, 0x72, v6
	v_cndmask_b32_e32 v2, 0, v2, vcc_lo
	v_cmp_eq_u32_e32 vcc_lo, 0, v6
	s_delay_alu instid0(VALU_DEP_2) | instskip(NEXT) | instid1(VALU_DEP_1)
	v_cndmask_b32_e64 v7, v2, 0x70, vcc_lo
	v_dual_cndmask_b32 v4, v4, v112, vcc_lo :: v_dual_add_nc_u32 v2, 21, v7
	v_add_nc_u32_e32 v14, 20, v7
	s_delay_alu instid0(VALU_DEP_2) | instskip(NEXT) | instid1(VALU_DEP_2)
	v_lshlrev_b64_e64 v[2:3], v2, -1
	v_lshlrev_b64_e64 v[14:15], v14, 1
	s_delay_alu instid0(VALU_DEP_2) | instskip(NEXT) | instid1(VALU_DEP_3)
	v_bfi_b32 v17, v3, 0, 0
	v_bfi_b32 v16, v2, 0, v4
	v_lshrrev_b64 v[2:3], v7, v[4:5]
	s_delay_alu instid0(VALU_DEP_1) | instskip(NEXT) | instid1(VALU_DEP_3)
	v_mov_b64_e32 v[4:5], v[2:3]
	v_cmpx_eq_u64_e64 v[16:17], v[14:15]
; %bb.11755:                            ;   in Loop: Header=BB6_11393 Depth=4
	v_bfe_u32 v4, v2, 21, 1
	v_mov_b32_e32 v5, v113
	s_delay_alu instid0(VALU_DEP_1) | instskip(NEXT) | instid1(VALU_DEP_1)
	v_add_nc_u64_e32 v[4:5], v[2:3], v[4:5]
	v_add_nc_u64_e32 v[4:5], -1, v[4:5]
; %bb.11756:                            ;   in Loop: Header=BB6_11393 Depth=4
	s_or_b32 exec_lo, exec_lo, s77
	v_add_nc_u32_e32 v3, 0xffffff81, v6
	s_delay_alu instid0(VALU_DEP_2) | instskip(SKIP_2) | instid1(VALU_DEP_3)
	v_and_b32_e32 v6, 0x1fffff, v4
	v_lshrrev_b32_e32 v5, 23, v2
	s_mov_b32 s13, exec_lo
	v_cndmask_b32_e64 v3, v3, 0xffffff82, vcc_lo
	s_delay_alu instid0(VALU_DEP_3) | instskip(NEXT) | instid1(VALU_DEP_2)
	v_add_nc_u32_e32 v112, v6, v2
	v_add3_u32 v4, v7, v3, v5
                                        ; implicit-def: $vgpr2_vgpr3
                                        ; implicit-def: $vgpr5
	s_delay_alu instid0(VALU_DEP_1) | instskip(NEXT) | instid1(VALU_DEP_1)
	v_add_nc_u32_e32 v6, 14, v4
	v_cmpx_ne_u32_e32 0, v6
	s_xor_b32 s13, exec_lo, s13
; %bb.11757:                            ;   in Loop: Header=BB6_11393 Depth=4
	v_cmp_lt_u64_e32 vcc_lo, 0xffffff, v[112:113]
	v_add_nc_u32_e32 v2, 15, v4
	s_delay_alu instid0(VALU_DEP_1) | instskip(SKIP_1) | instid1(VALU_DEP_1)
	v_cndmask_b32_e32 v5, v6, v2, vcc_lo
	v_cndmask_b32_e64 v2, 0, 1, vcc_lo
	v_lshrrev_b64 v[2:3], v2, v[112:113]
; %bb.11758:                            ;   in Loop: Header=BB6_11393 Depth=4
	s_and_not1_saveexec_b32 s13, s13
; %bb.11759:                            ;   in Loop: Header=BB6_11393 Depth=4
	v_mov_b64_e32 v[2:3], v[112:113]
	v_bfe_u32 v5, v112, 23, 1
; %bb.11760:                            ;   in Loop: Header=BB6_11393 Depth=4
	s_or_b32 exec_lo, exec_lo, s13
	s_delay_alu instid0(VALU_DEP_2) | instskip(NEXT) | instid1(VALU_DEP_2)
	v_lshrrev_b64 v[2:3], 21, v[2:3]
	v_cmp_gt_i32_e32 vcc_lo, 32, v5
	v_cmp_ne_u32_e64 s13, 0, v5
                                        ; implicit-def: $vgpr4
	s_delay_alu instid0(VALU_DEP_3) | instskip(NEXT) | instid1(VALU_DEP_1)
	v_dual_cndmask_b32 v3, 0, v3 :: v_dual_cndmask_b32 v2, 3, v2
	v_cmp_ne_u64_e32 vcc_lo, 0, v[2:3]
	s_or_b32 s13, s13, vcc_lo
	s_delay_alu instid0(SALU_CYCLE_1) | instskip(NEXT) | instid1(SALU_CYCLE_1)
	s_and_saveexec_b32 s77, s13
	s_xor_b32 s13, exec_lo, s77
; %bb.11761:                            ;   in Loop: Header=BB6_11393 Depth=4
	v_min_i32_e32 v3, 31, v5
	s_delay_alu instid0(VALU_DEP_1) | instskip(NEXT) | instid1(VALU_DEP_1)
	v_lshl_or_b32 v1, v3, 2, v1
	v_and_or_b32 v4, v2, 3, v1
                                        ; implicit-def: $vgpr1
; %bb.11762:                            ;   in Loop: Header=BB6_11393 Depth=4
	s_and_not1_saveexec_b32 s13, s13
; %bb.11763:                            ;   in Loop: Header=BB6_11393 Depth=4
	v_mov_b32_e32 v4, v1
; %bb.11764:                            ;   in Loop: Header=BB6_11393 Depth=4
	s_or_b32 exec_lo, exec_lo, s13
.LBB6_11765:                            ;   in Loop: Header=BB6_11393 Depth=4
	s_delay_alu instid0(SALU_CYCLE_1)
	s_or_b32 exec_lo, exec_lo, s76
                                        ; implicit-def: $vgpr1
.LBB6_11766:                            ;   in Loop: Header=BB6_11393 Depth=4
	s_and_not1_saveexec_b32 s13, s15
; %bb.11767:                            ;   in Loop: Header=BB6_11393 Depth=4
	v_or_b32_e32 v4, 0x7b, v1
; %bb.11768:                            ;   in Loop: Header=BB6_11393 Depth=4
	s_or_b32 exec_lo, exec_lo, s13
                                        ; implicit-def: $vgpr2
.LBB6_11769:                            ;   in Loop: Header=BB6_11393 Depth=4
	s_and_not1_saveexec_b32 s13, s14
	s_cbranch_execz .LBB6_11775
; %bb.11770:                            ;   in Loop: Header=BB6_11393 Depth=4
	s_mov_b32 s14, exec_lo
                                        ; implicit-def: $vgpr4
	v_cmpx_ne_u64_e32 0, v[112:113]
	s_xor_b32 s14, exec_lo, s14
; %bb.11771:                            ;   in Loop: Header=BB6_11393 Depth=4
	v_lshrrev_b32_e32 v1, 24, v2
                                        ; implicit-def: $vgpr2
	s_delay_alu instid0(VALU_DEP_1)
	v_or_b32_e32 v4, 0x7f, v1
; %bb.11772:                            ;   in Loop: Header=BB6_11393 Depth=4
	s_and_not1_saveexec_b32 s14, s14
; %bb.11773:                            ;   in Loop: Header=BB6_11393 Depth=4
	v_cmp_lt_i32_e32 vcc_lo, -1, v2
	v_cndmask_b32_e64 v4, -4, 0x7c, vcc_lo
; %bb.11774:                            ;   in Loop: Header=BB6_11393 Depth=4
	s_or_b32 exec_lo, exec_lo, s14
.LBB6_11775:                            ;   in Loop: Header=BB6_11393 Depth=4
	s_delay_alu instid0(SALU_CYCLE_1)
	s_or_b32 exec_lo, exec_lo, s13
	flat_load_i8 v2, v[8:9] offset:352 th:TH_LOAD_NT
	v_mov_b32_e32 v3, 0
	s_mov_b32 s13, exec_lo
	s_wait_loadcnt_dscnt 0x0
	s_wait_xcnt 0x0
	v_cmpx_ne_u16_e32 0, v2
	s_cbranch_execz .LBB6_11785
; %bb.11776:                            ;   in Loop: Header=BB6_11393 Depth=4
	v_bfrev_b32_e32 v3, 1
	s_mov_b32 s14, exec_lo
	v_cmpx_ne_u16_e32 0xff80, v2
	s_cbranch_execz .LBB6_11784
; %bb.11777:                            ;   in Loop: Header=BB6_11393 Depth=4
	v_and_b32_e32 v3, 0x7c, v2
	v_and_b32_e32 v1, 3, v2
	s_delay_alu instid0(VALU_DEP_2) | instskip(SKIP_1) | instid1(SALU_CYCLE_1)
	v_cmp_ne_u32_e32 vcc_lo, 0x7c, v3
                                        ; implicit-def: $vgpr3
	s_and_saveexec_b32 s15, vcc_lo
	s_xor_b32 s15, exec_lo, s15
	s_cbranch_execz .LBB6_11781
; %bb.11778:                            ;   in Loop: Header=BB6_11393 Depth=4
	v_and_b32_e32 v3, 0xff, v2
	s_mov_b32 s76, exec_lo
	s_delay_alu instid0(VALU_DEP_1) | instskip(NEXT) | instid1(VALU_DEP_1)
	v_bfe_u32 v3, v3, 2, 5
	v_cmpx_eq_u32_e32 0, v3
; %bb.11779:                            ;   in Loop: Header=BB6_11393 Depth=4
	v_clz_i32_u32_e32 v1, v1
	v_mov_b32_e32 v3, v113
	s_delay_alu instid0(VALU_DEP_2) | instskip(NEXT) | instid1(VALU_DEP_1)
	v_min_u32_e32 v1, 32, v1
	v_subrev_nc_u32_e32 v5, 29, v1
	s_delay_alu instid0(VALU_DEP_1) | instskip(NEXT) | instid1(VALU_DEP_1)
	v_lshlrev_b64_e32 v[6:7], v5, v[2:3]
	v_dual_sub_nc_u32 v3, 30, v1 :: v_dual_bitop2_b32 v1, 3, v6 bitop3:0x40
; %bb.11780:                            ;   in Loop: Header=BB6_11393 Depth=4
	s_or_b32 exec_lo, exec_lo, s76
	v_bfe_i32 v2, v2, 0, 16
	s_delay_alu instid0(VALU_DEP_1) | instskip(NEXT) | instid1(VALU_DEP_1)
	v_and_b32_e32 v2, 0x80000000, v2
	v_lshl_add_u32 v2, v3, 23, v2
	s_delay_alu instid0(VALU_DEP_1) | instskip(NEXT) | instid1(VALU_DEP_1)
	v_lshl_or_b32 v1, v1, 21, v2
                                        ; implicit-def: $vgpr2
	v_add_nc_u32_e32 v3, 0x38000000, v1
                                        ; implicit-def: $vgpr1
.LBB6_11781:                            ;   in Loop: Header=BB6_11393 Depth=4
	s_and_not1_saveexec_b32 s15, s15
; %bb.11782:                            ;   in Loop: Header=BB6_11393 Depth=4
	v_cmp_lt_i16_e32 vcc_lo, -1, v2
	v_mov_b32_e32 v2, 0x7f800000
	s_delay_alu instid0(VALU_DEP_1) | instskip(SKIP_1) | instid1(VALU_DEP_2)
	v_cndmask_b32_e32 v2, 0xff800000, v2, vcc_lo
	v_cmp_eq_u32_e32 vcc_lo, 0, v1
	v_cndmask_b32_e32 v3, 0x7f800001, v2, vcc_lo
; %bb.11783:                            ;   in Loop: Header=BB6_11393 Depth=4
	s_or_b32 exec_lo, exec_lo, s15
.LBB6_11784:                            ;   in Loop: Header=BB6_11393 Depth=4
	s_delay_alu instid0(SALU_CYCLE_1)
	s_or_b32 exec_lo, exec_lo, s14
.LBB6_11785:                            ;   in Loop: Header=BB6_11393 Depth=4
	s_delay_alu instid0(SALU_CYCLE_1) | instskip(NEXT) | instid1(VALU_DEP_1)
	s_or_b32 exec_lo, exec_lo, s13
	v_dual_mul_f32 v2, s75, v3 :: v_dual_mov_b32 v7, v113
                                        ; implicit-def: $vgpr82
	s_mov_b32 s13, exec_lo
	s_delay_alu instid0(VALU_DEP_1) | instskip(SKIP_1) | instid1(VALU_DEP_2)
	v_and_b32_e32 v6, 0x7f800000, v2
	v_and_b32_e32 v112, 0x7fffff, v2
	v_cmpx_ne_u64_e32 0x7f800000, v[6:7]
	s_xor_b32 s14, exec_lo, s13
	s_cbranch_execz .LBB6_11803
; %bb.11786:                            ;   in Loop: Header=BB6_11393 Depth=4
	v_dual_mov_b32 v7, v113 :: v_dual_lshrrev_b32 v1, 24, v2
	v_and_b32_e32 v6, 0x7fffffff, v2
                                        ; implicit-def: $vgpr82
	s_mov_b32 s13, exec_lo
	s_delay_alu instid0(VALU_DEP_2) | instskip(NEXT) | instid1(VALU_DEP_2)
	v_and_b32_e32 v1, 0x80, v1
	v_cmpx_gt_u64_e32 0x47600001, v[6:7]
	s_xor_b32 s15, exec_lo, s13
	s_cbranch_execz .LBB6_11800
; %bb.11787:                            ;   in Loop: Header=BB6_11393 Depth=4
	v_mov_b32_e32 v82, 0
	s_mov_b32 s76, exec_lo
	v_cmpx_ne_u32_e32 0, v2
	s_cbranch_execz .LBB6_11799
; %bb.11788:                            ;   in Loop: Header=BB6_11393 Depth=4
	v_bfe_u32 v5, v2, 23, 8
	v_or_b32_e32 v6, 0x800000, v112
	s_mov_b32 s77, exec_lo
	s_delay_alu instid0(VALU_DEP_2) | instskip(SKIP_1) | instid1(VALU_DEP_2)
	v_dual_mov_b32 v7, v113 :: v_dual_sub_nc_u32 v2, 0x71, v5
	v_cmp_gt_u32_e32 vcc_lo, 0x72, v5
	v_cndmask_b32_e32 v2, 0, v2, vcc_lo
	v_cmp_eq_u32_e32 vcc_lo, 0, v5
	v_cndmask_b32_e32 v6, v6, v112, vcc_lo
	s_delay_alu instid0(VALU_DEP_3) | instskip(NEXT) | instid1(VALU_DEP_1)
	v_cndmask_b32_e64 v14, v2, 0x70, vcc_lo
	v_dual_add_nc_u32 v2, 21, v14 :: v_dual_add_nc_u32 v15, 20, v14
	s_delay_alu instid0(VALU_DEP_1) | instskip(NEXT) | instid1(VALU_DEP_2)
	v_lshlrev_b64_e64 v[2:3], v2, -1
	v_lshlrev_b64_e64 v[16:17], v15, 1
	s_delay_alu instid0(VALU_DEP_2) | instskip(NEXT) | instid1(VALU_DEP_3)
	v_bfi_b32 v19, v3, 0, 0
	v_bfi_b32 v18, v2, 0, v6
	v_lshrrev_b64 v[2:3], v14, v[6:7]
	s_delay_alu instid0(VALU_DEP_1) | instskip(NEXT) | instid1(VALU_DEP_3)
	v_mov_b64_e32 v[6:7], v[2:3]
	v_cmpx_eq_u64_e64 v[18:19], v[16:17]
; %bb.11789:                            ;   in Loop: Header=BB6_11393 Depth=4
	v_bfe_u32 v6, v2, 21, 1
	v_mov_b32_e32 v7, v113
	s_delay_alu instid0(VALU_DEP_1) | instskip(NEXT) | instid1(VALU_DEP_1)
	v_add_nc_u64_e32 v[6:7], v[2:3], v[6:7]
	v_add_nc_u64_e32 v[6:7], -1, v[6:7]
; %bb.11790:                            ;   in Loop: Header=BB6_11393 Depth=4
	s_or_b32 exec_lo, exec_lo, s77
	v_add_nc_u32_e32 v3, 0xffffff81, v5
	s_delay_alu instid0(VALU_DEP_2) | instskip(SKIP_2) | instid1(VALU_DEP_3)
	v_and_b32_e32 v7, 0x1fffff, v6
	v_lshrrev_b32_e32 v5, 23, v2
	s_mov_b32 s13, exec_lo
	v_cndmask_b32_e64 v3, v3, 0xffffff82, vcc_lo
	s_delay_alu instid0(VALU_DEP_3) | instskip(NEXT) | instid1(VALU_DEP_2)
	v_add_nc_u32_e32 v112, v7, v2
	v_add3_u32 v6, v14, v3, v5
                                        ; implicit-def: $vgpr2_vgpr3
                                        ; implicit-def: $vgpr5
	s_delay_alu instid0(VALU_DEP_1) | instskip(NEXT) | instid1(VALU_DEP_1)
	v_add_nc_u32_e32 v7, 14, v6
	v_cmpx_ne_u32_e32 0, v7
	s_xor_b32 s13, exec_lo, s13
; %bb.11791:                            ;   in Loop: Header=BB6_11393 Depth=4
	v_cmp_lt_u64_e32 vcc_lo, 0xffffff, v[112:113]
	v_add_nc_u32_e32 v2, 15, v6
	s_delay_alu instid0(VALU_DEP_1) | instskip(SKIP_1) | instid1(VALU_DEP_1)
	v_cndmask_b32_e32 v5, v7, v2, vcc_lo
	v_cndmask_b32_e64 v2, 0, 1, vcc_lo
	v_lshrrev_b64 v[2:3], v2, v[112:113]
; %bb.11792:                            ;   in Loop: Header=BB6_11393 Depth=4
	s_and_not1_saveexec_b32 s13, s13
; %bb.11793:                            ;   in Loop: Header=BB6_11393 Depth=4
	v_mov_b64_e32 v[2:3], v[112:113]
	v_bfe_u32 v5, v112, 23, 1
; %bb.11794:                            ;   in Loop: Header=BB6_11393 Depth=4
	s_or_b32 exec_lo, exec_lo, s13
	s_delay_alu instid0(VALU_DEP_2) | instskip(NEXT) | instid1(VALU_DEP_2)
	v_lshrrev_b64 v[2:3], 21, v[2:3]
	v_cmp_gt_i32_e32 vcc_lo, 32, v5
	v_cmp_ne_u32_e64 s13, 0, v5
                                        ; implicit-def: $vgpr82
	s_delay_alu instid0(VALU_DEP_3) | instskip(NEXT) | instid1(VALU_DEP_1)
	v_dual_cndmask_b32 v3, 0, v3 :: v_dual_cndmask_b32 v2, 3, v2
	v_cmp_ne_u64_e32 vcc_lo, 0, v[2:3]
	s_or_b32 s13, s13, vcc_lo
	s_delay_alu instid0(SALU_CYCLE_1) | instskip(NEXT) | instid1(SALU_CYCLE_1)
	s_and_saveexec_b32 s77, s13
	s_xor_b32 s13, exec_lo, s77
; %bb.11795:                            ;   in Loop: Header=BB6_11393 Depth=4
	v_min_i32_e32 v3, 31, v5
	s_delay_alu instid0(VALU_DEP_1) | instskip(NEXT) | instid1(VALU_DEP_1)
	v_lshl_or_b32 v1, v3, 2, v1
	v_and_or_b32 v82, v2, 3, v1
                                        ; implicit-def: $vgpr1
; %bb.11796:                            ;   in Loop: Header=BB6_11393 Depth=4
	s_and_not1_saveexec_b32 s13, s13
; %bb.11797:                            ;   in Loop: Header=BB6_11393 Depth=4
	v_mov_b32_e32 v82, v1
; %bb.11798:                            ;   in Loop: Header=BB6_11393 Depth=4
	s_or_b32 exec_lo, exec_lo, s13
.LBB6_11799:                            ;   in Loop: Header=BB6_11393 Depth=4
	s_delay_alu instid0(SALU_CYCLE_1)
	s_or_b32 exec_lo, exec_lo, s76
                                        ; implicit-def: $vgpr1
.LBB6_11800:                            ;   in Loop: Header=BB6_11393 Depth=4
	s_and_not1_saveexec_b32 s13, s15
; %bb.11801:                            ;   in Loop: Header=BB6_11393 Depth=4
	v_or_b32_e32 v82, 0x7b, v1
; %bb.11802:                            ;   in Loop: Header=BB6_11393 Depth=4
	s_or_b32 exec_lo, exec_lo, s13
                                        ; implicit-def: $vgpr2
.LBB6_11803:                            ;   in Loop: Header=BB6_11393 Depth=4
	s_and_not1_saveexec_b32 s13, s14
	s_cbranch_execz .LBB6_11809
; %bb.11804:                            ;   in Loop: Header=BB6_11393 Depth=4
	s_mov_b32 s14, exec_lo
                                        ; implicit-def: $vgpr82
	v_cmpx_ne_u64_e32 0, v[112:113]
	s_xor_b32 s14, exec_lo, s14
; %bb.11805:                            ;   in Loop: Header=BB6_11393 Depth=4
	v_lshrrev_b32_e32 v1, 24, v2
                                        ; implicit-def: $vgpr2
	s_delay_alu instid0(VALU_DEP_1)
	v_or_b32_e32 v82, 0x7f, v1
; %bb.11806:                            ;   in Loop: Header=BB6_11393 Depth=4
	s_and_not1_saveexec_b32 s14, s14
; %bb.11807:                            ;   in Loop: Header=BB6_11393 Depth=4
	v_cmp_lt_i32_e32 vcc_lo, -1, v2
	v_cndmask_b32_e64 v82, -4, 0x7c, vcc_lo
; %bb.11808:                            ;   in Loop: Header=BB6_11393 Depth=4
	s_or_b32 exec_lo, exec_lo, s14
.LBB6_11809:                            ;   in Loop: Header=BB6_11393 Depth=4
	s_delay_alu instid0(SALU_CYCLE_1)
	s_or_b32 exec_lo, exec_lo, s13
	flat_load_i8 v2, v[8:9] offset:384 th:TH_LOAD_NT
	v_mov_b32_e32 v3, 0
	s_mov_b32 s13, exec_lo
	s_wait_loadcnt_dscnt 0x0
	s_wait_xcnt 0x0
	v_cmpx_ne_u16_e32 0, v2
	s_cbranch_execz .LBB6_11819
; %bb.11810:                            ;   in Loop: Header=BB6_11393 Depth=4
	v_bfrev_b32_e32 v3, 1
	s_mov_b32 s14, exec_lo
	v_cmpx_ne_u16_e32 0xff80, v2
	s_cbranch_execz .LBB6_11818
; %bb.11811:                            ;   in Loop: Header=BB6_11393 Depth=4
	v_and_b32_e32 v3, 0x7c, v2
	v_and_b32_e32 v1, 3, v2
	s_delay_alu instid0(VALU_DEP_2) | instskip(SKIP_1) | instid1(SALU_CYCLE_1)
	v_cmp_ne_u32_e32 vcc_lo, 0x7c, v3
                                        ; implicit-def: $vgpr3
	s_and_saveexec_b32 s15, vcc_lo
	s_xor_b32 s15, exec_lo, s15
	s_cbranch_execz .LBB6_11815
; %bb.11812:                            ;   in Loop: Header=BB6_11393 Depth=4
	v_and_b32_e32 v3, 0xff, v2
	s_mov_b32 s76, exec_lo
	s_delay_alu instid0(VALU_DEP_1) | instskip(NEXT) | instid1(VALU_DEP_1)
	v_bfe_u32 v3, v3, 2, 5
	v_cmpx_eq_u32_e32 0, v3
; %bb.11813:                            ;   in Loop: Header=BB6_11393 Depth=4
	v_clz_i32_u32_e32 v1, v1
	v_mov_b32_e32 v3, v113
	s_delay_alu instid0(VALU_DEP_2) | instskip(NEXT) | instid1(VALU_DEP_1)
	v_min_u32_e32 v1, 32, v1
	v_subrev_nc_u32_e32 v5, 29, v1
	s_delay_alu instid0(VALU_DEP_1) | instskip(NEXT) | instid1(VALU_DEP_1)
	v_lshlrev_b64_e32 v[6:7], v5, v[2:3]
	v_dual_sub_nc_u32 v3, 30, v1 :: v_dual_bitop2_b32 v1, 3, v6 bitop3:0x40
; %bb.11814:                            ;   in Loop: Header=BB6_11393 Depth=4
	s_or_b32 exec_lo, exec_lo, s76
	v_bfe_i32 v2, v2, 0, 16
	s_delay_alu instid0(VALU_DEP_1) | instskip(NEXT) | instid1(VALU_DEP_1)
	v_and_b32_e32 v2, 0x80000000, v2
	v_lshl_add_u32 v2, v3, 23, v2
	s_delay_alu instid0(VALU_DEP_1) | instskip(NEXT) | instid1(VALU_DEP_1)
	v_lshl_or_b32 v1, v1, 21, v2
                                        ; implicit-def: $vgpr2
	v_add_nc_u32_e32 v3, 0x38000000, v1
                                        ; implicit-def: $vgpr1
.LBB6_11815:                            ;   in Loop: Header=BB6_11393 Depth=4
	s_and_not1_saveexec_b32 s15, s15
; %bb.11816:                            ;   in Loop: Header=BB6_11393 Depth=4
	v_cmp_lt_i16_e32 vcc_lo, -1, v2
	v_mov_b32_e32 v2, 0x7f800000
	s_delay_alu instid0(VALU_DEP_1) | instskip(SKIP_1) | instid1(VALU_DEP_2)
	v_cndmask_b32_e32 v2, 0xff800000, v2, vcc_lo
	v_cmp_eq_u32_e32 vcc_lo, 0, v1
	v_cndmask_b32_e32 v3, 0x7f800001, v2, vcc_lo
; %bb.11817:                            ;   in Loop: Header=BB6_11393 Depth=4
	s_or_b32 exec_lo, exec_lo, s15
.LBB6_11818:                            ;   in Loop: Header=BB6_11393 Depth=4
	s_delay_alu instid0(SALU_CYCLE_1)
	s_or_b32 exec_lo, exec_lo, s14
.LBB6_11819:                            ;   in Loop: Header=BB6_11393 Depth=4
	s_delay_alu instid0(SALU_CYCLE_1) | instskip(NEXT) | instid1(VALU_DEP_1)
	s_or_b32 exec_lo, exec_lo, s13
	v_dual_mul_f32 v2, s75, v3 :: v_dual_mov_b32 v7, v113
                                        ; implicit-def: $vgpr30
	s_mov_b32 s13, exec_lo
	s_delay_alu instid0(VALU_DEP_1) | instskip(SKIP_1) | instid1(VALU_DEP_2)
	v_and_b32_e32 v6, 0x7f800000, v2
	v_and_b32_e32 v112, 0x7fffff, v2
	v_cmpx_ne_u64_e32 0x7f800000, v[6:7]
	s_xor_b32 s14, exec_lo, s13
	s_cbranch_execz .LBB6_11837
; %bb.11820:                            ;   in Loop: Header=BB6_11393 Depth=4
	v_dual_mov_b32 v7, v113 :: v_dual_lshrrev_b32 v1, 24, v2
	v_and_b32_e32 v6, 0x7fffffff, v2
                                        ; implicit-def: $vgpr30
	s_mov_b32 s13, exec_lo
	s_delay_alu instid0(VALU_DEP_2) | instskip(NEXT) | instid1(VALU_DEP_2)
	v_and_b32_e32 v1, 0x80, v1
	v_cmpx_gt_u64_e32 0x47600001, v[6:7]
	s_xor_b32 s15, exec_lo, s13
	s_cbranch_execz .LBB6_11834
; %bb.11821:                            ;   in Loop: Header=BB6_11393 Depth=4
	v_mov_b32_e32 v30, 0
	s_mov_b32 s76, exec_lo
	v_cmpx_ne_u32_e32 0, v2
	s_cbranch_execz .LBB6_11833
; %bb.11822:                            ;   in Loop: Header=BB6_11393 Depth=4
	v_bfe_u32 v5, v2, 23, 8
	v_or_b32_e32 v6, 0x800000, v112
	s_mov_b32 s77, exec_lo
	s_delay_alu instid0(VALU_DEP_2) | instskip(SKIP_1) | instid1(VALU_DEP_2)
	v_dual_mov_b32 v7, v113 :: v_dual_sub_nc_u32 v2, 0x71, v5
	v_cmp_gt_u32_e32 vcc_lo, 0x72, v5
	v_cndmask_b32_e32 v2, 0, v2, vcc_lo
	v_cmp_eq_u32_e32 vcc_lo, 0, v5
	v_cndmask_b32_e32 v6, v6, v112, vcc_lo
	s_delay_alu instid0(VALU_DEP_3) | instskip(NEXT) | instid1(VALU_DEP_1)
	v_cndmask_b32_e64 v14, v2, 0x70, vcc_lo
	v_dual_add_nc_u32 v2, 21, v14 :: v_dual_add_nc_u32 v15, 20, v14
	s_delay_alu instid0(VALU_DEP_1) | instskip(NEXT) | instid1(VALU_DEP_2)
	v_lshlrev_b64_e64 v[2:3], v2, -1
	v_lshlrev_b64_e64 v[16:17], v15, 1
	s_delay_alu instid0(VALU_DEP_2) | instskip(NEXT) | instid1(VALU_DEP_3)
	v_bfi_b32 v19, v3, 0, 0
	v_bfi_b32 v18, v2, 0, v6
	v_lshrrev_b64 v[2:3], v14, v[6:7]
	s_delay_alu instid0(VALU_DEP_1) | instskip(NEXT) | instid1(VALU_DEP_3)
	v_mov_b64_e32 v[6:7], v[2:3]
	v_cmpx_eq_u64_e64 v[18:19], v[16:17]
; %bb.11823:                            ;   in Loop: Header=BB6_11393 Depth=4
	v_bfe_u32 v6, v2, 21, 1
	v_mov_b32_e32 v7, v113
	s_delay_alu instid0(VALU_DEP_1) | instskip(NEXT) | instid1(VALU_DEP_1)
	v_add_nc_u64_e32 v[6:7], v[2:3], v[6:7]
	v_add_nc_u64_e32 v[6:7], -1, v[6:7]
; %bb.11824:                            ;   in Loop: Header=BB6_11393 Depth=4
	s_or_b32 exec_lo, exec_lo, s77
	v_add_nc_u32_e32 v3, 0xffffff81, v5
	s_delay_alu instid0(VALU_DEP_2) | instskip(SKIP_2) | instid1(VALU_DEP_3)
	v_and_b32_e32 v7, 0x1fffff, v6
	v_lshrrev_b32_e32 v5, 23, v2
	s_mov_b32 s13, exec_lo
	v_cndmask_b32_e64 v3, v3, 0xffffff82, vcc_lo
	s_delay_alu instid0(VALU_DEP_3) | instskip(NEXT) | instid1(VALU_DEP_2)
	v_add_nc_u32_e32 v112, v7, v2
	v_add3_u32 v6, v14, v3, v5
                                        ; implicit-def: $vgpr2_vgpr3
                                        ; implicit-def: $vgpr5
	s_delay_alu instid0(VALU_DEP_1) | instskip(NEXT) | instid1(VALU_DEP_1)
	v_add_nc_u32_e32 v7, 14, v6
	v_cmpx_ne_u32_e32 0, v7
	s_xor_b32 s13, exec_lo, s13
; %bb.11825:                            ;   in Loop: Header=BB6_11393 Depth=4
	v_cmp_lt_u64_e32 vcc_lo, 0xffffff, v[112:113]
	v_add_nc_u32_e32 v2, 15, v6
	s_delay_alu instid0(VALU_DEP_1) | instskip(SKIP_1) | instid1(VALU_DEP_1)
	v_cndmask_b32_e32 v5, v7, v2, vcc_lo
	v_cndmask_b32_e64 v2, 0, 1, vcc_lo
	v_lshrrev_b64 v[2:3], v2, v[112:113]
; %bb.11826:                            ;   in Loop: Header=BB6_11393 Depth=4
	s_and_not1_saveexec_b32 s13, s13
; %bb.11827:                            ;   in Loop: Header=BB6_11393 Depth=4
	v_mov_b64_e32 v[2:3], v[112:113]
	v_bfe_u32 v5, v112, 23, 1
; %bb.11828:                            ;   in Loop: Header=BB6_11393 Depth=4
	s_or_b32 exec_lo, exec_lo, s13
	s_delay_alu instid0(VALU_DEP_2) | instskip(NEXT) | instid1(VALU_DEP_2)
	v_lshrrev_b64 v[2:3], 21, v[2:3]
	v_cmp_gt_i32_e32 vcc_lo, 32, v5
	v_cmp_ne_u32_e64 s13, 0, v5
                                        ; implicit-def: $vgpr30
	s_delay_alu instid0(VALU_DEP_3) | instskip(NEXT) | instid1(VALU_DEP_1)
	v_dual_cndmask_b32 v3, 0, v3 :: v_dual_cndmask_b32 v2, 3, v2
	v_cmp_ne_u64_e32 vcc_lo, 0, v[2:3]
	s_or_b32 s13, s13, vcc_lo
	s_delay_alu instid0(SALU_CYCLE_1) | instskip(NEXT) | instid1(SALU_CYCLE_1)
	s_and_saveexec_b32 s77, s13
	s_xor_b32 s13, exec_lo, s77
; %bb.11829:                            ;   in Loop: Header=BB6_11393 Depth=4
	v_min_i32_e32 v3, 31, v5
	s_delay_alu instid0(VALU_DEP_1) | instskip(NEXT) | instid1(VALU_DEP_1)
	v_lshl_or_b32 v1, v3, 2, v1
	v_and_or_b32 v30, v2, 3, v1
                                        ; implicit-def: $vgpr1
; %bb.11830:                            ;   in Loop: Header=BB6_11393 Depth=4
	s_and_not1_saveexec_b32 s13, s13
; %bb.11831:                            ;   in Loop: Header=BB6_11393 Depth=4
	v_mov_b32_e32 v30, v1
; %bb.11832:                            ;   in Loop: Header=BB6_11393 Depth=4
	s_or_b32 exec_lo, exec_lo, s13
.LBB6_11833:                            ;   in Loop: Header=BB6_11393 Depth=4
	s_delay_alu instid0(SALU_CYCLE_1)
	s_or_b32 exec_lo, exec_lo, s76
                                        ; implicit-def: $vgpr1
.LBB6_11834:                            ;   in Loop: Header=BB6_11393 Depth=4
	s_and_not1_saveexec_b32 s13, s15
; %bb.11835:                            ;   in Loop: Header=BB6_11393 Depth=4
	v_or_b32_e32 v30, 0x7b, v1
; %bb.11836:                            ;   in Loop: Header=BB6_11393 Depth=4
	s_or_b32 exec_lo, exec_lo, s13
                                        ; implicit-def: $vgpr2
.LBB6_11837:                            ;   in Loop: Header=BB6_11393 Depth=4
	s_and_not1_saveexec_b32 s13, s14
	s_cbranch_execz .LBB6_11843
; %bb.11838:                            ;   in Loop: Header=BB6_11393 Depth=4
	s_mov_b32 s14, exec_lo
                                        ; implicit-def: $vgpr30
	v_cmpx_ne_u64_e32 0, v[112:113]
	s_xor_b32 s14, exec_lo, s14
; %bb.11839:                            ;   in Loop: Header=BB6_11393 Depth=4
	v_lshrrev_b32_e32 v1, 24, v2
                                        ; implicit-def: $vgpr2
	s_delay_alu instid0(VALU_DEP_1)
	v_or_b32_e32 v30, 0x7f, v1
; %bb.11840:                            ;   in Loop: Header=BB6_11393 Depth=4
	s_and_not1_saveexec_b32 s14, s14
; %bb.11841:                            ;   in Loop: Header=BB6_11393 Depth=4
	v_cmp_lt_i32_e32 vcc_lo, -1, v2
	v_cndmask_b32_e64 v30, -4, 0x7c, vcc_lo
; %bb.11842:                            ;   in Loop: Header=BB6_11393 Depth=4
	s_or_b32 exec_lo, exec_lo, s14
.LBB6_11843:                            ;   in Loop: Header=BB6_11393 Depth=4
	s_delay_alu instid0(SALU_CYCLE_1)
	s_or_b32 exec_lo, exec_lo, s13
	flat_load_i8 v2, v[8:9] offset:416 th:TH_LOAD_NT
	v_mov_b32_e32 v3, 0
	s_mov_b32 s13, exec_lo
	s_wait_loadcnt_dscnt 0x0
	s_wait_xcnt 0x0
	v_cmpx_ne_u16_e32 0, v2
	s_cbranch_execz .LBB6_11853
; %bb.11844:                            ;   in Loop: Header=BB6_11393 Depth=4
	v_bfrev_b32_e32 v3, 1
	s_mov_b32 s14, exec_lo
	v_cmpx_ne_u16_e32 0xff80, v2
	s_cbranch_execz .LBB6_11852
; %bb.11845:                            ;   in Loop: Header=BB6_11393 Depth=4
	v_and_b32_e32 v3, 0x7c, v2
	v_and_b32_e32 v1, 3, v2
	s_delay_alu instid0(VALU_DEP_2) | instskip(SKIP_1) | instid1(SALU_CYCLE_1)
	v_cmp_ne_u32_e32 vcc_lo, 0x7c, v3
                                        ; implicit-def: $vgpr3
	s_and_saveexec_b32 s15, vcc_lo
	s_xor_b32 s15, exec_lo, s15
	s_cbranch_execz .LBB6_11849
; %bb.11846:                            ;   in Loop: Header=BB6_11393 Depth=4
	v_and_b32_e32 v3, 0xff, v2
	s_mov_b32 s76, exec_lo
	s_delay_alu instid0(VALU_DEP_1) | instskip(NEXT) | instid1(VALU_DEP_1)
	v_bfe_u32 v3, v3, 2, 5
	v_cmpx_eq_u32_e32 0, v3
; %bb.11847:                            ;   in Loop: Header=BB6_11393 Depth=4
	v_clz_i32_u32_e32 v1, v1
	v_mov_b32_e32 v3, v113
	s_delay_alu instid0(VALU_DEP_2) | instskip(NEXT) | instid1(VALU_DEP_1)
	v_min_u32_e32 v1, 32, v1
	v_subrev_nc_u32_e32 v5, 29, v1
	s_delay_alu instid0(VALU_DEP_1) | instskip(NEXT) | instid1(VALU_DEP_1)
	v_lshlrev_b64_e32 v[6:7], v5, v[2:3]
	v_dual_sub_nc_u32 v3, 30, v1 :: v_dual_bitop2_b32 v1, 3, v6 bitop3:0x40
; %bb.11848:                            ;   in Loop: Header=BB6_11393 Depth=4
	s_or_b32 exec_lo, exec_lo, s76
	v_bfe_i32 v2, v2, 0, 16
	s_delay_alu instid0(VALU_DEP_1) | instskip(NEXT) | instid1(VALU_DEP_1)
	v_and_b32_e32 v2, 0x80000000, v2
	v_lshl_add_u32 v2, v3, 23, v2
	s_delay_alu instid0(VALU_DEP_1) | instskip(NEXT) | instid1(VALU_DEP_1)
	v_lshl_or_b32 v1, v1, 21, v2
                                        ; implicit-def: $vgpr2
	v_add_nc_u32_e32 v3, 0x38000000, v1
                                        ; implicit-def: $vgpr1
.LBB6_11849:                            ;   in Loop: Header=BB6_11393 Depth=4
	s_and_not1_saveexec_b32 s15, s15
; %bb.11850:                            ;   in Loop: Header=BB6_11393 Depth=4
	v_cmp_lt_i16_e32 vcc_lo, -1, v2
	v_mov_b32_e32 v2, 0x7f800000
	s_delay_alu instid0(VALU_DEP_1) | instskip(SKIP_1) | instid1(VALU_DEP_2)
	v_cndmask_b32_e32 v2, 0xff800000, v2, vcc_lo
	v_cmp_eq_u32_e32 vcc_lo, 0, v1
	v_cndmask_b32_e32 v3, 0x7f800001, v2, vcc_lo
; %bb.11851:                            ;   in Loop: Header=BB6_11393 Depth=4
	s_or_b32 exec_lo, exec_lo, s15
.LBB6_11852:                            ;   in Loop: Header=BB6_11393 Depth=4
	s_delay_alu instid0(SALU_CYCLE_1)
	s_or_b32 exec_lo, exec_lo, s14
.LBB6_11853:                            ;   in Loop: Header=BB6_11393 Depth=4
	s_delay_alu instid0(SALU_CYCLE_1) | instskip(NEXT) | instid1(VALU_DEP_1)
	s_or_b32 exec_lo, exec_lo, s13
	v_dual_mul_f32 v2, s75, v3 :: v_dual_mov_b32 v7, v113
                                        ; implicit-def: $vgpr28
	s_mov_b32 s13, exec_lo
	s_delay_alu instid0(VALU_DEP_1) | instskip(SKIP_1) | instid1(VALU_DEP_2)
	v_and_b32_e32 v6, 0x7f800000, v2
	v_and_b32_e32 v112, 0x7fffff, v2
	v_cmpx_ne_u64_e32 0x7f800000, v[6:7]
	s_xor_b32 s14, exec_lo, s13
	s_cbranch_execz .LBB6_11871
; %bb.11854:                            ;   in Loop: Header=BB6_11393 Depth=4
	v_dual_mov_b32 v7, v113 :: v_dual_lshrrev_b32 v1, 24, v2
	v_and_b32_e32 v6, 0x7fffffff, v2
                                        ; implicit-def: $vgpr28
	s_mov_b32 s13, exec_lo
	s_delay_alu instid0(VALU_DEP_2) | instskip(NEXT) | instid1(VALU_DEP_2)
	v_and_b32_e32 v1, 0x80, v1
	v_cmpx_gt_u64_e32 0x47600001, v[6:7]
	s_xor_b32 s15, exec_lo, s13
	s_cbranch_execz .LBB6_11868
; %bb.11855:                            ;   in Loop: Header=BB6_11393 Depth=4
	v_mov_b32_e32 v28, 0
	s_mov_b32 s76, exec_lo
	v_cmpx_ne_u32_e32 0, v2
	s_cbranch_execz .LBB6_11867
; %bb.11856:                            ;   in Loop: Header=BB6_11393 Depth=4
	v_bfe_u32 v5, v2, 23, 8
	v_or_b32_e32 v6, 0x800000, v112
	s_mov_b32 s77, exec_lo
	s_delay_alu instid0(VALU_DEP_2) | instskip(SKIP_1) | instid1(VALU_DEP_2)
	v_dual_mov_b32 v7, v113 :: v_dual_sub_nc_u32 v2, 0x71, v5
	v_cmp_gt_u32_e32 vcc_lo, 0x72, v5
	v_cndmask_b32_e32 v2, 0, v2, vcc_lo
	v_cmp_eq_u32_e32 vcc_lo, 0, v5
	v_cndmask_b32_e32 v6, v6, v112, vcc_lo
	s_delay_alu instid0(VALU_DEP_3) | instskip(NEXT) | instid1(VALU_DEP_1)
	v_cndmask_b32_e64 v14, v2, 0x70, vcc_lo
	v_dual_add_nc_u32 v2, 21, v14 :: v_dual_add_nc_u32 v15, 20, v14
	s_delay_alu instid0(VALU_DEP_1) | instskip(NEXT) | instid1(VALU_DEP_2)
	v_lshlrev_b64_e64 v[2:3], v2, -1
	v_lshlrev_b64_e64 v[16:17], v15, 1
	s_delay_alu instid0(VALU_DEP_2) | instskip(NEXT) | instid1(VALU_DEP_3)
	v_bfi_b32 v19, v3, 0, 0
	v_bfi_b32 v18, v2, 0, v6
	v_lshrrev_b64 v[2:3], v14, v[6:7]
	s_delay_alu instid0(VALU_DEP_1) | instskip(NEXT) | instid1(VALU_DEP_3)
	v_mov_b64_e32 v[6:7], v[2:3]
	v_cmpx_eq_u64_e64 v[18:19], v[16:17]
; %bb.11857:                            ;   in Loop: Header=BB6_11393 Depth=4
	v_bfe_u32 v6, v2, 21, 1
	v_mov_b32_e32 v7, v113
	s_delay_alu instid0(VALU_DEP_1) | instskip(NEXT) | instid1(VALU_DEP_1)
	v_add_nc_u64_e32 v[6:7], v[2:3], v[6:7]
	v_add_nc_u64_e32 v[6:7], -1, v[6:7]
; %bb.11858:                            ;   in Loop: Header=BB6_11393 Depth=4
	s_or_b32 exec_lo, exec_lo, s77
	v_add_nc_u32_e32 v3, 0xffffff81, v5
	s_delay_alu instid0(VALU_DEP_2) | instskip(SKIP_2) | instid1(VALU_DEP_3)
	v_and_b32_e32 v7, 0x1fffff, v6
	v_lshrrev_b32_e32 v5, 23, v2
	s_mov_b32 s13, exec_lo
	v_cndmask_b32_e64 v3, v3, 0xffffff82, vcc_lo
	s_delay_alu instid0(VALU_DEP_3) | instskip(NEXT) | instid1(VALU_DEP_2)
	v_add_nc_u32_e32 v112, v7, v2
	v_add3_u32 v6, v14, v3, v5
                                        ; implicit-def: $vgpr2_vgpr3
                                        ; implicit-def: $vgpr5
	s_delay_alu instid0(VALU_DEP_1) | instskip(NEXT) | instid1(VALU_DEP_1)
	v_add_nc_u32_e32 v7, 14, v6
	v_cmpx_ne_u32_e32 0, v7
	s_xor_b32 s13, exec_lo, s13
; %bb.11859:                            ;   in Loop: Header=BB6_11393 Depth=4
	v_cmp_lt_u64_e32 vcc_lo, 0xffffff, v[112:113]
	v_add_nc_u32_e32 v2, 15, v6
	s_delay_alu instid0(VALU_DEP_1) | instskip(SKIP_1) | instid1(VALU_DEP_1)
	v_cndmask_b32_e32 v5, v7, v2, vcc_lo
	v_cndmask_b32_e64 v2, 0, 1, vcc_lo
	v_lshrrev_b64 v[2:3], v2, v[112:113]
; %bb.11860:                            ;   in Loop: Header=BB6_11393 Depth=4
	s_and_not1_saveexec_b32 s13, s13
; %bb.11861:                            ;   in Loop: Header=BB6_11393 Depth=4
	v_mov_b64_e32 v[2:3], v[112:113]
	v_bfe_u32 v5, v112, 23, 1
; %bb.11862:                            ;   in Loop: Header=BB6_11393 Depth=4
	s_or_b32 exec_lo, exec_lo, s13
	s_delay_alu instid0(VALU_DEP_2) | instskip(NEXT) | instid1(VALU_DEP_2)
	v_lshrrev_b64 v[2:3], 21, v[2:3]
	v_cmp_gt_i32_e32 vcc_lo, 32, v5
	v_cmp_ne_u32_e64 s13, 0, v5
                                        ; implicit-def: $vgpr28
	s_delay_alu instid0(VALU_DEP_3) | instskip(NEXT) | instid1(VALU_DEP_1)
	v_dual_cndmask_b32 v3, 0, v3 :: v_dual_cndmask_b32 v2, 3, v2
	v_cmp_ne_u64_e32 vcc_lo, 0, v[2:3]
	s_or_b32 s13, s13, vcc_lo
	s_delay_alu instid0(SALU_CYCLE_1) | instskip(NEXT) | instid1(SALU_CYCLE_1)
	s_and_saveexec_b32 s77, s13
	s_xor_b32 s13, exec_lo, s77
; %bb.11863:                            ;   in Loop: Header=BB6_11393 Depth=4
	v_min_i32_e32 v3, 31, v5
	s_delay_alu instid0(VALU_DEP_1) | instskip(NEXT) | instid1(VALU_DEP_1)
	v_lshl_or_b32 v1, v3, 2, v1
	v_and_or_b32 v28, v2, 3, v1
                                        ; implicit-def: $vgpr1
; %bb.11864:                            ;   in Loop: Header=BB6_11393 Depth=4
	s_and_not1_saveexec_b32 s13, s13
; %bb.11865:                            ;   in Loop: Header=BB6_11393 Depth=4
	v_mov_b32_e32 v28, v1
; %bb.11866:                            ;   in Loop: Header=BB6_11393 Depth=4
	s_or_b32 exec_lo, exec_lo, s13
.LBB6_11867:                            ;   in Loop: Header=BB6_11393 Depth=4
	s_delay_alu instid0(SALU_CYCLE_1)
	s_or_b32 exec_lo, exec_lo, s76
                                        ; implicit-def: $vgpr1
.LBB6_11868:                            ;   in Loop: Header=BB6_11393 Depth=4
	s_and_not1_saveexec_b32 s13, s15
; %bb.11869:                            ;   in Loop: Header=BB6_11393 Depth=4
	v_or_b32_e32 v28, 0x7b, v1
; %bb.11870:                            ;   in Loop: Header=BB6_11393 Depth=4
	s_or_b32 exec_lo, exec_lo, s13
                                        ; implicit-def: $vgpr2
.LBB6_11871:                            ;   in Loop: Header=BB6_11393 Depth=4
	s_and_not1_saveexec_b32 s13, s14
	s_cbranch_execz .LBB6_11877
; %bb.11872:                            ;   in Loop: Header=BB6_11393 Depth=4
	s_mov_b32 s14, exec_lo
                                        ; implicit-def: $vgpr28
	v_cmpx_ne_u64_e32 0, v[112:113]
	s_xor_b32 s14, exec_lo, s14
; %bb.11873:                            ;   in Loop: Header=BB6_11393 Depth=4
	v_lshrrev_b32_e32 v1, 24, v2
                                        ; implicit-def: $vgpr2
	s_delay_alu instid0(VALU_DEP_1)
	v_or_b32_e32 v28, 0x7f, v1
; %bb.11874:                            ;   in Loop: Header=BB6_11393 Depth=4
	s_and_not1_saveexec_b32 s14, s14
; %bb.11875:                            ;   in Loop: Header=BB6_11393 Depth=4
	v_cmp_lt_i32_e32 vcc_lo, -1, v2
	v_cndmask_b32_e64 v28, -4, 0x7c, vcc_lo
; %bb.11876:                            ;   in Loop: Header=BB6_11393 Depth=4
	s_or_b32 exec_lo, exec_lo, s14
.LBB6_11877:                            ;   in Loop: Header=BB6_11393 Depth=4
	s_delay_alu instid0(SALU_CYCLE_1)
	s_or_b32 exec_lo, exec_lo, s13
	flat_load_i8 v2, v[8:9] offset:448 th:TH_LOAD_NT
	v_mov_b32_e32 v3, 0
	s_mov_b32 s13, exec_lo
	s_wait_loadcnt_dscnt 0x0
	s_wait_xcnt 0x0
	v_cmpx_ne_u16_e32 0, v2
	s_cbranch_execz .LBB6_11887
; %bb.11878:                            ;   in Loop: Header=BB6_11393 Depth=4
	v_bfrev_b32_e32 v3, 1
	s_mov_b32 s14, exec_lo
	v_cmpx_ne_u16_e32 0xff80, v2
	s_cbranch_execz .LBB6_11886
; %bb.11879:                            ;   in Loop: Header=BB6_11393 Depth=4
	v_and_b32_e32 v3, 0x7c, v2
	v_and_b32_e32 v1, 3, v2
	s_delay_alu instid0(VALU_DEP_2) | instskip(SKIP_1) | instid1(SALU_CYCLE_1)
	v_cmp_ne_u32_e32 vcc_lo, 0x7c, v3
                                        ; implicit-def: $vgpr3
	s_and_saveexec_b32 s15, vcc_lo
	s_xor_b32 s15, exec_lo, s15
	s_cbranch_execz .LBB6_11883
; %bb.11880:                            ;   in Loop: Header=BB6_11393 Depth=4
	v_and_b32_e32 v3, 0xff, v2
	s_mov_b32 s76, exec_lo
	s_delay_alu instid0(VALU_DEP_1) | instskip(NEXT) | instid1(VALU_DEP_1)
	v_bfe_u32 v3, v3, 2, 5
	v_cmpx_eq_u32_e32 0, v3
; %bb.11881:                            ;   in Loop: Header=BB6_11393 Depth=4
	v_clz_i32_u32_e32 v1, v1
	v_mov_b32_e32 v3, v113
	s_delay_alu instid0(VALU_DEP_2) | instskip(NEXT) | instid1(VALU_DEP_1)
	v_min_u32_e32 v1, 32, v1
	v_subrev_nc_u32_e32 v5, 29, v1
	s_delay_alu instid0(VALU_DEP_1) | instskip(NEXT) | instid1(VALU_DEP_1)
	v_lshlrev_b64_e32 v[6:7], v5, v[2:3]
	v_dual_sub_nc_u32 v3, 30, v1 :: v_dual_bitop2_b32 v1, 3, v6 bitop3:0x40
; %bb.11882:                            ;   in Loop: Header=BB6_11393 Depth=4
	s_or_b32 exec_lo, exec_lo, s76
	v_bfe_i32 v2, v2, 0, 16
	s_delay_alu instid0(VALU_DEP_1) | instskip(NEXT) | instid1(VALU_DEP_1)
	v_and_b32_e32 v2, 0x80000000, v2
	v_lshl_add_u32 v2, v3, 23, v2
	s_delay_alu instid0(VALU_DEP_1) | instskip(NEXT) | instid1(VALU_DEP_1)
	v_lshl_or_b32 v1, v1, 21, v2
                                        ; implicit-def: $vgpr2
	v_add_nc_u32_e32 v3, 0x38000000, v1
                                        ; implicit-def: $vgpr1
.LBB6_11883:                            ;   in Loop: Header=BB6_11393 Depth=4
	s_and_not1_saveexec_b32 s15, s15
; %bb.11884:                            ;   in Loop: Header=BB6_11393 Depth=4
	v_cmp_lt_i16_e32 vcc_lo, -1, v2
	v_mov_b32_e32 v2, 0x7f800000
	s_delay_alu instid0(VALU_DEP_1) | instskip(SKIP_1) | instid1(VALU_DEP_2)
	v_cndmask_b32_e32 v2, 0xff800000, v2, vcc_lo
	v_cmp_eq_u32_e32 vcc_lo, 0, v1
	v_cndmask_b32_e32 v3, 0x7f800001, v2, vcc_lo
; %bb.11885:                            ;   in Loop: Header=BB6_11393 Depth=4
	s_or_b32 exec_lo, exec_lo, s15
.LBB6_11886:                            ;   in Loop: Header=BB6_11393 Depth=4
	s_delay_alu instid0(SALU_CYCLE_1)
	s_or_b32 exec_lo, exec_lo, s14
.LBB6_11887:                            ;   in Loop: Header=BB6_11393 Depth=4
	s_delay_alu instid0(SALU_CYCLE_1) | instskip(NEXT) | instid1(VALU_DEP_1)
	s_or_b32 exec_lo, exec_lo, s13
	v_dual_mul_f32 v2, s75, v3 :: v_dual_mov_b32 v7, v113
                                        ; implicit-def: $vgpr26
	s_mov_b32 s13, exec_lo
	s_delay_alu instid0(VALU_DEP_1) | instskip(SKIP_1) | instid1(VALU_DEP_2)
	v_and_b32_e32 v6, 0x7f800000, v2
	v_and_b32_e32 v112, 0x7fffff, v2
	v_cmpx_ne_u64_e32 0x7f800000, v[6:7]
	s_xor_b32 s14, exec_lo, s13
	s_cbranch_execz .LBB6_11905
; %bb.11888:                            ;   in Loop: Header=BB6_11393 Depth=4
	v_dual_mov_b32 v7, v113 :: v_dual_lshrrev_b32 v1, 24, v2
	v_and_b32_e32 v6, 0x7fffffff, v2
                                        ; implicit-def: $vgpr26
	s_mov_b32 s13, exec_lo
	s_delay_alu instid0(VALU_DEP_2) | instskip(NEXT) | instid1(VALU_DEP_2)
	v_and_b32_e32 v1, 0x80, v1
	v_cmpx_gt_u64_e32 0x47600001, v[6:7]
	s_xor_b32 s15, exec_lo, s13
	s_cbranch_execz .LBB6_11902
; %bb.11889:                            ;   in Loop: Header=BB6_11393 Depth=4
	v_mov_b32_e32 v26, 0
	s_mov_b32 s76, exec_lo
	v_cmpx_ne_u32_e32 0, v2
	s_cbranch_execz .LBB6_11901
; %bb.11890:                            ;   in Loop: Header=BB6_11393 Depth=4
	v_bfe_u32 v5, v2, 23, 8
	v_or_b32_e32 v6, 0x800000, v112
	s_mov_b32 s77, exec_lo
	s_delay_alu instid0(VALU_DEP_2) | instskip(SKIP_1) | instid1(VALU_DEP_2)
	v_dual_mov_b32 v7, v113 :: v_dual_sub_nc_u32 v2, 0x71, v5
	v_cmp_gt_u32_e32 vcc_lo, 0x72, v5
	v_cndmask_b32_e32 v2, 0, v2, vcc_lo
	v_cmp_eq_u32_e32 vcc_lo, 0, v5
	v_cndmask_b32_e32 v6, v6, v112, vcc_lo
	s_delay_alu instid0(VALU_DEP_3) | instskip(NEXT) | instid1(VALU_DEP_1)
	v_cndmask_b32_e64 v14, v2, 0x70, vcc_lo
	v_dual_add_nc_u32 v2, 21, v14 :: v_dual_add_nc_u32 v15, 20, v14
	s_delay_alu instid0(VALU_DEP_1) | instskip(NEXT) | instid1(VALU_DEP_2)
	v_lshlrev_b64_e64 v[2:3], v2, -1
	v_lshlrev_b64_e64 v[16:17], v15, 1
	s_delay_alu instid0(VALU_DEP_2) | instskip(NEXT) | instid1(VALU_DEP_3)
	v_bfi_b32 v19, v3, 0, 0
	v_bfi_b32 v18, v2, 0, v6
	v_lshrrev_b64 v[2:3], v14, v[6:7]
	s_delay_alu instid0(VALU_DEP_1) | instskip(NEXT) | instid1(VALU_DEP_3)
	v_mov_b64_e32 v[6:7], v[2:3]
	v_cmpx_eq_u64_e64 v[18:19], v[16:17]
; %bb.11891:                            ;   in Loop: Header=BB6_11393 Depth=4
	v_bfe_u32 v6, v2, 21, 1
	v_mov_b32_e32 v7, v113
	s_delay_alu instid0(VALU_DEP_1) | instskip(NEXT) | instid1(VALU_DEP_1)
	v_add_nc_u64_e32 v[6:7], v[2:3], v[6:7]
	v_add_nc_u64_e32 v[6:7], -1, v[6:7]
; %bb.11892:                            ;   in Loop: Header=BB6_11393 Depth=4
	s_or_b32 exec_lo, exec_lo, s77
	v_add_nc_u32_e32 v3, 0xffffff81, v5
	s_delay_alu instid0(VALU_DEP_2) | instskip(SKIP_2) | instid1(VALU_DEP_3)
	v_and_b32_e32 v7, 0x1fffff, v6
	v_lshrrev_b32_e32 v5, 23, v2
	s_mov_b32 s13, exec_lo
	v_cndmask_b32_e64 v3, v3, 0xffffff82, vcc_lo
	s_delay_alu instid0(VALU_DEP_3) | instskip(NEXT) | instid1(VALU_DEP_2)
	v_add_nc_u32_e32 v112, v7, v2
	v_add3_u32 v6, v14, v3, v5
                                        ; implicit-def: $vgpr2_vgpr3
                                        ; implicit-def: $vgpr5
	s_delay_alu instid0(VALU_DEP_1) | instskip(NEXT) | instid1(VALU_DEP_1)
	v_add_nc_u32_e32 v7, 14, v6
	v_cmpx_ne_u32_e32 0, v7
	s_xor_b32 s13, exec_lo, s13
; %bb.11893:                            ;   in Loop: Header=BB6_11393 Depth=4
	v_cmp_lt_u64_e32 vcc_lo, 0xffffff, v[112:113]
	v_add_nc_u32_e32 v2, 15, v6
	s_delay_alu instid0(VALU_DEP_1) | instskip(SKIP_1) | instid1(VALU_DEP_1)
	v_cndmask_b32_e32 v5, v7, v2, vcc_lo
	v_cndmask_b32_e64 v2, 0, 1, vcc_lo
	v_lshrrev_b64 v[2:3], v2, v[112:113]
; %bb.11894:                            ;   in Loop: Header=BB6_11393 Depth=4
	s_and_not1_saveexec_b32 s13, s13
; %bb.11895:                            ;   in Loop: Header=BB6_11393 Depth=4
	v_mov_b64_e32 v[2:3], v[112:113]
	v_bfe_u32 v5, v112, 23, 1
; %bb.11896:                            ;   in Loop: Header=BB6_11393 Depth=4
	s_or_b32 exec_lo, exec_lo, s13
	s_delay_alu instid0(VALU_DEP_2) | instskip(NEXT) | instid1(VALU_DEP_2)
	v_lshrrev_b64 v[2:3], 21, v[2:3]
	v_cmp_gt_i32_e32 vcc_lo, 32, v5
	v_cmp_ne_u32_e64 s13, 0, v5
                                        ; implicit-def: $vgpr26
	s_delay_alu instid0(VALU_DEP_3) | instskip(NEXT) | instid1(VALU_DEP_1)
	v_dual_cndmask_b32 v3, 0, v3 :: v_dual_cndmask_b32 v2, 3, v2
	v_cmp_ne_u64_e32 vcc_lo, 0, v[2:3]
	s_or_b32 s13, s13, vcc_lo
	s_delay_alu instid0(SALU_CYCLE_1) | instskip(NEXT) | instid1(SALU_CYCLE_1)
	s_and_saveexec_b32 s77, s13
	s_xor_b32 s13, exec_lo, s77
; %bb.11897:                            ;   in Loop: Header=BB6_11393 Depth=4
	v_min_i32_e32 v3, 31, v5
	s_delay_alu instid0(VALU_DEP_1) | instskip(NEXT) | instid1(VALU_DEP_1)
	v_lshl_or_b32 v1, v3, 2, v1
	v_and_or_b32 v26, v2, 3, v1
                                        ; implicit-def: $vgpr1
; %bb.11898:                            ;   in Loop: Header=BB6_11393 Depth=4
	s_and_not1_saveexec_b32 s13, s13
; %bb.11899:                            ;   in Loop: Header=BB6_11393 Depth=4
	v_mov_b32_e32 v26, v1
; %bb.11900:                            ;   in Loop: Header=BB6_11393 Depth=4
	s_or_b32 exec_lo, exec_lo, s13
.LBB6_11901:                            ;   in Loop: Header=BB6_11393 Depth=4
	s_delay_alu instid0(SALU_CYCLE_1)
	s_or_b32 exec_lo, exec_lo, s76
                                        ; implicit-def: $vgpr1
.LBB6_11902:                            ;   in Loop: Header=BB6_11393 Depth=4
	s_and_not1_saveexec_b32 s13, s15
; %bb.11903:                            ;   in Loop: Header=BB6_11393 Depth=4
	v_or_b32_e32 v26, 0x7b, v1
; %bb.11904:                            ;   in Loop: Header=BB6_11393 Depth=4
	s_or_b32 exec_lo, exec_lo, s13
                                        ; implicit-def: $vgpr2
.LBB6_11905:                            ;   in Loop: Header=BB6_11393 Depth=4
	s_and_not1_saveexec_b32 s13, s14
	s_cbranch_execz .LBB6_11911
; %bb.11906:                            ;   in Loop: Header=BB6_11393 Depth=4
	s_mov_b32 s14, exec_lo
                                        ; implicit-def: $vgpr26
	v_cmpx_ne_u64_e32 0, v[112:113]
	s_xor_b32 s14, exec_lo, s14
; %bb.11907:                            ;   in Loop: Header=BB6_11393 Depth=4
	v_lshrrev_b32_e32 v1, 24, v2
                                        ; implicit-def: $vgpr2
	s_delay_alu instid0(VALU_DEP_1)
	v_or_b32_e32 v26, 0x7f, v1
; %bb.11908:                            ;   in Loop: Header=BB6_11393 Depth=4
	s_and_not1_saveexec_b32 s14, s14
; %bb.11909:                            ;   in Loop: Header=BB6_11393 Depth=4
	v_cmp_lt_i32_e32 vcc_lo, -1, v2
	v_cndmask_b32_e64 v26, -4, 0x7c, vcc_lo
; %bb.11910:                            ;   in Loop: Header=BB6_11393 Depth=4
	s_or_b32 exec_lo, exec_lo, s14
.LBB6_11911:                            ;   in Loop: Header=BB6_11393 Depth=4
	s_delay_alu instid0(SALU_CYCLE_1)
	s_or_b32 exec_lo, exec_lo, s13
	flat_load_i8 v2, v[8:9] offset:480 th:TH_LOAD_NT
	v_mov_b32_e32 v3, 0
	s_mov_b32 s13, exec_lo
	s_wait_loadcnt_dscnt 0x0
	s_wait_xcnt 0x0
	v_cmpx_ne_u16_e32 0, v2
	s_cbranch_execz .LBB6_11921
; %bb.11912:                            ;   in Loop: Header=BB6_11393 Depth=4
	v_bfrev_b32_e32 v3, 1
	s_mov_b32 s14, exec_lo
	v_cmpx_ne_u16_e32 0xff80, v2
	s_cbranch_execz .LBB6_11920
; %bb.11913:                            ;   in Loop: Header=BB6_11393 Depth=4
	v_and_b32_e32 v3, 0x7c, v2
	v_and_b32_e32 v1, 3, v2
	s_delay_alu instid0(VALU_DEP_2) | instskip(SKIP_1) | instid1(SALU_CYCLE_1)
	v_cmp_ne_u32_e32 vcc_lo, 0x7c, v3
                                        ; implicit-def: $vgpr3
	s_and_saveexec_b32 s15, vcc_lo
	s_xor_b32 s15, exec_lo, s15
	s_cbranch_execz .LBB6_11917
; %bb.11914:                            ;   in Loop: Header=BB6_11393 Depth=4
	v_and_b32_e32 v3, 0xff, v2
	s_mov_b32 s76, exec_lo
	s_delay_alu instid0(VALU_DEP_1) | instskip(NEXT) | instid1(VALU_DEP_1)
	v_bfe_u32 v3, v3, 2, 5
	v_cmpx_eq_u32_e32 0, v3
; %bb.11915:                            ;   in Loop: Header=BB6_11393 Depth=4
	v_clz_i32_u32_e32 v1, v1
	v_mov_b32_e32 v3, v113
	s_delay_alu instid0(VALU_DEP_2) | instskip(NEXT) | instid1(VALU_DEP_1)
	v_min_u32_e32 v1, 32, v1
	v_subrev_nc_u32_e32 v5, 29, v1
	s_delay_alu instid0(VALU_DEP_1) | instskip(NEXT) | instid1(VALU_DEP_1)
	v_lshlrev_b64_e32 v[6:7], v5, v[2:3]
	v_dual_sub_nc_u32 v3, 30, v1 :: v_dual_bitop2_b32 v1, 3, v6 bitop3:0x40
; %bb.11916:                            ;   in Loop: Header=BB6_11393 Depth=4
	s_or_b32 exec_lo, exec_lo, s76
	v_bfe_i32 v2, v2, 0, 16
	s_delay_alu instid0(VALU_DEP_1) | instskip(NEXT) | instid1(VALU_DEP_1)
	v_and_b32_e32 v2, 0x80000000, v2
	v_lshl_add_u32 v2, v3, 23, v2
	s_delay_alu instid0(VALU_DEP_1) | instskip(NEXT) | instid1(VALU_DEP_1)
	v_lshl_or_b32 v1, v1, 21, v2
                                        ; implicit-def: $vgpr2
	v_add_nc_u32_e32 v3, 0x38000000, v1
                                        ; implicit-def: $vgpr1
.LBB6_11917:                            ;   in Loop: Header=BB6_11393 Depth=4
	s_and_not1_saveexec_b32 s15, s15
; %bb.11918:                            ;   in Loop: Header=BB6_11393 Depth=4
	v_cmp_lt_i16_e32 vcc_lo, -1, v2
	v_mov_b32_e32 v2, 0x7f800000
	s_delay_alu instid0(VALU_DEP_1) | instskip(SKIP_1) | instid1(VALU_DEP_2)
	v_cndmask_b32_e32 v2, 0xff800000, v2, vcc_lo
	v_cmp_eq_u32_e32 vcc_lo, 0, v1
	v_cndmask_b32_e32 v3, 0x7f800001, v2, vcc_lo
; %bb.11919:                            ;   in Loop: Header=BB6_11393 Depth=4
	s_or_b32 exec_lo, exec_lo, s15
.LBB6_11920:                            ;   in Loop: Header=BB6_11393 Depth=4
	s_delay_alu instid0(SALU_CYCLE_1)
	s_or_b32 exec_lo, exec_lo, s14
.LBB6_11921:                            ;   in Loop: Header=BB6_11393 Depth=4
	s_delay_alu instid0(SALU_CYCLE_1) | instskip(NEXT) | instid1(VALU_DEP_1)
	s_or_b32 exec_lo, exec_lo, s13
	v_dual_mul_f32 v2, s75, v3 :: v_dual_mov_b32 v7, v113
                                        ; implicit-def: $vgpr120
	s_mov_b32 s13, exec_lo
	s_delay_alu instid0(VALU_DEP_1) | instskip(SKIP_1) | instid1(VALU_DEP_2)
	v_and_b32_e32 v6, 0x7f800000, v2
	v_and_b32_e32 v112, 0x7fffff, v2
	v_cmpx_ne_u64_e32 0x7f800000, v[6:7]
	s_xor_b32 s14, exec_lo, s13
	s_cbranch_execz .LBB6_11939
; %bb.11922:                            ;   in Loop: Header=BB6_11393 Depth=4
	v_dual_mov_b32 v7, v113 :: v_dual_lshrrev_b32 v1, 24, v2
	v_and_b32_e32 v6, 0x7fffffff, v2
                                        ; implicit-def: $vgpr120
	s_mov_b32 s13, exec_lo
	s_delay_alu instid0(VALU_DEP_2) | instskip(NEXT) | instid1(VALU_DEP_2)
	v_and_b32_e32 v1, 0x80, v1
	v_cmpx_gt_u64_e32 0x47600001, v[6:7]
	s_xor_b32 s15, exec_lo, s13
	s_cbranch_execz .LBB6_11936
; %bb.11923:                            ;   in Loop: Header=BB6_11393 Depth=4
	v_mov_b32_e32 v120, 0
	s_mov_b32 s76, exec_lo
	v_cmpx_ne_u32_e32 0, v2
	s_cbranch_execz .LBB6_11935
; %bb.11924:                            ;   in Loop: Header=BB6_11393 Depth=4
	v_bfe_u32 v5, v2, 23, 8
	v_or_b32_e32 v6, 0x800000, v112
	s_mov_b32 s77, exec_lo
	s_delay_alu instid0(VALU_DEP_2) | instskip(SKIP_1) | instid1(VALU_DEP_2)
	v_dual_mov_b32 v7, v113 :: v_dual_sub_nc_u32 v2, 0x71, v5
	v_cmp_gt_u32_e32 vcc_lo, 0x72, v5
	v_cndmask_b32_e32 v2, 0, v2, vcc_lo
	v_cmp_eq_u32_e32 vcc_lo, 0, v5
	v_cndmask_b32_e32 v6, v6, v112, vcc_lo
	s_delay_alu instid0(VALU_DEP_3) | instskip(NEXT) | instid1(VALU_DEP_1)
	v_cndmask_b32_e64 v14, v2, 0x70, vcc_lo
	v_dual_add_nc_u32 v2, 21, v14 :: v_dual_add_nc_u32 v15, 20, v14
	s_delay_alu instid0(VALU_DEP_1) | instskip(NEXT) | instid1(VALU_DEP_2)
	v_lshlrev_b64_e64 v[2:3], v2, -1
	v_lshlrev_b64_e64 v[16:17], v15, 1
	s_delay_alu instid0(VALU_DEP_2) | instskip(NEXT) | instid1(VALU_DEP_3)
	v_bfi_b32 v19, v3, 0, 0
	v_bfi_b32 v18, v2, 0, v6
	v_lshrrev_b64 v[2:3], v14, v[6:7]
	s_delay_alu instid0(VALU_DEP_1) | instskip(NEXT) | instid1(VALU_DEP_3)
	v_mov_b64_e32 v[6:7], v[2:3]
	v_cmpx_eq_u64_e64 v[18:19], v[16:17]
; %bb.11925:                            ;   in Loop: Header=BB6_11393 Depth=4
	v_bfe_u32 v6, v2, 21, 1
	v_mov_b32_e32 v7, v113
	s_delay_alu instid0(VALU_DEP_1) | instskip(NEXT) | instid1(VALU_DEP_1)
	v_add_nc_u64_e32 v[6:7], v[2:3], v[6:7]
	v_add_nc_u64_e32 v[6:7], -1, v[6:7]
; %bb.11926:                            ;   in Loop: Header=BB6_11393 Depth=4
	s_or_b32 exec_lo, exec_lo, s77
	v_add_nc_u32_e32 v3, 0xffffff81, v5
	s_delay_alu instid0(VALU_DEP_2) | instskip(SKIP_2) | instid1(VALU_DEP_3)
	v_and_b32_e32 v7, 0x1fffff, v6
	v_lshrrev_b32_e32 v5, 23, v2
	s_mov_b32 s13, exec_lo
	v_cndmask_b32_e64 v3, v3, 0xffffff82, vcc_lo
	s_delay_alu instid0(VALU_DEP_3) | instskip(NEXT) | instid1(VALU_DEP_2)
	v_add_nc_u32_e32 v112, v7, v2
	v_add3_u32 v6, v14, v3, v5
                                        ; implicit-def: $vgpr2_vgpr3
                                        ; implicit-def: $vgpr5
	s_delay_alu instid0(VALU_DEP_1) | instskip(NEXT) | instid1(VALU_DEP_1)
	v_add_nc_u32_e32 v7, 14, v6
	v_cmpx_ne_u32_e32 0, v7
	s_xor_b32 s13, exec_lo, s13
; %bb.11927:                            ;   in Loop: Header=BB6_11393 Depth=4
	v_cmp_lt_u64_e32 vcc_lo, 0xffffff, v[112:113]
	v_add_nc_u32_e32 v2, 15, v6
	s_delay_alu instid0(VALU_DEP_1) | instskip(SKIP_1) | instid1(VALU_DEP_1)
	v_cndmask_b32_e32 v5, v7, v2, vcc_lo
	v_cndmask_b32_e64 v2, 0, 1, vcc_lo
	v_lshrrev_b64 v[2:3], v2, v[112:113]
; %bb.11928:                            ;   in Loop: Header=BB6_11393 Depth=4
	s_and_not1_saveexec_b32 s13, s13
; %bb.11929:                            ;   in Loop: Header=BB6_11393 Depth=4
	v_mov_b64_e32 v[2:3], v[112:113]
	v_bfe_u32 v5, v112, 23, 1
; %bb.11930:                            ;   in Loop: Header=BB6_11393 Depth=4
	s_or_b32 exec_lo, exec_lo, s13
	s_delay_alu instid0(VALU_DEP_2) | instskip(NEXT) | instid1(VALU_DEP_2)
	v_lshrrev_b64 v[2:3], 21, v[2:3]
	v_cmp_gt_i32_e32 vcc_lo, 32, v5
	v_cmp_ne_u32_e64 s13, 0, v5
                                        ; implicit-def: $vgpr120
	s_delay_alu instid0(VALU_DEP_3) | instskip(NEXT) | instid1(VALU_DEP_1)
	v_dual_cndmask_b32 v3, 0, v3 :: v_dual_cndmask_b32 v2, 3, v2
	v_cmp_ne_u64_e32 vcc_lo, 0, v[2:3]
	s_or_b32 s13, s13, vcc_lo
	s_delay_alu instid0(SALU_CYCLE_1) | instskip(NEXT) | instid1(SALU_CYCLE_1)
	s_and_saveexec_b32 s77, s13
	s_xor_b32 s13, exec_lo, s77
; %bb.11931:                            ;   in Loop: Header=BB6_11393 Depth=4
	v_min_i32_e32 v3, 31, v5
	s_delay_alu instid0(VALU_DEP_1) | instskip(NEXT) | instid1(VALU_DEP_1)
	v_lshl_or_b32 v1, v3, 2, v1
	v_and_or_b32 v120, v2, 3, v1
                                        ; implicit-def: $vgpr1
; %bb.11932:                            ;   in Loop: Header=BB6_11393 Depth=4
	s_and_not1_saveexec_b32 s13, s13
; %bb.11933:                            ;   in Loop: Header=BB6_11393 Depth=4
	v_mov_b32_e32 v120, v1
; %bb.11934:                            ;   in Loop: Header=BB6_11393 Depth=4
	s_or_b32 exec_lo, exec_lo, s13
.LBB6_11935:                            ;   in Loop: Header=BB6_11393 Depth=4
	s_delay_alu instid0(SALU_CYCLE_1)
	s_or_b32 exec_lo, exec_lo, s76
                                        ; implicit-def: $vgpr1
.LBB6_11936:                            ;   in Loop: Header=BB6_11393 Depth=4
	s_and_not1_saveexec_b32 s13, s15
; %bb.11937:                            ;   in Loop: Header=BB6_11393 Depth=4
	v_or_b32_e32 v120, 0x7b, v1
; %bb.11938:                            ;   in Loop: Header=BB6_11393 Depth=4
	s_or_b32 exec_lo, exec_lo, s13
                                        ; implicit-def: $vgpr2
.LBB6_11939:                            ;   in Loop: Header=BB6_11393 Depth=4
	s_and_not1_saveexec_b32 s13, s14
	s_cbranch_execz .LBB6_11945
; %bb.11940:                            ;   in Loop: Header=BB6_11393 Depth=4
	s_mov_b32 s14, exec_lo
                                        ; implicit-def: $vgpr120
	v_cmpx_ne_u64_e32 0, v[112:113]
	s_xor_b32 s14, exec_lo, s14
; %bb.11941:                            ;   in Loop: Header=BB6_11393 Depth=4
	v_lshrrev_b32_e32 v1, 24, v2
                                        ; implicit-def: $vgpr2
	s_delay_alu instid0(VALU_DEP_1)
	v_or_b32_e32 v120, 0x7f, v1
; %bb.11942:                            ;   in Loop: Header=BB6_11393 Depth=4
	s_and_not1_saveexec_b32 s14, s14
; %bb.11943:                            ;   in Loop: Header=BB6_11393 Depth=4
	v_cmp_lt_i32_e32 vcc_lo, -1, v2
	v_cndmask_b32_e64 v120, -4, 0x7c, vcc_lo
; %bb.11944:                            ;   in Loop: Header=BB6_11393 Depth=4
	s_or_b32 exec_lo, exec_lo, s14
.LBB6_11945:                            ;   in Loop: Header=BB6_11393 Depth=4
	s_delay_alu instid0(SALU_CYCLE_1)
	s_or_b32 exec_lo, exec_lo, s13
	flat_load_i8 v2, v[8:9] offset:512 th:TH_LOAD_NT
	v_mov_b32_e32 v3, 0
	s_mov_b32 s13, exec_lo
	s_wait_loadcnt_dscnt 0x0
	s_wait_xcnt 0x0
	v_cmpx_ne_u16_e32 0, v2
	s_cbranch_execz .LBB6_11955
; %bb.11946:                            ;   in Loop: Header=BB6_11393 Depth=4
	v_bfrev_b32_e32 v3, 1
	s_mov_b32 s14, exec_lo
	v_cmpx_ne_u16_e32 0xff80, v2
	s_cbranch_execz .LBB6_11954
; %bb.11947:                            ;   in Loop: Header=BB6_11393 Depth=4
	v_and_b32_e32 v3, 0x7c, v2
	v_and_b32_e32 v1, 3, v2
	s_delay_alu instid0(VALU_DEP_2) | instskip(SKIP_1) | instid1(SALU_CYCLE_1)
	v_cmp_ne_u32_e32 vcc_lo, 0x7c, v3
                                        ; implicit-def: $vgpr3
	s_and_saveexec_b32 s15, vcc_lo
	s_xor_b32 s15, exec_lo, s15
	s_cbranch_execz .LBB6_11951
; %bb.11948:                            ;   in Loop: Header=BB6_11393 Depth=4
	v_and_b32_e32 v3, 0xff, v2
	s_mov_b32 s76, exec_lo
	s_delay_alu instid0(VALU_DEP_1) | instskip(NEXT) | instid1(VALU_DEP_1)
	v_bfe_u32 v3, v3, 2, 5
	v_cmpx_eq_u32_e32 0, v3
; %bb.11949:                            ;   in Loop: Header=BB6_11393 Depth=4
	v_clz_i32_u32_e32 v1, v1
	v_mov_b32_e32 v3, v113
	s_delay_alu instid0(VALU_DEP_2) | instskip(NEXT) | instid1(VALU_DEP_1)
	v_min_u32_e32 v1, 32, v1
	v_subrev_nc_u32_e32 v5, 29, v1
	s_delay_alu instid0(VALU_DEP_1) | instskip(NEXT) | instid1(VALU_DEP_1)
	v_lshlrev_b64_e32 v[6:7], v5, v[2:3]
	v_dual_sub_nc_u32 v3, 30, v1 :: v_dual_bitop2_b32 v1, 3, v6 bitop3:0x40
; %bb.11950:                            ;   in Loop: Header=BB6_11393 Depth=4
	s_or_b32 exec_lo, exec_lo, s76
	v_bfe_i32 v2, v2, 0, 16
	s_delay_alu instid0(VALU_DEP_1) | instskip(NEXT) | instid1(VALU_DEP_1)
	v_and_b32_e32 v2, 0x80000000, v2
	v_lshl_add_u32 v2, v3, 23, v2
	s_delay_alu instid0(VALU_DEP_1) | instskip(NEXT) | instid1(VALU_DEP_1)
	v_lshl_or_b32 v1, v1, 21, v2
                                        ; implicit-def: $vgpr2
	v_add_nc_u32_e32 v3, 0x38000000, v1
                                        ; implicit-def: $vgpr1
.LBB6_11951:                            ;   in Loop: Header=BB6_11393 Depth=4
	s_and_not1_saveexec_b32 s15, s15
; %bb.11952:                            ;   in Loop: Header=BB6_11393 Depth=4
	v_cmp_lt_i16_e32 vcc_lo, -1, v2
	v_mov_b32_e32 v2, 0x7f800000
	s_delay_alu instid0(VALU_DEP_1) | instskip(SKIP_1) | instid1(VALU_DEP_2)
	v_cndmask_b32_e32 v2, 0xff800000, v2, vcc_lo
	v_cmp_eq_u32_e32 vcc_lo, 0, v1
	v_cndmask_b32_e32 v3, 0x7f800001, v2, vcc_lo
; %bb.11953:                            ;   in Loop: Header=BB6_11393 Depth=4
	s_or_b32 exec_lo, exec_lo, s15
.LBB6_11954:                            ;   in Loop: Header=BB6_11393 Depth=4
	s_delay_alu instid0(SALU_CYCLE_1)
	s_or_b32 exec_lo, exec_lo, s14
.LBB6_11955:                            ;   in Loop: Header=BB6_11393 Depth=4
	s_delay_alu instid0(SALU_CYCLE_1) | instskip(NEXT) | instid1(VALU_DEP_1)
	s_or_b32 exec_lo, exec_lo, s13
	v_dual_mul_f32 v2, s75, v3 :: v_dual_mov_b32 v7, v113
                                        ; implicit-def: $vgpr108
	s_mov_b32 s13, exec_lo
	s_delay_alu instid0(VALU_DEP_1) | instskip(SKIP_1) | instid1(VALU_DEP_2)
	v_and_b32_e32 v6, 0x7f800000, v2
	v_and_b32_e32 v112, 0x7fffff, v2
	v_cmpx_ne_u64_e32 0x7f800000, v[6:7]
	s_xor_b32 s14, exec_lo, s13
	s_cbranch_execz .LBB6_11973
; %bb.11956:                            ;   in Loop: Header=BB6_11393 Depth=4
	v_dual_mov_b32 v7, v113 :: v_dual_lshrrev_b32 v1, 24, v2
	v_and_b32_e32 v6, 0x7fffffff, v2
                                        ; implicit-def: $vgpr108
	s_mov_b32 s13, exec_lo
	s_delay_alu instid0(VALU_DEP_2) | instskip(NEXT) | instid1(VALU_DEP_2)
	v_and_b32_e32 v1, 0x80, v1
	v_cmpx_gt_u64_e32 0x47600001, v[6:7]
	s_xor_b32 s15, exec_lo, s13
	s_cbranch_execz .LBB6_11970
; %bb.11957:                            ;   in Loop: Header=BB6_11393 Depth=4
	v_mov_b32_e32 v108, 0
	s_mov_b32 s76, exec_lo
	v_cmpx_ne_u32_e32 0, v2
	s_cbranch_execz .LBB6_11969
; %bb.11958:                            ;   in Loop: Header=BB6_11393 Depth=4
	v_bfe_u32 v5, v2, 23, 8
	v_or_b32_e32 v6, 0x800000, v112
	s_mov_b32 s77, exec_lo
	s_delay_alu instid0(VALU_DEP_2) | instskip(SKIP_1) | instid1(VALU_DEP_2)
	v_dual_mov_b32 v7, v113 :: v_dual_sub_nc_u32 v2, 0x71, v5
	v_cmp_gt_u32_e32 vcc_lo, 0x72, v5
	v_cndmask_b32_e32 v2, 0, v2, vcc_lo
	v_cmp_eq_u32_e32 vcc_lo, 0, v5
	v_cndmask_b32_e32 v6, v6, v112, vcc_lo
	s_delay_alu instid0(VALU_DEP_3) | instskip(NEXT) | instid1(VALU_DEP_1)
	v_cndmask_b32_e64 v14, v2, 0x70, vcc_lo
	v_dual_add_nc_u32 v2, 21, v14 :: v_dual_add_nc_u32 v15, 20, v14
	s_delay_alu instid0(VALU_DEP_1) | instskip(NEXT) | instid1(VALU_DEP_2)
	v_lshlrev_b64_e64 v[2:3], v2, -1
	v_lshlrev_b64_e64 v[16:17], v15, 1
	s_delay_alu instid0(VALU_DEP_2) | instskip(NEXT) | instid1(VALU_DEP_3)
	v_bfi_b32 v19, v3, 0, 0
	v_bfi_b32 v18, v2, 0, v6
	v_lshrrev_b64 v[2:3], v14, v[6:7]
	s_delay_alu instid0(VALU_DEP_1) | instskip(NEXT) | instid1(VALU_DEP_3)
	v_mov_b64_e32 v[6:7], v[2:3]
	v_cmpx_eq_u64_e64 v[18:19], v[16:17]
; %bb.11959:                            ;   in Loop: Header=BB6_11393 Depth=4
	v_bfe_u32 v6, v2, 21, 1
	v_mov_b32_e32 v7, v113
	s_delay_alu instid0(VALU_DEP_1) | instskip(NEXT) | instid1(VALU_DEP_1)
	v_add_nc_u64_e32 v[6:7], v[2:3], v[6:7]
	v_add_nc_u64_e32 v[6:7], -1, v[6:7]
; %bb.11960:                            ;   in Loop: Header=BB6_11393 Depth=4
	s_or_b32 exec_lo, exec_lo, s77
	v_add_nc_u32_e32 v3, 0xffffff81, v5
	s_delay_alu instid0(VALU_DEP_2) | instskip(SKIP_2) | instid1(VALU_DEP_3)
	v_and_b32_e32 v7, 0x1fffff, v6
	v_lshrrev_b32_e32 v5, 23, v2
	s_mov_b32 s13, exec_lo
	v_cndmask_b32_e64 v3, v3, 0xffffff82, vcc_lo
	s_delay_alu instid0(VALU_DEP_3) | instskip(NEXT) | instid1(VALU_DEP_2)
	v_add_nc_u32_e32 v112, v7, v2
	v_add3_u32 v6, v14, v3, v5
                                        ; implicit-def: $vgpr2_vgpr3
                                        ; implicit-def: $vgpr5
	s_delay_alu instid0(VALU_DEP_1) | instskip(NEXT) | instid1(VALU_DEP_1)
	v_add_nc_u32_e32 v7, 14, v6
	v_cmpx_ne_u32_e32 0, v7
	s_xor_b32 s13, exec_lo, s13
; %bb.11961:                            ;   in Loop: Header=BB6_11393 Depth=4
	v_cmp_lt_u64_e32 vcc_lo, 0xffffff, v[112:113]
	v_add_nc_u32_e32 v2, 15, v6
	s_delay_alu instid0(VALU_DEP_1) | instskip(SKIP_1) | instid1(VALU_DEP_1)
	v_cndmask_b32_e32 v5, v7, v2, vcc_lo
	v_cndmask_b32_e64 v2, 0, 1, vcc_lo
	v_lshrrev_b64 v[2:3], v2, v[112:113]
; %bb.11962:                            ;   in Loop: Header=BB6_11393 Depth=4
	s_and_not1_saveexec_b32 s13, s13
; %bb.11963:                            ;   in Loop: Header=BB6_11393 Depth=4
	v_mov_b64_e32 v[2:3], v[112:113]
	v_bfe_u32 v5, v112, 23, 1
; %bb.11964:                            ;   in Loop: Header=BB6_11393 Depth=4
	s_or_b32 exec_lo, exec_lo, s13
	s_delay_alu instid0(VALU_DEP_2) | instskip(NEXT) | instid1(VALU_DEP_2)
	v_lshrrev_b64 v[2:3], 21, v[2:3]
	v_cmp_gt_i32_e32 vcc_lo, 32, v5
	v_cmp_ne_u32_e64 s13, 0, v5
                                        ; implicit-def: $vgpr108
	s_delay_alu instid0(VALU_DEP_3) | instskip(NEXT) | instid1(VALU_DEP_1)
	v_dual_cndmask_b32 v3, 0, v3 :: v_dual_cndmask_b32 v2, 3, v2
	v_cmp_ne_u64_e32 vcc_lo, 0, v[2:3]
	s_or_b32 s13, s13, vcc_lo
	s_delay_alu instid0(SALU_CYCLE_1) | instskip(NEXT) | instid1(SALU_CYCLE_1)
	s_and_saveexec_b32 s77, s13
	s_xor_b32 s13, exec_lo, s77
; %bb.11965:                            ;   in Loop: Header=BB6_11393 Depth=4
	v_min_i32_e32 v3, 31, v5
	s_delay_alu instid0(VALU_DEP_1) | instskip(NEXT) | instid1(VALU_DEP_1)
	v_lshl_or_b32 v1, v3, 2, v1
	v_and_or_b32 v108, v2, 3, v1
                                        ; implicit-def: $vgpr1
; %bb.11966:                            ;   in Loop: Header=BB6_11393 Depth=4
	s_and_not1_saveexec_b32 s13, s13
; %bb.11967:                            ;   in Loop: Header=BB6_11393 Depth=4
	v_mov_b32_e32 v108, v1
; %bb.11968:                            ;   in Loop: Header=BB6_11393 Depth=4
	s_or_b32 exec_lo, exec_lo, s13
.LBB6_11969:                            ;   in Loop: Header=BB6_11393 Depth=4
	s_delay_alu instid0(SALU_CYCLE_1)
	s_or_b32 exec_lo, exec_lo, s76
                                        ; implicit-def: $vgpr1
.LBB6_11970:                            ;   in Loop: Header=BB6_11393 Depth=4
	s_and_not1_saveexec_b32 s13, s15
; %bb.11971:                            ;   in Loop: Header=BB6_11393 Depth=4
	v_or_b32_e32 v108, 0x7b, v1
; %bb.11972:                            ;   in Loop: Header=BB6_11393 Depth=4
	s_or_b32 exec_lo, exec_lo, s13
                                        ; implicit-def: $vgpr2
.LBB6_11973:                            ;   in Loop: Header=BB6_11393 Depth=4
	s_and_not1_saveexec_b32 s13, s14
	s_cbranch_execz .LBB6_11979
; %bb.11974:                            ;   in Loop: Header=BB6_11393 Depth=4
	s_mov_b32 s14, exec_lo
                                        ; implicit-def: $vgpr108
	v_cmpx_ne_u64_e32 0, v[112:113]
	s_xor_b32 s14, exec_lo, s14
; %bb.11975:                            ;   in Loop: Header=BB6_11393 Depth=4
	v_lshrrev_b32_e32 v1, 24, v2
                                        ; implicit-def: $vgpr2
	s_delay_alu instid0(VALU_DEP_1)
	v_or_b32_e32 v108, 0x7f, v1
; %bb.11976:                            ;   in Loop: Header=BB6_11393 Depth=4
	s_and_not1_saveexec_b32 s14, s14
; %bb.11977:                            ;   in Loop: Header=BB6_11393 Depth=4
	v_cmp_lt_i32_e32 vcc_lo, -1, v2
	v_cndmask_b32_e64 v108, -4, 0x7c, vcc_lo
; %bb.11978:                            ;   in Loop: Header=BB6_11393 Depth=4
	s_or_b32 exec_lo, exec_lo, s14
.LBB6_11979:                            ;   in Loop: Header=BB6_11393 Depth=4
	s_delay_alu instid0(SALU_CYCLE_1)
	s_or_b32 exec_lo, exec_lo, s13
	flat_load_i8 v2, v[8:9] offset:544 th:TH_LOAD_NT
	v_mov_b32_e32 v3, 0
	s_mov_b32 s13, exec_lo
	s_wait_loadcnt_dscnt 0x0
	s_wait_xcnt 0x0
	v_cmpx_ne_u16_e32 0, v2
	s_cbranch_execz .LBB6_11989
; %bb.11980:                            ;   in Loop: Header=BB6_11393 Depth=4
	v_bfrev_b32_e32 v3, 1
	s_mov_b32 s14, exec_lo
	v_cmpx_ne_u16_e32 0xff80, v2
	s_cbranch_execz .LBB6_11988
; %bb.11981:                            ;   in Loop: Header=BB6_11393 Depth=4
	v_and_b32_e32 v3, 0x7c, v2
	v_and_b32_e32 v1, 3, v2
	s_delay_alu instid0(VALU_DEP_2) | instskip(SKIP_1) | instid1(SALU_CYCLE_1)
	v_cmp_ne_u32_e32 vcc_lo, 0x7c, v3
                                        ; implicit-def: $vgpr3
	s_and_saveexec_b32 s15, vcc_lo
	s_xor_b32 s15, exec_lo, s15
	s_cbranch_execz .LBB6_11985
; %bb.11982:                            ;   in Loop: Header=BB6_11393 Depth=4
	v_and_b32_e32 v3, 0xff, v2
	s_mov_b32 s76, exec_lo
	s_delay_alu instid0(VALU_DEP_1) | instskip(NEXT) | instid1(VALU_DEP_1)
	v_bfe_u32 v3, v3, 2, 5
	v_cmpx_eq_u32_e32 0, v3
; %bb.11983:                            ;   in Loop: Header=BB6_11393 Depth=4
	v_clz_i32_u32_e32 v1, v1
	v_mov_b32_e32 v3, v113
	s_delay_alu instid0(VALU_DEP_2) | instskip(NEXT) | instid1(VALU_DEP_1)
	v_min_u32_e32 v1, 32, v1
	v_subrev_nc_u32_e32 v5, 29, v1
	s_delay_alu instid0(VALU_DEP_1) | instskip(NEXT) | instid1(VALU_DEP_1)
	v_lshlrev_b64_e32 v[6:7], v5, v[2:3]
	v_dual_sub_nc_u32 v3, 30, v1 :: v_dual_bitop2_b32 v1, 3, v6 bitop3:0x40
; %bb.11984:                            ;   in Loop: Header=BB6_11393 Depth=4
	s_or_b32 exec_lo, exec_lo, s76
	v_bfe_i32 v2, v2, 0, 16
	s_delay_alu instid0(VALU_DEP_1) | instskip(NEXT) | instid1(VALU_DEP_1)
	v_and_b32_e32 v2, 0x80000000, v2
	v_lshl_add_u32 v2, v3, 23, v2
	s_delay_alu instid0(VALU_DEP_1) | instskip(NEXT) | instid1(VALU_DEP_1)
	v_lshl_or_b32 v1, v1, 21, v2
                                        ; implicit-def: $vgpr2
	v_add_nc_u32_e32 v3, 0x38000000, v1
                                        ; implicit-def: $vgpr1
.LBB6_11985:                            ;   in Loop: Header=BB6_11393 Depth=4
	s_and_not1_saveexec_b32 s15, s15
; %bb.11986:                            ;   in Loop: Header=BB6_11393 Depth=4
	v_cmp_lt_i16_e32 vcc_lo, -1, v2
	v_mov_b32_e32 v2, 0x7f800000
	s_delay_alu instid0(VALU_DEP_1) | instskip(SKIP_1) | instid1(VALU_DEP_2)
	v_cndmask_b32_e32 v2, 0xff800000, v2, vcc_lo
	v_cmp_eq_u32_e32 vcc_lo, 0, v1
	v_cndmask_b32_e32 v3, 0x7f800001, v2, vcc_lo
; %bb.11987:                            ;   in Loop: Header=BB6_11393 Depth=4
	s_or_b32 exec_lo, exec_lo, s15
.LBB6_11988:                            ;   in Loop: Header=BB6_11393 Depth=4
	s_delay_alu instid0(SALU_CYCLE_1)
	s_or_b32 exec_lo, exec_lo, s14
.LBB6_11989:                            ;   in Loop: Header=BB6_11393 Depth=4
	s_delay_alu instid0(SALU_CYCLE_1) | instskip(NEXT) | instid1(VALU_DEP_1)
	s_or_b32 exec_lo, exec_lo, s13
	v_dual_mul_f32 v2, s75, v3 :: v_dual_mov_b32 v7, v113
                                        ; implicit-def: $vgpr106
	s_mov_b32 s13, exec_lo
	s_delay_alu instid0(VALU_DEP_1) | instskip(SKIP_1) | instid1(VALU_DEP_2)
	v_and_b32_e32 v6, 0x7f800000, v2
	v_and_b32_e32 v112, 0x7fffff, v2
	v_cmpx_ne_u64_e32 0x7f800000, v[6:7]
	s_xor_b32 s14, exec_lo, s13
	s_cbranch_execz .LBB6_12007
; %bb.11990:                            ;   in Loop: Header=BB6_11393 Depth=4
	v_dual_mov_b32 v7, v113 :: v_dual_lshrrev_b32 v1, 24, v2
	v_and_b32_e32 v6, 0x7fffffff, v2
                                        ; implicit-def: $vgpr106
	s_mov_b32 s13, exec_lo
	s_delay_alu instid0(VALU_DEP_2) | instskip(NEXT) | instid1(VALU_DEP_2)
	v_and_b32_e32 v1, 0x80, v1
	v_cmpx_gt_u64_e32 0x47600001, v[6:7]
	s_xor_b32 s15, exec_lo, s13
	s_cbranch_execz .LBB6_12004
; %bb.11991:                            ;   in Loop: Header=BB6_11393 Depth=4
	v_mov_b32_e32 v106, 0
	s_mov_b32 s76, exec_lo
	v_cmpx_ne_u32_e32 0, v2
	s_cbranch_execz .LBB6_12003
; %bb.11992:                            ;   in Loop: Header=BB6_11393 Depth=4
	v_bfe_u32 v5, v2, 23, 8
	v_or_b32_e32 v6, 0x800000, v112
	s_mov_b32 s77, exec_lo
	s_delay_alu instid0(VALU_DEP_2) | instskip(SKIP_1) | instid1(VALU_DEP_2)
	v_dual_mov_b32 v7, v113 :: v_dual_sub_nc_u32 v2, 0x71, v5
	v_cmp_gt_u32_e32 vcc_lo, 0x72, v5
	v_cndmask_b32_e32 v2, 0, v2, vcc_lo
	v_cmp_eq_u32_e32 vcc_lo, 0, v5
	v_cndmask_b32_e32 v6, v6, v112, vcc_lo
	s_delay_alu instid0(VALU_DEP_3) | instskip(NEXT) | instid1(VALU_DEP_1)
	v_cndmask_b32_e64 v14, v2, 0x70, vcc_lo
	v_dual_add_nc_u32 v2, 21, v14 :: v_dual_add_nc_u32 v15, 20, v14
	s_delay_alu instid0(VALU_DEP_1) | instskip(NEXT) | instid1(VALU_DEP_2)
	v_lshlrev_b64_e64 v[2:3], v2, -1
	v_lshlrev_b64_e64 v[16:17], v15, 1
	s_delay_alu instid0(VALU_DEP_2) | instskip(NEXT) | instid1(VALU_DEP_3)
	v_bfi_b32 v19, v3, 0, 0
	v_bfi_b32 v18, v2, 0, v6
	v_lshrrev_b64 v[2:3], v14, v[6:7]
	s_delay_alu instid0(VALU_DEP_1) | instskip(NEXT) | instid1(VALU_DEP_3)
	v_mov_b64_e32 v[6:7], v[2:3]
	v_cmpx_eq_u64_e64 v[18:19], v[16:17]
; %bb.11993:                            ;   in Loop: Header=BB6_11393 Depth=4
	v_bfe_u32 v6, v2, 21, 1
	v_mov_b32_e32 v7, v113
	s_delay_alu instid0(VALU_DEP_1) | instskip(NEXT) | instid1(VALU_DEP_1)
	v_add_nc_u64_e32 v[6:7], v[2:3], v[6:7]
	v_add_nc_u64_e32 v[6:7], -1, v[6:7]
; %bb.11994:                            ;   in Loop: Header=BB6_11393 Depth=4
	s_or_b32 exec_lo, exec_lo, s77
	v_add_nc_u32_e32 v3, 0xffffff81, v5
	s_delay_alu instid0(VALU_DEP_2) | instskip(SKIP_2) | instid1(VALU_DEP_3)
	v_and_b32_e32 v7, 0x1fffff, v6
	v_lshrrev_b32_e32 v5, 23, v2
	s_mov_b32 s13, exec_lo
	v_cndmask_b32_e64 v3, v3, 0xffffff82, vcc_lo
	s_delay_alu instid0(VALU_DEP_3) | instskip(NEXT) | instid1(VALU_DEP_2)
	v_add_nc_u32_e32 v112, v7, v2
	v_add3_u32 v6, v14, v3, v5
                                        ; implicit-def: $vgpr2_vgpr3
                                        ; implicit-def: $vgpr5
	s_delay_alu instid0(VALU_DEP_1) | instskip(NEXT) | instid1(VALU_DEP_1)
	v_add_nc_u32_e32 v7, 14, v6
	v_cmpx_ne_u32_e32 0, v7
	s_xor_b32 s13, exec_lo, s13
; %bb.11995:                            ;   in Loop: Header=BB6_11393 Depth=4
	v_cmp_lt_u64_e32 vcc_lo, 0xffffff, v[112:113]
	v_add_nc_u32_e32 v2, 15, v6
	s_delay_alu instid0(VALU_DEP_1) | instskip(SKIP_1) | instid1(VALU_DEP_1)
	v_cndmask_b32_e32 v5, v7, v2, vcc_lo
	v_cndmask_b32_e64 v2, 0, 1, vcc_lo
	v_lshrrev_b64 v[2:3], v2, v[112:113]
; %bb.11996:                            ;   in Loop: Header=BB6_11393 Depth=4
	s_and_not1_saveexec_b32 s13, s13
; %bb.11997:                            ;   in Loop: Header=BB6_11393 Depth=4
	v_mov_b64_e32 v[2:3], v[112:113]
	v_bfe_u32 v5, v112, 23, 1
; %bb.11998:                            ;   in Loop: Header=BB6_11393 Depth=4
	s_or_b32 exec_lo, exec_lo, s13
	s_delay_alu instid0(VALU_DEP_2) | instskip(NEXT) | instid1(VALU_DEP_2)
	v_lshrrev_b64 v[2:3], 21, v[2:3]
	v_cmp_gt_i32_e32 vcc_lo, 32, v5
	v_cmp_ne_u32_e64 s13, 0, v5
                                        ; implicit-def: $vgpr106
	s_delay_alu instid0(VALU_DEP_3) | instskip(NEXT) | instid1(VALU_DEP_1)
	v_dual_cndmask_b32 v3, 0, v3 :: v_dual_cndmask_b32 v2, 3, v2
	v_cmp_ne_u64_e32 vcc_lo, 0, v[2:3]
	s_or_b32 s13, s13, vcc_lo
	s_delay_alu instid0(SALU_CYCLE_1) | instskip(NEXT) | instid1(SALU_CYCLE_1)
	s_and_saveexec_b32 s77, s13
	s_xor_b32 s13, exec_lo, s77
; %bb.11999:                            ;   in Loop: Header=BB6_11393 Depth=4
	v_min_i32_e32 v3, 31, v5
	s_delay_alu instid0(VALU_DEP_1) | instskip(NEXT) | instid1(VALU_DEP_1)
	v_lshl_or_b32 v1, v3, 2, v1
	v_and_or_b32 v106, v2, 3, v1
                                        ; implicit-def: $vgpr1
; %bb.12000:                            ;   in Loop: Header=BB6_11393 Depth=4
	s_and_not1_saveexec_b32 s13, s13
; %bb.12001:                            ;   in Loop: Header=BB6_11393 Depth=4
	v_mov_b32_e32 v106, v1
; %bb.12002:                            ;   in Loop: Header=BB6_11393 Depth=4
	s_or_b32 exec_lo, exec_lo, s13
.LBB6_12003:                            ;   in Loop: Header=BB6_11393 Depth=4
	s_delay_alu instid0(SALU_CYCLE_1)
	s_or_b32 exec_lo, exec_lo, s76
                                        ; implicit-def: $vgpr1
.LBB6_12004:                            ;   in Loop: Header=BB6_11393 Depth=4
	s_and_not1_saveexec_b32 s13, s15
; %bb.12005:                            ;   in Loop: Header=BB6_11393 Depth=4
	v_or_b32_e32 v106, 0x7b, v1
; %bb.12006:                            ;   in Loop: Header=BB6_11393 Depth=4
	s_or_b32 exec_lo, exec_lo, s13
                                        ; implicit-def: $vgpr2
.LBB6_12007:                            ;   in Loop: Header=BB6_11393 Depth=4
	s_and_not1_saveexec_b32 s13, s14
	s_cbranch_execz .LBB6_12013
; %bb.12008:                            ;   in Loop: Header=BB6_11393 Depth=4
	s_mov_b32 s14, exec_lo
                                        ; implicit-def: $vgpr106
	v_cmpx_ne_u64_e32 0, v[112:113]
	s_xor_b32 s14, exec_lo, s14
; %bb.12009:                            ;   in Loop: Header=BB6_11393 Depth=4
	v_lshrrev_b32_e32 v1, 24, v2
                                        ; implicit-def: $vgpr2
	s_delay_alu instid0(VALU_DEP_1)
	v_or_b32_e32 v106, 0x7f, v1
; %bb.12010:                            ;   in Loop: Header=BB6_11393 Depth=4
	s_and_not1_saveexec_b32 s14, s14
; %bb.12011:                            ;   in Loop: Header=BB6_11393 Depth=4
	v_cmp_lt_i32_e32 vcc_lo, -1, v2
	v_cndmask_b32_e64 v106, -4, 0x7c, vcc_lo
; %bb.12012:                            ;   in Loop: Header=BB6_11393 Depth=4
	s_or_b32 exec_lo, exec_lo, s14
.LBB6_12013:                            ;   in Loop: Header=BB6_11393 Depth=4
	s_delay_alu instid0(SALU_CYCLE_1)
	s_or_b32 exec_lo, exec_lo, s13
	flat_load_i8 v2, v[8:9] offset:576 th:TH_LOAD_NT
	v_mov_b32_e32 v3, 0
	s_mov_b32 s13, exec_lo
	s_wait_loadcnt_dscnt 0x0
	s_wait_xcnt 0x0
	v_cmpx_ne_u16_e32 0, v2
	s_cbranch_execz .LBB6_12023
; %bb.12014:                            ;   in Loop: Header=BB6_11393 Depth=4
	v_bfrev_b32_e32 v3, 1
	s_mov_b32 s14, exec_lo
	v_cmpx_ne_u16_e32 0xff80, v2
	s_cbranch_execz .LBB6_12022
; %bb.12015:                            ;   in Loop: Header=BB6_11393 Depth=4
	v_and_b32_e32 v3, 0x7c, v2
	v_and_b32_e32 v1, 3, v2
	s_delay_alu instid0(VALU_DEP_2) | instskip(SKIP_1) | instid1(SALU_CYCLE_1)
	v_cmp_ne_u32_e32 vcc_lo, 0x7c, v3
                                        ; implicit-def: $vgpr3
	s_and_saveexec_b32 s15, vcc_lo
	s_xor_b32 s15, exec_lo, s15
	s_cbranch_execz .LBB6_12019
; %bb.12016:                            ;   in Loop: Header=BB6_11393 Depth=4
	v_and_b32_e32 v3, 0xff, v2
	s_mov_b32 s76, exec_lo
	s_delay_alu instid0(VALU_DEP_1) | instskip(NEXT) | instid1(VALU_DEP_1)
	v_bfe_u32 v3, v3, 2, 5
	v_cmpx_eq_u32_e32 0, v3
; %bb.12017:                            ;   in Loop: Header=BB6_11393 Depth=4
	v_clz_i32_u32_e32 v1, v1
	v_mov_b32_e32 v3, v113
	s_delay_alu instid0(VALU_DEP_2) | instskip(NEXT) | instid1(VALU_DEP_1)
	v_min_u32_e32 v1, 32, v1
	v_subrev_nc_u32_e32 v5, 29, v1
	s_delay_alu instid0(VALU_DEP_1) | instskip(NEXT) | instid1(VALU_DEP_1)
	v_lshlrev_b64_e32 v[6:7], v5, v[2:3]
	v_dual_sub_nc_u32 v3, 30, v1 :: v_dual_bitop2_b32 v1, 3, v6 bitop3:0x40
; %bb.12018:                            ;   in Loop: Header=BB6_11393 Depth=4
	s_or_b32 exec_lo, exec_lo, s76
	v_bfe_i32 v2, v2, 0, 16
	s_delay_alu instid0(VALU_DEP_1) | instskip(NEXT) | instid1(VALU_DEP_1)
	v_and_b32_e32 v2, 0x80000000, v2
	v_lshl_add_u32 v2, v3, 23, v2
	s_delay_alu instid0(VALU_DEP_1) | instskip(NEXT) | instid1(VALU_DEP_1)
	v_lshl_or_b32 v1, v1, 21, v2
                                        ; implicit-def: $vgpr2
	v_add_nc_u32_e32 v3, 0x38000000, v1
                                        ; implicit-def: $vgpr1
.LBB6_12019:                            ;   in Loop: Header=BB6_11393 Depth=4
	s_and_not1_saveexec_b32 s15, s15
; %bb.12020:                            ;   in Loop: Header=BB6_11393 Depth=4
	v_cmp_lt_i16_e32 vcc_lo, -1, v2
	v_mov_b32_e32 v2, 0x7f800000
	s_delay_alu instid0(VALU_DEP_1) | instskip(SKIP_1) | instid1(VALU_DEP_2)
	v_cndmask_b32_e32 v2, 0xff800000, v2, vcc_lo
	v_cmp_eq_u32_e32 vcc_lo, 0, v1
	v_cndmask_b32_e32 v3, 0x7f800001, v2, vcc_lo
; %bb.12021:                            ;   in Loop: Header=BB6_11393 Depth=4
	s_or_b32 exec_lo, exec_lo, s15
.LBB6_12022:                            ;   in Loop: Header=BB6_11393 Depth=4
	s_delay_alu instid0(SALU_CYCLE_1)
	s_or_b32 exec_lo, exec_lo, s14
.LBB6_12023:                            ;   in Loop: Header=BB6_11393 Depth=4
	s_delay_alu instid0(SALU_CYCLE_1) | instskip(NEXT) | instid1(VALU_DEP_1)
	s_or_b32 exec_lo, exec_lo, s13
	v_dual_mul_f32 v2, s75, v3 :: v_dual_mov_b32 v7, v113
                                        ; implicit-def: $vgpr104
	s_mov_b32 s13, exec_lo
	s_delay_alu instid0(VALU_DEP_1) | instskip(SKIP_1) | instid1(VALU_DEP_2)
	v_and_b32_e32 v6, 0x7f800000, v2
	v_and_b32_e32 v112, 0x7fffff, v2
	v_cmpx_ne_u64_e32 0x7f800000, v[6:7]
	s_xor_b32 s14, exec_lo, s13
	s_cbranch_execz .LBB6_12041
; %bb.12024:                            ;   in Loop: Header=BB6_11393 Depth=4
	v_dual_mov_b32 v7, v113 :: v_dual_lshrrev_b32 v1, 24, v2
	v_and_b32_e32 v6, 0x7fffffff, v2
                                        ; implicit-def: $vgpr104
	s_mov_b32 s13, exec_lo
	s_delay_alu instid0(VALU_DEP_2) | instskip(NEXT) | instid1(VALU_DEP_2)
	v_and_b32_e32 v1, 0x80, v1
	v_cmpx_gt_u64_e32 0x47600001, v[6:7]
	s_xor_b32 s15, exec_lo, s13
	s_cbranch_execz .LBB6_12038
; %bb.12025:                            ;   in Loop: Header=BB6_11393 Depth=4
	v_mov_b32_e32 v104, 0
	s_mov_b32 s76, exec_lo
	v_cmpx_ne_u32_e32 0, v2
	s_cbranch_execz .LBB6_12037
; %bb.12026:                            ;   in Loop: Header=BB6_11393 Depth=4
	v_bfe_u32 v5, v2, 23, 8
	v_or_b32_e32 v6, 0x800000, v112
	s_mov_b32 s77, exec_lo
	s_delay_alu instid0(VALU_DEP_2) | instskip(SKIP_1) | instid1(VALU_DEP_2)
	v_dual_mov_b32 v7, v113 :: v_dual_sub_nc_u32 v2, 0x71, v5
	v_cmp_gt_u32_e32 vcc_lo, 0x72, v5
	v_cndmask_b32_e32 v2, 0, v2, vcc_lo
	v_cmp_eq_u32_e32 vcc_lo, 0, v5
	v_cndmask_b32_e32 v6, v6, v112, vcc_lo
	s_delay_alu instid0(VALU_DEP_3) | instskip(NEXT) | instid1(VALU_DEP_1)
	v_cndmask_b32_e64 v14, v2, 0x70, vcc_lo
	v_dual_add_nc_u32 v2, 21, v14 :: v_dual_add_nc_u32 v15, 20, v14
	s_delay_alu instid0(VALU_DEP_1) | instskip(NEXT) | instid1(VALU_DEP_2)
	v_lshlrev_b64_e64 v[2:3], v2, -1
	v_lshlrev_b64_e64 v[16:17], v15, 1
	s_delay_alu instid0(VALU_DEP_2) | instskip(NEXT) | instid1(VALU_DEP_3)
	v_bfi_b32 v19, v3, 0, 0
	v_bfi_b32 v18, v2, 0, v6
	v_lshrrev_b64 v[2:3], v14, v[6:7]
	s_delay_alu instid0(VALU_DEP_1) | instskip(NEXT) | instid1(VALU_DEP_3)
	v_mov_b64_e32 v[6:7], v[2:3]
	v_cmpx_eq_u64_e64 v[18:19], v[16:17]
; %bb.12027:                            ;   in Loop: Header=BB6_11393 Depth=4
	v_bfe_u32 v6, v2, 21, 1
	v_mov_b32_e32 v7, v113
	s_delay_alu instid0(VALU_DEP_1) | instskip(NEXT) | instid1(VALU_DEP_1)
	v_add_nc_u64_e32 v[6:7], v[2:3], v[6:7]
	v_add_nc_u64_e32 v[6:7], -1, v[6:7]
; %bb.12028:                            ;   in Loop: Header=BB6_11393 Depth=4
	s_or_b32 exec_lo, exec_lo, s77
	v_add_nc_u32_e32 v3, 0xffffff81, v5
	s_delay_alu instid0(VALU_DEP_2) | instskip(SKIP_2) | instid1(VALU_DEP_3)
	v_and_b32_e32 v7, 0x1fffff, v6
	v_lshrrev_b32_e32 v5, 23, v2
	s_mov_b32 s13, exec_lo
	v_cndmask_b32_e64 v3, v3, 0xffffff82, vcc_lo
	s_delay_alu instid0(VALU_DEP_3) | instskip(NEXT) | instid1(VALU_DEP_2)
	v_add_nc_u32_e32 v112, v7, v2
	v_add3_u32 v6, v14, v3, v5
                                        ; implicit-def: $vgpr2_vgpr3
                                        ; implicit-def: $vgpr5
	s_delay_alu instid0(VALU_DEP_1) | instskip(NEXT) | instid1(VALU_DEP_1)
	v_add_nc_u32_e32 v7, 14, v6
	v_cmpx_ne_u32_e32 0, v7
	s_xor_b32 s13, exec_lo, s13
; %bb.12029:                            ;   in Loop: Header=BB6_11393 Depth=4
	v_cmp_lt_u64_e32 vcc_lo, 0xffffff, v[112:113]
	v_add_nc_u32_e32 v2, 15, v6
	s_delay_alu instid0(VALU_DEP_1) | instskip(SKIP_1) | instid1(VALU_DEP_1)
	v_cndmask_b32_e32 v5, v7, v2, vcc_lo
	v_cndmask_b32_e64 v2, 0, 1, vcc_lo
	v_lshrrev_b64 v[2:3], v2, v[112:113]
; %bb.12030:                            ;   in Loop: Header=BB6_11393 Depth=4
	s_and_not1_saveexec_b32 s13, s13
; %bb.12031:                            ;   in Loop: Header=BB6_11393 Depth=4
	v_mov_b64_e32 v[2:3], v[112:113]
	v_bfe_u32 v5, v112, 23, 1
; %bb.12032:                            ;   in Loop: Header=BB6_11393 Depth=4
	s_or_b32 exec_lo, exec_lo, s13
	s_delay_alu instid0(VALU_DEP_2) | instskip(NEXT) | instid1(VALU_DEP_2)
	v_lshrrev_b64 v[2:3], 21, v[2:3]
	v_cmp_gt_i32_e32 vcc_lo, 32, v5
	v_cmp_ne_u32_e64 s13, 0, v5
                                        ; implicit-def: $vgpr104
	s_delay_alu instid0(VALU_DEP_3) | instskip(NEXT) | instid1(VALU_DEP_1)
	v_dual_cndmask_b32 v3, 0, v3 :: v_dual_cndmask_b32 v2, 3, v2
	v_cmp_ne_u64_e32 vcc_lo, 0, v[2:3]
	s_or_b32 s13, s13, vcc_lo
	s_delay_alu instid0(SALU_CYCLE_1) | instskip(NEXT) | instid1(SALU_CYCLE_1)
	s_and_saveexec_b32 s77, s13
	s_xor_b32 s13, exec_lo, s77
; %bb.12033:                            ;   in Loop: Header=BB6_11393 Depth=4
	v_min_i32_e32 v3, 31, v5
	s_delay_alu instid0(VALU_DEP_1) | instskip(NEXT) | instid1(VALU_DEP_1)
	v_lshl_or_b32 v1, v3, 2, v1
	v_and_or_b32 v104, v2, 3, v1
                                        ; implicit-def: $vgpr1
; %bb.12034:                            ;   in Loop: Header=BB6_11393 Depth=4
	s_and_not1_saveexec_b32 s13, s13
; %bb.12035:                            ;   in Loop: Header=BB6_11393 Depth=4
	v_mov_b32_e32 v104, v1
; %bb.12036:                            ;   in Loop: Header=BB6_11393 Depth=4
	s_or_b32 exec_lo, exec_lo, s13
.LBB6_12037:                            ;   in Loop: Header=BB6_11393 Depth=4
	s_delay_alu instid0(SALU_CYCLE_1)
	s_or_b32 exec_lo, exec_lo, s76
                                        ; implicit-def: $vgpr1
.LBB6_12038:                            ;   in Loop: Header=BB6_11393 Depth=4
	s_and_not1_saveexec_b32 s13, s15
; %bb.12039:                            ;   in Loop: Header=BB6_11393 Depth=4
	v_or_b32_e32 v104, 0x7b, v1
; %bb.12040:                            ;   in Loop: Header=BB6_11393 Depth=4
	s_or_b32 exec_lo, exec_lo, s13
                                        ; implicit-def: $vgpr2
.LBB6_12041:                            ;   in Loop: Header=BB6_11393 Depth=4
	s_and_not1_saveexec_b32 s13, s14
	s_cbranch_execz .LBB6_12047
; %bb.12042:                            ;   in Loop: Header=BB6_11393 Depth=4
	s_mov_b32 s14, exec_lo
                                        ; implicit-def: $vgpr104
	v_cmpx_ne_u64_e32 0, v[112:113]
	s_xor_b32 s14, exec_lo, s14
; %bb.12043:                            ;   in Loop: Header=BB6_11393 Depth=4
	v_lshrrev_b32_e32 v1, 24, v2
                                        ; implicit-def: $vgpr2
	s_delay_alu instid0(VALU_DEP_1)
	v_or_b32_e32 v104, 0x7f, v1
; %bb.12044:                            ;   in Loop: Header=BB6_11393 Depth=4
	s_and_not1_saveexec_b32 s14, s14
; %bb.12045:                            ;   in Loop: Header=BB6_11393 Depth=4
	v_cmp_lt_i32_e32 vcc_lo, -1, v2
	v_cndmask_b32_e64 v104, -4, 0x7c, vcc_lo
; %bb.12046:                            ;   in Loop: Header=BB6_11393 Depth=4
	s_or_b32 exec_lo, exec_lo, s14
.LBB6_12047:                            ;   in Loop: Header=BB6_11393 Depth=4
	s_delay_alu instid0(SALU_CYCLE_1)
	s_or_b32 exec_lo, exec_lo, s13
	flat_load_i8 v2, v[8:9] offset:608 th:TH_LOAD_NT
	v_mov_b32_e32 v3, 0
	s_mov_b32 s13, exec_lo
	s_wait_loadcnt_dscnt 0x0
	s_wait_xcnt 0x0
	v_cmpx_ne_u16_e32 0, v2
	s_cbranch_execz .LBB6_12057
; %bb.12048:                            ;   in Loop: Header=BB6_11393 Depth=4
	v_bfrev_b32_e32 v3, 1
	s_mov_b32 s14, exec_lo
	v_cmpx_ne_u16_e32 0xff80, v2
	s_cbranch_execz .LBB6_12056
; %bb.12049:                            ;   in Loop: Header=BB6_11393 Depth=4
	v_and_b32_e32 v3, 0x7c, v2
	v_and_b32_e32 v1, 3, v2
	s_delay_alu instid0(VALU_DEP_2) | instskip(SKIP_1) | instid1(SALU_CYCLE_1)
	v_cmp_ne_u32_e32 vcc_lo, 0x7c, v3
                                        ; implicit-def: $vgpr3
	s_and_saveexec_b32 s15, vcc_lo
	s_xor_b32 s15, exec_lo, s15
	s_cbranch_execz .LBB6_12053
; %bb.12050:                            ;   in Loop: Header=BB6_11393 Depth=4
	v_and_b32_e32 v3, 0xff, v2
	s_mov_b32 s76, exec_lo
	s_delay_alu instid0(VALU_DEP_1) | instskip(NEXT) | instid1(VALU_DEP_1)
	v_bfe_u32 v3, v3, 2, 5
	v_cmpx_eq_u32_e32 0, v3
; %bb.12051:                            ;   in Loop: Header=BB6_11393 Depth=4
	v_clz_i32_u32_e32 v1, v1
	v_mov_b32_e32 v3, v113
	s_delay_alu instid0(VALU_DEP_2) | instskip(NEXT) | instid1(VALU_DEP_1)
	v_min_u32_e32 v1, 32, v1
	v_subrev_nc_u32_e32 v5, 29, v1
	s_delay_alu instid0(VALU_DEP_1) | instskip(NEXT) | instid1(VALU_DEP_1)
	v_lshlrev_b64_e32 v[6:7], v5, v[2:3]
	v_dual_sub_nc_u32 v3, 30, v1 :: v_dual_bitop2_b32 v1, 3, v6 bitop3:0x40
; %bb.12052:                            ;   in Loop: Header=BB6_11393 Depth=4
	s_or_b32 exec_lo, exec_lo, s76
	v_bfe_i32 v2, v2, 0, 16
	s_delay_alu instid0(VALU_DEP_1) | instskip(NEXT) | instid1(VALU_DEP_1)
	v_and_b32_e32 v2, 0x80000000, v2
	v_lshl_add_u32 v2, v3, 23, v2
	s_delay_alu instid0(VALU_DEP_1) | instskip(NEXT) | instid1(VALU_DEP_1)
	v_lshl_or_b32 v1, v1, 21, v2
                                        ; implicit-def: $vgpr2
	v_add_nc_u32_e32 v3, 0x38000000, v1
                                        ; implicit-def: $vgpr1
.LBB6_12053:                            ;   in Loop: Header=BB6_11393 Depth=4
	s_and_not1_saveexec_b32 s15, s15
; %bb.12054:                            ;   in Loop: Header=BB6_11393 Depth=4
	v_cmp_lt_i16_e32 vcc_lo, -1, v2
	v_mov_b32_e32 v2, 0x7f800000
	s_delay_alu instid0(VALU_DEP_1) | instskip(SKIP_1) | instid1(VALU_DEP_2)
	v_cndmask_b32_e32 v2, 0xff800000, v2, vcc_lo
	v_cmp_eq_u32_e32 vcc_lo, 0, v1
	v_cndmask_b32_e32 v3, 0x7f800001, v2, vcc_lo
; %bb.12055:                            ;   in Loop: Header=BB6_11393 Depth=4
	s_or_b32 exec_lo, exec_lo, s15
.LBB6_12056:                            ;   in Loop: Header=BB6_11393 Depth=4
	s_delay_alu instid0(SALU_CYCLE_1)
	s_or_b32 exec_lo, exec_lo, s14
.LBB6_12057:                            ;   in Loop: Header=BB6_11393 Depth=4
	s_delay_alu instid0(SALU_CYCLE_1) | instskip(NEXT) | instid1(VALU_DEP_1)
	s_or_b32 exec_lo, exec_lo, s13
	v_dual_mul_f32 v2, s75, v3 :: v_dual_mov_b32 v7, v113
                                        ; implicit-def: $vgpr92
	s_mov_b32 s13, exec_lo
	s_delay_alu instid0(VALU_DEP_1) | instskip(SKIP_1) | instid1(VALU_DEP_2)
	v_and_b32_e32 v6, 0x7f800000, v2
	v_and_b32_e32 v112, 0x7fffff, v2
	v_cmpx_ne_u64_e32 0x7f800000, v[6:7]
	s_xor_b32 s14, exec_lo, s13
	s_cbranch_execz .LBB6_12075
; %bb.12058:                            ;   in Loop: Header=BB6_11393 Depth=4
	v_dual_mov_b32 v7, v113 :: v_dual_lshrrev_b32 v1, 24, v2
	v_and_b32_e32 v6, 0x7fffffff, v2
                                        ; implicit-def: $vgpr92
	s_mov_b32 s13, exec_lo
	s_delay_alu instid0(VALU_DEP_2) | instskip(NEXT) | instid1(VALU_DEP_2)
	v_and_b32_e32 v1, 0x80, v1
	v_cmpx_gt_u64_e32 0x47600001, v[6:7]
	s_xor_b32 s15, exec_lo, s13
	s_cbranch_execz .LBB6_12072
; %bb.12059:                            ;   in Loop: Header=BB6_11393 Depth=4
	v_mov_b32_e32 v92, 0
	s_mov_b32 s76, exec_lo
	v_cmpx_ne_u32_e32 0, v2
	s_cbranch_execz .LBB6_12071
; %bb.12060:                            ;   in Loop: Header=BB6_11393 Depth=4
	v_bfe_u32 v5, v2, 23, 8
	v_or_b32_e32 v6, 0x800000, v112
	s_mov_b32 s77, exec_lo
	s_delay_alu instid0(VALU_DEP_2) | instskip(SKIP_1) | instid1(VALU_DEP_2)
	v_dual_mov_b32 v7, v113 :: v_dual_sub_nc_u32 v2, 0x71, v5
	v_cmp_gt_u32_e32 vcc_lo, 0x72, v5
	v_cndmask_b32_e32 v2, 0, v2, vcc_lo
	v_cmp_eq_u32_e32 vcc_lo, 0, v5
	v_cndmask_b32_e32 v6, v6, v112, vcc_lo
	s_delay_alu instid0(VALU_DEP_3) | instskip(NEXT) | instid1(VALU_DEP_1)
	v_cndmask_b32_e64 v14, v2, 0x70, vcc_lo
	v_dual_add_nc_u32 v2, 21, v14 :: v_dual_add_nc_u32 v15, 20, v14
	s_delay_alu instid0(VALU_DEP_1) | instskip(NEXT) | instid1(VALU_DEP_2)
	v_lshlrev_b64_e64 v[2:3], v2, -1
	v_lshlrev_b64_e64 v[16:17], v15, 1
	s_delay_alu instid0(VALU_DEP_2) | instskip(NEXT) | instid1(VALU_DEP_3)
	v_bfi_b32 v19, v3, 0, 0
	v_bfi_b32 v18, v2, 0, v6
	v_lshrrev_b64 v[2:3], v14, v[6:7]
	s_delay_alu instid0(VALU_DEP_1) | instskip(NEXT) | instid1(VALU_DEP_3)
	v_mov_b64_e32 v[6:7], v[2:3]
	v_cmpx_eq_u64_e64 v[18:19], v[16:17]
; %bb.12061:                            ;   in Loop: Header=BB6_11393 Depth=4
	v_bfe_u32 v6, v2, 21, 1
	v_mov_b32_e32 v7, v113
	s_delay_alu instid0(VALU_DEP_1) | instskip(NEXT) | instid1(VALU_DEP_1)
	v_add_nc_u64_e32 v[6:7], v[2:3], v[6:7]
	v_add_nc_u64_e32 v[6:7], -1, v[6:7]
; %bb.12062:                            ;   in Loop: Header=BB6_11393 Depth=4
	s_or_b32 exec_lo, exec_lo, s77
	v_add_nc_u32_e32 v3, 0xffffff81, v5
	s_delay_alu instid0(VALU_DEP_2) | instskip(SKIP_2) | instid1(VALU_DEP_3)
	v_and_b32_e32 v7, 0x1fffff, v6
	v_lshrrev_b32_e32 v5, 23, v2
	s_mov_b32 s13, exec_lo
	v_cndmask_b32_e64 v3, v3, 0xffffff82, vcc_lo
	s_delay_alu instid0(VALU_DEP_3) | instskip(NEXT) | instid1(VALU_DEP_2)
	v_add_nc_u32_e32 v112, v7, v2
	v_add3_u32 v6, v14, v3, v5
                                        ; implicit-def: $vgpr2_vgpr3
                                        ; implicit-def: $vgpr5
	s_delay_alu instid0(VALU_DEP_1) | instskip(NEXT) | instid1(VALU_DEP_1)
	v_add_nc_u32_e32 v7, 14, v6
	v_cmpx_ne_u32_e32 0, v7
	s_xor_b32 s13, exec_lo, s13
; %bb.12063:                            ;   in Loop: Header=BB6_11393 Depth=4
	v_cmp_lt_u64_e32 vcc_lo, 0xffffff, v[112:113]
	v_add_nc_u32_e32 v2, 15, v6
	s_delay_alu instid0(VALU_DEP_1) | instskip(SKIP_1) | instid1(VALU_DEP_1)
	v_cndmask_b32_e32 v5, v7, v2, vcc_lo
	v_cndmask_b32_e64 v2, 0, 1, vcc_lo
	v_lshrrev_b64 v[2:3], v2, v[112:113]
; %bb.12064:                            ;   in Loop: Header=BB6_11393 Depth=4
	s_and_not1_saveexec_b32 s13, s13
; %bb.12065:                            ;   in Loop: Header=BB6_11393 Depth=4
	v_mov_b64_e32 v[2:3], v[112:113]
	v_bfe_u32 v5, v112, 23, 1
; %bb.12066:                            ;   in Loop: Header=BB6_11393 Depth=4
	s_or_b32 exec_lo, exec_lo, s13
	s_delay_alu instid0(VALU_DEP_2) | instskip(NEXT) | instid1(VALU_DEP_2)
	v_lshrrev_b64 v[2:3], 21, v[2:3]
	v_cmp_gt_i32_e32 vcc_lo, 32, v5
	v_cmp_ne_u32_e64 s13, 0, v5
                                        ; implicit-def: $vgpr92
	s_delay_alu instid0(VALU_DEP_3) | instskip(NEXT) | instid1(VALU_DEP_1)
	v_dual_cndmask_b32 v3, 0, v3 :: v_dual_cndmask_b32 v2, 3, v2
	v_cmp_ne_u64_e32 vcc_lo, 0, v[2:3]
	s_or_b32 s13, s13, vcc_lo
	s_delay_alu instid0(SALU_CYCLE_1) | instskip(NEXT) | instid1(SALU_CYCLE_1)
	s_and_saveexec_b32 s77, s13
	s_xor_b32 s13, exec_lo, s77
; %bb.12067:                            ;   in Loop: Header=BB6_11393 Depth=4
	v_min_i32_e32 v3, 31, v5
	s_delay_alu instid0(VALU_DEP_1) | instskip(NEXT) | instid1(VALU_DEP_1)
	v_lshl_or_b32 v1, v3, 2, v1
	v_and_or_b32 v92, v2, 3, v1
                                        ; implicit-def: $vgpr1
; %bb.12068:                            ;   in Loop: Header=BB6_11393 Depth=4
	s_and_not1_saveexec_b32 s13, s13
; %bb.12069:                            ;   in Loop: Header=BB6_11393 Depth=4
	v_mov_b32_e32 v92, v1
; %bb.12070:                            ;   in Loop: Header=BB6_11393 Depth=4
	s_or_b32 exec_lo, exec_lo, s13
.LBB6_12071:                            ;   in Loop: Header=BB6_11393 Depth=4
	s_delay_alu instid0(SALU_CYCLE_1)
	s_or_b32 exec_lo, exec_lo, s76
                                        ; implicit-def: $vgpr1
.LBB6_12072:                            ;   in Loop: Header=BB6_11393 Depth=4
	s_and_not1_saveexec_b32 s13, s15
; %bb.12073:                            ;   in Loop: Header=BB6_11393 Depth=4
	v_or_b32_e32 v92, 0x7b, v1
; %bb.12074:                            ;   in Loop: Header=BB6_11393 Depth=4
	s_or_b32 exec_lo, exec_lo, s13
                                        ; implicit-def: $vgpr2
.LBB6_12075:                            ;   in Loop: Header=BB6_11393 Depth=4
	s_and_not1_saveexec_b32 s13, s14
	s_cbranch_execz .LBB6_12081
; %bb.12076:                            ;   in Loop: Header=BB6_11393 Depth=4
	s_mov_b32 s14, exec_lo
                                        ; implicit-def: $vgpr92
	v_cmpx_ne_u64_e32 0, v[112:113]
	s_xor_b32 s14, exec_lo, s14
; %bb.12077:                            ;   in Loop: Header=BB6_11393 Depth=4
	v_lshrrev_b32_e32 v1, 24, v2
                                        ; implicit-def: $vgpr2
	s_delay_alu instid0(VALU_DEP_1)
	v_or_b32_e32 v92, 0x7f, v1
; %bb.12078:                            ;   in Loop: Header=BB6_11393 Depth=4
	s_and_not1_saveexec_b32 s14, s14
; %bb.12079:                            ;   in Loop: Header=BB6_11393 Depth=4
	v_cmp_lt_i32_e32 vcc_lo, -1, v2
	v_cndmask_b32_e64 v92, -4, 0x7c, vcc_lo
; %bb.12080:                            ;   in Loop: Header=BB6_11393 Depth=4
	s_or_b32 exec_lo, exec_lo, s14
.LBB6_12081:                            ;   in Loop: Header=BB6_11393 Depth=4
	s_delay_alu instid0(SALU_CYCLE_1)
	s_or_b32 exec_lo, exec_lo, s13
	flat_load_i8 v2, v[8:9] offset:640 th:TH_LOAD_NT
	v_mov_b32_e32 v3, 0
	s_mov_b32 s13, exec_lo
	s_wait_loadcnt_dscnt 0x0
	s_wait_xcnt 0x0
	v_cmpx_ne_u16_e32 0, v2
	s_cbranch_execz .LBB6_12091
; %bb.12082:                            ;   in Loop: Header=BB6_11393 Depth=4
	v_bfrev_b32_e32 v3, 1
	s_mov_b32 s14, exec_lo
	v_cmpx_ne_u16_e32 0xff80, v2
	s_cbranch_execz .LBB6_12090
; %bb.12083:                            ;   in Loop: Header=BB6_11393 Depth=4
	v_and_b32_e32 v3, 0x7c, v2
	v_and_b32_e32 v1, 3, v2
	s_delay_alu instid0(VALU_DEP_2) | instskip(SKIP_1) | instid1(SALU_CYCLE_1)
	v_cmp_ne_u32_e32 vcc_lo, 0x7c, v3
                                        ; implicit-def: $vgpr3
	s_and_saveexec_b32 s15, vcc_lo
	s_xor_b32 s15, exec_lo, s15
	s_cbranch_execz .LBB6_12087
; %bb.12084:                            ;   in Loop: Header=BB6_11393 Depth=4
	v_and_b32_e32 v3, 0xff, v2
	s_mov_b32 s76, exec_lo
	s_delay_alu instid0(VALU_DEP_1) | instskip(NEXT) | instid1(VALU_DEP_1)
	v_bfe_u32 v3, v3, 2, 5
	v_cmpx_eq_u32_e32 0, v3
; %bb.12085:                            ;   in Loop: Header=BB6_11393 Depth=4
	v_clz_i32_u32_e32 v1, v1
	v_mov_b32_e32 v3, v113
	s_delay_alu instid0(VALU_DEP_2) | instskip(NEXT) | instid1(VALU_DEP_1)
	v_min_u32_e32 v1, 32, v1
	v_subrev_nc_u32_e32 v5, 29, v1
	s_delay_alu instid0(VALU_DEP_1) | instskip(NEXT) | instid1(VALU_DEP_1)
	v_lshlrev_b64_e32 v[6:7], v5, v[2:3]
	v_dual_sub_nc_u32 v3, 30, v1 :: v_dual_bitop2_b32 v1, 3, v6 bitop3:0x40
; %bb.12086:                            ;   in Loop: Header=BB6_11393 Depth=4
	s_or_b32 exec_lo, exec_lo, s76
	v_bfe_i32 v2, v2, 0, 16
	s_delay_alu instid0(VALU_DEP_1) | instskip(NEXT) | instid1(VALU_DEP_1)
	v_and_b32_e32 v2, 0x80000000, v2
	v_lshl_add_u32 v2, v3, 23, v2
	s_delay_alu instid0(VALU_DEP_1) | instskip(NEXT) | instid1(VALU_DEP_1)
	v_lshl_or_b32 v1, v1, 21, v2
                                        ; implicit-def: $vgpr2
	v_add_nc_u32_e32 v3, 0x38000000, v1
                                        ; implicit-def: $vgpr1
.LBB6_12087:                            ;   in Loop: Header=BB6_11393 Depth=4
	s_and_not1_saveexec_b32 s15, s15
; %bb.12088:                            ;   in Loop: Header=BB6_11393 Depth=4
	v_cmp_lt_i16_e32 vcc_lo, -1, v2
	v_mov_b32_e32 v2, 0x7f800000
	s_delay_alu instid0(VALU_DEP_1) | instskip(SKIP_1) | instid1(VALU_DEP_2)
	v_cndmask_b32_e32 v2, 0xff800000, v2, vcc_lo
	v_cmp_eq_u32_e32 vcc_lo, 0, v1
	v_cndmask_b32_e32 v3, 0x7f800001, v2, vcc_lo
; %bb.12089:                            ;   in Loop: Header=BB6_11393 Depth=4
	s_or_b32 exec_lo, exec_lo, s15
.LBB6_12090:                            ;   in Loop: Header=BB6_11393 Depth=4
	s_delay_alu instid0(SALU_CYCLE_1)
	s_or_b32 exec_lo, exec_lo, s14
.LBB6_12091:                            ;   in Loop: Header=BB6_11393 Depth=4
	s_delay_alu instid0(SALU_CYCLE_1) | instskip(NEXT) | instid1(VALU_DEP_1)
	s_or_b32 exec_lo, exec_lo, s13
	v_dual_mul_f32 v2, s75, v3 :: v_dual_mov_b32 v7, v113
                                        ; implicit-def: $vgpr90
	s_mov_b32 s13, exec_lo
	s_delay_alu instid0(VALU_DEP_1) | instskip(SKIP_1) | instid1(VALU_DEP_2)
	v_and_b32_e32 v6, 0x7f800000, v2
	v_and_b32_e32 v112, 0x7fffff, v2
	v_cmpx_ne_u64_e32 0x7f800000, v[6:7]
	s_xor_b32 s14, exec_lo, s13
	s_cbranch_execz .LBB6_12109
; %bb.12092:                            ;   in Loop: Header=BB6_11393 Depth=4
	v_dual_mov_b32 v7, v113 :: v_dual_lshrrev_b32 v1, 24, v2
	v_and_b32_e32 v6, 0x7fffffff, v2
                                        ; implicit-def: $vgpr90
	s_mov_b32 s13, exec_lo
	s_delay_alu instid0(VALU_DEP_2) | instskip(NEXT) | instid1(VALU_DEP_2)
	v_and_b32_e32 v1, 0x80, v1
	v_cmpx_gt_u64_e32 0x47600001, v[6:7]
	s_xor_b32 s15, exec_lo, s13
	s_cbranch_execz .LBB6_12106
; %bb.12093:                            ;   in Loop: Header=BB6_11393 Depth=4
	v_mov_b32_e32 v90, 0
	s_mov_b32 s76, exec_lo
	v_cmpx_ne_u32_e32 0, v2
	s_cbranch_execz .LBB6_12105
; %bb.12094:                            ;   in Loop: Header=BB6_11393 Depth=4
	v_bfe_u32 v5, v2, 23, 8
	v_or_b32_e32 v6, 0x800000, v112
	s_mov_b32 s77, exec_lo
	s_delay_alu instid0(VALU_DEP_2) | instskip(SKIP_1) | instid1(VALU_DEP_2)
	v_dual_mov_b32 v7, v113 :: v_dual_sub_nc_u32 v2, 0x71, v5
	v_cmp_gt_u32_e32 vcc_lo, 0x72, v5
	v_cndmask_b32_e32 v2, 0, v2, vcc_lo
	v_cmp_eq_u32_e32 vcc_lo, 0, v5
	v_cndmask_b32_e32 v6, v6, v112, vcc_lo
	s_delay_alu instid0(VALU_DEP_3) | instskip(NEXT) | instid1(VALU_DEP_1)
	v_cndmask_b32_e64 v14, v2, 0x70, vcc_lo
	v_dual_add_nc_u32 v2, 21, v14 :: v_dual_add_nc_u32 v15, 20, v14
	s_delay_alu instid0(VALU_DEP_1) | instskip(NEXT) | instid1(VALU_DEP_2)
	v_lshlrev_b64_e64 v[2:3], v2, -1
	v_lshlrev_b64_e64 v[16:17], v15, 1
	s_delay_alu instid0(VALU_DEP_2) | instskip(NEXT) | instid1(VALU_DEP_3)
	v_bfi_b32 v19, v3, 0, 0
	v_bfi_b32 v18, v2, 0, v6
	v_lshrrev_b64 v[2:3], v14, v[6:7]
	s_delay_alu instid0(VALU_DEP_1) | instskip(NEXT) | instid1(VALU_DEP_3)
	v_mov_b64_e32 v[6:7], v[2:3]
	v_cmpx_eq_u64_e64 v[18:19], v[16:17]
; %bb.12095:                            ;   in Loop: Header=BB6_11393 Depth=4
	v_bfe_u32 v6, v2, 21, 1
	v_mov_b32_e32 v7, v113
	s_delay_alu instid0(VALU_DEP_1) | instskip(NEXT) | instid1(VALU_DEP_1)
	v_add_nc_u64_e32 v[6:7], v[2:3], v[6:7]
	v_add_nc_u64_e32 v[6:7], -1, v[6:7]
; %bb.12096:                            ;   in Loop: Header=BB6_11393 Depth=4
	s_or_b32 exec_lo, exec_lo, s77
	v_add_nc_u32_e32 v3, 0xffffff81, v5
	s_delay_alu instid0(VALU_DEP_2) | instskip(SKIP_2) | instid1(VALU_DEP_3)
	v_and_b32_e32 v7, 0x1fffff, v6
	v_lshrrev_b32_e32 v5, 23, v2
	s_mov_b32 s13, exec_lo
	v_cndmask_b32_e64 v3, v3, 0xffffff82, vcc_lo
	s_delay_alu instid0(VALU_DEP_3) | instskip(NEXT) | instid1(VALU_DEP_2)
	v_add_nc_u32_e32 v112, v7, v2
	v_add3_u32 v6, v14, v3, v5
                                        ; implicit-def: $vgpr2_vgpr3
                                        ; implicit-def: $vgpr5
	s_delay_alu instid0(VALU_DEP_1) | instskip(NEXT) | instid1(VALU_DEP_1)
	v_add_nc_u32_e32 v7, 14, v6
	v_cmpx_ne_u32_e32 0, v7
	s_xor_b32 s13, exec_lo, s13
; %bb.12097:                            ;   in Loop: Header=BB6_11393 Depth=4
	v_cmp_lt_u64_e32 vcc_lo, 0xffffff, v[112:113]
	v_add_nc_u32_e32 v2, 15, v6
	s_delay_alu instid0(VALU_DEP_1) | instskip(SKIP_1) | instid1(VALU_DEP_1)
	v_cndmask_b32_e32 v5, v7, v2, vcc_lo
	v_cndmask_b32_e64 v2, 0, 1, vcc_lo
	v_lshrrev_b64 v[2:3], v2, v[112:113]
; %bb.12098:                            ;   in Loop: Header=BB6_11393 Depth=4
	s_and_not1_saveexec_b32 s13, s13
; %bb.12099:                            ;   in Loop: Header=BB6_11393 Depth=4
	v_mov_b64_e32 v[2:3], v[112:113]
	v_bfe_u32 v5, v112, 23, 1
; %bb.12100:                            ;   in Loop: Header=BB6_11393 Depth=4
	s_or_b32 exec_lo, exec_lo, s13
	s_delay_alu instid0(VALU_DEP_2) | instskip(NEXT) | instid1(VALU_DEP_2)
	v_lshrrev_b64 v[2:3], 21, v[2:3]
	v_cmp_gt_i32_e32 vcc_lo, 32, v5
	v_cmp_ne_u32_e64 s13, 0, v5
                                        ; implicit-def: $vgpr90
	s_delay_alu instid0(VALU_DEP_3) | instskip(NEXT) | instid1(VALU_DEP_1)
	v_dual_cndmask_b32 v3, 0, v3 :: v_dual_cndmask_b32 v2, 3, v2
	v_cmp_ne_u64_e32 vcc_lo, 0, v[2:3]
	s_or_b32 s13, s13, vcc_lo
	s_delay_alu instid0(SALU_CYCLE_1) | instskip(NEXT) | instid1(SALU_CYCLE_1)
	s_and_saveexec_b32 s77, s13
	s_xor_b32 s13, exec_lo, s77
; %bb.12101:                            ;   in Loop: Header=BB6_11393 Depth=4
	v_min_i32_e32 v3, 31, v5
	s_delay_alu instid0(VALU_DEP_1) | instskip(NEXT) | instid1(VALU_DEP_1)
	v_lshl_or_b32 v1, v3, 2, v1
	v_and_or_b32 v90, v2, 3, v1
                                        ; implicit-def: $vgpr1
; %bb.12102:                            ;   in Loop: Header=BB6_11393 Depth=4
	s_and_not1_saveexec_b32 s13, s13
; %bb.12103:                            ;   in Loop: Header=BB6_11393 Depth=4
	v_mov_b32_e32 v90, v1
; %bb.12104:                            ;   in Loop: Header=BB6_11393 Depth=4
	s_or_b32 exec_lo, exec_lo, s13
.LBB6_12105:                            ;   in Loop: Header=BB6_11393 Depth=4
	s_delay_alu instid0(SALU_CYCLE_1)
	s_or_b32 exec_lo, exec_lo, s76
                                        ; implicit-def: $vgpr1
.LBB6_12106:                            ;   in Loop: Header=BB6_11393 Depth=4
	s_and_not1_saveexec_b32 s13, s15
; %bb.12107:                            ;   in Loop: Header=BB6_11393 Depth=4
	v_or_b32_e32 v90, 0x7b, v1
; %bb.12108:                            ;   in Loop: Header=BB6_11393 Depth=4
	s_or_b32 exec_lo, exec_lo, s13
                                        ; implicit-def: $vgpr2
.LBB6_12109:                            ;   in Loop: Header=BB6_11393 Depth=4
	s_and_not1_saveexec_b32 s13, s14
	s_cbranch_execz .LBB6_12115
; %bb.12110:                            ;   in Loop: Header=BB6_11393 Depth=4
	s_mov_b32 s14, exec_lo
                                        ; implicit-def: $vgpr90
	v_cmpx_ne_u64_e32 0, v[112:113]
	s_xor_b32 s14, exec_lo, s14
; %bb.12111:                            ;   in Loop: Header=BB6_11393 Depth=4
	v_lshrrev_b32_e32 v1, 24, v2
                                        ; implicit-def: $vgpr2
	s_delay_alu instid0(VALU_DEP_1)
	v_or_b32_e32 v90, 0x7f, v1
; %bb.12112:                            ;   in Loop: Header=BB6_11393 Depth=4
	s_and_not1_saveexec_b32 s14, s14
; %bb.12113:                            ;   in Loop: Header=BB6_11393 Depth=4
	v_cmp_lt_i32_e32 vcc_lo, -1, v2
	v_cndmask_b32_e64 v90, -4, 0x7c, vcc_lo
; %bb.12114:                            ;   in Loop: Header=BB6_11393 Depth=4
	s_or_b32 exec_lo, exec_lo, s14
.LBB6_12115:                            ;   in Loop: Header=BB6_11393 Depth=4
	s_delay_alu instid0(SALU_CYCLE_1)
	s_or_b32 exec_lo, exec_lo, s13
	flat_load_i8 v2, v[8:9] offset:672 th:TH_LOAD_NT
	v_mov_b32_e32 v3, 0
	s_mov_b32 s13, exec_lo
	s_wait_loadcnt_dscnt 0x0
	s_wait_xcnt 0x0
	v_cmpx_ne_u16_e32 0, v2
	s_cbranch_execz .LBB6_12125
; %bb.12116:                            ;   in Loop: Header=BB6_11393 Depth=4
	v_bfrev_b32_e32 v3, 1
	s_mov_b32 s14, exec_lo
	v_cmpx_ne_u16_e32 0xff80, v2
	s_cbranch_execz .LBB6_12124
; %bb.12117:                            ;   in Loop: Header=BB6_11393 Depth=4
	v_and_b32_e32 v3, 0x7c, v2
	v_and_b32_e32 v1, 3, v2
	s_delay_alu instid0(VALU_DEP_2) | instskip(SKIP_1) | instid1(SALU_CYCLE_1)
	v_cmp_ne_u32_e32 vcc_lo, 0x7c, v3
                                        ; implicit-def: $vgpr3
	s_and_saveexec_b32 s15, vcc_lo
	s_xor_b32 s15, exec_lo, s15
	s_cbranch_execz .LBB6_12121
; %bb.12118:                            ;   in Loop: Header=BB6_11393 Depth=4
	v_and_b32_e32 v3, 0xff, v2
	s_mov_b32 s76, exec_lo
	s_delay_alu instid0(VALU_DEP_1) | instskip(NEXT) | instid1(VALU_DEP_1)
	v_bfe_u32 v3, v3, 2, 5
	v_cmpx_eq_u32_e32 0, v3
; %bb.12119:                            ;   in Loop: Header=BB6_11393 Depth=4
	v_clz_i32_u32_e32 v1, v1
	v_mov_b32_e32 v3, v113
	s_delay_alu instid0(VALU_DEP_2) | instskip(NEXT) | instid1(VALU_DEP_1)
	v_min_u32_e32 v1, 32, v1
	v_subrev_nc_u32_e32 v5, 29, v1
	s_delay_alu instid0(VALU_DEP_1) | instskip(NEXT) | instid1(VALU_DEP_1)
	v_lshlrev_b64_e32 v[6:7], v5, v[2:3]
	v_dual_sub_nc_u32 v3, 30, v1 :: v_dual_bitop2_b32 v1, 3, v6 bitop3:0x40
; %bb.12120:                            ;   in Loop: Header=BB6_11393 Depth=4
	s_or_b32 exec_lo, exec_lo, s76
	v_bfe_i32 v2, v2, 0, 16
	s_delay_alu instid0(VALU_DEP_1) | instskip(NEXT) | instid1(VALU_DEP_1)
	v_and_b32_e32 v2, 0x80000000, v2
	v_lshl_add_u32 v2, v3, 23, v2
	s_delay_alu instid0(VALU_DEP_1) | instskip(NEXT) | instid1(VALU_DEP_1)
	v_lshl_or_b32 v1, v1, 21, v2
                                        ; implicit-def: $vgpr2
	v_add_nc_u32_e32 v3, 0x38000000, v1
                                        ; implicit-def: $vgpr1
.LBB6_12121:                            ;   in Loop: Header=BB6_11393 Depth=4
	s_and_not1_saveexec_b32 s15, s15
; %bb.12122:                            ;   in Loop: Header=BB6_11393 Depth=4
	v_cmp_lt_i16_e32 vcc_lo, -1, v2
	v_mov_b32_e32 v2, 0x7f800000
	s_delay_alu instid0(VALU_DEP_1) | instskip(SKIP_1) | instid1(VALU_DEP_2)
	v_cndmask_b32_e32 v2, 0xff800000, v2, vcc_lo
	v_cmp_eq_u32_e32 vcc_lo, 0, v1
	v_cndmask_b32_e32 v3, 0x7f800001, v2, vcc_lo
; %bb.12123:                            ;   in Loop: Header=BB6_11393 Depth=4
	s_or_b32 exec_lo, exec_lo, s15
.LBB6_12124:                            ;   in Loop: Header=BB6_11393 Depth=4
	s_delay_alu instid0(SALU_CYCLE_1)
	s_or_b32 exec_lo, exec_lo, s14
.LBB6_12125:                            ;   in Loop: Header=BB6_11393 Depth=4
	s_delay_alu instid0(SALU_CYCLE_1) | instskip(NEXT) | instid1(VALU_DEP_1)
	s_or_b32 exec_lo, exec_lo, s13
	v_dual_mul_f32 v2, s75, v3 :: v_dual_mov_b32 v7, v113
                                        ; implicit-def: $vgpr88
	s_mov_b32 s13, exec_lo
	s_delay_alu instid0(VALU_DEP_1) | instskip(SKIP_1) | instid1(VALU_DEP_2)
	v_and_b32_e32 v6, 0x7f800000, v2
	v_and_b32_e32 v112, 0x7fffff, v2
	v_cmpx_ne_u64_e32 0x7f800000, v[6:7]
	s_xor_b32 s14, exec_lo, s13
	s_cbranch_execz .LBB6_12143
; %bb.12126:                            ;   in Loop: Header=BB6_11393 Depth=4
	v_dual_mov_b32 v7, v113 :: v_dual_lshrrev_b32 v1, 24, v2
	v_and_b32_e32 v6, 0x7fffffff, v2
                                        ; implicit-def: $vgpr88
	s_mov_b32 s13, exec_lo
	s_delay_alu instid0(VALU_DEP_2) | instskip(NEXT) | instid1(VALU_DEP_2)
	v_and_b32_e32 v1, 0x80, v1
	v_cmpx_gt_u64_e32 0x47600001, v[6:7]
	s_xor_b32 s15, exec_lo, s13
	s_cbranch_execz .LBB6_12140
; %bb.12127:                            ;   in Loop: Header=BB6_11393 Depth=4
	v_mov_b32_e32 v88, 0
	s_mov_b32 s76, exec_lo
	v_cmpx_ne_u32_e32 0, v2
	s_cbranch_execz .LBB6_12139
; %bb.12128:                            ;   in Loop: Header=BB6_11393 Depth=4
	v_bfe_u32 v5, v2, 23, 8
	v_or_b32_e32 v6, 0x800000, v112
	s_mov_b32 s77, exec_lo
	s_delay_alu instid0(VALU_DEP_2) | instskip(SKIP_1) | instid1(VALU_DEP_2)
	v_dual_mov_b32 v7, v113 :: v_dual_sub_nc_u32 v2, 0x71, v5
	v_cmp_gt_u32_e32 vcc_lo, 0x72, v5
	v_cndmask_b32_e32 v2, 0, v2, vcc_lo
	v_cmp_eq_u32_e32 vcc_lo, 0, v5
	v_cndmask_b32_e32 v6, v6, v112, vcc_lo
	s_delay_alu instid0(VALU_DEP_3) | instskip(NEXT) | instid1(VALU_DEP_1)
	v_cndmask_b32_e64 v14, v2, 0x70, vcc_lo
	v_dual_add_nc_u32 v2, 21, v14 :: v_dual_add_nc_u32 v15, 20, v14
	s_delay_alu instid0(VALU_DEP_1) | instskip(NEXT) | instid1(VALU_DEP_2)
	v_lshlrev_b64_e64 v[2:3], v2, -1
	v_lshlrev_b64_e64 v[16:17], v15, 1
	s_delay_alu instid0(VALU_DEP_2) | instskip(NEXT) | instid1(VALU_DEP_3)
	v_bfi_b32 v19, v3, 0, 0
	v_bfi_b32 v18, v2, 0, v6
	v_lshrrev_b64 v[2:3], v14, v[6:7]
	s_delay_alu instid0(VALU_DEP_1) | instskip(NEXT) | instid1(VALU_DEP_3)
	v_mov_b64_e32 v[6:7], v[2:3]
	v_cmpx_eq_u64_e64 v[18:19], v[16:17]
; %bb.12129:                            ;   in Loop: Header=BB6_11393 Depth=4
	v_bfe_u32 v6, v2, 21, 1
	v_mov_b32_e32 v7, v113
	s_delay_alu instid0(VALU_DEP_1) | instskip(NEXT) | instid1(VALU_DEP_1)
	v_add_nc_u64_e32 v[6:7], v[2:3], v[6:7]
	v_add_nc_u64_e32 v[6:7], -1, v[6:7]
; %bb.12130:                            ;   in Loop: Header=BB6_11393 Depth=4
	s_or_b32 exec_lo, exec_lo, s77
	v_add_nc_u32_e32 v3, 0xffffff81, v5
	s_delay_alu instid0(VALU_DEP_2) | instskip(SKIP_2) | instid1(VALU_DEP_3)
	v_and_b32_e32 v7, 0x1fffff, v6
	v_lshrrev_b32_e32 v5, 23, v2
	s_mov_b32 s13, exec_lo
	v_cndmask_b32_e64 v3, v3, 0xffffff82, vcc_lo
	s_delay_alu instid0(VALU_DEP_3) | instskip(NEXT) | instid1(VALU_DEP_2)
	v_add_nc_u32_e32 v112, v7, v2
	v_add3_u32 v6, v14, v3, v5
                                        ; implicit-def: $vgpr2_vgpr3
                                        ; implicit-def: $vgpr5
	s_delay_alu instid0(VALU_DEP_1) | instskip(NEXT) | instid1(VALU_DEP_1)
	v_add_nc_u32_e32 v7, 14, v6
	v_cmpx_ne_u32_e32 0, v7
	s_xor_b32 s13, exec_lo, s13
; %bb.12131:                            ;   in Loop: Header=BB6_11393 Depth=4
	v_cmp_lt_u64_e32 vcc_lo, 0xffffff, v[112:113]
	v_add_nc_u32_e32 v2, 15, v6
	s_delay_alu instid0(VALU_DEP_1) | instskip(SKIP_1) | instid1(VALU_DEP_1)
	v_cndmask_b32_e32 v5, v7, v2, vcc_lo
	v_cndmask_b32_e64 v2, 0, 1, vcc_lo
	v_lshrrev_b64 v[2:3], v2, v[112:113]
; %bb.12132:                            ;   in Loop: Header=BB6_11393 Depth=4
	s_and_not1_saveexec_b32 s13, s13
; %bb.12133:                            ;   in Loop: Header=BB6_11393 Depth=4
	v_mov_b64_e32 v[2:3], v[112:113]
	v_bfe_u32 v5, v112, 23, 1
; %bb.12134:                            ;   in Loop: Header=BB6_11393 Depth=4
	s_or_b32 exec_lo, exec_lo, s13
	s_delay_alu instid0(VALU_DEP_2) | instskip(NEXT) | instid1(VALU_DEP_2)
	v_lshrrev_b64 v[2:3], 21, v[2:3]
	v_cmp_gt_i32_e32 vcc_lo, 32, v5
	v_cmp_ne_u32_e64 s13, 0, v5
                                        ; implicit-def: $vgpr88
	s_delay_alu instid0(VALU_DEP_3) | instskip(NEXT) | instid1(VALU_DEP_1)
	v_dual_cndmask_b32 v3, 0, v3 :: v_dual_cndmask_b32 v2, 3, v2
	v_cmp_ne_u64_e32 vcc_lo, 0, v[2:3]
	s_or_b32 s13, s13, vcc_lo
	s_delay_alu instid0(SALU_CYCLE_1) | instskip(NEXT) | instid1(SALU_CYCLE_1)
	s_and_saveexec_b32 s77, s13
	s_xor_b32 s13, exec_lo, s77
; %bb.12135:                            ;   in Loop: Header=BB6_11393 Depth=4
	v_min_i32_e32 v3, 31, v5
	s_delay_alu instid0(VALU_DEP_1) | instskip(NEXT) | instid1(VALU_DEP_1)
	v_lshl_or_b32 v1, v3, 2, v1
	v_and_or_b32 v88, v2, 3, v1
                                        ; implicit-def: $vgpr1
; %bb.12136:                            ;   in Loop: Header=BB6_11393 Depth=4
	s_and_not1_saveexec_b32 s13, s13
; %bb.12137:                            ;   in Loop: Header=BB6_11393 Depth=4
	v_mov_b32_e32 v88, v1
; %bb.12138:                            ;   in Loop: Header=BB6_11393 Depth=4
	s_or_b32 exec_lo, exec_lo, s13
.LBB6_12139:                            ;   in Loop: Header=BB6_11393 Depth=4
	s_delay_alu instid0(SALU_CYCLE_1)
	s_or_b32 exec_lo, exec_lo, s76
                                        ; implicit-def: $vgpr1
.LBB6_12140:                            ;   in Loop: Header=BB6_11393 Depth=4
	s_and_not1_saveexec_b32 s13, s15
; %bb.12141:                            ;   in Loop: Header=BB6_11393 Depth=4
	v_or_b32_e32 v88, 0x7b, v1
; %bb.12142:                            ;   in Loop: Header=BB6_11393 Depth=4
	s_or_b32 exec_lo, exec_lo, s13
                                        ; implicit-def: $vgpr2
.LBB6_12143:                            ;   in Loop: Header=BB6_11393 Depth=4
	s_and_not1_saveexec_b32 s13, s14
	s_cbranch_execz .LBB6_12149
; %bb.12144:                            ;   in Loop: Header=BB6_11393 Depth=4
	s_mov_b32 s14, exec_lo
                                        ; implicit-def: $vgpr88
	v_cmpx_ne_u64_e32 0, v[112:113]
	s_xor_b32 s14, exec_lo, s14
; %bb.12145:                            ;   in Loop: Header=BB6_11393 Depth=4
	v_lshrrev_b32_e32 v1, 24, v2
                                        ; implicit-def: $vgpr2
	s_delay_alu instid0(VALU_DEP_1)
	v_or_b32_e32 v88, 0x7f, v1
; %bb.12146:                            ;   in Loop: Header=BB6_11393 Depth=4
	s_and_not1_saveexec_b32 s14, s14
; %bb.12147:                            ;   in Loop: Header=BB6_11393 Depth=4
	v_cmp_lt_i32_e32 vcc_lo, -1, v2
	v_cndmask_b32_e64 v88, -4, 0x7c, vcc_lo
; %bb.12148:                            ;   in Loop: Header=BB6_11393 Depth=4
	s_or_b32 exec_lo, exec_lo, s14
.LBB6_12149:                            ;   in Loop: Header=BB6_11393 Depth=4
	s_delay_alu instid0(SALU_CYCLE_1)
	s_or_b32 exec_lo, exec_lo, s13
	flat_load_i8 v2, v[8:9] offset:704 th:TH_LOAD_NT
	v_mov_b32_e32 v3, 0
	s_mov_b32 s13, exec_lo
	s_wait_loadcnt_dscnt 0x0
	s_wait_xcnt 0x0
	v_cmpx_ne_u16_e32 0, v2
	s_cbranch_execz .LBB6_12159
; %bb.12150:                            ;   in Loop: Header=BB6_11393 Depth=4
	v_bfrev_b32_e32 v3, 1
	s_mov_b32 s14, exec_lo
	v_cmpx_ne_u16_e32 0xff80, v2
	s_cbranch_execz .LBB6_12158
; %bb.12151:                            ;   in Loop: Header=BB6_11393 Depth=4
	v_and_b32_e32 v3, 0x7c, v2
	v_and_b32_e32 v1, 3, v2
	s_delay_alu instid0(VALU_DEP_2) | instskip(SKIP_1) | instid1(SALU_CYCLE_1)
	v_cmp_ne_u32_e32 vcc_lo, 0x7c, v3
                                        ; implicit-def: $vgpr3
	s_and_saveexec_b32 s15, vcc_lo
	s_xor_b32 s15, exec_lo, s15
	s_cbranch_execz .LBB6_12155
; %bb.12152:                            ;   in Loop: Header=BB6_11393 Depth=4
	v_and_b32_e32 v3, 0xff, v2
	s_mov_b32 s76, exec_lo
	s_delay_alu instid0(VALU_DEP_1) | instskip(NEXT) | instid1(VALU_DEP_1)
	v_bfe_u32 v3, v3, 2, 5
	v_cmpx_eq_u32_e32 0, v3
; %bb.12153:                            ;   in Loop: Header=BB6_11393 Depth=4
	v_clz_i32_u32_e32 v1, v1
	v_mov_b32_e32 v3, v113
	s_delay_alu instid0(VALU_DEP_2) | instskip(NEXT) | instid1(VALU_DEP_1)
	v_min_u32_e32 v1, 32, v1
	v_subrev_nc_u32_e32 v5, 29, v1
	s_delay_alu instid0(VALU_DEP_1) | instskip(NEXT) | instid1(VALU_DEP_1)
	v_lshlrev_b64_e32 v[6:7], v5, v[2:3]
	v_dual_sub_nc_u32 v3, 30, v1 :: v_dual_bitop2_b32 v1, 3, v6 bitop3:0x40
; %bb.12154:                            ;   in Loop: Header=BB6_11393 Depth=4
	s_or_b32 exec_lo, exec_lo, s76
	v_bfe_i32 v2, v2, 0, 16
	s_delay_alu instid0(VALU_DEP_1) | instskip(NEXT) | instid1(VALU_DEP_1)
	v_and_b32_e32 v2, 0x80000000, v2
	v_lshl_add_u32 v2, v3, 23, v2
	s_delay_alu instid0(VALU_DEP_1) | instskip(NEXT) | instid1(VALU_DEP_1)
	v_lshl_or_b32 v1, v1, 21, v2
                                        ; implicit-def: $vgpr2
	v_add_nc_u32_e32 v3, 0x38000000, v1
                                        ; implicit-def: $vgpr1
.LBB6_12155:                            ;   in Loop: Header=BB6_11393 Depth=4
	s_and_not1_saveexec_b32 s15, s15
; %bb.12156:                            ;   in Loop: Header=BB6_11393 Depth=4
	v_cmp_lt_i16_e32 vcc_lo, -1, v2
	v_mov_b32_e32 v2, 0x7f800000
	s_delay_alu instid0(VALU_DEP_1) | instskip(SKIP_1) | instid1(VALU_DEP_2)
	v_cndmask_b32_e32 v2, 0xff800000, v2, vcc_lo
	v_cmp_eq_u32_e32 vcc_lo, 0, v1
	v_cndmask_b32_e32 v3, 0x7f800001, v2, vcc_lo
; %bb.12157:                            ;   in Loop: Header=BB6_11393 Depth=4
	s_or_b32 exec_lo, exec_lo, s15
.LBB6_12158:                            ;   in Loop: Header=BB6_11393 Depth=4
	s_delay_alu instid0(SALU_CYCLE_1)
	s_or_b32 exec_lo, exec_lo, s14
.LBB6_12159:                            ;   in Loop: Header=BB6_11393 Depth=4
	s_delay_alu instid0(SALU_CYCLE_1) | instskip(NEXT) | instid1(VALU_DEP_1)
	s_or_b32 exec_lo, exec_lo, s13
	v_dual_mul_f32 v2, s75, v3 :: v_dual_mov_b32 v7, v113
                                        ; implicit-def: $vgpr78
	s_mov_b32 s13, exec_lo
	s_delay_alu instid0(VALU_DEP_1) | instskip(SKIP_1) | instid1(VALU_DEP_2)
	v_and_b32_e32 v6, 0x7f800000, v2
	v_and_b32_e32 v112, 0x7fffff, v2
	v_cmpx_ne_u64_e32 0x7f800000, v[6:7]
	s_xor_b32 s14, exec_lo, s13
	s_cbranch_execz .LBB6_12177
; %bb.12160:                            ;   in Loop: Header=BB6_11393 Depth=4
	v_dual_mov_b32 v7, v113 :: v_dual_lshrrev_b32 v1, 24, v2
	v_and_b32_e32 v6, 0x7fffffff, v2
                                        ; implicit-def: $vgpr78
	s_mov_b32 s13, exec_lo
	s_delay_alu instid0(VALU_DEP_2) | instskip(NEXT) | instid1(VALU_DEP_2)
	v_and_b32_e32 v1, 0x80, v1
	v_cmpx_gt_u64_e32 0x47600001, v[6:7]
	s_xor_b32 s15, exec_lo, s13
	s_cbranch_execz .LBB6_12174
; %bb.12161:                            ;   in Loop: Header=BB6_11393 Depth=4
	v_mov_b32_e32 v78, 0
	s_mov_b32 s76, exec_lo
	v_cmpx_ne_u32_e32 0, v2
	s_cbranch_execz .LBB6_12173
; %bb.12162:                            ;   in Loop: Header=BB6_11393 Depth=4
	v_bfe_u32 v5, v2, 23, 8
	v_or_b32_e32 v6, 0x800000, v112
	s_mov_b32 s77, exec_lo
	s_delay_alu instid0(VALU_DEP_2) | instskip(SKIP_1) | instid1(VALU_DEP_2)
	v_dual_mov_b32 v7, v113 :: v_dual_sub_nc_u32 v2, 0x71, v5
	v_cmp_gt_u32_e32 vcc_lo, 0x72, v5
	v_cndmask_b32_e32 v2, 0, v2, vcc_lo
	v_cmp_eq_u32_e32 vcc_lo, 0, v5
	v_cndmask_b32_e32 v6, v6, v112, vcc_lo
	s_delay_alu instid0(VALU_DEP_3) | instskip(NEXT) | instid1(VALU_DEP_1)
	v_cndmask_b32_e64 v14, v2, 0x70, vcc_lo
	v_dual_add_nc_u32 v2, 21, v14 :: v_dual_add_nc_u32 v15, 20, v14
	s_delay_alu instid0(VALU_DEP_1) | instskip(NEXT) | instid1(VALU_DEP_2)
	v_lshlrev_b64_e64 v[2:3], v2, -1
	v_lshlrev_b64_e64 v[16:17], v15, 1
	s_delay_alu instid0(VALU_DEP_2) | instskip(NEXT) | instid1(VALU_DEP_3)
	v_bfi_b32 v19, v3, 0, 0
	v_bfi_b32 v18, v2, 0, v6
	v_lshrrev_b64 v[2:3], v14, v[6:7]
	s_delay_alu instid0(VALU_DEP_1) | instskip(NEXT) | instid1(VALU_DEP_3)
	v_mov_b64_e32 v[6:7], v[2:3]
	v_cmpx_eq_u64_e64 v[18:19], v[16:17]
; %bb.12163:                            ;   in Loop: Header=BB6_11393 Depth=4
	v_bfe_u32 v6, v2, 21, 1
	v_mov_b32_e32 v7, v113
	s_delay_alu instid0(VALU_DEP_1) | instskip(NEXT) | instid1(VALU_DEP_1)
	v_add_nc_u64_e32 v[6:7], v[2:3], v[6:7]
	v_add_nc_u64_e32 v[6:7], -1, v[6:7]
; %bb.12164:                            ;   in Loop: Header=BB6_11393 Depth=4
	s_or_b32 exec_lo, exec_lo, s77
	v_add_nc_u32_e32 v3, 0xffffff81, v5
	s_delay_alu instid0(VALU_DEP_2) | instskip(SKIP_2) | instid1(VALU_DEP_3)
	v_and_b32_e32 v7, 0x1fffff, v6
	v_lshrrev_b32_e32 v5, 23, v2
	s_mov_b32 s13, exec_lo
	v_cndmask_b32_e64 v3, v3, 0xffffff82, vcc_lo
	s_delay_alu instid0(VALU_DEP_3) | instskip(NEXT) | instid1(VALU_DEP_2)
	v_add_nc_u32_e32 v112, v7, v2
	v_add3_u32 v6, v14, v3, v5
                                        ; implicit-def: $vgpr2_vgpr3
                                        ; implicit-def: $vgpr5
	s_delay_alu instid0(VALU_DEP_1) | instskip(NEXT) | instid1(VALU_DEP_1)
	v_add_nc_u32_e32 v7, 14, v6
	v_cmpx_ne_u32_e32 0, v7
	s_xor_b32 s13, exec_lo, s13
; %bb.12165:                            ;   in Loop: Header=BB6_11393 Depth=4
	v_cmp_lt_u64_e32 vcc_lo, 0xffffff, v[112:113]
	v_add_nc_u32_e32 v2, 15, v6
	s_delay_alu instid0(VALU_DEP_1) | instskip(SKIP_1) | instid1(VALU_DEP_1)
	v_cndmask_b32_e32 v5, v7, v2, vcc_lo
	v_cndmask_b32_e64 v2, 0, 1, vcc_lo
	v_lshrrev_b64 v[2:3], v2, v[112:113]
; %bb.12166:                            ;   in Loop: Header=BB6_11393 Depth=4
	s_and_not1_saveexec_b32 s13, s13
; %bb.12167:                            ;   in Loop: Header=BB6_11393 Depth=4
	v_mov_b64_e32 v[2:3], v[112:113]
	v_bfe_u32 v5, v112, 23, 1
; %bb.12168:                            ;   in Loop: Header=BB6_11393 Depth=4
	s_or_b32 exec_lo, exec_lo, s13
	s_delay_alu instid0(VALU_DEP_2) | instskip(NEXT) | instid1(VALU_DEP_2)
	v_lshrrev_b64 v[2:3], 21, v[2:3]
	v_cmp_gt_i32_e32 vcc_lo, 32, v5
	v_cmp_ne_u32_e64 s13, 0, v5
                                        ; implicit-def: $vgpr78
	s_delay_alu instid0(VALU_DEP_3) | instskip(NEXT) | instid1(VALU_DEP_1)
	v_dual_cndmask_b32 v3, 0, v3 :: v_dual_cndmask_b32 v2, 3, v2
	v_cmp_ne_u64_e32 vcc_lo, 0, v[2:3]
	s_or_b32 s13, s13, vcc_lo
	s_delay_alu instid0(SALU_CYCLE_1) | instskip(NEXT) | instid1(SALU_CYCLE_1)
	s_and_saveexec_b32 s77, s13
	s_xor_b32 s13, exec_lo, s77
; %bb.12169:                            ;   in Loop: Header=BB6_11393 Depth=4
	v_min_i32_e32 v3, 31, v5
	s_delay_alu instid0(VALU_DEP_1) | instskip(NEXT) | instid1(VALU_DEP_1)
	v_lshl_or_b32 v1, v3, 2, v1
	v_and_or_b32 v78, v2, 3, v1
                                        ; implicit-def: $vgpr1
; %bb.12170:                            ;   in Loop: Header=BB6_11393 Depth=4
	s_and_not1_saveexec_b32 s13, s13
; %bb.12171:                            ;   in Loop: Header=BB6_11393 Depth=4
	v_mov_b32_e32 v78, v1
; %bb.12172:                            ;   in Loop: Header=BB6_11393 Depth=4
	s_or_b32 exec_lo, exec_lo, s13
.LBB6_12173:                            ;   in Loop: Header=BB6_11393 Depth=4
	s_delay_alu instid0(SALU_CYCLE_1)
	s_or_b32 exec_lo, exec_lo, s76
                                        ; implicit-def: $vgpr1
.LBB6_12174:                            ;   in Loop: Header=BB6_11393 Depth=4
	s_and_not1_saveexec_b32 s13, s15
; %bb.12175:                            ;   in Loop: Header=BB6_11393 Depth=4
	v_or_b32_e32 v78, 0x7b, v1
; %bb.12176:                            ;   in Loop: Header=BB6_11393 Depth=4
	s_or_b32 exec_lo, exec_lo, s13
                                        ; implicit-def: $vgpr2
.LBB6_12177:                            ;   in Loop: Header=BB6_11393 Depth=4
	s_and_not1_saveexec_b32 s13, s14
	s_cbranch_execz .LBB6_12183
; %bb.12178:                            ;   in Loop: Header=BB6_11393 Depth=4
	s_mov_b32 s14, exec_lo
                                        ; implicit-def: $vgpr78
	v_cmpx_ne_u64_e32 0, v[112:113]
	s_xor_b32 s14, exec_lo, s14
; %bb.12179:                            ;   in Loop: Header=BB6_11393 Depth=4
	v_lshrrev_b32_e32 v1, 24, v2
                                        ; implicit-def: $vgpr2
	s_delay_alu instid0(VALU_DEP_1)
	v_or_b32_e32 v78, 0x7f, v1
; %bb.12180:                            ;   in Loop: Header=BB6_11393 Depth=4
	s_and_not1_saveexec_b32 s14, s14
; %bb.12181:                            ;   in Loop: Header=BB6_11393 Depth=4
	v_cmp_lt_i32_e32 vcc_lo, -1, v2
	v_cndmask_b32_e64 v78, -4, 0x7c, vcc_lo
; %bb.12182:                            ;   in Loop: Header=BB6_11393 Depth=4
	s_or_b32 exec_lo, exec_lo, s14
.LBB6_12183:                            ;   in Loop: Header=BB6_11393 Depth=4
	s_delay_alu instid0(SALU_CYCLE_1)
	s_or_b32 exec_lo, exec_lo, s13
	flat_load_i8 v2, v[8:9] offset:736 th:TH_LOAD_NT
	v_mov_b32_e32 v3, 0
	s_mov_b32 s13, exec_lo
	s_wait_loadcnt_dscnt 0x0
	s_wait_xcnt 0x0
	v_cmpx_ne_u16_e32 0, v2
	s_cbranch_execz .LBB6_12193
; %bb.12184:                            ;   in Loop: Header=BB6_11393 Depth=4
	v_bfrev_b32_e32 v3, 1
	s_mov_b32 s14, exec_lo
	v_cmpx_ne_u16_e32 0xff80, v2
	s_cbranch_execz .LBB6_12192
; %bb.12185:                            ;   in Loop: Header=BB6_11393 Depth=4
	v_and_b32_e32 v3, 0x7c, v2
	v_and_b32_e32 v1, 3, v2
	s_delay_alu instid0(VALU_DEP_2) | instskip(SKIP_1) | instid1(SALU_CYCLE_1)
	v_cmp_ne_u32_e32 vcc_lo, 0x7c, v3
                                        ; implicit-def: $vgpr3
	s_and_saveexec_b32 s15, vcc_lo
	s_xor_b32 s15, exec_lo, s15
	s_cbranch_execz .LBB6_12189
; %bb.12186:                            ;   in Loop: Header=BB6_11393 Depth=4
	v_and_b32_e32 v3, 0xff, v2
	s_mov_b32 s76, exec_lo
	s_delay_alu instid0(VALU_DEP_1) | instskip(NEXT) | instid1(VALU_DEP_1)
	v_bfe_u32 v3, v3, 2, 5
	v_cmpx_eq_u32_e32 0, v3
; %bb.12187:                            ;   in Loop: Header=BB6_11393 Depth=4
	v_clz_i32_u32_e32 v1, v1
	v_mov_b32_e32 v3, v113
	s_delay_alu instid0(VALU_DEP_2) | instskip(NEXT) | instid1(VALU_DEP_1)
	v_min_u32_e32 v1, 32, v1
	v_subrev_nc_u32_e32 v5, 29, v1
	s_delay_alu instid0(VALU_DEP_1) | instskip(NEXT) | instid1(VALU_DEP_1)
	v_lshlrev_b64_e32 v[6:7], v5, v[2:3]
	v_dual_sub_nc_u32 v3, 30, v1 :: v_dual_bitop2_b32 v1, 3, v6 bitop3:0x40
; %bb.12188:                            ;   in Loop: Header=BB6_11393 Depth=4
	s_or_b32 exec_lo, exec_lo, s76
	v_bfe_i32 v2, v2, 0, 16
	s_delay_alu instid0(VALU_DEP_1) | instskip(NEXT) | instid1(VALU_DEP_1)
	v_and_b32_e32 v2, 0x80000000, v2
	v_lshl_add_u32 v2, v3, 23, v2
	s_delay_alu instid0(VALU_DEP_1) | instskip(NEXT) | instid1(VALU_DEP_1)
	v_lshl_or_b32 v1, v1, 21, v2
                                        ; implicit-def: $vgpr2
	v_add_nc_u32_e32 v3, 0x38000000, v1
                                        ; implicit-def: $vgpr1
.LBB6_12189:                            ;   in Loop: Header=BB6_11393 Depth=4
	s_and_not1_saveexec_b32 s15, s15
; %bb.12190:                            ;   in Loop: Header=BB6_11393 Depth=4
	v_cmp_lt_i16_e32 vcc_lo, -1, v2
	v_mov_b32_e32 v2, 0x7f800000
	s_delay_alu instid0(VALU_DEP_1) | instskip(SKIP_1) | instid1(VALU_DEP_2)
	v_cndmask_b32_e32 v2, 0xff800000, v2, vcc_lo
	v_cmp_eq_u32_e32 vcc_lo, 0, v1
	v_cndmask_b32_e32 v3, 0x7f800001, v2, vcc_lo
; %bb.12191:                            ;   in Loop: Header=BB6_11393 Depth=4
	s_or_b32 exec_lo, exec_lo, s15
.LBB6_12192:                            ;   in Loop: Header=BB6_11393 Depth=4
	s_delay_alu instid0(SALU_CYCLE_1)
	s_or_b32 exec_lo, exec_lo, s14
.LBB6_12193:                            ;   in Loop: Header=BB6_11393 Depth=4
	s_delay_alu instid0(SALU_CYCLE_1) | instskip(NEXT) | instid1(VALU_DEP_1)
	s_or_b32 exec_lo, exec_lo, s13
	v_dual_mul_f32 v2, s75, v3 :: v_dual_mov_b32 v7, v113
                                        ; implicit-def: $vgpr74
	s_mov_b32 s13, exec_lo
	s_delay_alu instid0(VALU_DEP_1) | instskip(SKIP_1) | instid1(VALU_DEP_2)
	v_and_b32_e32 v6, 0x7f800000, v2
	v_and_b32_e32 v112, 0x7fffff, v2
	v_cmpx_ne_u64_e32 0x7f800000, v[6:7]
	s_xor_b32 s14, exec_lo, s13
	s_cbranch_execz .LBB6_12211
; %bb.12194:                            ;   in Loop: Header=BB6_11393 Depth=4
	v_dual_mov_b32 v7, v113 :: v_dual_lshrrev_b32 v1, 24, v2
	v_and_b32_e32 v6, 0x7fffffff, v2
                                        ; implicit-def: $vgpr74
	s_mov_b32 s13, exec_lo
	s_delay_alu instid0(VALU_DEP_2) | instskip(NEXT) | instid1(VALU_DEP_2)
	v_and_b32_e32 v1, 0x80, v1
	v_cmpx_gt_u64_e32 0x47600001, v[6:7]
	s_xor_b32 s15, exec_lo, s13
	s_cbranch_execz .LBB6_12208
; %bb.12195:                            ;   in Loop: Header=BB6_11393 Depth=4
	v_mov_b32_e32 v74, 0
	s_mov_b32 s76, exec_lo
	v_cmpx_ne_u32_e32 0, v2
	s_cbranch_execz .LBB6_12207
; %bb.12196:                            ;   in Loop: Header=BB6_11393 Depth=4
	v_bfe_u32 v5, v2, 23, 8
	v_or_b32_e32 v6, 0x800000, v112
	s_mov_b32 s77, exec_lo
	s_delay_alu instid0(VALU_DEP_2) | instskip(SKIP_1) | instid1(VALU_DEP_2)
	v_dual_mov_b32 v7, v113 :: v_dual_sub_nc_u32 v2, 0x71, v5
	v_cmp_gt_u32_e32 vcc_lo, 0x72, v5
	v_cndmask_b32_e32 v2, 0, v2, vcc_lo
	v_cmp_eq_u32_e32 vcc_lo, 0, v5
	v_cndmask_b32_e32 v6, v6, v112, vcc_lo
	s_delay_alu instid0(VALU_DEP_3) | instskip(NEXT) | instid1(VALU_DEP_1)
	v_cndmask_b32_e64 v14, v2, 0x70, vcc_lo
	v_dual_add_nc_u32 v2, 21, v14 :: v_dual_add_nc_u32 v15, 20, v14
	s_delay_alu instid0(VALU_DEP_1) | instskip(NEXT) | instid1(VALU_DEP_2)
	v_lshlrev_b64_e64 v[2:3], v2, -1
	v_lshlrev_b64_e64 v[16:17], v15, 1
	s_delay_alu instid0(VALU_DEP_2) | instskip(NEXT) | instid1(VALU_DEP_3)
	v_bfi_b32 v19, v3, 0, 0
	v_bfi_b32 v18, v2, 0, v6
	v_lshrrev_b64 v[2:3], v14, v[6:7]
	s_delay_alu instid0(VALU_DEP_1) | instskip(NEXT) | instid1(VALU_DEP_3)
	v_mov_b64_e32 v[6:7], v[2:3]
	v_cmpx_eq_u64_e64 v[18:19], v[16:17]
; %bb.12197:                            ;   in Loop: Header=BB6_11393 Depth=4
	v_bfe_u32 v6, v2, 21, 1
	v_mov_b32_e32 v7, v113
	s_delay_alu instid0(VALU_DEP_1) | instskip(NEXT) | instid1(VALU_DEP_1)
	v_add_nc_u64_e32 v[6:7], v[2:3], v[6:7]
	v_add_nc_u64_e32 v[6:7], -1, v[6:7]
; %bb.12198:                            ;   in Loop: Header=BB6_11393 Depth=4
	s_or_b32 exec_lo, exec_lo, s77
	v_add_nc_u32_e32 v3, 0xffffff81, v5
	s_delay_alu instid0(VALU_DEP_2) | instskip(SKIP_2) | instid1(VALU_DEP_3)
	v_and_b32_e32 v7, 0x1fffff, v6
	v_lshrrev_b32_e32 v5, 23, v2
	s_mov_b32 s13, exec_lo
	v_cndmask_b32_e64 v3, v3, 0xffffff82, vcc_lo
	s_delay_alu instid0(VALU_DEP_3) | instskip(NEXT) | instid1(VALU_DEP_2)
	v_add_nc_u32_e32 v112, v7, v2
	v_add3_u32 v6, v14, v3, v5
                                        ; implicit-def: $vgpr2_vgpr3
                                        ; implicit-def: $vgpr5
	s_delay_alu instid0(VALU_DEP_1) | instskip(NEXT) | instid1(VALU_DEP_1)
	v_add_nc_u32_e32 v7, 14, v6
	v_cmpx_ne_u32_e32 0, v7
	s_xor_b32 s13, exec_lo, s13
; %bb.12199:                            ;   in Loop: Header=BB6_11393 Depth=4
	v_cmp_lt_u64_e32 vcc_lo, 0xffffff, v[112:113]
	v_add_nc_u32_e32 v2, 15, v6
	s_delay_alu instid0(VALU_DEP_1) | instskip(SKIP_1) | instid1(VALU_DEP_1)
	v_cndmask_b32_e32 v5, v7, v2, vcc_lo
	v_cndmask_b32_e64 v2, 0, 1, vcc_lo
	v_lshrrev_b64 v[2:3], v2, v[112:113]
; %bb.12200:                            ;   in Loop: Header=BB6_11393 Depth=4
	s_and_not1_saveexec_b32 s13, s13
; %bb.12201:                            ;   in Loop: Header=BB6_11393 Depth=4
	v_mov_b64_e32 v[2:3], v[112:113]
	v_bfe_u32 v5, v112, 23, 1
; %bb.12202:                            ;   in Loop: Header=BB6_11393 Depth=4
	s_or_b32 exec_lo, exec_lo, s13
	s_delay_alu instid0(VALU_DEP_2) | instskip(NEXT) | instid1(VALU_DEP_2)
	v_lshrrev_b64 v[2:3], 21, v[2:3]
	v_cmp_gt_i32_e32 vcc_lo, 32, v5
	v_cmp_ne_u32_e64 s13, 0, v5
                                        ; implicit-def: $vgpr74
	s_delay_alu instid0(VALU_DEP_3) | instskip(NEXT) | instid1(VALU_DEP_1)
	v_dual_cndmask_b32 v3, 0, v3 :: v_dual_cndmask_b32 v2, 3, v2
	v_cmp_ne_u64_e32 vcc_lo, 0, v[2:3]
	s_or_b32 s13, s13, vcc_lo
	s_delay_alu instid0(SALU_CYCLE_1) | instskip(NEXT) | instid1(SALU_CYCLE_1)
	s_and_saveexec_b32 s77, s13
	s_xor_b32 s13, exec_lo, s77
; %bb.12203:                            ;   in Loop: Header=BB6_11393 Depth=4
	v_min_i32_e32 v3, 31, v5
	s_delay_alu instid0(VALU_DEP_1) | instskip(NEXT) | instid1(VALU_DEP_1)
	v_lshl_or_b32 v1, v3, 2, v1
	v_and_or_b32 v74, v2, 3, v1
                                        ; implicit-def: $vgpr1
; %bb.12204:                            ;   in Loop: Header=BB6_11393 Depth=4
	s_and_not1_saveexec_b32 s13, s13
; %bb.12205:                            ;   in Loop: Header=BB6_11393 Depth=4
	v_mov_b32_e32 v74, v1
; %bb.12206:                            ;   in Loop: Header=BB6_11393 Depth=4
	s_or_b32 exec_lo, exec_lo, s13
.LBB6_12207:                            ;   in Loop: Header=BB6_11393 Depth=4
	s_delay_alu instid0(SALU_CYCLE_1)
	s_or_b32 exec_lo, exec_lo, s76
                                        ; implicit-def: $vgpr1
.LBB6_12208:                            ;   in Loop: Header=BB6_11393 Depth=4
	s_and_not1_saveexec_b32 s13, s15
; %bb.12209:                            ;   in Loop: Header=BB6_11393 Depth=4
	v_or_b32_e32 v74, 0x7b, v1
; %bb.12210:                            ;   in Loop: Header=BB6_11393 Depth=4
	s_or_b32 exec_lo, exec_lo, s13
                                        ; implicit-def: $vgpr2
.LBB6_12211:                            ;   in Loop: Header=BB6_11393 Depth=4
	s_and_not1_saveexec_b32 s13, s14
	s_cbranch_execz .LBB6_12217
; %bb.12212:                            ;   in Loop: Header=BB6_11393 Depth=4
	s_mov_b32 s14, exec_lo
                                        ; implicit-def: $vgpr74
	v_cmpx_ne_u64_e32 0, v[112:113]
	s_xor_b32 s14, exec_lo, s14
; %bb.12213:                            ;   in Loop: Header=BB6_11393 Depth=4
	v_lshrrev_b32_e32 v1, 24, v2
                                        ; implicit-def: $vgpr2
	s_delay_alu instid0(VALU_DEP_1)
	v_or_b32_e32 v74, 0x7f, v1
; %bb.12214:                            ;   in Loop: Header=BB6_11393 Depth=4
	s_and_not1_saveexec_b32 s14, s14
; %bb.12215:                            ;   in Loop: Header=BB6_11393 Depth=4
	v_cmp_lt_i32_e32 vcc_lo, -1, v2
	v_cndmask_b32_e64 v74, -4, 0x7c, vcc_lo
; %bb.12216:                            ;   in Loop: Header=BB6_11393 Depth=4
	s_or_b32 exec_lo, exec_lo, s14
.LBB6_12217:                            ;   in Loop: Header=BB6_11393 Depth=4
	s_delay_alu instid0(SALU_CYCLE_1)
	s_or_b32 exec_lo, exec_lo, s13
	flat_load_i8 v2, v[8:9] offset:768 th:TH_LOAD_NT
	v_mov_b32_e32 v3, 0
	s_mov_b32 s13, exec_lo
	s_wait_loadcnt_dscnt 0x0
	s_wait_xcnt 0x0
	v_cmpx_ne_u16_e32 0, v2
	s_cbranch_execz .LBB6_12227
; %bb.12218:                            ;   in Loop: Header=BB6_11393 Depth=4
	v_bfrev_b32_e32 v3, 1
	s_mov_b32 s14, exec_lo
	v_cmpx_ne_u16_e32 0xff80, v2
	s_cbranch_execz .LBB6_12226
; %bb.12219:                            ;   in Loop: Header=BB6_11393 Depth=4
	v_and_b32_e32 v3, 0x7c, v2
	v_and_b32_e32 v1, 3, v2
	s_delay_alu instid0(VALU_DEP_2) | instskip(SKIP_1) | instid1(SALU_CYCLE_1)
	v_cmp_ne_u32_e32 vcc_lo, 0x7c, v3
                                        ; implicit-def: $vgpr3
	s_and_saveexec_b32 s15, vcc_lo
	s_xor_b32 s15, exec_lo, s15
	s_cbranch_execz .LBB6_12223
; %bb.12220:                            ;   in Loop: Header=BB6_11393 Depth=4
	v_and_b32_e32 v3, 0xff, v2
	s_mov_b32 s76, exec_lo
	s_delay_alu instid0(VALU_DEP_1) | instskip(NEXT) | instid1(VALU_DEP_1)
	v_bfe_u32 v3, v3, 2, 5
	v_cmpx_eq_u32_e32 0, v3
; %bb.12221:                            ;   in Loop: Header=BB6_11393 Depth=4
	v_clz_i32_u32_e32 v1, v1
	v_mov_b32_e32 v3, v113
	s_delay_alu instid0(VALU_DEP_2) | instskip(NEXT) | instid1(VALU_DEP_1)
	v_min_u32_e32 v1, 32, v1
	v_subrev_nc_u32_e32 v5, 29, v1
	s_delay_alu instid0(VALU_DEP_1) | instskip(NEXT) | instid1(VALU_DEP_1)
	v_lshlrev_b64_e32 v[6:7], v5, v[2:3]
	v_dual_sub_nc_u32 v3, 30, v1 :: v_dual_bitop2_b32 v1, 3, v6 bitop3:0x40
; %bb.12222:                            ;   in Loop: Header=BB6_11393 Depth=4
	s_or_b32 exec_lo, exec_lo, s76
	v_bfe_i32 v2, v2, 0, 16
	s_delay_alu instid0(VALU_DEP_1) | instskip(NEXT) | instid1(VALU_DEP_1)
	v_and_b32_e32 v2, 0x80000000, v2
	v_lshl_add_u32 v2, v3, 23, v2
	s_delay_alu instid0(VALU_DEP_1) | instskip(NEXT) | instid1(VALU_DEP_1)
	v_lshl_or_b32 v1, v1, 21, v2
                                        ; implicit-def: $vgpr2
	v_add_nc_u32_e32 v3, 0x38000000, v1
                                        ; implicit-def: $vgpr1
.LBB6_12223:                            ;   in Loop: Header=BB6_11393 Depth=4
	s_and_not1_saveexec_b32 s15, s15
; %bb.12224:                            ;   in Loop: Header=BB6_11393 Depth=4
	v_cmp_lt_i16_e32 vcc_lo, -1, v2
	v_mov_b32_e32 v2, 0x7f800000
	s_delay_alu instid0(VALU_DEP_1) | instskip(SKIP_1) | instid1(VALU_DEP_2)
	v_cndmask_b32_e32 v2, 0xff800000, v2, vcc_lo
	v_cmp_eq_u32_e32 vcc_lo, 0, v1
	v_cndmask_b32_e32 v3, 0x7f800001, v2, vcc_lo
; %bb.12225:                            ;   in Loop: Header=BB6_11393 Depth=4
	s_or_b32 exec_lo, exec_lo, s15
.LBB6_12226:                            ;   in Loop: Header=BB6_11393 Depth=4
	s_delay_alu instid0(SALU_CYCLE_1)
	s_or_b32 exec_lo, exec_lo, s14
.LBB6_12227:                            ;   in Loop: Header=BB6_11393 Depth=4
	s_delay_alu instid0(SALU_CYCLE_1) | instskip(NEXT) | instid1(VALU_DEP_1)
	s_or_b32 exec_lo, exec_lo, s13
	v_dual_mul_f32 v2, s75, v3 :: v_dual_mov_b32 v7, v113
                                        ; implicit-def: $vgpr72
	s_mov_b32 s13, exec_lo
	s_delay_alu instid0(VALU_DEP_1) | instskip(SKIP_1) | instid1(VALU_DEP_2)
	v_and_b32_e32 v6, 0x7f800000, v2
	v_and_b32_e32 v112, 0x7fffff, v2
	v_cmpx_ne_u64_e32 0x7f800000, v[6:7]
	s_xor_b32 s14, exec_lo, s13
	s_cbranch_execz .LBB6_12245
; %bb.12228:                            ;   in Loop: Header=BB6_11393 Depth=4
	v_dual_mov_b32 v7, v113 :: v_dual_lshrrev_b32 v1, 24, v2
	v_and_b32_e32 v6, 0x7fffffff, v2
                                        ; implicit-def: $vgpr72
	s_mov_b32 s13, exec_lo
	s_delay_alu instid0(VALU_DEP_2) | instskip(NEXT) | instid1(VALU_DEP_2)
	v_and_b32_e32 v1, 0x80, v1
	v_cmpx_gt_u64_e32 0x47600001, v[6:7]
	s_xor_b32 s15, exec_lo, s13
	s_cbranch_execz .LBB6_12242
; %bb.12229:                            ;   in Loop: Header=BB6_11393 Depth=4
	v_mov_b32_e32 v72, 0
	s_mov_b32 s76, exec_lo
	v_cmpx_ne_u32_e32 0, v2
	s_cbranch_execz .LBB6_12241
; %bb.12230:                            ;   in Loop: Header=BB6_11393 Depth=4
	v_bfe_u32 v5, v2, 23, 8
	v_or_b32_e32 v6, 0x800000, v112
	s_mov_b32 s77, exec_lo
	s_delay_alu instid0(VALU_DEP_2) | instskip(SKIP_1) | instid1(VALU_DEP_2)
	v_dual_mov_b32 v7, v113 :: v_dual_sub_nc_u32 v2, 0x71, v5
	v_cmp_gt_u32_e32 vcc_lo, 0x72, v5
	v_cndmask_b32_e32 v2, 0, v2, vcc_lo
	v_cmp_eq_u32_e32 vcc_lo, 0, v5
	v_cndmask_b32_e32 v6, v6, v112, vcc_lo
	s_delay_alu instid0(VALU_DEP_3) | instskip(NEXT) | instid1(VALU_DEP_1)
	v_cndmask_b32_e64 v14, v2, 0x70, vcc_lo
	v_dual_add_nc_u32 v2, 21, v14 :: v_dual_add_nc_u32 v15, 20, v14
	s_delay_alu instid0(VALU_DEP_1) | instskip(NEXT) | instid1(VALU_DEP_2)
	v_lshlrev_b64_e64 v[2:3], v2, -1
	v_lshlrev_b64_e64 v[16:17], v15, 1
	s_delay_alu instid0(VALU_DEP_2) | instskip(NEXT) | instid1(VALU_DEP_3)
	v_bfi_b32 v19, v3, 0, 0
	v_bfi_b32 v18, v2, 0, v6
	v_lshrrev_b64 v[2:3], v14, v[6:7]
	s_delay_alu instid0(VALU_DEP_1) | instskip(NEXT) | instid1(VALU_DEP_3)
	v_mov_b64_e32 v[6:7], v[2:3]
	v_cmpx_eq_u64_e64 v[18:19], v[16:17]
; %bb.12231:                            ;   in Loop: Header=BB6_11393 Depth=4
	v_bfe_u32 v6, v2, 21, 1
	v_mov_b32_e32 v7, v113
	s_delay_alu instid0(VALU_DEP_1) | instskip(NEXT) | instid1(VALU_DEP_1)
	v_add_nc_u64_e32 v[6:7], v[2:3], v[6:7]
	v_add_nc_u64_e32 v[6:7], -1, v[6:7]
; %bb.12232:                            ;   in Loop: Header=BB6_11393 Depth=4
	s_or_b32 exec_lo, exec_lo, s77
	v_add_nc_u32_e32 v3, 0xffffff81, v5
	s_delay_alu instid0(VALU_DEP_2) | instskip(SKIP_2) | instid1(VALU_DEP_3)
	v_and_b32_e32 v7, 0x1fffff, v6
	v_lshrrev_b32_e32 v5, 23, v2
	s_mov_b32 s13, exec_lo
	v_cndmask_b32_e64 v3, v3, 0xffffff82, vcc_lo
	s_delay_alu instid0(VALU_DEP_3) | instskip(NEXT) | instid1(VALU_DEP_2)
	v_add_nc_u32_e32 v112, v7, v2
	v_add3_u32 v6, v14, v3, v5
                                        ; implicit-def: $vgpr2_vgpr3
                                        ; implicit-def: $vgpr5
	s_delay_alu instid0(VALU_DEP_1) | instskip(NEXT) | instid1(VALU_DEP_1)
	v_add_nc_u32_e32 v7, 14, v6
	v_cmpx_ne_u32_e32 0, v7
	s_xor_b32 s13, exec_lo, s13
; %bb.12233:                            ;   in Loop: Header=BB6_11393 Depth=4
	v_cmp_lt_u64_e32 vcc_lo, 0xffffff, v[112:113]
	v_add_nc_u32_e32 v2, 15, v6
	s_delay_alu instid0(VALU_DEP_1) | instskip(SKIP_1) | instid1(VALU_DEP_1)
	v_cndmask_b32_e32 v5, v7, v2, vcc_lo
	v_cndmask_b32_e64 v2, 0, 1, vcc_lo
	v_lshrrev_b64 v[2:3], v2, v[112:113]
; %bb.12234:                            ;   in Loop: Header=BB6_11393 Depth=4
	s_and_not1_saveexec_b32 s13, s13
; %bb.12235:                            ;   in Loop: Header=BB6_11393 Depth=4
	v_mov_b64_e32 v[2:3], v[112:113]
	v_bfe_u32 v5, v112, 23, 1
; %bb.12236:                            ;   in Loop: Header=BB6_11393 Depth=4
	s_or_b32 exec_lo, exec_lo, s13
	s_delay_alu instid0(VALU_DEP_2) | instskip(NEXT) | instid1(VALU_DEP_2)
	v_lshrrev_b64 v[2:3], 21, v[2:3]
	v_cmp_gt_i32_e32 vcc_lo, 32, v5
	v_cmp_ne_u32_e64 s13, 0, v5
                                        ; implicit-def: $vgpr72
	s_delay_alu instid0(VALU_DEP_3) | instskip(NEXT) | instid1(VALU_DEP_1)
	v_dual_cndmask_b32 v3, 0, v3 :: v_dual_cndmask_b32 v2, 3, v2
	v_cmp_ne_u64_e32 vcc_lo, 0, v[2:3]
	s_or_b32 s13, s13, vcc_lo
	s_delay_alu instid0(SALU_CYCLE_1) | instskip(NEXT) | instid1(SALU_CYCLE_1)
	s_and_saveexec_b32 s77, s13
	s_xor_b32 s13, exec_lo, s77
; %bb.12237:                            ;   in Loop: Header=BB6_11393 Depth=4
	v_min_i32_e32 v3, 31, v5
	s_delay_alu instid0(VALU_DEP_1) | instskip(NEXT) | instid1(VALU_DEP_1)
	v_lshl_or_b32 v1, v3, 2, v1
	v_and_or_b32 v72, v2, 3, v1
                                        ; implicit-def: $vgpr1
; %bb.12238:                            ;   in Loop: Header=BB6_11393 Depth=4
	s_and_not1_saveexec_b32 s13, s13
; %bb.12239:                            ;   in Loop: Header=BB6_11393 Depth=4
	v_mov_b32_e32 v72, v1
; %bb.12240:                            ;   in Loop: Header=BB6_11393 Depth=4
	s_or_b32 exec_lo, exec_lo, s13
.LBB6_12241:                            ;   in Loop: Header=BB6_11393 Depth=4
	s_delay_alu instid0(SALU_CYCLE_1)
	s_or_b32 exec_lo, exec_lo, s76
                                        ; implicit-def: $vgpr1
.LBB6_12242:                            ;   in Loop: Header=BB6_11393 Depth=4
	s_and_not1_saveexec_b32 s13, s15
; %bb.12243:                            ;   in Loop: Header=BB6_11393 Depth=4
	v_or_b32_e32 v72, 0x7b, v1
; %bb.12244:                            ;   in Loop: Header=BB6_11393 Depth=4
	s_or_b32 exec_lo, exec_lo, s13
                                        ; implicit-def: $vgpr2
.LBB6_12245:                            ;   in Loop: Header=BB6_11393 Depth=4
	s_and_not1_saveexec_b32 s13, s14
	s_cbranch_execz .LBB6_12251
; %bb.12246:                            ;   in Loop: Header=BB6_11393 Depth=4
	s_mov_b32 s14, exec_lo
                                        ; implicit-def: $vgpr72
	v_cmpx_ne_u64_e32 0, v[112:113]
	s_xor_b32 s14, exec_lo, s14
; %bb.12247:                            ;   in Loop: Header=BB6_11393 Depth=4
	v_lshrrev_b32_e32 v1, 24, v2
                                        ; implicit-def: $vgpr2
	s_delay_alu instid0(VALU_DEP_1)
	v_or_b32_e32 v72, 0x7f, v1
; %bb.12248:                            ;   in Loop: Header=BB6_11393 Depth=4
	s_and_not1_saveexec_b32 s14, s14
; %bb.12249:                            ;   in Loop: Header=BB6_11393 Depth=4
	v_cmp_lt_i32_e32 vcc_lo, -1, v2
	v_cndmask_b32_e64 v72, -4, 0x7c, vcc_lo
; %bb.12250:                            ;   in Loop: Header=BB6_11393 Depth=4
	s_or_b32 exec_lo, exec_lo, s14
.LBB6_12251:                            ;   in Loop: Header=BB6_11393 Depth=4
	s_delay_alu instid0(SALU_CYCLE_1)
	s_or_b32 exec_lo, exec_lo, s13
	flat_load_i8 v2, v[8:9] offset:800 th:TH_LOAD_NT
	v_mov_b32_e32 v3, 0
	s_mov_b32 s13, exec_lo
	s_wait_loadcnt_dscnt 0x0
	s_wait_xcnt 0x0
	v_cmpx_ne_u16_e32 0, v2
	s_cbranch_execz .LBB6_12261
; %bb.12252:                            ;   in Loop: Header=BB6_11393 Depth=4
	v_bfrev_b32_e32 v3, 1
	s_mov_b32 s14, exec_lo
	v_cmpx_ne_u16_e32 0xff80, v2
	s_cbranch_execz .LBB6_12260
; %bb.12253:                            ;   in Loop: Header=BB6_11393 Depth=4
	v_and_b32_e32 v3, 0x7c, v2
	v_and_b32_e32 v1, 3, v2
	s_delay_alu instid0(VALU_DEP_2) | instskip(SKIP_1) | instid1(SALU_CYCLE_1)
	v_cmp_ne_u32_e32 vcc_lo, 0x7c, v3
                                        ; implicit-def: $vgpr3
	s_and_saveexec_b32 s15, vcc_lo
	s_xor_b32 s15, exec_lo, s15
	s_cbranch_execz .LBB6_12257
; %bb.12254:                            ;   in Loop: Header=BB6_11393 Depth=4
	v_and_b32_e32 v3, 0xff, v2
	s_mov_b32 s76, exec_lo
	s_delay_alu instid0(VALU_DEP_1) | instskip(NEXT) | instid1(VALU_DEP_1)
	v_bfe_u32 v3, v3, 2, 5
	v_cmpx_eq_u32_e32 0, v3
; %bb.12255:                            ;   in Loop: Header=BB6_11393 Depth=4
	v_clz_i32_u32_e32 v1, v1
	v_mov_b32_e32 v3, v113
	s_delay_alu instid0(VALU_DEP_2) | instskip(NEXT) | instid1(VALU_DEP_1)
	v_min_u32_e32 v1, 32, v1
	v_subrev_nc_u32_e32 v5, 29, v1
	s_delay_alu instid0(VALU_DEP_1) | instskip(NEXT) | instid1(VALU_DEP_1)
	v_lshlrev_b64_e32 v[6:7], v5, v[2:3]
	v_dual_sub_nc_u32 v3, 30, v1 :: v_dual_bitop2_b32 v1, 3, v6 bitop3:0x40
; %bb.12256:                            ;   in Loop: Header=BB6_11393 Depth=4
	s_or_b32 exec_lo, exec_lo, s76
	v_bfe_i32 v2, v2, 0, 16
	s_delay_alu instid0(VALU_DEP_1) | instskip(NEXT) | instid1(VALU_DEP_1)
	v_and_b32_e32 v2, 0x80000000, v2
	v_lshl_add_u32 v2, v3, 23, v2
	s_delay_alu instid0(VALU_DEP_1) | instskip(NEXT) | instid1(VALU_DEP_1)
	v_lshl_or_b32 v1, v1, 21, v2
                                        ; implicit-def: $vgpr2
	v_add_nc_u32_e32 v3, 0x38000000, v1
                                        ; implicit-def: $vgpr1
.LBB6_12257:                            ;   in Loop: Header=BB6_11393 Depth=4
	s_and_not1_saveexec_b32 s15, s15
; %bb.12258:                            ;   in Loop: Header=BB6_11393 Depth=4
	v_cmp_lt_i16_e32 vcc_lo, -1, v2
	v_mov_b32_e32 v2, 0x7f800000
	s_delay_alu instid0(VALU_DEP_1) | instskip(SKIP_1) | instid1(VALU_DEP_2)
	v_cndmask_b32_e32 v2, 0xff800000, v2, vcc_lo
	v_cmp_eq_u32_e32 vcc_lo, 0, v1
	v_cndmask_b32_e32 v3, 0x7f800001, v2, vcc_lo
; %bb.12259:                            ;   in Loop: Header=BB6_11393 Depth=4
	s_or_b32 exec_lo, exec_lo, s15
.LBB6_12260:                            ;   in Loop: Header=BB6_11393 Depth=4
	s_delay_alu instid0(SALU_CYCLE_1)
	s_or_b32 exec_lo, exec_lo, s14
.LBB6_12261:                            ;   in Loop: Header=BB6_11393 Depth=4
	s_delay_alu instid0(SALU_CYCLE_1) | instskip(NEXT) | instid1(VALU_DEP_1)
	s_or_b32 exec_lo, exec_lo, s13
	v_dual_mul_f32 v2, s75, v3 :: v_dual_mov_b32 v7, v113
	s_delay_alu instid0(VALU_DEP_1) | instskip(SKIP_1) | instid1(VALU_DEP_2)
	v_and_b32_e32 v6, 0x7f800000, v2
	v_and_b32_e32 v112, 0x7fffff, v2
	v_cmp_ne_u64_e32 vcc_lo, 0x7f800000, v[6:7]
                                        ; implicit-def: $vgpr6
	scratch_store_b64 off, v[6:7], s33 offset:256 ; 8-byte Folded Spill
	s_wait_xcnt 0x0
	s_and_saveexec_b32 s13, vcc_lo
	s_delay_alu instid0(SALU_CYCLE_1)
	s_xor_b32 s14, exec_lo, s13
	s_cbranch_execz .LBB6_12279
; %bb.12262:                            ;   in Loop: Header=BB6_11393 Depth=4
	v_and_b32_e32 v6, 0x7fffffff, v2
	v_dual_mov_b32 v7, v113 :: v_dual_lshrrev_b32 v1, 24, v2
	s_delay_alu instid0(VALU_DEP_1) | instskip(NEXT) | instid1(VALU_DEP_2)
	v_cmp_gt_u64_e32 vcc_lo, 0x47600001, v[6:7]
	v_and_b32_e32 v1, 0x80, v1
                                        ; implicit-def: $vgpr6
	scratch_store_b64 off, v[6:7], s33 offset:256 ; 8-byte Folded Spill
	s_wait_xcnt 0x0
	s_and_saveexec_b32 s13, vcc_lo
	s_delay_alu instid0(SALU_CYCLE_1)
	s_xor_b32 s15, exec_lo, s13
	s_cbranch_execz .LBB6_12276
; %bb.12263:                            ;   in Loop: Header=BB6_11393 Depth=4
	v_mov_b32_e32 v6, 0
	s_mov_b32 s76, exec_lo
	scratch_store_b64 off, v[6:7], s33 offset:256 ; 8-byte Folded Spill
	s_wait_xcnt 0x0
	v_cmpx_ne_u32_e32 0, v2
	s_cbranch_execz .LBB6_12275
; %bb.12264:                            ;   in Loop: Header=BB6_11393 Depth=4
	v_bfe_u32 v5, v2, 23, 8
	v_or_b32_e32 v6, 0x800000, v112
	s_mov_b32 s77, exec_lo
	s_delay_alu instid0(VALU_DEP_2) | instskip(SKIP_1) | instid1(VALU_DEP_2)
	v_dual_mov_b32 v7, v113 :: v_dual_sub_nc_u32 v2, 0x71, v5
	v_cmp_gt_u32_e32 vcc_lo, 0x72, v5
	v_cndmask_b32_e32 v2, 0, v2, vcc_lo
	v_cmp_eq_u32_e32 vcc_lo, 0, v5
	v_cndmask_b32_e32 v6, v6, v112, vcc_lo
	s_delay_alu instid0(VALU_DEP_3) | instskip(NEXT) | instid1(VALU_DEP_1)
	v_cndmask_b32_e64 v14, v2, 0x70, vcc_lo
	v_dual_add_nc_u32 v2, 21, v14 :: v_dual_add_nc_u32 v15, 20, v14
	s_delay_alu instid0(VALU_DEP_1) | instskip(NEXT) | instid1(VALU_DEP_2)
	v_lshlrev_b64_e64 v[2:3], v2, -1
	v_lshlrev_b64_e64 v[16:17], v15, 1
	s_delay_alu instid0(VALU_DEP_2) | instskip(NEXT) | instid1(VALU_DEP_3)
	v_bfi_b32 v19, v3, 0, 0
	v_bfi_b32 v18, v2, 0, v6
	v_lshrrev_b64 v[2:3], v14, v[6:7]
	s_delay_alu instid0(VALU_DEP_1) | instskip(NEXT) | instid1(VALU_DEP_3)
	v_mov_b64_e32 v[6:7], v[2:3]
	v_cmpx_eq_u64_e64 v[18:19], v[16:17]
; %bb.12265:                            ;   in Loop: Header=BB6_11393 Depth=4
	v_bfe_u32 v6, v2, 21, 1
	v_mov_b32_e32 v7, v113
	s_delay_alu instid0(VALU_DEP_1) | instskip(NEXT) | instid1(VALU_DEP_1)
	v_add_nc_u64_e32 v[6:7], v[2:3], v[6:7]
	v_add_nc_u64_e32 v[6:7], -1, v[6:7]
; %bb.12266:                            ;   in Loop: Header=BB6_11393 Depth=4
	s_or_b32 exec_lo, exec_lo, s77
	v_add_nc_u32_e32 v3, 0xffffff81, v5
	s_delay_alu instid0(VALU_DEP_2) | instskip(SKIP_2) | instid1(VALU_DEP_3)
	v_and_b32_e32 v7, 0x1fffff, v6
	v_lshrrev_b32_e32 v5, 23, v2
	s_mov_b32 s13, exec_lo
	v_cndmask_b32_e64 v3, v3, 0xffffff82, vcc_lo
	s_delay_alu instid0(VALU_DEP_3) | instskip(NEXT) | instid1(VALU_DEP_2)
	v_add_nc_u32_e32 v112, v7, v2
	v_add3_u32 v6, v14, v3, v5
                                        ; implicit-def: $vgpr2_vgpr3
                                        ; implicit-def: $vgpr5
	s_delay_alu instid0(VALU_DEP_1) | instskip(NEXT) | instid1(VALU_DEP_1)
	v_add_nc_u32_e32 v7, 14, v6
	v_cmpx_ne_u32_e32 0, v7
	s_xor_b32 s13, exec_lo, s13
; %bb.12267:                            ;   in Loop: Header=BB6_11393 Depth=4
	v_cmp_lt_u64_e32 vcc_lo, 0xffffff, v[112:113]
	v_add_nc_u32_e32 v2, 15, v6
	s_delay_alu instid0(VALU_DEP_1) | instskip(SKIP_1) | instid1(VALU_DEP_1)
	v_cndmask_b32_e32 v5, v7, v2, vcc_lo
	v_cndmask_b32_e64 v2, 0, 1, vcc_lo
	v_lshrrev_b64 v[2:3], v2, v[112:113]
; %bb.12268:                            ;   in Loop: Header=BB6_11393 Depth=4
	s_and_not1_saveexec_b32 s13, s13
; %bb.12269:                            ;   in Loop: Header=BB6_11393 Depth=4
	v_mov_b64_e32 v[2:3], v[112:113]
	v_bfe_u32 v5, v112, 23, 1
; %bb.12270:                            ;   in Loop: Header=BB6_11393 Depth=4
	s_or_b32 exec_lo, exec_lo, s13
	s_delay_alu instid0(VALU_DEP_2) | instskip(NEXT) | instid1(VALU_DEP_2)
	v_lshrrev_b64 v[2:3], 21, v[2:3]
	v_cmp_gt_i32_e32 vcc_lo, 32, v5
	v_cmp_ne_u32_e64 s13, 0, v5
                                        ; implicit-def: $vgpr6
	scratch_store_b64 off, v[6:7], s33 offset:256 ; 8-byte Folded Spill
	v_dual_cndmask_b32 v3, 0, v3 :: v_dual_cndmask_b32 v2, 3, v2
	s_delay_alu instid0(VALU_DEP_1) | instskip(SKIP_3) | instid1(SALU_CYCLE_1)
	v_cmp_ne_u64_e32 vcc_lo, 0, v[2:3]
	s_or_b32 s13, s13, vcc_lo
	s_wait_xcnt 0x0
	s_and_saveexec_b32 s77, s13
	s_xor_b32 s13, exec_lo, s77
	s_cbranch_execz .LBB6_12272
; %bb.12271:                            ;   in Loop: Header=BB6_11393 Depth=4
	v_min_i32_e32 v3, 31, v5
	s_delay_alu instid0(VALU_DEP_1) | instskip(NEXT) | instid1(VALU_DEP_1)
	v_lshl_or_b32 v1, v3, 2, v1
	v_and_or_b32 v2, v2, 3, v1
                                        ; implicit-def: $vgpr1
	scratch_store_b64 off, v[2:3], s33 offset:256 ; 8-byte Folded Spill
.LBB6_12272:                            ;   in Loop: Header=BB6_11393 Depth=4
	s_wait_xcnt 0x0
	s_and_not1_saveexec_b32 s13, s13
	s_cbranch_execz .LBB6_12274
; %bb.12273:                            ;   in Loop: Header=BB6_11393 Depth=4
	v_mov_b32_e32 v2, v1
	scratch_store_b64 off, v[2:3], s33 offset:256 ; 8-byte Folded Spill
.LBB6_12274:                            ;   in Loop: Header=BB6_11393 Depth=4
	s_wait_xcnt 0x0
	s_or_b32 exec_lo, exec_lo, s13
.LBB6_12275:                            ;   in Loop: Header=BB6_11393 Depth=4
	s_delay_alu instid0(SALU_CYCLE_1)
	s_or_b32 exec_lo, exec_lo, s76
                                        ; implicit-def: $vgpr1
.LBB6_12276:                            ;   in Loop: Header=BB6_11393 Depth=4
	s_and_not1_saveexec_b32 s13, s15
	s_cbranch_execz .LBB6_12278
; %bb.12277:                            ;   in Loop: Header=BB6_11393 Depth=4
	v_or_b32_e32 v2, 0x7b, v1
	scratch_store_b64 off, v[2:3], s33 offset:256 ; 8-byte Folded Spill
.LBB6_12278:                            ;   in Loop: Header=BB6_11393 Depth=4
	s_wait_xcnt 0x0
	s_or_b32 exec_lo, exec_lo, s13
                                        ; implicit-def: $vgpr2
.LBB6_12279:                            ;   in Loop: Header=BB6_11393 Depth=4
	s_and_not1_saveexec_b32 s13, s14
	s_cbranch_execz .LBB6_12285
; %bb.12280:                            ;   in Loop: Header=BB6_11393 Depth=4
	s_mov_b32 s14, exec_lo
                                        ; implicit-def: $vgpr6
	scratch_store_b64 off, v[6:7], s33 offset:256 ; 8-byte Folded Spill
	s_wait_xcnt 0x0
	v_cmpx_ne_u64_e32 0, v[112:113]
	s_xor_b32 s14, exec_lo, s14
	s_cbranch_execz .LBB6_12282
; %bb.12281:                            ;   in Loop: Header=BB6_11393 Depth=4
	v_lshrrev_b32_e32 v1, 24, v2
	s_delay_alu instid0(VALU_DEP_1)
	v_or_b32_e32 v2, 0x7f, v1
	scratch_store_b64 off, v[2:3], s33 offset:256 ; 8-byte Folded Spill
                                        ; implicit-def: $vgpr2
.LBB6_12282:                            ;   in Loop: Header=BB6_11393 Depth=4
	s_wait_xcnt 0x0
	s_and_not1_saveexec_b32 s14, s14
	s_cbranch_execz .LBB6_12284
; %bb.12283:                            ;   in Loop: Header=BB6_11393 Depth=4
	v_cmp_lt_i32_e32 vcc_lo, -1, v2
	v_cndmask_b32_e64 v2, -4, 0x7c, vcc_lo
	scratch_store_b64 off, v[2:3], s33 offset:256 ; 8-byte Folded Spill
.LBB6_12284:                            ;   in Loop: Header=BB6_11393 Depth=4
	s_wait_xcnt 0x0
	s_or_b32 exec_lo, exec_lo, s14
.LBB6_12285:                            ;   in Loop: Header=BB6_11393 Depth=4
	s_delay_alu instid0(SALU_CYCLE_1)
	s_or_b32 exec_lo, exec_lo, s13
	flat_load_i8 v2, v[8:9] offset:832 th:TH_LOAD_NT
	v_mov_b32_e32 v3, 0
	s_mov_b32 s13, exec_lo
	s_wait_loadcnt_dscnt 0x0
	s_wait_xcnt 0x0
	v_cmpx_ne_u16_e32 0, v2
	s_cbranch_execz .LBB6_12295
; %bb.12286:                            ;   in Loop: Header=BB6_11393 Depth=4
	v_bfrev_b32_e32 v3, 1
	s_mov_b32 s14, exec_lo
	v_cmpx_ne_u16_e32 0xff80, v2
	s_cbranch_execz .LBB6_12294
; %bb.12287:                            ;   in Loop: Header=BB6_11393 Depth=4
	v_and_b32_e32 v3, 0x7c, v2
	v_and_b32_e32 v1, 3, v2
	s_delay_alu instid0(VALU_DEP_2) | instskip(SKIP_1) | instid1(SALU_CYCLE_1)
	v_cmp_ne_u32_e32 vcc_lo, 0x7c, v3
                                        ; implicit-def: $vgpr3
	s_and_saveexec_b32 s15, vcc_lo
	s_xor_b32 s15, exec_lo, s15
	s_cbranch_execz .LBB6_12291
; %bb.12288:                            ;   in Loop: Header=BB6_11393 Depth=4
	v_and_b32_e32 v3, 0xff, v2
	s_mov_b32 s76, exec_lo
	s_delay_alu instid0(VALU_DEP_1) | instskip(NEXT) | instid1(VALU_DEP_1)
	v_bfe_u32 v3, v3, 2, 5
	v_cmpx_eq_u32_e32 0, v3
; %bb.12289:                            ;   in Loop: Header=BB6_11393 Depth=4
	v_clz_i32_u32_e32 v1, v1
	v_mov_b32_e32 v3, v113
	s_delay_alu instid0(VALU_DEP_2) | instskip(NEXT) | instid1(VALU_DEP_1)
	v_min_u32_e32 v1, 32, v1
	v_subrev_nc_u32_e32 v5, 29, v1
	s_delay_alu instid0(VALU_DEP_1) | instskip(NEXT) | instid1(VALU_DEP_1)
	v_lshlrev_b64_e32 v[6:7], v5, v[2:3]
	v_dual_sub_nc_u32 v3, 30, v1 :: v_dual_bitop2_b32 v1, 3, v6 bitop3:0x40
; %bb.12290:                            ;   in Loop: Header=BB6_11393 Depth=4
	s_or_b32 exec_lo, exec_lo, s76
	v_bfe_i32 v2, v2, 0, 16
	s_delay_alu instid0(VALU_DEP_1) | instskip(NEXT) | instid1(VALU_DEP_1)
	v_and_b32_e32 v2, 0x80000000, v2
	v_lshl_add_u32 v2, v3, 23, v2
	s_delay_alu instid0(VALU_DEP_1) | instskip(NEXT) | instid1(VALU_DEP_1)
	v_lshl_or_b32 v1, v1, 21, v2
                                        ; implicit-def: $vgpr2
	v_add_nc_u32_e32 v3, 0x38000000, v1
                                        ; implicit-def: $vgpr1
.LBB6_12291:                            ;   in Loop: Header=BB6_11393 Depth=4
	s_and_not1_saveexec_b32 s15, s15
; %bb.12292:                            ;   in Loop: Header=BB6_11393 Depth=4
	v_cmp_lt_i16_e32 vcc_lo, -1, v2
	v_mov_b32_e32 v2, 0x7f800000
	s_delay_alu instid0(VALU_DEP_1) | instskip(SKIP_1) | instid1(VALU_DEP_2)
	v_cndmask_b32_e32 v2, 0xff800000, v2, vcc_lo
	v_cmp_eq_u32_e32 vcc_lo, 0, v1
	v_cndmask_b32_e32 v3, 0x7f800001, v2, vcc_lo
; %bb.12293:                            ;   in Loop: Header=BB6_11393 Depth=4
	s_or_b32 exec_lo, exec_lo, s15
.LBB6_12294:                            ;   in Loop: Header=BB6_11393 Depth=4
	s_delay_alu instid0(SALU_CYCLE_1)
	s_or_b32 exec_lo, exec_lo, s14
.LBB6_12295:                            ;   in Loop: Header=BB6_11393 Depth=4
	s_delay_alu instid0(SALU_CYCLE_1) | instskip(NEXT) | instid1(VALU_DEP_1)
	s_or_b32 exec_lo, exec_lo, s13
	v_dual_mul_f32 v2, s75, v3 :: v_dual_mov_b32 v7, v113
	s_delay_alu instid0(VALU_DEP_1) | instskip(SKIP_1) | instid1(VALU_DEP_2)
	v_and_b32_e32 v6, 0x7f800000, v2
	v_and_b32_e32 v112, 0x7fffff, v2
	v_cmp_ne_u64_e32 vcc_lo, 0x7f800000, v[6:7]
                                        ; implicit-def: $vgpr6
	scratch_store_b64 off, v[6:7], s33 offset:248 ; 8-byte Folded Spill
	s_wait_xcnt 0x0
	s_and_saveexec_b32 s13, vcc_lo
	s_delay_alu instid0(SALU_CYCLE_1)
	s_xor_b32 s14, exec_lo, s13
	s_cbranch_execz .LBB6_12313
; %bb.12296:                            ;   in Loop: Header=BB6_11393 Depth=4
	v_and_b32_e32 v6, 0x7fffffff, v2
	v_dual_mov_b32 v7, v113 :: v_dual_lshrrev_b32 v1, 24, v2
	s_delay_alu instid0(VALU_DEP_1) | instskip(NEXT) | instid1(VALU_DEP_2)
	v_cmp_gt_u64_e32 vcc_lo, 0x47600001, v[6:7]
	v_and_b32_e32 v1, 0x80, v1
                                        ; implicit-def: $vgpr6
	scratch_store_b64 off, v[6:7], s33 offset:248 ; 8-byte Folded Spill
	s_wait_xcnt 0x0
	s_and_saveexec_b32 s13, vcc_lo
	s_delay_alu instid0(SALU_CYCLE_1)
	s_xor_b32 s15, exec_lo, s13
	s_cbranch_execz .LBB6_12310
; %bb.12297:                            ;   in Loop: Header=BB6_11393 Depth=4
	v_mov_b32_e32 v6, 0
	s_mov_b32 s76, exec_lo
	scratch_store_b64 off, v[6:7], s33 offset:248 ; 8-byte Folded Spill
	s_wait_xcnt 0x0
	v_cmpx_ne_u32_e32 0, v2
	s_cbranch_execz .LBB6_12309
; %bb.12298:                            ;   in Loop: Header=BB6_11393 Depth=4
	v_bfe_u32 v5, v2, 23, 8
	v_or_b32_e32 v3, 0x800000, v112
	s_delay_alu instid0(VALU_DEP_2) | instskip(SKIP_2) | instid1(VALU_DEP_2)
	v_cmp_gt_u32_e64 s13, 0x72, v5
	v_sub_nc_u32_e32 v2, 0x71, v5
	v_cmp_eq_u32_e32 vcc_lo, 0, v5
	v_cndmask_b32_e64 v2, 0, v2, s13
	s_delay_alu instid0(VALU_DEP_1) | instskip(SKIP_1) | instid1(VALU_DEP_2)
	v_cndmask_b32_e64 v14, v2, 0x70, vcc_lo
	v_dual_cndmask_b32 v2, v3, v112 :: v_dual_mov_b32 v3, v113
	v_dual_add_nc_u32 v6, 21, v14 :: v_dual_add_nc_u32 v15, 20, v14
	s_delay_alu instid0(VALU_DEP_1) | instskip(NEXT) | instid1(VALU_DEP_2)
	v_lshlrev_b64_e64 v[6:7], v6, -1
	v_lshlrev_b64_e64 v[16:17], v15, 1
	s_delay_alu instid0(VALU_DEP_2) | instskip(SKIP_1) | instid1(VALU_DEP_4)
	v_bfi_b32 v6, v6, 0, v2
	v_lshrrev_b64 v[2:3], v14, v[2:3]
	v_bfi_b32 v7, v7, 0, 0
	s_delay_alu instid0(VALU_DEP_1) | instskip(NEXT) | instid1(VALU_DEP_3)
	v_cmp_eq_u64_e64 s13, v[6:7], v[16:17]
	v_mov_b64_e32 v[6:7], v[2:3]
	s_and_saveexec_b32 s77, s13
; %bb.12299:                            ;   in Loop: Header=BB6_11393 Depth=4
	v_bfe_u32 v6, v2, 21, 1
	v_mov_b32_e32 v7, v113
	s_delay_alu instid0(VALU_DEP_1) | instskip(NEXT) | instid1(VALU_DEP_1)
	v_add_nc_u64_e32 v[6:7], v[2:3], v[6:7]
	v_add_nc_u64_e32 v[6:7], -1, v[6:7]
; %bb.12300:                            ;   in Loop: Header=BB6_11393 Depth=4
	s_or_b32 exec_lo, exec_lo, s77
	v_add_nc_u32_e32 v3, 0xffffff81, v5
	s_delay_alu instid0(VALU_DEP_2) | instskip(SKIP_2) | instid1(VALU_DEP_3)
	v_and_b32_e32 v7, 0x1fffff, v6
	v_lshrrev_b32_e32 v5, 23, v2
	s_mov_b32 s13, exec_lo
	v_cndmask_b32_e64 v3, v3, 0xffffff82, vcc_lo
	s_delay_alu instid0(VALU_DEP_3) | instskip(NEXT) | instid1(VALU_DEP_2)
	v_add_nc_u32_e32 v112, v7, v2
	v_add3_u32 v6, v14, v3, v5
                                        ; implicit-def: $vgpr2_vgpr3
                                        ; implicit-def: $vgpr5
	s_delay_alu instid0(VALU_DEP_1) | instskip(NEXT) | instid1(VALU_DEP_1)
	v_add_nc_u32_e32 v7, 14, v6
	v_cmpx_ne_u32_e32 0, v7
	s_xor_b32 s13, exec_lo, s13
; %bb.12301:                            ;   in Loop: Header=BB6_11393 Depth=4
	v_cmp_lt_u64_e32 vcc_lo, 0xffffff, v[112:113]
	v_add_nc_u32_e32 v2, 15, v6
	s_delay_alu instid0(VALU_DEP_1) | instskip(SKIP_1) | instid1(VALU_DEP_1)
	v_cndmask_b32_e32 v5, v7, v2, vcc_lo
	v_cndmask_b32_e64 v2, 0, 1, vcc_lo
	v_lshrrev_b64 v[2:3], v2, v[112:113]
; %bb.12302:                            ;   in Loop: Header=BB6_11393 Depth=4
	s_and_not1_saveexec_b32 s13, s13
; %bb.12303:                            ;   in Loop: Header=BB6_11393 Depth=4
	v_mov_b64_e32 v[2:3], v[112:113]
	v_bfe_u32 v5, v112, 23, 1
; %bb.12304:                            ;   in Loop: Header=BB6_11393 Depth=4
	s_or_b32 exec_lo, exec_lo, s13
	s_delay_alu instid0(VALU_DEP_2) | instskip(NEXT) | instid1(VALU_DEP_2)
	v_lshrrev_b64 v[2:3], 21, v[2:3]
	v_cmp_gt_i32_e32 vcc_lo, 32, v5
	v_cmp_ne_u32_e64 s13, 0, v5
                                        ; implicit-def: $vgpr6
	scratch_store_b64 off, v[6:7], s33 offset:248 ; 8-byte Folded Spill
	v_dual_cndmask_b32 v3, 0, v3 :: v_dual_cndmask_b32 v2, 3, v2
	s_delay_alu instid0(VALU_DEP_1) | instskip(SKIP_3) | instid1(SALU_CYCLE_1)
	v_cmp_ne_u64_e32 vcc_lo, 0, v[2:3]
	s_or_b32 s13, s13, vcc_lo
	s_wait_xcnt 0x0
	s_and_saveexec_b32 s77, s13
	s_xor_b32 s13, exec_lo, s77
	s_cbranch_execz .LBB6_12306
; %bb.12305:                            ;   in Loop: Header=BB6_11393 Depth=4
	v_min_i32_e32 v3, 31, v5
	s_delay_alu instid0(VALU_DEP_1) | instskip(NEXT) | instid1(VALU_DEP_1)
	v_lshl_or_b32 v1, v3, 2, v1
	v_and_or_b32 v2, v2, 3, v1
                                        ; implicit-def: $vgpr1
	scratch_store_b64 off, v[2:3], s33 offset:248 ; 8-byte Folded Spill
.LBB6_12306:                            ;   in Loop: Header=BB6_11393 Depth=4
	s_wait_xcnt 0x0
	s_and_not1_saveexec_b32 s13, s13
	s_cbranch_execz .LBB6_12308
; %bb.12307:                            ;   in Loop: Header=BB6_11393 Depth=4
	v_mov_b32_e32 v2, v1
	scratch_store_b64 off, v[2:3], s33 offset:248 ; 8-byte Folded Spill
.LBB6_12308:                            ;   in Loop: Header=BB6_11393 Depth=4
	s_wait_xcnt 0x0
	s_or_b32 exec_lo, exec_lo, s13
.LBB6_12309:                            ;   in Loop: Header=BB6_11393 Depth=4
	s_delay_alu instid0(SALU_CYCLE_1)
	s_or_b32 exec_lo, exec_lo, s76
                                        ; implicit-def: $vgpr1
.LBB6_12310:                            ;   in Loop: Header=BB6_11393 Depth=4
	s_and_not1_saveexec_b32 s13, s15
	s_cbranch_execz .LBB6_12312
; %bb.12311:                            ;   in Loop: Header=BB6_11393 Depth=4
	v_or_b32_e32 v2, 0x7b, v1
	scratch_store_b64 off, v[2:3], s33 offset:248 ; 8-byte Folded Spill
.LBB6_12312:                            ;   in Loop: Header=BB6_11393 Depth=4
	s_wait_xcnt 0x0
	s_or_b32 exec_lo, exec_lo, s13
                                        ; implicit-def: $vgpr2
.LBB6_12313:                            ;   in Loop: Header=BB6_11393 Depth=4
	s_and_not1_saveexec_b32 s13, s14
	s_cbranch_execz .LBB6_12319
; %bb.12314:                            ;   in Loop: Header=BB6_11393 Depth=4
	s_mov_b32 s14, exec_lo
                                        ; implicit-def: $vgpr6
	scratch_store_b64 off, v[6:7], s33 offset:248 ; 8-byte Folded Spill
	s_wait_xcnt 0x0
	v_cmpx_ne_u64_e32 0, v[112:113]
	s_xor_b32 s14, exec_lo, s14
	s_cbranch_execz .LBB6_12316
; %bb.12315:                            ;   in Loop: Header=BB6_11393 Depth=4
	v_lshrrev_b32_e32 v1, 24, v2
	s_delay_alu instid0(VALU_DEP_1)
	v_or_b32_e32 v2, 0x7f, v1
	scratch_store_b64 off, v[2:3], s33 offset:248 ; 8-byte Folded Spill
                                        ; implicit-def: $vgpr2
.LBB6_12316:                            ;   in Loop: Header=BB6_11393 Depth=4
	s_wait_xcnt 0x0
	s_and_not1_saveexec_b32 s14, s14
	s_cbranch_execz .LBB6_12318
; %bb.12317:                            ;   in Loop: Header=BB6_11393 Depth=4
	v_cmp_lt_i32_e32 vcc_lo, -1, v2
	v_cndmask_b32_e64 v2, -4, 0x7c, vcc_lo
	scratch_store_b64 off, v[2:3], s33 offset:248 ; 8-byte Folded Spill
.LBB6_12318:                            ;   in Loop: Header=BB6_11393 Depth=4
	s_wait_xcnt 0x0
	s_or_b32 exec_lo, exec_lo, s14
.LBB6_12319:                            ;   in Loop: Header=BB6_11393 Depth=4
	s_delay_alu instid0(SALU_CYCLE_1)
	s_or_b32 exec_lo, exec_lo, s13
	flat_load_i8 v2, v[8:9] offset:864 th:TH_LOAD_NT
	v_mov_b32_e32 v3, 0
	s_mov_b32 s13, exec_lo
	s_wait_loadcnt_dscnt 0x0
	s_wait_xcnt 0x0
	v_cmpx_ne_u16_e32 0, v2
	s_cbranch_execz .LBB6_12329
; %bb.12320:                            ;   in Loop: Header=BB6_11393 Depth=4
	v_bfrev_b32_e32 v3, 1
	s_mov_b32 s14, exec_lo
	v_cmpx_ne_u16_e32 0xff80, v2
	s_cbranch_execz .LBB6_12328
; %bb.12321:                            ;   in Loop: Header=BB6_11393 Depth=4
	v_and_b32_e32 v3, 0x7c, v2
	v_and_b32_e32 v1, 3, v2
	s_delay_alu instid0(VALU_DEP_2) | instskip(SKIP_1) | instid1(SALU_CYCLE_1)
	v_cmp_ne_u32_e32 vcc_lo, 0x7c, v3
                                        ; implicit-def: $vgpr3
	s_and_saveexec_b32 s15, vcc_lo
	s_xor_b32 s15, exec_lo, s15
	s_cbranch_execz .LBB6_12325
; %bb.12322:                            ;   in Loop: Header=BB6_11393 Depth=4
	v_and_b32_e32 v3, 0xff, v2
	s_mov_b32 s76, exec_lo
	s_delay_alu instid0(VALU_DEP_1) | instskip(NEXT) | instid1(VALU_DEP_1)
	v_bfe_u32 v3, v3, 2, 5
	v_cmpx_eq_u32_e32 0, v3
; %bb.12323:                            ;   in Loop: Header=BB6_11393 Depth=4
	v_clz_i32_u32_e32 v1, v1
	v_mov_b32_e32 v3, v113
	s_delay_alu instid0(VALU_DEP_2) | instskip(NEXT) | instid1(VALU_DEP_1)
	v_min_u32_e32 v1, 32, v1
	v_subrev_nc_u32_e32 v5, 29, v1
	s_delay_alu instid0(VALU_DEP_1) | instskip(NEXT) | instid1(VALU_DEP_1)
	v_lshlrev_b64_e32 v[6:7], v5, v[2:3]
	v_dual_sub_nc_u32 v3, 30, v1 :: v_dual_bitop2_b32 v1, 3, v6 bitop3:0x40
; %bb.12324:                            ;   in Loop: Header=BB6_11393 Depth=4
	s_or_b32 exec_lo, exec_lo, s76
	v_bfe_i32 v2, v2, 0, 16
	s_delay_alu instid0(VALU_DEP_1) | instskip(NEXT) | instid1(VALU_DEP_1)
	v_and_b32_e32 v2, 0x80000000, v2
	v_lshl_add_u32 v2, v3, 23, v2
	s_delay_alu instid0(VALU_DEP_1) | instskip(NEXT) | instid1(VALU_DEP_1)
	v_lshl_or_b32 v1, v1, 21, v2
                                        ; implicit-def: $vgpr2
	v_add_nc_u32_e32 v3, 0x38000000, v1
                                        ; implicit-def: $vgpr1
.LBB6_12325:                            ;   in Loop: Header=BB6_11393 Depth=4
	s_and_not1_saveexec_b32 s15, s15
; %bb.12326:                            ;   in Loop: Header=BB6_11393 Depth=4
	v_cmp_lt_i16_e32 vcc_lo, -1, v2
	v_mov_b32_e32 v2, 0x7f800000
	s_delay_alu instid0(VALU_DEP_1) | instskip(SKIP_1) | instid1(VALU_DEP_2)
	v_cndmask_b32_e32 v2, 0xff800000, v2, vcc_lo
	v_cmp_eq_u32_e32 vcc_lo, 0, v1
	v_cndmask_b32_e32 v3, 0x7f800001, v2, vcc_lo
; %bb.12327:                            ;   in Loop: Header=BB6_11393 Depth=4
	s_or_b32 exec_lo, exec_lo, s15
.LBB6_12328:                            ;   in Loop: Header=BB6_11393 Depth=4
	s_delay_alu instid0(SALU_CYCLE_1)
	s_or_b32 exec_lo, exec_lo, s14
.LBB6_12329:                            ;   in Loop: Header=BB6_11393 Depth=4
	s_delay_alu instid0(SALU_CYCLE_1) | instskip(NEXT) | instid1(VALU_DEP_1)
	s_or_b32 exec_lo, exec_lo, s13
	v_dual_mul_f32 v2, s75, v3 :: v_dual_mov_b32 v7, v113
	s_delay_alu instid0(VALU_DEP_1) | instskip(SKIP_1) | instid1(VALU_DEP_2)
	v_and_b32_e32 v6, 0x7f800000, v2
	v_and_b32_e32 v112, 0x7fffff, v2
	v_cmp_ne_u64_e32 vcc_lo, 0x7f800000, v[6:7]
                                        ; implicit-def: $vgpr6
	scratch_store_b64 off, v[6:7], s33 offset:240 ; 8-byte Folded Spill
	s_wait_xcnt 0x0
	s_and_saveexec_b32 s13, vcc_lo
	s_delay_alu instid0(SALU_CYCLE_1)
	s_xor_b32 s14, exec_lo, s13
	s_cbranch_execz .LBB6_12347
; %bb.12330:                            ;   in Loop: Header=BB6_11393 Depth=4
	v_and_b32_e32 v6, 0x7fffffff, v2
	v_dual_mov_b32 v7, v113 :: v_dual_lshrrev_b32 v1, 24, v2
	s_delay_alu instid0(VALU_DEP_1) | instskip(NEXT) | instid1(VALU_DEP_2)
	v_cmp_gt_u64_e32 vcc_lo, 0x47600001, v[6:7]
	v_and_b32_e32 v1, 0x80, v1
                                        ; implicit-def: $vgpr6
	scratch_store_b64 off, v[6:7], s33 offset:240 ; 8-byte Folded Spill
	s_wait_xcnt 0x0
	s_and_saveexec_b32 s13, vcc_lo
	s_delay_alu instid0(SALU_CYCLE_1)
	s_xor_b32 s15, exec_lo, s13
	s_cbranch_execz .LBB6_12344
; %bb.12331:                            ;   in Loop: Header=BB6_11393 Depth=4
	v_mov_b32_e32 v6, 0
	s_mov_b32 s76, exec_lo
	scratch_store_b64 off, v[6:7], s33 offset:240 ; 8-byte Folded Spill
	s_wait_xcnt 0x0
	v_cmpx_ne_u32_e32 0, v2
	s_cbranch_execz .LBB6_12343
; %bb.12332:                            ;   in Loop: Header=BB6_11393 Depth=4
	v_bfe_u32 v5, v2, 23, 8
	v_or_b32_e32 v3, 0x800000, v112
	s_delay_alu instid0(VALU_DEP_2) | instskip(SKIP_2) | instid1(VALU_DEP_2)
	v_cmp_gt_u32_e64 s13, 0x72, v5
	v_sub_nc_u32_e32 v2, 0x71, v5
	v_cmp_eq_u32_e32 vcc_lo, 0, v5
	v_cndmask_b32_e64 v2, 0, v2, s13
	s_delay_alu instid0(VALU_DEP_1) | instskip(SKIP_1) | instid1(VALU_DEP_2)
	v_cndmask_b32_e64 v14, v2, 0x70, vcc_lo
	v_dual_cndmask_b32 v2, v3, v112 :: v_dual_mov_b32 v3, v113
	v_dual_add_nc_u32 v6, 21, v14 :: v_dual_add_nc_u32 v15, 20, v14
	s_delay_alu instid0(VALU_DEP_1) | instskip(NEXT) | instid1(VALU_DEP_2)
	v_lshlrev_b64_e64 v[6:7], v6, -1
	v_lshlrev_b64_e64 v[16:17], v15, 1
	s_delay_alu instid0(VALU_DEP_2) | instskip(SKIP_1) | instid1(VALU_DEP_4)
	v_bfi_b32 v6, v6, 0, v2
	v_lshrrev_b64 v[2:3], v14, v[2:3]
	v_bfi_b32 v7, v7, 0, 0
	s_delay_alu instid0(VALU_DEP_1) | instskip(NEXT) | instid1(VALU_DEP_3)
	v_cmp_eq_u64_e64 s13, v[6:7], v[16:17]
	v_mov_b64_e32 v[6:7], v[2:3]
	s_and_saveexec_b32 s77, s13
; %bb.12333:                            ;   in Loop: Header=BB6_11393 Depth=4
	v_bfe_u32 v6, v2, 21, 1
	v_mov_b32_e32 v7, v113
	s_delay_alu instid0(VALU_DEP_1) | instskip(NEXT) | instid1(VALU_DEP_1)
	v_add_nc_u64_e32 v[6:7], v[2:3], v[6:7]
	v_add_nc_u64_e32 v[6:7], -1, v[6:7]
; %bb.12334:                            ;   in Loop: Header=BB6_11393 Depth=4
	s_or_b32 exec_lo, exec_lo, s77
	v_add_nc_u32_e32 v3, 0xffffff81, v5
	s_delay_alu instid0(VALU_DEP_2) | instskip(SKIP_2) | instid1(VALU_DEP_3)
	v_and_b32_e32 v7, 0x1fffff, v6
	v_lshrrev_b32_e32 v5, 23, v2
	s_mov_b32 s13, exec_lo
	v_cndmask_b32_e64 v3, v3, 0xffffff82, vcc_lo
	s_delay_alu instid0(VALU_DEP_3) | instskip(NEXT) | instid1(VALU_DEP_2)
	v_add_nc_u32_e32 v112, v7, v2
	v_add3_u32 v6, v14, v3, v5
                                        ; implicit-def: $vgpr2_vgpr3
                                        ; implicit-def: $vgpr5
	s_delay_alu instid0(VALU_DEP_1) | instskip(NEXT) | instid1(VALU_DEP_1)
	v_add_nc_u32_e32 v7, 14, v6
	v_cmpx_ne_u32_e32 0, v7
	s_xor_b32 s13, exec_lo, s13
; %bb.12335:                            ;   in Loop: Header=BB6_11393 Depth=4
	v_cmp_lt_u64_e32 vcc_lo, 0xffffff, v[112:113]
	v_add_nc_u32_e32 v2, 15, v6
	s_delay_alu instid0(VALU_DEP_1) | instskip(SKIP_1) | instid1(VALU_DEP_1)
	v_cndmask_b32_e32 v5, v7, v2, vcc_lo
	v_cndmask_b32_e64 v2, 0, 1, vcc_lo
	v_lshrrev_b64 v[2:3], v2, v[112:113]
; %bb.12336:                            ;   in Loop: Header=BB6_11393 Depth=4
	s_and_not1_saveexec_b32 s13, s13
; %bb.12337:                            ;   in Loop: Header=BB6_11393 Depth=4
	v_mov_b64_e32 v[2:3], v[112:113]
	v_bfe_u32 v5, v112, 23, 1
; %bb.12338:                            ;   in Loop: Header=BB6_11393 Depth=4
	s_or_b32 exec_lo, exec_lo, s13
	s_delay_alu instid0(VALU_DEP_2) | instskip(NEXT) | instid1(VALU_DEP_2)
	v_lshrrev_b64 v[2:3], 21, v[2:3]
	v_cmp_gt_i32_e32 vcc_lo, 32, v5
	v_cmp_ne_u32_e64 s13, 0, v5
                                        ; implicit-def: $vgpr6
	scratch_store_b64 off, v[6:7], s33 offset:240 ; 8-byte Folded Spill
	v_dual_cndmask_b32 v3, 0, v3 :: v_dual_cndmask_b32 v2, 3, v2
	s_delay_alu instid0(VALU_DEP_1) | instskip(SKIP_3) | instid1(SALU_CYCLE_1)
	v_cmp_ne_u64_e32 vcc_lo, 0, v[2:3]
	s_or_b32 s13, s13, vcc_lo
	s_wait_xcnt 0x0
	s_and_saveexec_b32 s77, s13
	s_xor_b32 s13, exec_lo, s77
	s_cbranch_execz .LBB6_12340
; %bb.12339:                            ;   in Loop: Header=BB6_11393 Depth=4
	v_min_i32_e32 v3, 31, v5
	s_delay_alu instid0(VALU_DEP_1) | instskip(NEXT) | instid1(VALU_DEP_1)
	v_lshl_or_b32 v1, v3, 2, v1
	v_and_or_b32 v2, v2, 3, v1
                                        ; implicit-def: $vgpr1
	scratch_store_b64 off, v[2:3], s33 offset:240 ; 8-byte Folded Spill
.LBB6_12340:                            ;   in Loop: Header=BB6_11393 Depth=4
	s_wait_xcnt 0x0
	s_and_not1_saveexec_b32 s13, s13
	s_cbranch_execz .LBB6_12342
; %bb.12341:                            ;   in Loop: Header=BB6_11393 Depth=4
	v_mov_b32_e32 v2, v1
	scratch_store_b64 off, v[2:3], s33 offset:240 ; 8-byte Folded Spill
.LBB6_12342:                            ;   in Loop: Header=BB6_11393 Depth=4
	s_wait_xcnt 0x0
	s_or_b32 exec_lo, exec_lo, s13
.LBB6_12343:                            ;   in Loop: Header=BB6_11393 Depth=4
	s_delay_alu instid0(SALU_CYCLE_1)
	s_or_b32 exec_lo, exec_lo, s76
                                        ; implicit-def: $vgpr1
.LBB6_12344:                            ;   in Loop: Header=BB6_11393 Depth=4
	s_and_not1_saveexec_b32 s13, s15
	s_cbranch_execz .LBB6_12346
; %bb.12345:                            ;   in Loop: Header=BB6_11393 Depth=4
	v_or_b32_e32 v2, 0x7b, v1
	scratch_store_b64 off, v[2:3], s33 offset:240 ; 8-byte Folded Spill
.LBB6_12346:                            ;   in Loop: Header=BB6_11393 Depth=4
	s_wait_xcnt 0x0
	s_or_b32 exec_lo, exec_lo, s13
                                        ; implicit-def: $vgpr2
.LBB6_12347:                            ;   in Loop: Header=BB6_11393 Depth=4
	s_and_not1_saveexec_b32 s13, s14
	s_cbranch_execz .LBB6_12353
; %bb.12348:                            ;   in Loop: Header=BB6_11393 Depth=4
	s_mov_b32 s14, exec_lo
                                        ; implicit-def: $vgpr6
	scratch_store_b64 off, v[6:7], s33 offset:240 ; 8-byte Folded Spill
	s_wait_xcnt 0x0
	v_cmpx_ne_u64_e32 0, v[112:113]
	s_xor_b32 s14, exec_lo, s14
	s_cbranch_execz .LBB6_12350
; %bb.12349:                            ;   in Loop: Header=BB6_11393 Depth=4
	v_lshrrev_b32_e32 v1, 24, v2
	s_delay_alu instid0(VALU_DEP_1)
	v_or_b32_e32 v2, 0x7f, v1
	scratch_store_b64 off, v[2:3], s33 offset:240 ; 8-byte Folded Spill
                                        ; implicit-def: $vgpr2
.LBB6_12350:                            ;   in Loop: Header=BB6_11393 Depth=4
	s_wait_xcnt 0x0
	s_and_not1_saveexec_b32 s14, s14
	s_cbranch_execz .LBB6_12352
; %bb.12351:                            ;   in Loop: Header=BB6_11393 Depth=4
	v_cmp_lt_i32_e32 vcc_lo, -1, v2
	v_cndmask_b32_e64 v2, -4, 0x7c, vcc_lo
	scratch_store_b64 off, v[2:3], s33 offset:240 ; 8-byte Folded Spill
.LBB6_12352:                            ;   in Loop: Header=BB6_11393 Depth=4
	s_wait_xcnt 0x0
	s_or_b32 exec_lo, exec_lo, s14
.LBB6_12353:                            ;   in Loop: Header=BB6_11393 Depth=4
	s_delay_alu instid0(SALU_CYCLE_1)
	s_or_b32 exec_lo, exec_lo, s13
	flat_load_i8 v2, v[8:9] offset:896 th:TH_LOAD_NT
	v_mov_b32_e32 v3, 0
	s_mov_b32 s13, exec_lo
	s_wait_loadcnt_dscnt 0x0
	s_wait_xcnt 0x0
	v_cmpx_ne_u16_e32 0, v2
	s_cbranch_execz .LBB6_12363
; %bb.12354:                            ;   in Loop: Header=BB6_11393 Depth=4
	v_bfrev_b32_e32 v3, 1
	s_mov_b32 s14, exec_lo
	v_cmpx_ne_u16_e32 0xff80, v2
	s_cbranch_execz .LBB6_12362
; %bb.12355:                            ;   in Loop: Header=BB6_11393 Depth=4
	v_and_b32_e32 v3, 0x7c, v2
	v_and_b32_e32 v1, 3, v2
	s_delay_alu instid0(VALU_DEP_2) | instskip(SKIP_1) | instid1(SALU_CYCLE_1)
	v_cmp_ne_u32_e32 vcc_lo, 0x7c, v3
                                        ; implicit-def: $vgpr3
	s_and_saveexec_b32 s15, vcc_lo
	s_xor_b32 s15, exec_lo, s15
	s_cbranch_execz .LBB6_12359
; %bb.12356:                            ;   in Loop: Header=BB6_11393 Depth=4
	v_and_b32_e32 v3, 0xff, v2
	s_mov_b32 s76, exec_lo
	s_delay_alu instid0(VALU_DEP_1) | instskip(NEXT) | instid1(VALU_DEP_1)
	v_bfe_u32 v3, v3, 2, 5
	v_cmpx_eq_u32_e32 0, v3
; %bb.12357:                            ;   in Loop: Header=BB6_11393 Depth=4
	v_clz_i32_u32_e32 v1, v1
	v_mov_b32_e32 v3, v113
	s_delay_alu instid0(VALU_DEP_2) | instskip(NEXT) | instid1(VALU_DEP_1)
	v_min_u32_e32 v1, 32, v1
	v_subrev_nc_u32_e32 v5, 29, v1
	s_delay_alu instid0(VALU_DEP_1) | instskip(NEXT) | instid1(VALU_DEP_1)
	v_lshlrev_b64_e32 v[6:7], v5, v[2:3]
	v_dual_sub_nc_u32 v3, 30, v1 :: v_dual_bitop2_b32 v1, 3, v6 bitop3:0x40
; %bb.12358:                            ;   in Loop: Header=BB6_11393 Depth=4
	s_or_b32 exec_lo, exec_lo, s76
	v_bfe_i32 v2, v2, 0, 16
	s_delay_alu instid0(VALU_DEP_1) | instskip(NEXT) | instid1(VALU_DEP_1)
	v_and_b32_e32 v2, 0x80000000, v2
	v_lshl_add_u32 v2, v3, 23, v2
	s_delay_alu instid0(VALU_DEP_1) | instskip(NEXT) | instid1(VALU_DEP_1)
	v_lshl_or_b32 v1, v1, 21, v2
                                        ; implicit-def: $vgpr2
	v_add_nc_u32_e32 v3, 0x38000000, v1
                                        ; implicit-def: $vgpr1
.LBB6_12359:                            ;   in Loop: Header=BB6_11393 Depth=4
	s_and_not1_saveexec_b32 s15, s15
; %bb.12360:                            ;   in Loop: Header=BB6_11393 Depth=4
	v_cmp_lt_i16_e32 vcc_lo, -1, v2
	v_mov_b32_e32 v2, 0x7f800000
	s_delay_alu instid0(VALU_DEP_1) | instskip(SKIP_1) | instid1(VALU_DEP_2)
	v_cndmask_b32_e32 v2, 0xff800000, v2, vcc_lo
	v_cmp_eq_u32_e32 vcc_lo, 0, v1
	v_cndmask_b32_e32 v3, 0x7f800001, v2, vcc_lo
; %bb.12361:                            ;   in Loop: Header=BB6_11393 Depth=4
	s_or_b32 exec_lo, exec_lo, s15
.LBB6_12362:                            ;   in Loop: Header=BB6_11393 Depth=4
	s_delay_alu instid0(SALU_CYCLE_1)
	s_or_b32 exec_lo, exec_lo, s14
.LBB6_12363:                            ;   in Loop: Header=BB6_11393 Depth=4
	s_delay_alu instid0(SALU_CYCLE_1) | instskip(NEXT) | instid1(VALU_DEP_1)
	s_or_b32 exec_lo, exec_lo, s13
	v_dual_mul_f32 v2, s75, v3 :: v_dual_mov_b32 v7, v113
	s_delay_alu instid0(VALU_DEP_1) | instskip(SKIP_1) | instid1(VALU_DEP_2)
	v_and_b32_e32 v6, 0x7f800000, v2
	v_and_b32_e32 v112, 0x7fffff, v2
	v_cmp_ne_u64_e32 vcc_lo, 0x7f800000, v[6:7]
                                        ; implicit-def: $vgpr6
	scratch_store_b64 off, v[6:7], s33 offset:232 ; 8-byte Folded Spill
	s_wait_xcnt 0x0
	s_and_saveexec_b32 s13, vcc_lo
	s_delay_alu instid0(SALU_CYCLE_1)
	s_xor_b32 s14, exec_lo, s13
	s_cbranch_execz .LBB6_12381
; %bb.12364:                            ;   in Loop: Header=BB6_11393 Depth=4
	v_and_b32_e32 v6, 0x7fffffff, v2
	v_dual_mov_b32 v7, v113 :: v_dual_lshrrev_b32 v1, 24, v2
	s_delay_alu instid0(VALU_DEP_1) | instskip(NEXT) | instid1(VALU_DEP_2)
	v_cmp_gt_u64_e32 vcc_lo, 0x47600001, v[6:7]
	v_and_b32_e32 v1, 0x80, v1
                                        ; implicit-def: $vgpr6
	scratch_store_b64 off, v[6:7], s33 offset:232 ; 8-byte Folded Spill
	s_wait_xcnt 0x0
	s_and_saveexec_b32 s13, vcc_lo
	s_delay_alu instid0(SALU_CYCLE_1)
	s_xor_b32 s15, exec_lo, s13
	s_cbranch_execz .LBB6_12378
; %bb.12365:                            ;   in Loop: Header=BB6_11393 Depth=4
	v_mov_b32_e32 v6, 0
	s_mov_b32 s76, exec_lo
	scratch_store_b64 off, v[6:7], s33 offset:232 ; 8-byte Folded Spill
	s_wait_xcnt 0x0
	v_cmpx_ne_u32_e32 0, v2
	s_cbranch_execz .LBB6_12377
; %bb.12366:                            ;   in Loop: Header=BB6_11393 Depth=4
	v_bfe_u32 v5, v2, 23, 8
	v_or_b32_e32 v3, 0x800000, v112
	s_delay_alu instid0(VALU_DEP_2) | instskip(SKIP_2) | instid1(VALU_DEP_2)
	v_cmp_gt_u32_e64 s13, 0x72, v5
	v_sub_nc_u32_e32 v2, 0x71, v5
	v_cmp_eq_u32_e32 vcc_lo, 0, v5
	v_cndmask_b32_e64 v2, 0, v2, s13
	s_delay_alu instid0(VALU_DEP_1) | instskip(SKIP_1) | instid1(VALU_DEP_2)
	v_cndmask_b32_e64 v14, v2, 0x70, vcc_lo
	v_dual_cndmask_b32 v2, v3, v112 :: v_dual_mov_b32 v3, v113
	v_dual_add_nc_u32 v6, 21, v14 :: v_dual_add_nc_u32 v15, 20, v14
	s_delay_alu instid0(VALU_DEP_1) | instskip(NEXT) | instid1(VALU_DEP_2)
	v_lshlrev_b64_e64 v[6:7], v6, -1
	v_lshlrev_b64_e64 v[16:17], v15, 1
	s_delay_alu instid0(VALU_DEP_2) | instskip(SKIP_1) | instid1(VALU_DEP_4)
	v_bfi_b32 v6, v6, 0, v2
	v_lshrrev_b64 v[2:3], v14, v[2:3]
	v_bfi_b32 v7, v7, 0, 0
	s_delay_alu instid0(VALU_DEP_1) | instskip(NEXT) | instid1(VALU_DEP_3)
	v_cmp_eq_u64_e64 s13, v[6:7], v[16:17]
	v_mov_b64_e32 v[6:7], v[2:3]
	s_and_saveexec_b32 s77, s13
; %bb.12367:                            ;   in Loop: Header=BB6_11393 Depth=4
	v_bfe_u32 v6, v2, 21, 1
	v_mov_b32_e32 v7, v113
	s_delay_alu instid0(VALU_DEP_1) | instskip(NEXT) | instid1(VALU_DEP_1)
	v_add_nc_u64_e32 v[6:7], v[2:3], v[6:7]
	v_add_nc_u64_e32 v[6:7], -1, v[6:7]
; %bb.12368:                            ;   in Loop: Header=BB6_11393 Depth=4
	s_or_b32 exec_lo, exec_lo, s77
	v_add_nc_u32_e32 v3, 0xffffff81, v5
	s_delay_alu instid0(VALU_DEP_2) | instskip(SKIP_2) | instid1(VALU_DEP_3)
	v_and_b32_e32 v7, 0x1fffff, v6
	v_lshrrev_b32_e32 v5, 23, v2
	s_mov_b32 s13, exec_lo
	v_cndmask_b32_e64 v3, v3, 0xffffff82, vcc_lo
	s_delay_alu instid0(VALU_DEP_3) | instskip(NEXT) | instid1(VALU_DEP_2)
	v_add_nc_u32_e32 v112, v7, v2
	v_add3_u32 v6, v14, v3, v5
                                        ; implicit-def: $vgpr2_vgpr3
                                        ; implicit-def: $vgpr5
	s_delay_alu instid0(VALU_DEP_1) | instskip(NEXT) | instid1(VALU_DEP_1)
	v_add_nc_u32_e32 v7, 14, v6
	v_cmpx_ne_u32_e32 0, v7
	s_xor_b32 s13, exec_lo, s13
; %bb.12369:                            ;   in Loop: Header=BB6_11393 Depth=4
	v_cmp_lt_u64_e32 vcc_lo, 0xffffff, v[112:113]
	v_add_nc_u32_e32 v2, 15, v6
	s_delay_alu instid0(VALU_DEP_1) | instskip(SKIP_1) | instid1(VALU_DEP_1)
	v_cndmask_b32_e32 v5, v7, v2, vcc_lo
	v_cndmask_b32_e64 v2, 0, 1, vcc_lo
	v_lshrrev_b64 v[2:3], v2, v[112:113]
; %bb.12370:                            ;   in Loop: Header=BB6_11393 Depth=4
	s_and_not1_saveexec_b32 s13, s13
; %bb.12371:                            ;   in Loop: Header=BB6_11393 Depth=4
	v_mov_b64_e32 v[2:3], v[112:113]
	v_bfe_u32 v5, v112, 23, 1
; %bb.12372:                            ;   in Loop: Header=BB6_11393 Depth=4
	s_or_b32 exec_lo, exec_lo, s13
	s_delay_alu instid0(VALU_DEP_2) | instskip(NEXT) | instid1(VALU_DEP_2)
	v_lshrrev_b64 v[2:3], 21, v[2:3]
	v_cmp_gt_i32_e32 vcc_lo, 32, v5
	v_cmp_ne_u32_e64 s13, 0, v5
                                        ; implicit-def: $vgpr6
	scratch_store_b64 off, v[6:7], s33 offset:232 ; 8-byte Folded Spill
	v_dual_cndmask_b32 v3, 0, v3 :: v_dual_cndmask_b32 v2, 3, v2
	s_delay_alu instid0(VALU_DEP_1) | instskip(SKIP_3) | instid1(SALU_CYCLE_1)
	v_cmp_ne_u64_e32 vcc_lo, 0, v[2:3]
	s_or_b32 s13, s13, vcc_lo
	s_wait_xcnt 0x0
	s_and_saveexec_b32 s77, s13
	s_xor_b32 s13, exec_lo, s77
	s_cbranch_execz .LBB6_12374
; %bb.12373:                            ;   in Loop: Header=BB6_11393 Depth=4
	v_min_i32_e32 v3, 31, v5
	s_delay_alu instid0(VALU_DEP_1) | instskip(NEXT) | instid1(VALU_DEP_1)
	v_lshl_or_b32 v1, v3, 2, v1
	v_and_or_b32 v2, v2, 3, v1
                                        ; implicit-def: $vgpr1
	scratch_store_b64 off, v[2:3], s33 offset:232 ; 8-byte Folded Spill
.LBB6_12374:                            ;   in Loop: Header=BB6_11393 Depth=4
	s_wait_xcnt 0x0
	s_and_not1_saveexec_b32 s13, s13
	s_cbranch_execz .LBB6_12376
; %bb.12375:                            ;   in Loop: Header=BB6_11393 Depth=4
	v_mov_b32_e32 v2, v1
	scratch_store_b64 off, v[2:3], s33 offset:232 ; 8-byte Folded Spill
.LBB6_12376:                            ;   in Loop: Header=BB6_11393 Depth=4
	s_wait_xcnt 0x0
	s_or_b32 exec_lo, exec_lo, s13
.LBB6_12377:                            ;   in Loop: Header=BB6_11393 Depth=4
	s_delay_alu instid0(SALU_CYCLE_1)
	s_or_b32 exec_lo, exec_lo, s76
                                        ; implicit-def: $vgpr1
.LBB6_12378:                            ;   in Loop: Header=BB6_11393 Depth=4
	s_and_not1_saveexec_b32 s13, s15
	s_cbranch_execz .LBB6_12380
; %bb.12379:                            ;   in Loop: Header=BB6_11393 Depth=4
	v_or_b32_e32 v2, 0x7b, v1
	scratch_store_b64 off, v[2:3], s33 offset:232 ; 8-byte Folded Spill
.LBB6_12380:                            ;   in Loop: Header=BB6_11393 Depth=4
	s_wait_xcnt 0x0
	s_or_b32 exec_lo, exec_lo, s13
                                        ; implicit-def: $vgpr2
.LBB6_12381:                            ;   in Loop: Header=BB6_11393 Depth=4
	s_and_not1_saveexec_b32 s13, s14
	s_cbranch_execz .LBB6_12387
; %bb.12382:                            ;   in Loop: Header=BB6_11393 Depth=4
	s_mov_b32 s14, exec_lo
                                        ; implicit-def: $vgpr6
	scratch_store_b64 off, v[6:7], s33 offset:232 ; 8-byte Folded Spill
	s_wait_xcnt 0x0
	v_cmpx_ne_u64_e32 0, v[112:113]
	s_xor_b32 s14, exec_lo, s14
	s_cbranch_execz .LBB6_12384
; %bb.12383:                            ;   in Loop: Header=BB6_11393 Depth=4
	v_lshrrev_b32_e32 v1, 24, v2
	s_delay_alu instid0(VALU_DEP_1)
	v_or_b32_e32 v2, 0x7f, v1
	scratch_store_b64 off, v[2:3], s33 offset:232 ; 8-byte Folded Spill
                                        ; implicit-def: $vgpr2
.LBB6_12384:                            ;   in Loop: Header=BB6_11393 Depth=4
	s_wait_xcnt 0x0
	s_and_not1_saveexec_b32 s14, s14
	s_cbranch_execz .LBB6_12386
; %bb.12385:                            ;   in Loop: Header=BB6_11393 Depth=4
	v_cmp_lt_i32_e32 vcc_lo, -1, v2
	v_cndmask_b32_e64 v2, -4, 0x7c, vcc_lo
	scratch_store_b64 off, v[2:3], s33 offset:232 ; 8-byte Folded Spill
.LBB6_12386:                            ;   in Loop: Header=BB6_11393 Depth=4
	s_wait_xcnt 0x0
	s_or_b32 exec_lo, exec_lo, s14
.LBB6_12387:                            ;   in Loop: Header=BB6_11393 Depth=4
	s_delay_alu instid0(SALU_CYCLE_1)
	s_or_b32 exec_lo, exec_lo, s13
	flat_load_i8 v2, v[8:9] offset:928 th:TH_LOAD_NT
	v_mov_b32_e32 v3, 0
	s_mov_b32 s13, exec_lo
	s_wait_loadcnt_dscnt 0x0
	s_wait_xcnt 0x0
	v_cmpx_ne_u16_e32 0, v2
	s_cbranch_execz .LBB6_12397
; %bb.12388:                            ;   in Loop: Header=BB6_11393 Depth=4
	v_bfrev_b32_e32 v3, 1
	s_mov_b32 s14, exec_lo
	v_cmpx_ne_u16_e32 0xff80, v2
	s_cbranch_execz .LBB6_12396
; %bb.12389:                            ;   in Loop: Header=BB6_11393 Depth=4
	v_and_b32_e32 v3, 0x7c, v2
	v_and_b32_e32 v1, 3, v2
	s_delay_alu instid0(VALU_DEP_2) | instskip(SKIP_1) | instid1(SALU_CYCLE_1)
	v_cmp_ne_u32_e32 vcc_lo, 0x7c, v3
                                        ; implicit-def: $vgpr3
	s_and_saveexec_b32 s15, vcc_lo
	s_xor_b32 s15, exec_lo, s15
	s_cbranch_execz .LBB6_12393
; %bb.12390:                            ;   in Loop: Header=BB6_11393 Depth=4
	v_and_b32_e32 v3, 0xff, v2
	s_mov_b32 s76, exec_lo
	s_delay_alu instid0(VALU_DEP_1) | instskip(NEXT) | instid1(VALU_DEP_1)
	v_bfe_u32 v3, v3, 2, 5
	v_cmpx_eq_u32_e32 0, v3
; %bb.12391:                            ;   in Loop: Header=BB6_11393 Depth=4
	v_clz_i32_u32_e32 v1, v1
	v_mov_b32_e32 v3, v113
	s_delay_alu instid0(VALU_DEP_2) | instskip(NEXT) | instid1(VALU_DEP_1)
	v_min_u32_e32 v1, 32, v1
	v_subrev_nc_u32_e32 v5, 29, v1
	s_delay_alu instid0(VALU_DEP_1) | instskip(NEXT) | instid1(VALU_DEP_1)
	v_lshlrev_b64_e32 v[6:7], v5, v[2:3]
	v_dual_sub_nc_u32 v3, 30, v1 :: v_dual_bitop2_b32 v1, 3, v6 bitop3:0x40
; %bb.12392:                            ;   in Loop: Header=BB6_11393 Depth=4
	s_or_b32 exec_lo, exec_lo, s76
	v_bfe_i32 v2, v2, 0, 16
	s_delay_alu instid0(VALU_DEP_1) | instskip(NEXT) | instid1(VALU_DEP_1)
	v_and_b32_e32 v2, 0x80000000, v2
	v_lshl_add_u32 v2, v3, 23, v2
	s_delay_alu instid0(VALU_DEP_1) | instskip(NEXT) | instid1(VALU_DEP_1)
	v_lshl_or_b32 v1, v1, 21, v2
                                        ; implicit-def: $vgpr2
	v_add_nc_u32_e32 v3, 0x38000000, v1
                                        ; implicit-def: $vgpr1
.LBB6_12393:                            ;   in Loop: Header=BB6_11393 Depth=4
	s_and_not1_saveexec_b32 s15, s15
; %bb.12394:                            ;   in Loop: Header=BB6_11393 Depth=4
	v_cmp_lt_i16_e32 vcc_lo, -1, v2
	v_mov_b32_e32 v2, 0x7f800000
	s_delay_alu instid0(VALU_DEP_1) | instskip(SKIP_1) | instid1(VALU_DEP_2)
	v_cndmask_b32_e32 v2, 0xff800000, v2, vcc_lo
	v_cmp_eq_u32_e32 vcc_lo, 0, v1
	v_cndmask_b32_e32 v3, 0x7f800001, v2, vcc_lo
; %bb.12395:                            ;   in Loop: Header=BB6_11393 Depth=4
	s_or_b32 exec_lo, exec_lo, s15
.LBB6_12396:                            ;   in Loop: Header=BB6_11393 Depth=4
	s_delay_alu instid0(SALU_CYCLE_1)
	s_or_b32 exec_lo, exec_lo, s14
.LBB6_12397:                            ;   in Loop: Header=BB6_11393 Depth=4
	s_delay_alu instid0(SALU_CYCLE_1) | instskip(NEXT) | instid1(VALU_DEP_1)
	s_or_b32 exec_lo, exec_lo, s13
	v_dual_mul_f32 v2, s75, v3 :: v_dual_mov_b32 v7, v113
	s_delay_alu instid0(VALU_DEP_1) | instskip(SKIP_1) | instid1(VALU_DEP_2)
	v_and_b32_e32 v6, 0x7f800000, v2
	v_and_b32_e32 v112, 0x7fffff, v2
	v_cmp_ne_u64_e32 vcc_lo, 0x7f800000, v[6:7]
                                        ; implicit-def: $vgpr6
	scratch_store_b64 off, v[6:7], s33 offset:224 ; 8-byte Folded Spill
	s_wait_xcnt 0x0
	s_and_saveexec_b32 s13, vcc_lo
	s_delay_alu instid0(SALU_CYCLE_1)
	s_xor_b32 s14, exec_lo, s13
	s_cbranch_execz .LBB6_12415
; %bb.12398:                            ;   in Loop: Header=BB6_11393 Depth=4
	v_and_b32_e32 v6, 0x7fffffff, v2
	v_dual_mov_b32 v7, v113 :: v_dual_lshrrev_b32 v1, 24, v2
	s_delay_alu instid0(VALU_DEP_1) | instskip(NEXT) | instid1(VALU_DEP_2)
	v_cmp_gt_u64_e32 vcc_lo, 0x47600001, v[6:7]
	v_and_b32_e32 v1, 0x80, v1
                                        ; implicit-def: $vgpr6
	scratch_store_b64 off, v[6:7], s33 offset:224 ; 8-byte Folded Spill
	s_wait_xcnt 0x0
	s_and_saveexec_b32 s13, vcc_lo
	s_delay_alu instid0(SALU_CYCLE_1)
	s_xor_b32 s15, exec_lo, s13
	s_cbranch_execz .LBB6_12412
; %bb.12399:                            ;   in Loop: Header=BB6_11393 Depth=4
	v_mov_b32_e32 v6, 0
	s_mov_b32 s76, exec_lo
	scratch_store_b64 off, v[6:7], s33 offset:224 ; 8-byte Folded Spill
	s_wait_xcnt 0x0
	v_cmpx_ne_u32_e32 0, v2
	s_cbranch_execz .LBB6_12411
; %bb.12400:                            ;   in Loop: Header=BB6_11393 Depth=4
	v_bfe_u32 v5, v2, 23, 8
	v_or_b32_e32 v3, 0x800000, v112
	s_delay_alu instid0(VALU_DEP_2) | instskip(SKIP_2) | instid1(VALU_DEP_2)
	v_cmp_gt_u32_e64 s13, 0x72, v5
	v_sub_nc_u32_e32 v2, 0x71, v5
	v_cmp_eq_u32_e32 vcc_lo, 0, v5
	v_cndmask_b32_e64 v2, 0, v2, s13
	s_delay_alu instid0(VALU_DEP_1) | instskip(SKIP_1) | instid1(VALU_DEP_2)
	v_cndmask_b32_e64 v14, v2, 0x70, vcc_lo
	v_dual_cndmask_b32 v2, v3, v112 :: v_dual_mov_b32 v3, v113
	v_dual_add_nc_u32 v6, 21, v14 :: v_dual_add_nc_u32 v15, 20, v14
	s_delay_alu instid0(VALU_DEP_1) | instskip(NEXT) | instid1(VALU_DEP_2)
	v_lshlrev_b64_e64 v[6:7], v6, -1
	v_lshlrev_b64_e64 v[16:17], v15, 1
	s_delay_alu instid0(VALU_DEP_2) | instskip(SKIP_1) | instid1(VALU_DEP_4)
	v_bfi_b32 v6, v6, 0, v2
	v_lshrrev_b64 v[2:3], v14, v[2:3]
	v_bfi_b32 v7, v7, 0, 0
	s_delay_alu instid0(VALU_DEP_1) | instskip(NEXT) | instid1(VALU_DEP_3)
	v_cmp_eq_u64_e64 s13, v[6:7], v[16:17]
	v_mov_b64_e32 v[6:7], v[2:3]
	s_and_saveexec_b32 s77, s13
; %bb.12401:                            ;   in Loop: Header=BB6_11393 Depth=4
	v_bfe_u32 v6, v2, 21, 1
	v_mov_b32_e32 v7, v113
	s_delay_alu instid0(VALU_DEP_1) | instskip(NEXT) | instid1(VALU_DEP_1)
	v_add_nc_u64_e32 v[6:7], v[2:3], v[6:7]
	v_add_nc_u64_e32 v[6:7], -1, v[6:7]
; %bb.12402:                            ;   in Loop: Header=BB6_11393 Depth=4
	s_or_b32 exec_lo, exec_lo, s77
	v_add_nc_u32_e32 v3, 0xffffff81, v5
	s_delay_alu instid0(VALU_DEP_2) | instskip(SKIP_2) | instid1(VALU_DEP_3)
	v_and_b32_e32 v7, 0x1fffff, v6
	v_lshrrev_b32_e32 v5, 23, v2
	s_mov_b32 s13, exec_lo
	v_cndmask_b32_e64 v3, v3, 0xffffff82, vcc_lo
	s_delay_alu instid0(VALU_DEP_3) | instskip(NEXT) | instid1(VALU_DEP_2)
	v_add_nc_u32_e32 v112, v7, v2
	v_add3_u32 v6, v14, v3, v5
                                        ; implicit-def: $vgpr2_vgpr3
                                        ; implicit-def: $vgpr5
	s_delay_alu instid0(VALU_DEP_1) | instskip(NEXT) | instid1(VALU_DEP_1)
	v_add_nc_u32_e32 v7, 14, v6
	v_cmpx_ne_u32_e32 0, v7
	s_xor_b32 s13, exec_lo, s13
; %bb.12403:                            ;   in Loop: Header=BB6_11393 Depth=4
	v_cmp_lt_u64_e32 vcc_lo, 0xffffff, v[112:113]
	v_add_nc_u32_e32 v2, 15, v6
	s_delay_alu instid0(VALU_DEP_1) | instskip(SKIP_1) | instid1(VALU_DEP_1)
	v_cndmask_b32_e32 v5, v7, v2, vcc_lo
	v_cndmask_b32_e64 v2, 0, 1, vcc_lo
	v_lshrrev_b64 v[2:3], v2, v[112:113]
; %bb.12404:                            ;   in Loop: Header=BB6_11393 Depth=4
	s_and_not1_saveexec_b32 s13, s13
; %bb.12405:                            ;   in Loop: Header=BB6_11393 Depth=4
	v_mov_b64_e32 v[2:3], v[112:113]
	v_bfe_u32 v5, v112, 23, 1
; %bb.12406:                            ;   in Loop: Header=BB6_11393 Depth=4
	s_or_b32 exec_lo, exec_lo, s13
	s_delay_alu instid0(VALU_DEP_2) | instskip(NEXT) | instid1(VALU_DEP_2)
	v_lshrrev_b64 v[2:3], 21, v[2:3]
	v_cmp_gt_i32_e32 vcc_lo, 32, v5
	v_cmp_ne_u32_e64 s13, 0, v5
                                        ; implicit-def: $vgpr6
	scratch_store_b64 off, v[6:7], s33 offset:224 ; 8-byte Folded Spill
	v_dual_cndmask_b32 v3, 0, v3 :: v_dual_cndmask_b32 v2, 3, v2
	s_delay_alu instid0(VALU_DEP_1) | instskip(SKIP_3) | instid1(SALU_CYCLE_1)
	v_cmp_ne_u64_e32 vcc_lo, 0, v[2:3]
	s_or_b32 s13, s13, vcc_lo
	s_wait_xcnt 0x0
	s_and_saveexec_b32 s77, s13
	s_xor_b32 s13, exec_lo, s77
	s_cbranch_execz .LBB6_12408
; %bb.12407:                            ;   in Loop: Header=BB6_11393 Depth=4
	v_min_i32_e32 v3, 31, v5
	s_delay_alu instid0(VALU_DEP_1) | instskip(NEXT) | instid1(VALU_DEP_1)
	v_lshl_or_b32 v1, v3, 2, v1
	v_and_or_b32 v2, v2, 3, v1
                                        ; implicit-def: $vgpr1
	scratch_store_b64 off, v[2:3], s33 offset:224 ; 8-byte Folded Spill
.LBB6_12408:                            ;   in Loop: Header=BB6_11393 Depth=4
	s_wait_xcnt 0x0
	s_and_not1_saveexec_b32 s13, s13
	s_cbranch_execz .LBB6_12410
; %bb.12409:                            ;   in Loop: Header=BB6_11393 Depth=4
	v_mov_b32_e32 v2, v1
	scratch_store_b64 off, v[2:3], s33 offset:224 ; 8-byte Folded Spill
.LBB6_12410:                            ;   in Loop: Header=BB6_11393 Depth=4
	s_wait_xcnt 0x0
	s_or_b32 exec_lo, exec_lo, s13
.LBB6_12411:                            ;   in Loop: Header=BB6_11393 Depth=4
	s_delay_alu instid0(SALU_CYCLE_1)
	s_or_b32 exec_lo, exec_lo, s76
                                        ; implicit-def: $vgpr1
.LBB6_12412:                            ;   in Loop: Header=BB6_11393 Depth=4
	s_and_not1_saveexec_b32 s13, s15
	s_cbranch_execz .LBB6_12414
; %bb.12413:                            ;   in Loop: Header=BB6_11393 Depth=4
	v_or_b32_e32 v2, 0x7b, v1
	scratch_store_b64 off, v[2:3], s33 offset:224 ; 8-byte Folded Spill
.LBB6_12414:                            ;   in Loop: Header=BB6_11393 Depth=4
	s_wait_xcnt 0x0
	s_or_b32 exec_lo, exec_lo, s13
                                        ; implicit-def: $vgpr2
.LBB6_12415:                            ;   in Loop: Header=BB6_11393 Depth=4
	s_and_not1_saveexec_b32 s13, s14
	s_cbranch_execz .LBB6_12421
; %bb.12416:                            ;   in Loop: Header=BB6_11393 Depth=4
	s_mov_b32 s14, exec_lo
                                        ; implicit-def: $vgpr6
	scratch_store_b64 off, v[6:7], s33 offset:224 ; 8-byte Folded Spill
	s_wait_xcnt 0x0
	v_cmpx_ne_u64_e32 0, v[112:113]
	s_xor_b32 s14, exec_lo, s14
	s_cbranch_execz .LBB6_12418
; %bb.12417:                            ;   in Loop: Header=BB6_11393 Depth=4
	v_lshrrev_b32_e32 v1, 24, v2
	s_delay_alu instid0(VALU_DEP_1)
	v_or_b32_e32 v2, 0x7f, v1
	scratch_store_b64 off, v[2:3], s33 offset:224 ; 8-byte Folded Spill
                                        ; implicit-def: $vgpr2
.LBB6_12418:                            ;   in Loop: Header=BB6_11393 Depth=4
	s_wait_xcnt 0x0
	s_and_not1_saveexec_b32 s14, s14
	s_cbranch_execz .LBB6_12420
; %bb.12419:                            ;   in Loop: Header=BB6_11393 Depth=4
	v_cmp_lt_i32_e32 vcc_lo, -1, v2
	v_cndmask_b32_e64 v2, -4, 0x7c, vcc_lo
	scratch_store_b64 off, v[2:3], s33 offset:224 ; 8-byte Folded Spill
.LBB6_12420:                            ;   in Loop: Header=BB6_11393 Depth=4
	s_wait_xcnt 0x0
	s_or_b32 exec_lo, exec_lo, s14
.LBB6_12421:                            ;   in Loop: Header=BB6_11393 Depth=4
	s_delay_alu instid0(SALU_CYCLE_1)
	s_or_b32 exec_lo, exec_lo, s13
	flat_load_i8 v2, v[8:9] offset:960 th:TH_LOAD_NT
	v_mov_b32_e32 v3, 0
	s_mov_b32 s13, exec_lo
	s_wait_loadcnt_dscnt 0x0
	s_wait_xcnt 0x0
	v_cmpx_ne_u16_e32 0, v2
	s_cbranch_execz .LBB6_12431
; %bb.12422:                            ;   in Loop: Header=BB6_11393 Depth=4
	v_bfrev_b32_e32 v3, 1
	s_mov_b32 s14, exec_lo
	v_cmpx_ne_u16_e32 0xff80, v2
	s_cbranch_execz .LBB6_12430
; %bb.12423:                            ;   in Loop: Header=BB6_11393 Depth=4
	v_and_b32_e32 v3, 0x7c, v2
	v_and_b32_e32 v1, 3, v2
	s_delay_alu instid0(VALU_DEP_2) | instskip(SKIP_1) | instid1(SALU_CYCLE_1)
	v_cmp_ne_u32_e32 vcc_lo, 0x7c, v3
                                        ; implicit-def: $vgpr3
	s_and_saveexec_b32 s15, vcc_lo
	s_xor_b32 s15, exec_lo, s15
	s_cbranch_execz .LBB6_12427
; %bb.12424:                            ;   in Loop: Header=BB6_11393 Depth=4
	v_and_b32_e32 v3, 0xff, v2
	s_mov_b32 s76, exec_lo
	s_delay_alu instid0(VALU_DEP_1) | instskip(NEXT) | instid1(VALU_DEP_1)
	v_bfe_u32 v3, v3, 2, 5
	v_cmpx_eq_u32_e32 0, v3
; %bb.12425:                            ;   in Loop: Header=BB6_11393 Depth=4
	v_clz_i32_u32_e32 v1, v1
	v_mov_b32_e32 v3, v113
	s_delay_alu instid0(VALU_DEP_2) | instskip(NEXT) | instid1(VALU_DEP_1)
	v_min_u32_e32 v1, 32, v1
	v_subrev_nc_u32_e32 v5, 29, v1
	s_delay_alu instid0(VALU_DEP_1) | instskip(NEXT) | instid1(VALU_DEP_1)
	v_lshlrev_b64_e32 v[6:7], v5, v[2:3]
	v_dual_sub_nc_u32 v3, 30, v1 :: v_dual_bitop2_b32 v1, 3, v6 bitop3:0x40
; %bb.12426:                            ;   in Loop: Header=BB6_11393 Depth=4
	s_or_b32 exec_lo, exec_lo, s76
	v_bfe_i32 v2, v2, 0, 16
	s_delay_alu instid0(VALU_DEP_1) | instskip(NEXT) | instid1(VALU_DEP_1)
	v_and_b32_e32 v2, 0x80000000, v2
	v_lshl_add_u32 v2, v3, 23, v2
	s_delay_alu instid0(VALU_DEP_1) | instskip(NEXT) | instid1(VALU_DEP_1)
	v_lshl_or_b32 v1, v1, 21, v2
                                        ; implicit-def: $vgpr2
	v_add_nc_u32_e32 v3, 0x38000000, v1
                                        ; implicit-def: $vgpr1
.LBB6_12427:                            ;   in Loop: Header=BB6_11393 Depth=4
	s_and_not1_saveexec_b32 s15, s15
; %bb.12428:                            ;   in Loop: Header=BB6_11393 Depth=4
	v_cmp_lt_i16_e32 vcc_lo, -1, v2
	v_mov_b32_e32 v2, 0x7f800000
	s_delay_alu instid0(VALU_DEP_1) | instskip(SKIP_1) | instid1(VALU_DEP_2)
	v_cndmask_b32_e32 v2, 0xff800000, v2, vcc_lo
	v_cmp_eq_u32_e32 vcc_lo, 0, v1
	v_cndmask_b32_e32 v3, 0x7f800001, v2, vcc_lo
; %bb.12429:                            ;   in Loop: Header=BB6_11393 Depth=4
	s_or_b32 exec_lo, exec_lo, s15
.LBB6_12430:                            ;   in Loop: Header=BB6_11393 Depth=4
	s_delay_alu instid0(SALU_CYCLE_1)
	s_or_b32 exec_lo, exec_lo, s14
.LBB6_12431:                            ;   in Loop: Header=BB6_11393 Depth=4
	s_delay_alu instid0(SALU_CYCLE_1) | instskip(NEXT) | instid1(VALU_DEP_1)
	s_or_b32 exec_lo, exec_lo, s13
	v_dual_mul_f32 v2, s75, v3 :: v_dual_mov_b32 v7, v113
	s_delay_alu instid0(VALU_DEP_1) | instskip(SKIP_1) | instid1(VALU_DEP_2)
	v_and_b32_e32 v6, 0x7f800000, v2
	v_and_b32_e32 v112, 0x7fffff, v2
	v_cmp_ne_u64_e32 vcc_lo, 0x7f800000, v[6:7]
                                        ; implicit-def: $vgpr6
	scratch_store_b64 off, v[6:7], s33 offset:216 ; 8-byte Folded Spill
	s_wait_xcnt 0x0
	s_and_saveexec_b32 s13, vcc_lo
	s_delay_alu instid0(SALU_CYCLE_1)
	s_xor_b32 s14, exec_lo, s13
	s_cbranch_execz .LBB6_12449
; %bb.12432:                            ;   in Loop: Header=BB6_11393 Depth=4
	v_and_b32_e32 v6, 0x7fffffff, v2
	v_dual_mov_b32 v7, v113 :: v_dual_lshrrev_b32 v1, 24, v2
	s_delay_alu instid0(VALU_DEP_1) | instskip(NEXT) | instid1(VALU_DEP_2)
	v_cmp_gt_u64_e32 vcc_lo, 0x47600001, v[6:7]
	v_and_b32_e32 v1, 0x80, v1
                                        ; implicit-def: $vgpr6
	scratch_store_b64 off, v[6:7], s33 offset:216 ; 8-byte Folded Spill
	s_wait_xcnt 0x0
	s_and_saveexec_b32 s13, vcc_lo
	s_delay_alu instid0(SALU_CYCLE_1)
	s_xor_b32 s15, exec_lo, s13
	s_cbranch_execz .LBB6_12446
; %bb.12433:                            ;   in Loop: Header=BB6_11393 Depth=4
	v_mov_b32_e32 v6, 0
	s_mov_b32 s76, exec_lo
	scratch_store_b64 off, v[6:7], s33 offset:216 ; 8-byte Folded Spill
	s_wait_xcnt 0x0
	v_cmpx_ne_u32_e32 0, v2
	s_cbranch_execz .LBB6_12445
; %bb.12434:                            ;   in Loop: Header=BB6_11393 Depth=4
	v_bfe_u32 v5, v2, 23, 8
	v_or_b32_e32 v3, 0x800000, v112
	s_delay_alu instid0(VALU_DEP_2) | instskip(SKIP_2) | instid1(VALU_DEP_2)
	v_cmp_gt_u32_e64 s13, 0x72, v5
	v_sub_nc_u32_e32 v2, 0x71, v5
	v_cmp_eq_u32_e32 vcc_lo, 0, v5
	v_cndmask_b32_e64 v2, 0, v2, s13
	s_delay_alu instid0(VALU_DEP_1) | instskip(SKIP_1) | instid1(VALU_DEP_2)
	v_cndmask_b32_e64 v14, v2, 0x70, vcc_lo
	v_dual_cndmask_b32 v2, v3, v112 :: v_dual_mov_b32 v3, v113
	v_dual_add_nc_u32 v6, 21, v14 :: v_dual_add_nc_u32 v15, 20, v14
	s_delay_alu instid0(VALU_DEP_1) | instskip(NEXT) | instid1(VALU_DEP_2)
	v_lshlrev_b64_e64 v[6:7], v6, -1
	v_lshlrev_b64_e64 v[16:17], v15, 1
	s_delay_alu instid0(VALU_DEP_2) | instskip(SKIP_1) | instid1(VALU_DEP_4)
	v_bfi_b32 v6, v6, 0, v2
	v_lshrrev_b64 v[2:3], v14, v[2:3]
	v_bfi_b32 v7, v7, 0, 0
	s_delay_alu instid0(VALU_DEP_1) | instskip(NEXT) | instid1(VALU_DEP_3)
	v_cmp_eq_u64_e64 s13, v[6:7], v[16:17]
	v_mov_b64_e32 v[6:7], v[2:3]
	s_and_saveexec_b32 s77, s13
; %bb.12435:                            ;   in Loop: Header=BB6_11393 Depth=4
	v_bfe_u32 v6, v2, 21, 1
	v_mov_b32_e32 v7, v113
	s_delay_alu instid0(VALU_DEP_1) | instskip(NEXT) | instid1(VALU_DEP_1)
	v_add_nc_u64_e32 v[6:7], v[2:3], v[6:7]
	v_add_nc_u64_e32 v[6:7], -1, v[6:7]
; %bb.12436:                            ;   in Loop: Header=BB6_11393 Depth=4
	s_or_b32 exec_lo, exec_lo, s77
	v_add_nc_u32_e32 v3, 0xffffff81, v5
	s_delay_alu instid0(VALU_DEP_2) | instskip(SKIP_2) | instid1(VALU_DEP_3)
	v_and_b32_e32 v7, 0x1fffff, v6
	v_lshrrev_b32_e32 v5, 23, v2
	s_mov_b32 s13, exec_lo
	v_cndmask_b32_e64 v3, v3, 0xffffff82, vcc_lo
	s_delay_alu instid0(VALU_DEP_3) | instskip(NEXT) | instid1(VALU_DEP_2)
	v_add_nc_u32_e32 v112, v7, v2
	v_add3_u32 v6, v14, v3, v5
                                        ; implicit-def: $vgpr2_vgpr3
                                        ; implicit-def: $vgpr5
	s_delay_alu instid0(VALU_DEP_1) | instskip(NEXT) | instid1(VALU_DEP_1)
	v_add_nc_u32_e32 v7, 14, v6
	v_cmpx_ne_u32_e32 0, v7
	s_xor_b32 s13, exec_lo, s13
; %bb.12437:                            ;   in Loop: Header=BB6_11393 Depth=4
	v_cmp_lt_u64_e32 vcc_lo, 0xffffff, v[112:113]
	v_add_nc_u32_e32 v2, 15, v6
	s_delay_alu instid0(VALU_DEP_1) | instskip(SKIP_1) | instid1(VALU_DEP_1)
	v_cndmask_b32_e32 v5, v7, v2, vcc_lo
	v_cndmask_b32_e64 v2, 0, 1, vcc_lo
	v_lshrrev_b64 v[2:3], v2, v[112:113]
; %bb.12438:                            ;   in Loop: Header=BB6_11393 Depth=4
	s_and_not1_saveexec_b32 s13, s13
; %bb.12439:                            ;   in Loop: Header=BB6_11393 Depth=4
	v_mov_b64_e32 v[2:3], v[112:113]
	v_bfe_u32 v5, v112, 23, 1
; %bb.12440:                            ;   in Loop: Header=BB6_11393 Depth=4
	s_or_b32 exec_lo, exec_lo, s13
	s_delay_alu instid0(VALU_DEP_2) | instskip(NEXT) | instid1(VALU_DEP_2)
	v_lshrrev_b64 v[2:3], 21, v[2:3]
	v_cmp_gt_i32_e32 vcc_lo, 32, v5
	v_cmp_ne_u32_e64 s13, 0, v5
                                        ; implicit-def: $vgpr6
	scratch_store_b64 off, v[6:7], s33 offset:216 ; 8-byte Folded Spill
	v_dual_cndmask_b32 v3, 0, v3 :: v_dual_cndmask_b32 v2, 3, v2
	s_delay_alu instid0(VALU_DEP_1) | instskip(SKIP_3) | instid1(SALU_CYCLE_1)
	v_cmp_ne_u64_e32 vcc_lo, 0, v[2:3]
	s_or_b32 s13, s13, vcc_lo
	s_wait_xcnt 0x0
	s_and_saveexec_b32 s77, s13
	s_xor_b32 s13, exec_lo, s77
	s_cbranch_execz .LBB6_12442
; %bb.12441:                            ;   in Loop: Header=BB6_11393 Depth=4
	v_min_i32_e32 v3, 31, v5
	s_delay_alu instid0(VALU_DEP_1) | instskip(NEXT) | instid1(VALU_DEP_1)
	v_lshl_or_b32 v1, v3, 2, v1
	v_and_or_b32 v2, v2, 3, v1
                                        ; implicit-def: $vgpr1
	scratch_store_b64 off, v[2:3], s33 offset:216 ; 8-byte Folded Spill
.LBB6_12442:                            ;   in Loop: Header=BB6_11393 Depth=4
	s_wait_xcnt 0x0
	s_and_not1_saveexec_b32 s13, s13
	s_cbranch_execz .LBB6_12444
; %bb.12443:                            ;   in Loop: Header=BB6_11393 Depth=4
	v_mov_b32_e32 v2, v1
	scratch_store_b64 off, v[2:3], s33 offset:216 ; 8-byte Folded Spill
.LBB6_12444:                            ;   in Loop: Header=BB6_11393 Depth=4
	s_wait_xcnt 0x0
	s_or_b32 exec_lo, exec_lo, s13
.LBB6_12445:                            ;   in Loop: Header=BB6_11393 Depth=4
	s_delay_alu instid0(SALU_CYCLE_1)
	s_or_b32 exec_lo, exec_lo, s76
                                        ; implicit-def: $vgpr1
.LBB6_12446:                            ;   in Loop: Header=BB6_11393 Depth=4
	s_and_not1_saveexec_b32 s13, s15
	s_cbranch_execz .LBB6_12448
; %bb.12447:                            ;   in Loop: Header=BB6_11393 Depth=4
	v_or_b32_e32 v2, 0x7b, v1
	scratch_store_b64 off, v[2:3], s33 offset:216 ; 8-byte Folded Spill
.LBB6_12448:                            ;   in Loop: Header=BB6_11393 Depth=4
	s_wait_xcnt 0x0
	s_or_b32 exec_lo, exec_lo, s13
                                        ; implicit-def: $vgpr2
.LBB6_12449:                            ;   in Loop: Header=BB6_11393 Depth=4
	s_and_not1_saveexec_b32 s13, s14
	s_cbranch_execz .LBB6_12455
; %bb.12450:                            ;   in Loop: Header=BB6_11393 Depth=4
	s_mov_b32 s14, exec_lo
                                        ; implicit-def: $vgpr6
	scratch_store_b64 off, v[6:7], s33 offset:216 ; 8-byte Folded Spill
	s_wait_xcnt 0x0
	v_cmpx_ne_u64_e32 0, v[112:113]
	s_xor_b32 s14, exec_lo, s14
	s_cbranch_execz .LBB6_12452
; %bb.12451:                            ;   in Loop: Header=BB6_11393 Depth=4
	v_lshrrev_b32_e32 v1, 24, v2
	s_delay_alu instid0(VALU_DEP_1)
	v_or_b32_e32 v2, 0x7f, v1
	scratch_store_b64 off, v[2:3], s33 offset:216 ; 8-byte Folded Spill
                                        ; implicit-def: $vgpr2
.LBB6_12452:                            ;   in Loop: Header=BB6_11393 Depth=4
	s_wait_xcnt 0x0
	s_and_not1_saveexec_b32 s14, s14
	s_cbranch_execz .LBB6_12454
; %bb.12453:                            ;   in Loop: Header=BB6_11393 Depth=4
	v_cmp_lt_i32_e32 vcc_lo, -1, v2
	v_cndmask_b32_e64 v2, -4, 0x7c, vcc_lo
	scratch_store_b64 off, v[2:3], s33 offset:216 ; 8-byte Folded Spill
.LBB6_12454:                            ;   in Loop: Header=BB6_11393 Depth=4
	s_wait_xcnt 0x0
	s_or_b32 exec_lo, exec_lo, s14
.LBB6_12455:                            ;   in Loop: Header=BB6_11393 Depth=4
	s_delay_alu instid0(SALU_CYCLE_1)
	s_or_b32 exec_lo, exec_lo, s13
	flat_load_i8 v2, v[8:9] offset:992 th:TH_LOAD_NT
	v_mov_b32_e32 v3, 0
	s_mov_b32 s13, exec_lo
	s_wait_loadcnt_dscnt 0x0
	s_wait_xcnt 0x0
	v_cmpx_ne_u16_e32 0, v2
	s_cbranch_execz .LBB6_12465
; %bb.12456:                            ;   in Loop: Header=BB6_11393 Depth=4
	v_bfrev_b32_e32 v3, 1
	s_mov_b32 s14, exec_lo
	v_cmpx_ne_u16_e32 0xff80, v2
	s_cbranch_execz .LBB6_12464
; %bb.12457:                            ;   in Loop: Header=BB6_11393 Depth=4
	v_and_b32_e32 v3, 0x7c, v2
	v_and_b32_e32 v1, 3, v2
	s_delay_alu instid0(VALU_DEP_2) | instskip(SKIP_1) | instid1(SALU_CYCLE_1)
	v_cmp_ne_u32_e32 vcc_lo, 0x7c, v3
                                        ; implicit-def: $vgpr3
	s_and_saveexec_b32 s15, vcc_lo
	s_xor_b32 s15, exec_lo, s15
	s_cbranch_execz .LBB6_12461
; %bb.12458:                            ;   in Loop: Header=BB6_11393 Depth=4
	v_and_b32_e32 v3, 0xff, v2
	s_mov_b32 s76, exec_lo
	s_delay_alu instid0(VALU_DEP_1) | instskip(NEXT) | instid1(VALU_DEP_1)
	v_bfe_u32 v3, v3, 2, 5
	v_cmpx_eq_u32_e32 0, v3
; %bb.12459:                            ;   in Loop: Header=BB6_11393 Depth=4
	v_clz_i32_u32_e32 v1, v1
	v_mov_b32_e32 v3, v113
	s_delay_alu instid0(VALU_DEP_2) | instskip(NEXT) | instid1(VALU_DEP_1)
	v_min_u32_e32 v1, 32, v1
	v_subrev_nc_u32_e32 v5, 29, v1
	s_delay_alu instid0(VALU_DEP_1) | instskip(NEXT) | instid1(VALU_DEP_1)
	v_lshlrev_b64_e32 v[6:7], v5, v[2:3]
	v_dual_sub_nc_u32 v3, 30, v1 :: v_dual_bitop2_b32 v1, 3, v6 bitop3:0x40
; %bb.12460:                            ;   in Loop: Header=BB6_11393 Depth=4
	s_or_b32 exec_lo, exec_lo, s76
	v_bfe_i32 v2, v2, 0, 16
	s_delay_alu instid0(VALU_DEP_1) | instskip(NEXT) | instid1(VALU_DEP_1)
	v_and_b32_e32 v2, 0x80000000, v2
	v_lshl_add_u32 v2, v3, 23, v2
	s_delay_alu instid0(VALU_DEP_1) | instskip(NEXT) | instid1(VALU_DEP_1)
	v_lshl_or_b32 v1, v1, 21, v2
                                        ; implicit-def: $vgpr2
	v_add_nc_u32_e32 v3, 0x38000000, v1
                                        ; implicit-def: $vgpr1
.LBB6_12461:                            ;   in Loop: Header=BB6_11393 Depth=4
	s_and_not1_saveexec_b32 s15, s15
; %bb.12462:                            ;   in Loop: Header=BB6_11393 Depth=4
	v_cmp_lt_i16_e32 vcc_lo, -1, v2
	v_mov_b32_e32 v2, 0x7f800000
	s_delay_alu instid0(VALU_DEP_1) | instskip(SKIP_1) | instid1(VALU_DEP_2)
	v_cndmask_b32_e32 v2, 0xff800000, v2, vcc_lo
	v_cmp_eq_u32_e32 vcc_lo, 0, v1
	v_cndmask_b32_e32 v3, 0x7f800001, v2, vcc_lo
; %bb.12463:                            ;   in Loop: Header=BB6_11393 Depth=4
	s_or_b32 exec_lo, exec_lo, s15
.LBB6_12464:                            ;   in Loop: Header=BB6_11393 Depth=4
	s_delay_alu instid0(SALU_CYCLE_1)
	s_or_b32 exec_lo, exec_lo, s14
.LBB6_12465:                            ;   in Loop: Header=BB6_11393 Depth=4
	s_delay_alu instid0(SALU_CYCLE_1) | instskip(NEXT) | instid1(VALU_DEP_1)
	s_or_b32 exec_lo, exec_lo, s13
	v_dual_mul_f32 v2, s75, v3 :: v_dual_mov_b32 v7, v113
                                        ; implicit-def: $vgpr58
	s_mov_b32 s13, exec_lo
	s_delay_alu instid0(VALU_DEP_1) | instskip(SKIP_1) | instid1(VALU_DEP_2)
	v_and_b32_e32 v6, 0x7f800000, v2
	v_and_b32_e32 v112, 0x7fffff, v2
	v_cmpx_ne_u64_e32 0x7f800000, v[6:7]
	s_xor_b32 s14, exec_lo, s13
	s_cbranch_execz .LBB6_12483
; %bb.12466:                            ;   in Loop: Header=BB6_11393 Depth=4
	v_dual_mov_b32 v7, v113 :: v_dual_lshrrev_b32 v1, 24, v2
	v_and_b32_e32 v6, 0x7fffffff, v2
                                        ; implicit-def: $vgpr58
	s_mov_b32 s13, exec_lo
	s_delay_alu instid0(VALU_DEP_2) | instskip(NEXT) | instid1(VALU_DEP_2)
	v_and_b32_e32 v1, 0x80, v1
	v_cmpx_gt_u64_e32 0x47600001, v[6:7]
	s_xor_b32 s15, exec_lo, s13
	s_cbranch_execz .LBB6_12480
; %bb.12467:                            ;   in Loop: Header=BB6_11393 Depth=4
	v_mov_b32_e32 v58, 0
	s_mov_b32 s75, exec_lo
	v_cmpx_ne_u32_e32 0, v2
	s_cbranch_execz .LBB6_12479
; %bb.12468:                            ;   in Loop: Header=BB6_11393 Depth=4
	v_bfe_u32 v5, v2, 23, 8
	v_or_b32_e32 v3, 0x800000, v112
	s_delay_alu instid0(VALU_DEP_2) | instskip(SKIP_2) | instid1(VALU_DEP_2)
	v_cmp_gt_u32_e64 s13, 0x72, v5
	v_sub_nc_u32_e32 v2, 0x71, v5
	v_cmp_eq_u32_e32 vcc_lo, 0, v5
	v_cndmask_b32_e64 v2, 0, v2, s13
	s_delay_alu instid0(VALU_DEP_1) | instskip(SKIP_1) | instid1(VALU_DEP_2)
	v_cndmask_b32_e64 v14, v2, 0x70, vcc_lo
	v_dual_cndmask_b32 v2, v3, v112 :: v_dual_mov_b32 v3, v113
	v_dual_add_nc_u32 v6, 21, v14 :: v_dual_add_nc_u32 v15, 20, v14
	s_delay_alu instid0(VALU_DEP_1) | instskip(NEXT) | instid1(VALU_DEP_2)
	v_lshlrev_b64_e64 v[6:7], v6, -1
	v_lshlrev_b64_e64 v[16:17], v15, 1
	s_delay_alu instid0(VALU_DEP_2) | instskip(SKIP_1) | instid1(VALU_DEP_4)
	v_bfi_b32 v6, v6, 0, v2
	v_lshrrev_b64 v[2:3], v14, v[2:3]
	v_bfi_b32 v7, v7, 0, 0
	s_delay_alu instid0(VALU_DEP_1) | instskip(NEXT) | instid1(VALU_DEP_3)
	v_cmp_eq_u64_e64 s13, v[6:7], v[16:17]
	v_mov_b64_e32 v[6:7], v[2:3]
	s_and_saveexec_b32 s76, s13
; %bb.12469:                            ;   in Loop: Header=BB6_11393 Depth=4
	v_bfe_u32 v6, v2, 21, 1
	v_mov_b32_e32 v7, v113
	s_delay_alu instid0(VALU_DEP_1) | instskip(NEXT) | instid1(VALU_DEP_1)
	v_add_nc_u64_e32 v[6:7], v[2:3], v[6:7]
	v_add_nc_u64_e32 v[6:7], -1, v[6:7]
; %bb.12470:                            ;   in Loop: Header=BB6_11393 Depth=4
	s_or_b32 exec_lo, exec_lo, s76
	v_add_nc_u32_e32 v3, 0xffffff81, v5
	s_delay_alu instid0(VALU_DEP_2) | instskip(SKIP_2) | instid1(VALU_DEP_3)
	v_and_b32_e32 v6, 0x1fffff, v6
	v_lshrrev_b32_e32 v5, 23, v2
	s_mov_b32 s13, exec_lo
	v_cndmask_b32_e64 v3, v3, 0xffffff82, vcc_lo
	s_delay_alu instid0(VALU_DEP_3) | instskip(NEXT) | instid1(VALU_DEP_2)
	v_add_nc_u32_e32 v112, v6, v2
	v_add3_u32 v7, v14, v3, v5
                                        ; implicit-def: $vgpr2_vgpr3
                                        ; implicit-def: $vgpr5
	s_delay_alu instid0(VALU_DEP_1) | instskip(NEXT) | instid1(VALU_DEP_1)
	v_add_nc_u32_e32 v6, 14, v7
	v_cmpx_ne_u32_e32 0, v6
	s_xor_b32 s13, exec_lo, s13
; %bb.12471:                            ;   in Loop: Header=BB6_11393 Depth=4
	v_cmp_lt_u64_e32 vcc_lo, 0xffffff, v[112:113]
	v_add_nc_u32_e32 v2, 15, v7
	s_delay_alu instid0(VALU_DEP_1) | instskip(SKIP_1) | instid1(VALU_DEP_1)
	v_cndmask_b32_e32 v5, v6, v2, vcc_lo
	v_cndmask_b32_e64 v2, 0, 1, vcc_lo
	v_lshrrev_b64 v[2:3], v2, v[112:113]
; %bb.12472:                            ;   in Loop: Header=BB6_11393 Depth=4
	s_and_not1_saveexec_b32 s13, s13
; %bb.12473:                            ;   in Loop: Header=BB6_11393 Depth=4
	v_mov_b64_e32 v[2:3], v[112:113]
	v_bfe_u32 v5, v112, 23, 1
; %bb.12474:                            ;   in Loop: Header=BB6_11393 Depth=4
	s_or_b32 exec_lo, exec_lo, s13
	s_delay_alu instid0(VALU_DEP_2) | instskip(NEXT) | instid1(VALU_DEP_2)
	v_lshrrev_b64 v[2:3], 21, v[2:3]
	v_cmp_gt_i32_e32 vcc_lo, 32, v5
	v_cmp_ne_u32_e64 s13, 0, v5
                                        ; implicit-def: $vgpr58
	s_delay_alu instid0(VALU_DEP_3) | instskip(NEXT) | instid1(VALU_DEP_1)
	v_dual_cndmask_b32 v3, 0, v3 :: v_dual_cndmask_b32 v2, 3, v2
	v_cmp_ne_u64_e32 vcc_lo, 0, v[2:3]
	s_or_b32 s13, s13, vcc_lo
	s_delay_alu instid0(SALU_CYCLE_1) | instskip(NEXT) | instid1(SALU_CYCLE_1)
	s_and_saveexec_b32 s76, s13
	s_xor_b32 s13, exec_lo, s76
; %bb.12475:                            ;   in Loop: Header=BB6_11393 Depth=4
	v_min_i32_e32 v3, 31, v5
	s_delay_alu instid0(VALU_DEP_1) | instskip(NEXT) | instid1(VALU_DEP_1)
	v_lshl_or_b32 v1, v3, 2, v1
	v_and_or_b32 v58, v2, 3, v1
                                        ; implicit-def: $vgpr1
; %bb.12476:                            ;   in Loop: Header=BB6_11393 Depth=4
	s_and_not1_saveexec_b32 s13, s13
; %bb.12477:                            ;   in Loop: Header=BB6_11393 Depth=4
	v_mov_b32_e32 v58, v1
; %bb.12478:                            ;   in Loop: Header=BB6_11393 Depth=4
	s_or_b32 exec_lo, exec_lo, s13
.LBB6_12479:                            ;   in Loop: Header=BB6_11393 Depth=4
	s_delay_alu instid0(SALU_CYCLE_1)
	s_or_b32 exec_lo, exec_lo, s75
                                        ; implicit-def: $vgpr1
.LBB6_12480:                            ;   in Loop: Header=BB6_11393 Depth=4
	s_and_not1_saveexec_b32 s13, s15
; %bb.12481:                            ;   in Loop: Header=BB6_11393 Depth=4
	v_or_b32_e32 v58, 0x7b, v1
; %bb.12482:                            ;   in Loop: Header=BB6_11393 Depth=4
	s_or_b32 exec_lo, exec_lo, s13
                                        ; implicit-def: $vgpr2
.LBB6_12483:                            ;   in Loop: Header=BB6_11393 Depth=4
	s_and_not1_saveexec_b32 s13, s14
	s_cbranch_execz .LBB6_12489
; %bb.12484:                            ;   in Loop: Header=BB6_11393 Depth=4
	s_mov_b32 s14, exec_lo
                                        ; implicit-def: $vgpr58
	v_cmpx_ne_u64_e32 0, v[112:113]
	s_xor_b32 s14, exec_lo, s14
; %bb.12485:                            ;   in Loop: Header=BB6_11393 Depth=4
	v_lshrrev_b32_e32 v1, 24, v2
                                        ; implicit-def: $vgpr2
	s_delay_alu instid0(VALU_DEP_1)
	v_or_b32_e32 v58, 0x7f, v1
; %bb.12486:                            ;   in Loop: Header=BB6_11393 Depth=4
	s_and_not1_saveexec_b32 s14, s14
; %bb.12487:                            ;   in Loop: Header=BB6_11393 Depth=4
	v_cmp_lt_i32_e32 vcc_lo, -1, v2
	v_cndmask_b32_e64 v58, -4, 0x7c, vcc_lo
; %bb.12488:                            ;   in Loop: Header=BB6_11393 Depth=4
	s_or_b32 exec_lo, exec_lo, s14
.LBB6_12489:                            ;   in Loop: Header=BB6_11393 Depth=4
	s_delay_alu instid0(SALU_CYCLE_1)
	s_or_b32 exec_lo, exec_lo, s13
	s_clause 0x1f
	flat_load_i8 v34, v[10:11] th:TH_LOAD_NT
	flat_load_i8 v100, v[10:11] offset:32 th:TH_LOAD_NT
	flat_load_i8 v2, v[10:11] offset:64 th:TH_LOAD_NT
	;; [unrolled: 1-line block ×31, first 2 shown]
	v_and_b32_e32 v7, 0xff, v20
	v_dual_mov_b32 v1, 0 :: v_dual_mov_b32 v3, 0
	s_mov_b32 s14, exec_lo
	s_wait_xcnt 0x0
	s_delay_alu instid0(VALU_DEP_2)
	v_cmpx_ne_u16_e32 0, v7
	s_cbranch_execz .LBB6_12499
; %bb.12490:                            ;   in Loop: Header=BB6_11393 Depth=4
	v_bfrev_b32_e32 v3, 1
	s_mov_b32 s15, exec_lo
	v_cmpx_ne_u16_e32 0x80, v7
	s_cbranch_execz .LBB6_12498
; %bb.12491:                            ;   in Loop: Header=BB6_11393 Depth=4
	v_and_b32_e32 v3, 0x7c, v20
	v_and_b32_e32 v5, 3, v20
	s_delay_alu instid0(VALU_DEP_2) | instskip(SKIP_1) | instid1(SALU_CYCLE_1)
	v_cmp_ne_u32_e32 vcc_lo, 0x7c, v3
                                        ; implicit-def: $vgpr3
	s_and_saveexec_b32 s13, vcc_lo
	s_xor_b32 s13, exec_lo, s13
	s_cbranch_execz .LBB6_12495
; %bb.12492:                            ;   in Loop: Header=BB6_11393 Depth=4
	v_bfe_u32 v3, v7, 2, 5
	s_mov_b32 s75, exec_lo
	s_delay_alu instid0(VALU_DEP_1)
	v_cmpx_eq_u32_e32 0, v3
	s_cbranch_execz .LBB6_12494
; %bb.12493:                            ;   in Loop: Header=BB6_11393 Depth=4
	v_clz_i32_u32_e32 v3, v5
	v_dual_mov_b32 v21, v113 :: v_dual_mov_b32 v112, v58
	s_delay_alu instid0(VALU_DEP_2) | instskip(NEXT) | instid1(VALU_DEP_1)
	v_min_u32_e32 v3, 32, v3
	v_subrev_nc_u32_e32 v5, 29, v3
	s_delay_alu instid0(VALU_DEP_1) | instskip(NEXT) | instid1(VALU_DEP_1)
	v_lshlrev_b64_e32 v[58:59], v5, v[20:21]
	v_dual_sub_nc_u32 v3, 30, v3 :: v_dual_bitop2_b32 v5, 3, v58 bitop3:0x40
	v_mov_b32_e32 v58, v112
.LBB6_12494:                            ;   in Loop: Header=BB6_11393 Depth=4
	s_or_b32 exec_lo, exec_lo, s75
	v_lshlrev_b32_e32 v7, 24, v20
                                        ; implicit-def: $vgpr20
	s_delay_alu instid0(VALU_DEP_1) | instskip(NEXT) | instid1(VALU_DEP_1)
	v_and_b32_e32 v7, 0x80000000, v7
	v_lshl_add_u32 v3, v3, 23, v7
	s_delay_alu instid0(VALU_DEP_1) | instskip(NEXT) | instid1(VALU_DEP_1)
	v_lshl_or_b32 v3, v5, 21, v3
                                        ; implicit-def: $vgpr5
	v_add_nc_u32_e32 v3, 0x38000000, v3
.LBB6_12495:                            ;   in Loop: Header=BB6_11393 Depth=4
	s_and_not1_saveexec_b32 s75, s13
; %bb.12496:                            ;   in Loop: Header=BB6_11393 Depth=4
	v_bfe_i32 v3, v20, 0, 8
	v_cmp_eq_u32_e32 vcc_lo, 0, v5
	s_delay_alu instid0(VALU_DEP_2) | instskip(SKIP_1) | instid1(VALU_DEP_1)
	v_cmp_lt_i16_e64 s13, -1, v3
	v_mov_b32_e32 v3, 0x7f800000
	v_cndmask_b32_e64 v3, 0xff800000, v3, s13
	s_delay_alu instid0(VALU_DEP_1)
	v_cndmask_b32_e32 v3, 0x7f800001, v3, vcc_lo
; %bb.12497:                            ;   in Loop: Header=BB6_11393 Depth=4
	s_or_b32 exec_lo, exec_lo, s75
.LBB6_12498:                            ;   in Loop: Header=BB6_11393 Depth=4
	s_delay_alu instid0(SALU_CYCLE_1)
	s_or_b32 exec_lo, exec_lo, s15
.LBB6_12499:                            ;   in Loop: Header=BB6_11393 Depth=4
	s_delay_alu instid0(SALU_CYCLE_1) | instskip(NEXT) | instid1(SALU_CYCLE_1)
	s_or_b32 exec_lo, exec_lo, s14
	s_mov_b32 s14, exec_lo
	s_wait_loadcnt_dscnt 0x1f1f
	v_cmpx_ne_u16_e32 0, v34
	s_cbranch_execz .LBB6_12509
; %bb.12500:                            ;   in Loop: Header=BB6_11393 Depth=4
	v_bfrev_b32_e32 v1, 1
	s_mov_b32 s15, exec_lo
	v_cmpx_ne_u16_e32 0xff80, v34
	s_cbranch_execz .LBB6_12508
; %bb.12501:                            ;   in Loop: Header=BB6_11393 Depth=4
	v_and_b32_e32 v1, 0x7c, v34
	v_and_b32_e32 v5, 3, v34
	s_delay_alu instid0(VALU_DEP_2) | instskip(SKIP_1) | instid1(SALU_CYCLE_1)
	v_cmp_ne_u32_e32 vcc_lo, 0x7c, v1
                                        ; implicit-def: $vgpr1
	s_and_saveexec_b32 s13, vcc_lo
	s_xor_b32 s13, exec_lo, s13
	s_cbranch_execz .LBB6_12505
; %bb.12502:                            ;   in Loop: Header=BB6_11393 Depth=4
	v_and_b32_e32 v1, 0xff, v34
	s_mov_b32 s75, exec_lo
	s_delay_alu instid0(VALU_DEP_1) | instskip(NEXT) | instid1(VALU_DEP_1)
	v_bfe_u32 v1, v1, 2, 5
	v_cmpx_eq_u32_e32 0, v1
	s_cbranch_execz .LBB6_12504
; %bb.12503:                            ;   in Loop: Header=BB6_11393 Depth=4
	v_clz_i32_u32_e32 v1, v5
	s_delay_alu instid0(VALU_DEP_1) | instskip(SKIP_1) | instid1(VALU_DEP_2)
	v_min_u32_e32 v1, 32, v1
	v_mov_b32_e32 v35, v113
	v_subrev_nc_u32_e32 v5, 29, v1
	v_sub_nc_u32_e32 v1, 30, v1
	s_delay_alu instid0(VALU_DEP_2) | instskip(NEXT) | instid1(VALU_DEP_1)
	v_lshlrev_b64_e32 v[20:21], v5, v[34:35]
	v_and_b32_e32 v5, 3, v20
.LBB6_12504:                            ;   in Loop: Header=BB6_11393 Depth=4
	s_or_b32 exec_lo, exec_lo, s75
	v_bfe_i32 v7, v34, 0, 16
                                        ; implicit-def: $vgpr34
	s_delay_alu instid0(VALU_DEP_1) | instskip(NEXT) | instid1(VALU_DEP_1)
	v_and_b32_e32 v7, 0x80000000, v7
	v_lshl_add_u32 v1, v1, 23, v7
	s_delay_alu instid0(VALU_DEP_1) | instskip(NEXT) | instid1(VALU_DEP_1)
	v_lshl_or_b32 v1, v5, 21, v1
                                        ; implicit-def: $vgpr5
	v_add_nc_u32_e32 v1, 0x38000000, v1
.LBB6_12505:                            ;   in Loop: Header=BB6_11393 Depth=4
	s_and_not1_saveexec_b32 s75, s13
; %bb.12506:                            ;   in Loop: Header=BB6_11393 Depth=4
	v_cmp_lt_i16_e64 s13, -1, v34
	v_mov_b32_e32 v1, 0x7f800000
	v_cmp_eq_u32_e32 vcc_lo, 0, v5
	s_delay_alu instid0(VALU_DEP_2) | instskip(NEXT) | instid1(VALU_DEP_1)
	v_cndmask_b32_e64 v1, 0xff800000, v1, s13
	v_cndmask_b32_e32 v1, 0x7f800001, v1, vcc_lo
; %bb.12507:                            ;   in Loop: Header=BB6_11393 Depth=4
	s_or_b32 exec_lo, exec_lo, s75
.LBB6_12508:                            ;   in Loop: Header=BB6_11393 Depth=4
	s_delay_alu instid0(SALU_CYCLE_1)
	s_or_b32 exec_lo, exec_lo, s15
.LBB6_12509:                            ;   in Loop: Header=BB6_11393 Depth=4
	s_delay_alu instid0(SALU_CYCLE_1) | instskip(NEXT) | instid1(VALU_DEP_1)
	s_or_b32 exec_lo, exec_lo, s14
	v_dual_add_f32 v3, v3, v1 :: v_dual_mov_b32 v21, v113
                                        ; implicit-def: $vgpr34
	s_mov_b32 s13, exec_lo
	s_delay_alu instid0(VALU_DEP_1) | instskip(SKIP_1) | instid1(VALU_DEP_2)
	v_and_b32_e32 v20, 0x7f800000, v3
	v_and_b32_e32 v112, 0x7fffff, v3
	v_cmpx_ne_u64_e32 0x7f800000, v[20:21]
	s_xor_b32 s14, exec_lo, s13
	s_cbranch_execz .LBB6_12527
; %bb.12510:                            ;   in Loop: Header=BB6_11393 Depth=4
	v_dual_mov_b32 v21, v113 :: v_dual_lshrrev_b32 v1, 24, v3
	v_and_b32_e32 v20, 0x7fffffff, v3
                                        ; implicit-def: $vgpr34
	s_mov_b32 s13, exec_lo
	s_delay_alu instid0(VALU_DEP_2) | instskip(NEXT) | instid1(VALU_DEP_2)
	v_and_b32_e32 v1, 0x80, v1
	v_cmpx_gt_u64_e32 0x47600001, v[20:21]
	s_xor_b32 s15, exec_lo, s13
	s_cbranch_execz .LBB6_12524
; %bb.12511:                            ;   in Loop: Header=BB6_11393 Depth=4
	v_mov_b32_e32 v34, 0
	s_mov_b32 s75, exec_lo
	v_cmpx_ne_u32_e32 0, v3
	s_cbranch_execz .LBB6_12523
; %bb.12512:                            ;   in Loop: Header=BB6_11393 Depth=4
	v_bfe_u32 v3, v3, 23, 8
	v_mov_b32_e32 v62, v58
	v_or_b32_e32 v7, 0x800000, v112
	s_delay_alu instid0(VALU_DEP_3) | instskip(SKIP_2) | instid1(VALU_DEP_2)
	v_cmp_gt_u32_e64 s13, 0x72, v3
	v_sub_nc_u32_e32 v5, 0x71, v3
	v_cmp_eq_u32_e32 vcc_lo, 0, v3
	v_dual_cndmask_b32 v5, 0, v5, s13 :: v_dual_cndmask_b32 v20, v7, v112, vcc_lo
	s_delay_alu instid0(VALU_DEP_1) | instskip(NEXT) | instid1(VALU_DEP_1)
	v_cndmask_b32_e64 v5, v5, 0x70, vcc_lo
	v_dual_mov_b32 v21, v113 :: v_dual_add_nc_u32 v7, 21, v5
	s_delay_alu instid0(VALU_DEP_1) | instskip(SKIP_1) | instid1(VALU_DEP_1)
	v_lshlrev_b64_e64 v[34:35], v7, -1
	v_add_nc_u32_e32 v7, 20, v5
	v_lshlrev_b64_e64 v[58:59], v7, 1
	s_delay_alu instid0(VALU_DEP_3) | instskip(SKIP_2) | instid1(VALU_DEP_1)
	v_bfi_b32 v34, v34, 0, v20
	v_lshrrev_b64 v[20:21], v5, v[20:21]
	v_bfi_b32 v35, v35, 0, 0
	v_cmp_eq_u64_e64 s13, v[34:35], v[58:59]
	s_delay_alu instid0(VALU_DEP_3)
	v_mov_b64_e32 v[34:35], v[20:21]
	s_and_saveexec_b32 s76, s13
; %bb.12513:                            ;   in Loop: Header=BB6_11393 Depth=4
	v_bfe_u32 v34, v20, 21, 1
	v_mov_b32_e32 v35, v113
	s_delay_alu instid0(VALU_DEP_1) | instskip(NEXT) | instid1(VALU_DEP_1)
	v_add_nc_u64_e32 v[34:35], v[20:21], v[34:35]
	v_add_nc_u64_e32 v[34:35], -1, v[34:35]
; %bb.12514:                            ;   in Loop: Header=BB6_11393 Depth=4
	s_or_b32 exec_lo, exec_lo, s76
	v_add_nc_u32_e32 v3, 0xffffff81, v3
	s_delay_alu instid0(VALU_DEP_2) | instskip(SKIP_2) | instid1(VALU_DEP_3)
	v_and_b32_e32 v15, 0x1fffff, v34
	v_lshrrev_b32_e32 v7, 23, v20
	s_mov_b32 s13, exec_lo
	v_cndmask_b32_e64 v3, v3, 0xffffff82, vcc_lo
	s_delay_alu instid0(VALU_DEP_3) | instskip(NEXT) | instid1(VALU_DEP_2)
	v_add_nc_u32_e32 v112, v15, v20
                                        ; implicit-def: $vgpr20_vgpr21
	v_add3_u32 v7, v5, v3, v7
                                        ; implicit-def: $vgpr3
	s_delay_alu instid0(VALU_DEP_1) | instskip(NEXT) | instid1(VALU_DEP_1)
	v_add_nc_u32_e32 v5, 14, v7
	v_cmpx_ne_u32_e32 0, v5
	s_xor_b32 s13, exec_lo, s13
; %bb.12515:                            ;   in Loop: Header=BB6_11393 Depth=4
	v_cmp_lt_u64_e32 vcc_lo, 0xffffff, v[112:113]
	v_add_nc_u32_e32 v3, 15, v7
	s_delay_alu instid0(VALU_DEP_1) | instskip(SKIP_1) | instid1(VALU_DEP_1)
	v_cndmask_b32_e32 v3, v5, v3, vcc_lo
	v_cndmask_b32_e64 v5, 0, 1, vcc_lo
	v_lshrrev_b64 v[20:21], v5, v[112:113]
; %bb.12516:                            ;   in Loop: Header=BB6_11393 Depth=4
	s_or_saveexec_b32 s13, s13
	v_mov_b32_e32 v58, v62
	s_xor_b32 exec_lo, exec_lo, s13
; %bb.12517:                            ;   in Loop: Header=BB6_11393 Depth=4
	v_mov_b64_e32 v[20:21], v[112:113]
	v_bfe_u32 v3, v112, 23, 1
; %bb.12518:                            ;   in Loop: Header=BB6_11393 Depth=4
	s_or_b32 exec_lo, exec_lo, s13
	s_delay_alu instid0(VALU_DEP_2) | instskip(NEXT) | instid1(VALU_DEP_2)
	v_lshrrev_b64 v[20:21], 21, v[20:21]
	v_cmp_gt_i32_e32 vcc_lo, 32, v3
	v_cmp_ne_u32_e64 s13, 0, v3
                                        ; implicit-def: $vgpr34
	s_delay_alu instid0(VALU_DEP_3) | instskip(NEXT) | instid1(VALU_DEP_1)
	v_dual_cndmask_b32 v21, 0, v21 :: v_dual_cndmask_b32 v20, 3, v20
	v_cmp_ne_u64_e32 vcc_lo, 0, v[20:21]
	s_or_b32 s13, s13, vcc_lo
	s_delay_alu instid0(SALU_CYCLE_1) | instskip(NEXT) | instid1(SALU_CYCLE_1)
	s_and_saveexec_b32 s76, s13
	s_xor_b32 s13, exec_lo, s76
; %bb.12519:                            ;   in Loop: Header=BB6_11393 Depth=4
	v_min_i32_e32 v3, 31, v3
	s_delay_alu instid0(VALU_DEP_1) | instskip(NEXT) | instid1(VALU_DEP_1)
	v_lshl_or_b32 v1, v3, 2, v1
	v_and_or_b32 v34, v20, 3, v1
                                        ; implicit-def: $vgpr1
; %bb.12520:                            ;   in Loop: Header=BB6_11393 Depth=4
	s_and_not1_saveexec_b32 s13, s13
; %bb.12521:                            ;   in Loop: Header=BB6_11393 Depth=4
	v_mov_b32_e32 v34, v1
; %bb.12522:                            ;   in Loop: Header=BB6_11393 Depth=4
	s_or_b32 exec_lo, exec_lo, s13
.LBB6_12523:                            ;   in Loop: Header=BB6_11393 Depth=4
	s_delay_alu instid0(SALU_CYCLE_1)
	s_or_b32 exec_lo, exec_lo, s75
                                        ; implicit-def: $vgpr1
.LBB6_12524:                            ;   in Loop: Header=BB6_11393 Depth=4
	s_and_not1_saveexec_b32 s13, s15
; %bb.12525:                            ;   in Loop: Header=BB6_11393 Depth=4
	v_or_b32_e32 v34, 0x7b, v1
; %bb.12526:                            ;   in Loop: Header=BB6_11393 Depth=4
	s_or_b32 exec_lo, exec_lo, s13
                                        ; implicit-def: $vgpr3
.LBB6_12527:                            ;   in Loop: Header=BB6_11393 Depth=4
	s_and_not1_saveexec_b32 s13, s14
	s_cbranch_execz .LBB6_12533
; %bb.12528:                            ;   in Loop: Header=BB6_11393 Depth=4
	s_mov_b32 s14, exec_lo
                                        ; implicit-def: $vgpr34
	v_cmpx_ne_u64_e32 0, v[112:113]
	s_xor_b32 s14, exec_lo, s14
; %bb.12529:                            ;   in Loop: Header=BB6_11393 Depth=4
	v_lshrrev_b32_e32 v1, 24, v3
                                        ; implicit-def: $vgpr3
	s_delay_alu instid0(VALU_DEP_1)
	v_or_b32_e32 v34, 0x7f, v1
; %bb.12530:                            ;   in Loop: Header=BB6_11393 Depth=4
	s_and_not1_saveexec_b32 s14, s14
; %bb.12531:                            ;   in Loop: Header=BB6_11393 Depth=4
	v_cmp_lt_i32_e32 vcc_lo, -1, v3
	v_cndmask_b32_e64 v34, -4, 0x7c, vcc_lo
; %bb.12532:                            ;   in Loop: Header=BB6_11393 Depth=4
	s_or_b32 exec_lo, exec_lo, s14
.LBB6_12533:                            ;   in Loop: Header=BB6_11393 Depth=4
	s_delay_alu instid0(SALU_CYCLE_1) | instskip(SKIP_3) | instid1(VALU_DEP_2)
	s_or_b32 exec_lo, exec_lo, s13
	v_and_b32_e32 v7, 0xff, v0
	v_dual_mov_b32 v3, 0 :: v_dual_mov_b32 v1, 0
	s_mov_b32 s14, exec_lo
	v_cmpx_ne_u16_e32 0, v7
	s_cbranch_execz .LBB6_12543
; %bb.12534:                            ;   in Loop: Header=BB6_11393 Depth=4
	v_bfrev_b32_e32 v1, 1
	s_mov_b32 s15, exec_lo
	v_cmpx_ne_u16_e32 0x80, v7
	s_cbranch_execz .LBB6_12542
; %bb.12535:                            ;   in Loop: Header=BB6_11393 Depth=4
	v_and_b32_e32 v1, 0x7c, v0
	v_and_b32_e32 v5, 3, v0
	s_delay_alu instid0(VALU_DEP_2) | instskip(SKIP_1) | instid1(SALU_CYCLE_1)
	v_cmp_ne_u32_e32 vcc_lo, 0x7c, v1
                                        ; implicit-def: $vgpr1
	s_and_saveexec_b32 s13, vcc_lo
	s_xor_b32 s13, exec_lo, s13
	s_cbranch_execz .LBB6_12539
; %bb.12536:                            ;   in Loop: Header=BB6_11393 Depth=4
	v_bfe_u32 v1, v7, 2, 5
	s_mov_b32 s75, exec_lo
	s_delay_alu instid0(VALU_DEP_1)
	v_cmpx_eq_u32_e32 0, v1
; %bb.12537:                            ;   in Loop: Header=BB6_11393 Depth=4
	v_clz_i32_u32_e32 v1, v5
	s_delay_alu instid0(VALU_DEP_1) | instskip(SKIP_1) | instid1(VALU_DEP_2)
	v_min_u32_e32 v5, 32, v1
	v_mov_b32_e32 v1, v113
	v_subrev_nc_u32_e32 v7, 29, v5
	s_delay_alu instid0(VALU_DEP_1) | instskip(NEXT) | instid1(VALU_DEP_1)
	v_lshlrev_b64_e32 v[20:21], v7, v[0:1]
	v_dual_sub_nc_u32 v1, 30, v5 :: v_dual_bitop2_b32 v5, 3, v20 bitop3:0x40
; %bb.12538:                            ;   in Loop: Header=BB6_11393 Depth=4
	s_or_b32 exec_lo, exec_lo, s75
	v_lshlrev_b32_e32 v0, 24, v0
	s_delay_alu instid0(VALU_DEP_1) | instskip(NEXT) | instid1(VALU_DEP_1)
	v_and_b32_e32 v0, 0x80000000, v0
	v_lshl_add_u32 v0, v1, 23, v0
	s_delay_alu instid0(VALU_DEP_1) | instskip(NEXT) | instid1(VALU_DEP_1)
	v_lshl_or_b32 v0, v5, 21, v0
                                        ; implicit-def: $vgpr5
	v_add_nc_u32_e32 v1, 0x38000000, v0
                                        ; implicit-def: $vgpr0
.LBB6_12539:                            ;   in Loop: Header=BB6_11393 Depth=4
	s_and_not1_saveexec_b32 s75, s13
; %bb.12540:                            ;   in Loop: Header=BB6_11393 Depth=4
	v_bfe_i32 v0, v0, 0, 8
	v_cmp_eq_u32_e32 vcc_lo, 0, v5
	s_delay_alu instid0(VALU_DEP_2) | instskip(SKIP_1) | instid1(VALU_DEP_1)
	v_cmp_lt_i16_e64 s13, -1, v0
	v_mov_b32_e32 v0, 0x7f800000
	v_cndmask_b32_e64 v0, 0xff800000, v0, s13
	s_delay_alu instid0(VALU_DEP_1)
	v_cndmask_b32_e32 v1, 0x7f800001, v0, vcc_lo
; %bb.12541:                            ;   in Loop: Header=BB6_11393 Depth=4
	s_or_b32 exec_lo, exec_lo, s75
.LBB6_12542:                            ;   in Loop: Header=BB6_11393 Depth=4
	s_delay_alu instid0(SALU_CYCLE_1)
	s_or_b32 exec_lo, exec_lo, s15
.LBB6_12543:                            ;   in Loop: Header=BB6_11393 Depth=4
	s_delay_alu instid0(SALU_CYCLE_1) | instskip(NEXT) | instid1(SALU_CYCLE_1)
	s_or_b32 exec_lo, exec_lo, s14
	s_mov_b32 s14, exec_lo
	s_wait_loadcnt_dscnt 0x1e1e
	v_cmpx_ne_u16_e32 0, v100
	s_cbranch_execz .LBB6_12553
; %bb.12544:                            ;   in Loop: Header=BB6_11393 Depth=4
	v_bfrev_b32_e32 v3, 1
	s_mov_b32 s15, exec_lo
	v_cmpx_ne_u16_e32 0xff80, v100
	s_cbranch_execz .LBB6_12552
; %bb.12545:                            ;   in Loop: Header=BB6_11393 Depth=4
	v_and_b32_e32 v3, 0x7c, v100
	v_and_b32_e32 v0, 3, v100
	s_delay_alu instid0(VALU_DEP_2) | instskip(SKIP_1) | instid1(SALU_CYCLE_1)
	v_cmp_ne_u32_e32 vcc_lo, 0x7c, v3
                                        ; implicit-def: $vgpr3
	s_and_saveexec_b32 s13, vcc_lo
	s_xor_b32 s13, exec_lo, s13
	s_cbranch_execz .LBB6_12549
; %bb.12546:                            ;   in Loop: Header=BB6_11393 Depth=4
	v_and_b32_e32 v3, 0xff, v100
	s_mov_b32 s75, exec_lo
	s_delay_alu instid0(VALU_DEP_1) | instskip(NEXT) | instid1(VALU_DEP_1)
	v_bfe_u32 v3, v3, 2, 5
	v_cmpx_eq_u32_e32 0, v3
	s_cbranch_execz .LBB6_12548
; %bb.12547:                            ;   in Loop: Header=BB6_11393 Depth=4
	v_clz_i32_u32_e32 v0, v0
	s_delay_alu instid0(VALU_DEP_1) | instskip(SKIP_1) | instid1(VALU_DEP_2)
	v_min_u32_e32 v0, 32, v0
	v_mov_b32_e32 v101, v113
	v_subrev_nc_u32_e32 v3, 29, v0
	s_delay_alu instid0(VALU_DEP_1) | instskip(SKIP_1) | instid1(VALU_DEP_2)
	v_lshlrev_b64_e32 v[20:21], v3, v[100:101]
	v_sub_nc_u32_e32 v3, 30, v0
	v_and_b32_e32 v0, 3, v20
.LBB6_12548:                            ;   in Loop: Header=BB6_11393 Depth=4
	s_or_b32 exec_lo, exec_lo, s75
	v_bfe_i32 v5, v100, 0, 16
                                        ; implicit-def: $vgpr100
	s_delay_alu instid0(VALU_DEP_1) | instskip(NEXT) | instid1(VALU_DEP_1)
	v_and_b32_e32 v5, 0x80000000, v5
	v_lshl_add_u32 v3, v3, 23, v5
	s_delay_alu instid0(VALU_DEP_1) | instskip(NEXT) | instid1(VALU_DEP_1)
	v_lshl_or_b32 v0, v0, 21, v3
	v_add_nc_u32_e32 v3, 0x38000000, v0
                                        ; implicit-def: $vgpr0
.LBB6_12549:                            ;   in Loop: Header=BB6_11393 Depth=4
	s_and_not1_saveexec_b32 s75, s13
; %bb.12550:                            ;   in Loop: Header=BB6_11393 Depth=4
	v_cmp_eq_u32_e32 vcc_lo, 0, v0
	v_cmp_lt_i16_e64 s13, -1, v100
	v_mov_b32_e32 v0, 0x7f800000
	s_delay_alu instid0(VALU_DEP_1) | instskip(NEXT) | instid1(VALU_DEP_1)
	v_cndmask_b32_e64 v0, 0xff800000, v0, s13
	v_cndmask_b32_e32 v3, 0x7f800001, v0, vcc_lo
; %bb.12551:                            ;   in Loop: Header=BB6_11393 Depth=4
	s_or_b32 exec_lo, exec_lo, s75
.LBB6_12552:                            ;   in Loop: Header=BB6_11393 Depth=4
	s_delay_alu instid0(SALU_CYCLE_1)
	s_or_b32 exec_lo, exec_lo, s15
.LBB6_12553:                            ;   in Loop: Header=BB6_11393 Depth=4
	s_delay_alu instid0(SALU_CYCLE_1) | instskip(NEXT) | instid1(VALU_DEP_1)
	s_or_b32 exec_lo, exec_lo, s14
	v_add_f32_e32 v0, v1, v3
	v_mov_b32_e32 v21, v113
	s_delay_alu instid0(VALU_DEP_2) | instskip(SKIP_1) | instid1(VALU_DEP_2)
	v_and_b32_e32 v20, 0x7f800000, v0
	v_and_b32_e32 v112, 0x7fffff, v0
	v_cmp_ne_u64_e32 vcc_lo, 0x7f800000, v[20:21]
                                        ; implicit-def: $vgpr20
	s_and_saveexec_b32 s13, vcc_lo
	s_delay_alu instid0(SALU_CYCLE_1)
	s_xor_b32 s14, exec_lo, s13
	s_cbranch_execz .LBB6_12571
; %bb.12554:                            ;   in Loop: Header=BB6_11393 Depth=4
	v_and_b32_e32 v20, 0x7fffffff, v0
	v_dual_mov_b32 v21, v113 :: v_dual_lshrrev_b32 v1, 24, v0
	s_delay_alu instid0(VALU_DEP_1) | instskip(NEXT) | instid1(VALU_DEP_2)
	v_cmp_gt_u64_e32 vcc_lo, 0x47600001, v[20:21]
	v_and_b32_e32 v3, 0x80, v1
                                        ; implicit-def: $vgpr20
	s_and_saveexec_b32 s13, vcc_lo
	s_delay_alu instid0(SALU_CYCLE_1)
	s_xor_b32 s15, exec_lo, s13
	s_cbranch_execz .LBB6_12568
; %bb.12555:                            ;   in Loop: Header=BB6_11393 Depth=4
	v_mov_b32_e32 v20, 0
	s_mov_b32 s75, exec_lo
	v_cmpx_ne_u32_e32 0, v0
	s_cbranch_execz .LBB6_12567
; %bb.12556:                            ;   in Loop: Header=BB6_11393 Depth=4
	v_bfe_u32 v5, v0, 23, 8
	v_or_b32_e32 v1, 0x800000, v112
	s_delay_alu instid0(VALU_DEP_2) | instskip(SKIP_2) | instid1(VALU_DEP_2)
	v_cmp_gt_u32_e64 s13, 0x72, v5
	v_sub_nc_u32_e32 v0, 0x71, v5
	v_cmp_eq_u32_e32 vcc_lo, 0, v5
	v_cndmask_b32_e64 v0, 0, v0, s13
	s_delay_alu instid0(VALU_DEP_1) | instskip(SKIP_1) | instid1(VALU_DEP_2)
	v_cndmask_b32_e64 v7, v0, 0x70, vcc_lo
	v_cndmask_b32_e32 v0, v1, v112, vcc_lo
	v_dual_mov_b32 v1, v113 :: v_dual_add_nc_u32 v15, 21, v7
	s_delay_alu instid0(VALU_DEP_1) | instskip(SKIP_1) | instid1(VALU_DEP_1)
	v_lshlrev_b64_e64 v[20:21], v15, -1
	v_add_nc_u32_e32 v15, 20, v7
	v_lshlrev_b64_e64 v[100:101], v15, 1
	s_delay_alu instid0(VALU_DEP_3) | instskip(SKIP_2) | instid1(VALU_DEP_1)
	v_bfi_b32 v20, v20, 0, v0
	v_lshrrev_b64 v[0:1], v7, v[0:1]
	v_bfi_b32 v21, v21, 0, 0
	v_cmp_eq_u64_e64 s13, v[20:21], v[100:101]
	s_delay_alu instid0(VALU_DEP_3)
	v_mov_b64_e32 v[20:21], v[0:1]
	s_and_saveexec_b32 s76, s13
; %bb.12557:                            ;   in Loop: Header=BB6_11393 Depth=4
	v_bfe_u32 v20, v0, 21, 1
	v_mov_b32_e32 v21, v113
	s_delay_alu instid0(VALU_DEP_1) | instskip(NEXT) | instid1(VALU_DEP_1)
	v_add_nc_u64_e32 v[20:21], v[0:1], v[20:21]
	v_add_nc_u64_e32 v[20:21], -1, v[20:21]
; %bb.12558:                            ;   in Loop: Header=BB6_11393 Depth=4
	s_or_b32 exec_lo, exec_lo, s76
	v_add_nc_u32_e32 v1, 0xffffff81, v5
	s_delay_alu instid0(VALU_DEP_2) | instskip(SKIP_2) | instid1(VALU_DEP_3)
	v_and_b32_e32 v17, 0x1fffff, v20
	v_lshrrev_b32_e32 v5, 23, v0
	s_mov_b32 s13, exec_lo
	v_cndmask_b32_e64 v1, v1, 0xffffff82, vcc_lo
	s_delay_alu instid0(VALU_DEP_3) | instskip(NEXT) | instid1(VALU_DEP_2)
	v_add_nc_u32_e32 v112, v17, v0
	v_add3_u32 v15, v7, v1, v5
                                        ; implicit-def: $vgpr0_vgpr1
                                        ; implicit-def: $vgpr5
	s_delay_alu instid0(VALU_DEP_1) | instskip(NEXT) | instid1(VALU_DEP_1)
	v_add_nc_u32_e32 v7, 14, v15
	v_cmpx_ne_u32_e32 0, v7
	s_xor_b32 s13, exec_lo, s13
; %bb.12559:                            ;   in Loop: Header=BB6_11393 Depth=4
	v_cmp_lt_u64_e32 vcc_lo, 0xffffff, v[112:113]
	v_add_nc_u32_e32 v0, 15, v15
	s_delay_alu instid0(VALU_DEP_1) | instskip(SKIP_1) | instid1(VALU_DEP_1)
	v_cndmask_b32_e32 v5, v7, v0, vcc_lo
	v_cndmask_b32_e64 v0, 0, 1, vcc_lo
	v_lshrrev_b64 v[0:1], v0, v[112:113]
; %bb.12560:                            ;   in Loop: Header=BB6_11393 Depth=4
	s_and_not1_saveexec_b32 s13, s13
; %bb.12561:                            ;   in Loop: Header=BB6_11393 Depth=4
	v_mov_b64_e32 v[0:1], v[112:113]
	v_bfe_u32 v5, v112, 23, 1
; %bb.12562:                            ;   in Loop: Header=BB6_11393 Depth=4
	s_or_b32 exec_lo, exec_lo, s13
	s_delay_alu instid0(VALU_DEP_2) | instskip(NEXT) | instid1(VALU_DEP_2)
	v_lshrrev_b64 v[0:1], 21, v[0:1]
	v_cmp_gt_i32_e32 vcc_lo, 32, v5
	v_cmp_ne_u32_e64 s13, 0, v5
                                        ; implicit-def: $vgpr20
	s_delay_alu instid0(VALU_DEP_3) | instskip(NEXT) | instid1(VALU_DEP_1)
	v_dual_cndmask_b32 v1, 0, v1 :: v_dual_cndmask_b32 v0, 3, v0
	v_cmp_ne_u64_e32 vcc_lo, 0, v[0:1]
	s_or_b32 s13, s13, vcc_lo
	s_delay_alu instid0(SALU_CYCLE_1) | instskip(NEXT) | instid1(SALU_CYCLE_1)
	s_and_saveexec_b32 s76, s13
	s_xor_b32 s13, exec_lo, s76
; %bb.12563:                            ;   in Loop: Header=BB6_11393 Depth=4
	v_min_i32_e32 v1, 31, v5
	s_delay_alu instid0(VALU_DEP_1) | instskip(NEXT) | instid1(VALU_DEP_1)
	v_lshl_or_b32 v1, v1, 2, v3
                                        ; implicit-def: $vgpr3
	v_and_or_b32 v20, v0, 3, v1
; %bb.12564:                            ;   in Loop: Header=BB6_11393 Depth=4
	s_and_not1_saveexec_b32 s13, s13
; %bb.12565:                            ;   in Loop: Header=BB6_11393 Depth=4
	v_mov_b32_e32 v20, v3
; %bb.12566:                            ;   in Loop: Header=BB6_11393 Depth=4
	s_or_b32 exec_lo, exec_lo, s13
.LBB6_12567:                            ;   in Loop: Header=BB6_11393 Depth=4
	s_delay_alu instid0(SALU_CYCLE_1)
	s_or_b32 exec_lo, exec_lo, s75
                                        ; implicit-def: $vgpr3
.LBB6_12568:                            ;   in Loop: Header=BB6_11393 Depth=4
	s_and_not1_saveexec_b32 s13, s15
; %bb.12569:                            ;   in Loop: Header=BB6_11393 Depth=4
	v_or_b32_e32 v20, 0x7b, v3
; %bb.12570:                            ;   in Loop: Header=BB6_11393 Depth=4
	s_or_b32 exec_lo, exec_lo, s13
                                        ; implicit-def: $vgpr0
.LBB6_12571:                            ;   in Loop: Header=BB6_11393 Depth=4
	s_and_not1_saveexec_b32 s13, s14
	s_cbranch_execz .LBB6_12577
; %bb.12572:                            ;   in Loop: Header=BB6_11393 Depth=4
	s_mov_b32 s14, exec_lo
                                        ; implicit-def: $vgpr20
	v_cmpx_ne_u64_e32 0, v[112:113]
	s_xor_b32 s14, exec_lo, s14
; %bb.12573:                            ;   in Loop: Header=BB6_11393 Depth=4
	v_lshrrev_b32_e32 v0, 24, v0
	s_delay_alu instid0(VALU_DEP_1)
	v_or_b32_e32 v20, 0x7f, v0
                                        ; implicit-def: $vgpr0
; %bb.12574:                            ;   in Loop: Header=BB6_11393 Depth=4
	s_and_not1_saveexec_b32 s14, s14
; %bb.12575:                            ;   in Loop: Header=BB6_11393 Depth=4
	v_cmp_lt_i32_e32 vcc_lo, -1, v0
	v_cndmask_b32_e64 v20, -4, 0x7c, vcc_lo
; %bb.12576:                            ;   in Loop: Header=BB6_11393 Depth=4
	s_or_b32 exec_lo, exec_lo, s14
.LBB6_12577:                            ;   in Loop: Header=BB6_11393 Depth=4
	s_delay_alu instid0(SALU_CYCLE_1) | instskip(SKIP_3) | instid1(VALU_DEP_2)
	s_or_b32 exec_lo, exec_lo, s13
	v_and_b32_e32 v5, 0xff, v22
	v_dual_mov_b32 v0, 0 :: v_dual_mov_b32 v1, 0
	s_mov_b32 s14, exec_lo
	v_cmpx_ne_u16_e32 0, v5
	s_cbranch_execz .LBB6_12587
; %bb.12578:                            ;   in Loop: Header=BB6_11393 Depth=4
	v_bfrev_b32_e32 v1, 1
	s_mov_b32 s15, exec_lo
	v_cmpx_ne_u16_e32 0x80, v5
	s_cbranch_execz .LBB6_12586
; %bb.12579:                            ;   in Loop: Header=BB6_11393 Depth=4
	v_and_b32_e32 v1, 0x7c, v22
	v_and_b32_e32 v3, 3, v22
	s_delay_alu instid0(VALU_DEP_2) | instskip(SKIP_1) | instid1(SALU_CYCLE_1)
	v_cmp_ne_u32_e32 vcc_lo, 0x7c, v1
                                        ; implicit-def: $vgpr1
	s_and_saveexec_b32 s13, vcc_lo
	s_xor_b32 s13, exec_lo, s13
	s_cbranch_execz .LBB6_12583
; %bb.12580:                            ;   in Loop: Header=BB6_11393 Depth=4
	v_bfe_u32 v1, v5, 2, 5
	s_mov_b32 s75, exec_lo
	s_delay_alu instid0(VALU_DEP_1)
	v_cmpx_eq_u32_e32 0, v1
	s_cbranch_execz .LBB6_12582
; %bb.12581:                            ;   in Loop: Header=BB6_11393 Depth=4
	v_clz_i32_u32_e32 v1, v3
	s_delay_alu instid0(VALU_DEP_1) | instskip(SKIP_1) | instid1(VALU_DEP_2)
	v_min_u32_e32 v1, 32, v1
	v_mov_b32_e32 v23, v113
	v_subrev_nc_u32_e32 v3, 29, v1
	v_sub_nc_u32_e32 v1, 30, v1
	s_delay_alu instid0(VALU_DEP_2) | instskip(NEXT) | instid1(VALU_DEP_1)
	v_lshlrev_b64_e32 v[100:101], v3, v[22:23]
	v_and_b32_e32 v3, 3, v100
.LBB6_12582:                            ;   in Loop: Header=BB6_11393 Depth=4
	s_or_b32 exec_lo, exec_lo, s75
	v_lshlrev_b32_e32 v5, 24, v22
                                        ; implicit-def: $vgpr22
	s_delay_alu instid0(VALU_DEP_1) | instskip(NEXT) | instid1(VALU_DEP_1)
	v_and_b32_e32 v5, 0x80000000, v5
	v_lshl_add_u32 v1, v1, 23, v5
	s_delay_alu instid0(VALU_DEP_1) | instskip(NEXT) | instid1(VALU_DEP_1)
	v_lshl_or_b32 v1, v3, 21, v1
                                        ; implicit-def: $vgpr3
	v_add_nc_u32_e32 v1, 0x38000000, v1
.LBB6_12583:                            ;   in Loop: Header=BB6_11393 Depth=4
	s_and_not1_saveexec_b32 s75, s13
; %bb.12584:                            ;   in Loop: Header=BB6_11393 Depth=4
	v_bfe_i32 v1, v22, 0, 8
	v_cmp_eq_u32_e32 vcc_lo, 0, v3
	s_delay_alu instid0(VALU_DEP_2) | instskip(SKIP_1) | instid1(VALU_DEP_1)
	v_cmp_lt_i16_e64 s13, -1, v1
	v_mov_b32_e32 v1, 0x7f800000
	v_cndmask_b32_e64 v1, 0xff800000, v1, s13
	s_delay_alu instid0(VALU_DEP_1)
	v_cndmask_b32_e32 v1, 0x7f800001, v1, vcc_lo
; %bb.12585:                            ;   in Loop: Header=BB6_11393 Depth=4
	s_or_b32 exec_lo, exec_lo, s75
.LBB6_12586:                            ;   in Loop: Header=BB6_11393 Depth=4
	s_delay_alu instid0(SALU_CYCLE_1)
	s_or_b32 exec_lo, exec_lo, s15
.LBB6_12587:                            ;   in Loop: Header=BB6_11393 Depth=4
	s_delay_alu instid0(SALU_CYCLE_1) | instskip(NEXT) | instid1(SALU_CYCLE_1)
	s_or_b32 exec_lo, exec_lo, s14
	s_mov_b32 s14, exec_lo
	s_wait_loadcnt_dscnt 0x1d1d
	v_cmpx_ne_u16_e32 0, v2
	s_cbranch_execz .LBB6_12597
; %bb.12588:                            ;   in Loop: Header=BB6_11393 Depth=4
	v_bfrev_b32_e32 v0, 1
	s_mov_b32 s15, exec_lo
	v_cmpx_ne_u16_e32 0xff80, v2
	s_cbranch_execz .LBB6_12596
; %bb.12589:                            ;   in Loop: Header=BB6_11393 Depth=4
	v_and_b32_e32 v0, 0x7c, v2
	v_and_b32_e32 v3, 3, v2
	s_delay_alu instid0(VALU_DEP_2) | instskip(SKIP_1) | instid1(SALU_CYCLE_1)
	v_cmp_ne_u32_e32 vcc_lo, 0x7c, v0
                                        ; implicit-def: $vgpr0
	s_and_saveexec_b32 s13, vcc_lo
	s_xor_b32 s13, exec_lo, s13
	s_cbranch_execz .LBB6_12593
; %bb.12590:                            ;   in Loop: Header=BB6_11393 Depth=4
	v_and_b32_e32 v0, 0xff, v2
	s_mov_b32 s75, exec_lo
	s_delay_alu instid0(VALU_DEP_1) | instskip(NEXT) | instid1(VALU_DEP_1)
	v_bfe_u32 v0, v0, 2, 5
	v_cmpx_eq_u32_e32 0, v0
	s_cbranch_execz .LBB6_12592
; %bb.12591:                            ;   in Loop: Header=BB6_11393 Depth=4
	v_clz_i32_u32_e32 v0, v3
	s_delay_alu instid0(VALU_DEP_1) | instskip(SKIP_1) | instid1(VALU_DEP_2)
	v_min_u32_e32 v0, 32, v0
	v_mov_b32_e32 v3, v113
	v_subrev_nc_u32_e32 v5, 29, v0
	v_sub_nc_u32_e32 v0, 30, v0
	s_delay_alu instid0(VALU_DEP_2) | instskip(NEXT) | instid1(VALU_DEP_1)
	v_lshlrev_b64_e32 v[22:23], v5, v[2:3]
	v_and_b32_e32 v3, 3, v22
.LBB6_12592:                            ;   in Loop: Header=BB6_11393 Depth=4
	s_or_b32 exec_lo, exec_lo, s75
	v_bfe_i32 v2, v2, 0, 16
	s_delay_alu instid0(VALU_DEP_1) | instskip(NEXT) | instid1(VALU_DEP_1)
	v_and_b32_e32 v2, 0x80000000, v2
	v_lshl_add_u32 v0, v0, 23, v2
                                        ; implicit-def: $vgpr2
	s_delay_alu instid0(VALU_DEP_1) | instskip(NEXT) | instid1(VALU_DEP_1)
	v_lshl_or_b32 v0, v3, 21, v0
                                        ; implicit-def: $vgpr3
	v_add_nc_u32_e32 v0, 0x38000000, v0
.LBB6_12593:                            ;   in Loop: Header=BB6_11393 Depth=4
	s_and_not1_saveexec_b32 s75, s13
; %bb.12594:                            ;   in Loop: Header=BB6_11393 Depth=4
	v_cmp_lt_i16_e64 s13, -1, v2
	v_mov_b32_e32 v0, 0x7f800000
	v_cmp_eq_u32_e32 vcc_lo, 0, v3
	s_delay_alu instid0(VALU_DEP_2) | instskip(NEXT) | instid1(VALU_DEP_1)
	v_cndmask_b32_e64 v0, 0xff800000, v0, s13
	v_cndmask_b32_e32 v0, 0x7f800001, v0, vcc_lo
; %bb.12595:                            ;   in Loop: Header=BB6_11393 Depth=4
	s_or_b32 exec_lo, exec_lo, s75
.LBB6_12596:                            ;   in Loop: Header=BB6_11393 Depth=4
	s_delay_alu instid0(SALU_CYCLE_1)
	s_or_b32 exec_lo, exec_lo, s15
.LBB6_12597:                            ;   in Loop: Header=BB6_11393 Depth=4
	s_delay_alu instid0(SALU_CYCLE_1) | instskip(NEXT) | instid1(VALU_DEP_1)
	s_or_b32 exec_lo, exec_lo, s14
	v_add_f32_e32 v0, v1, v0
	v_mov_b32_e32 v3, v113
                                        ; implicit-def: $vgpr21
	s_mov_b32 s13, exec_lo
	s_delay_alu instid0(VALU_DEP_2) | instskip(SKIP_1) | instid1(VALU_DEP_2)
	v_and_b32_e32 v2, 0x7f800000, v0
	v_and_b32_e32 v112, 0x7fffff, v0
	v_cmpx_ne_u64_e32 0x7f800000, v[2:3]
	s_xor_b32 s14, exec_lo, s13
	s_cbranch_execz .LBB6_12615
; %bb.12598:                            ;   in Loop: Header=BB6_11393 Depth=4
	v_dual_mov_b32 v3, v113 :: v_dual_lshrrev_b32 v1, 24, v0
	v_and_b32_e32 v2, 0x7fffffff, v0
                                        ; implicit-def: $vgpr21
	s_mov_b32 s13, exec_lo
	s_delay_alu instid0(VALU_DEP_2) | instskip(NEXT) | instid1(VALU_DEP_2)
	v_and_b32_e32 v5, 0x80, v1
	v_cmpx_gt_u64_e32 0x47600001, v[2:3]
	s_xor_b32 s15, exec_lo, s13
	s_cbranch_execz .LBB6_12612
; %bb.12599:                            ;   in Loop: Header=BB6_11393 Depth=4
	v_mov_b32_e32 v21, 0
	s_mov_b32 s75, exec_lo
	v_cmpx_ne_u32_e32 0, v0
	s_cbranch_execz .LBB6_12611
; %bb.12600:                            ;   in Loop: Header=BB6_11393 Depth=4
	v_bfe_u32 v7, v0, 23, 8
	v_or_b32_e32 v1, 0x800000, v112
	s_delay_alu instid0(VALU_DEP_2) | instskip(SKIP_2) | instid1(VALU_DEP_2)
	v_cmp_gt_u32_e64 s13, 0x72, v7
	v_sub_nc_u32_e32 v0, 0x71, v7
	v_cmp_eq_u32_e32 vcc_lo, 0, v7
	v_cndmask_b32_e64 v0, 0, v0, s13
	s_delay_alu instid0(VALU_DEP_1) | instskip(SKIP_1) | instid1(VALU_DEP_2)
	v_cndmask_b32_e64 v15, v0, 0x70, vcc_lo
	v_cndmask_b32_e32 v0, v1, v112, vcc_lo
	v_dual_mov_b32 v1, v113 :: v_dual_add_nc_u32 v2, 21, v15
	v_add_nc_u32_e32 v17, 20, v15
	s_delay_alu instid0(VALU_DEP_2) | instskip(NEXT) | instid1(VALU_DEP_2)
	v_lshlrev_b64_e64 v[2:3], v2, -1
	v_lshlrev_b64_e64 v[22:23], v17, 1
	s_delay_alu instid0(VALU_DEP_2) | instskip(SKIP_1) | instid1(VALU_DEP_4)
	v_bfi_b32 v2, v2, 0, v0
	v_lshrrev_b64 v[0:1], v15, v[0:1]
	v_bfi_b32 v3, v3, 0, 0
	s_delay_alu instid0(VALU_DEP_1) | instskip(NEXT) | instid1(VALU_DEP_3)
	v_cmp_eq_u64_e64 s13, v[2:3], v[22:23]
	v_mov_b64_e32 v[2:3], v[0:1]
	s_and_saveexec_b32 s76, s13
; %bb.12601:                            ;   in Loop: Header=BB6_11393 Depth=4
	v_bfe_u32 v2, v0, 21, 1
	v_mov_b32_e32 v3, v113
	s_delay_alu instid0(VALU_DEP_1) | instskip(NEXT) | instid1(VALU_DEP_1)
	v_add_nc_u64_e32 v[2:3], v[0:1], v[2:3]
	v_add_nc_u64_e32 v[2:3], -1, v[2:3]
; %bb.12602:                            ;   in Loop: Header=BB6_11393 Depth=4
	s_or_b32 exec_lo, exec_lo, s76
	v_add_nc_u32_e32 v1, 0xffffff81, v7
	s_delay_alu instid0(VALU_DEP_2) | instskip(SKIP_2) | instid1(VALU_DEP_3)
	v_and_b32_e32 v2, 0x1fffff, v2
	v_lshrrev_b32_e32 v3, 23, v0
	s_mov_b32 s13, exec_lo
	v_cndmask_b32_e64 v1, v1, 0xffffff82, vcc_lo
	s_delay_alu instid0(VALU_DEP_3) | instskip(NEXT) | instid1(VALU_DEP_2)
	v_add_nc_u32_e32 v112, v2, v0
                                        ; implicit-def: $vgpr2
	v_add3_u32 v7, v15, v1, v3
                                        ; implicit-def: $vgpr0_vgpr1
	s_delay_alu instid0(VALU_DEP_1) | instskip(NEXT) | instid1(VALU_DEP_1)
	v_add_nc_u32_e32 v3, 14, v7
	v_cmpx_ne_u32_e32 0, v3
	s_xor_b32 s13, exec_lo, s13
; %bb.12603:                            ;   in Loop: Header=BB6_11393 Depth=4
	v_cmp_lt_u64_e32 vcc_lo, 0xffffff, v[112:113]
	v_add_nc_u32_e32 v0, 15, v7
	s_delay_alu instid0(VALU_DEP_1) | instskip(SKIP_1) | instid1(VALU_DEP_1)
	v_cndmask_b32_e32 v2, v3, v0, vcc_lo
	v_cndmask_b32_e64 v0, 0, 1, vcc_lo
	v_lshrrev_b64 v[0:1], v0, v[112:113]
; %bb.12604:                            ;   in Loop: Header=BB6_11393 Depth=4
	s_and_not1_saveexec_b32 s13, s13
; %bb.12605:                            ;   in Loop: Header=BB6_11393 Depth=4
	v_mov_b64_e32 v[0:1], v[112:113]
	v_bfe_u32 v2, v112, 23, 1
; %bb.12606:                            ;   in Loop: Header=BB6_11393 Depth=4
	s_or_b32 exec_lo, exec_lo, s13
	s_delay_alu instid0(VALU_DEP_2) | instskip(NEXT) | instid1(VALU_DEP_2)
	v_lshrrev_b64 v[0:1], 21, v[0:1]
	v_cmp_gt_i32_e32 vcc_lo, 32, v2
	v_cmp_ne_u32_e64 s13, 0, v2
                                        ; implicit-def: $vgpr21
	s_delay_alu instid0(VALU_DEP_3) | instskip(NEXT) | instid1(VALU_DEP_1)
	v_dual_cndmask_b32 v1, 0, v1 :: v_dual_cndmask_b32 v0, 3, v0
	v_cmp_ne_u64_e32 vcc_lo, 0, v[0:1]
	s_or_b32 s13, s13, vcc_lo
	s_delay_alu instid0(SALU_CYCLE_1) | instskip(NEXT) | instid1(SALU_CYCLE_1)
	s_and_saveexec_b32 s76, s13
	s_xor_b32 s13, exec_lo, s76
; %bb.12607:                            ;   in Loop: Header=BB6_11393 Depth=4
	v_min_i32_e32 v1, 31, v2
	s_delay_alu instid0(VALU_DEP_1) | instskip(NEXT) | instid1(VALU_DEP_1)
	v_lshl_or_b32 v1, v1, 2, v5
                                        ; implicit-def: $vgpr5
	v_and_or_b32 v21, v0, 3, v1
; %bb.12608:                            ;   in Loop: Header=BB6_11393 Depth=4
	s_and_not1_saveexec_b32 s13, s13
; %bb.12609:                            ;   in Loop: Header=BB6_11393 Depth=4
	v_mov_b32_e32 v21, v5
; %bb.12610:                            ;   in Loop: Header=BB6_11393 Depth=4
	s_or_b32 exec_lo, exec_lo, s13
.LBB6_12611:                            ;   in Loop: Header=BB6_11393 Depth=4
	s_delay_alu instid0(SALU_CYCLE_1)
	s_or_b32 exec_lo, exec_lo, s75
                                        ; implicit-def: $vgpr5
.LBB6_12612:                            ;   in Loop: Header=BB6_11393 Depth=4
	s_and_not1_saveexec_b32 s13, s15
; %bb.12613:                            ;   in Loop: Header=BB6_11393 Depth=4
	v_or_b32_e32 v21, 0x7b, v5
; %bb.12614:                            ;   in Loop: Header=BB6_11393 Depth=4
	s_or_b32 exec_lo, exec_lo, s13
                                        ; implicit-def: $vgpr0
.LBB6_12615:                            ;   in Loop: Header=BB6_11393 Depth=4
	s_and_not1_saveexec_b32 s13, s14
	s_cbranch_execz .LBB6_12621
; %bb.12616:                            ;   in Loop: Header=BB6_11393 Depth=4
	s_mov_b32 s14, exec_lo
                                        ; implicit-def: $vgpr21
	v_cmpx_ne_u64_e32 0, v[112:113]
	s_xor_b32 s14, exec_lo, s14
; %bb.12617:                            ;   in Loop: Header=BB6_11393 Depth=4
	v_lshrrev_b32_e32 v0, 24, v0
	s_delay_alu instid0(VALU_DEP_1)
	v_or_b32_e32 v21, 0x7f, v0
                                        ; implicit-def: $vgpr0
; %bb.12618:                            ;   in Loop: Header=BB6_11393 Depth=4
	s_and_not1_saveexec_b32 s14, s14
; %bb.12619:                            ;   in Loop: Header=BB6_11393 Depth=4
	v_cmp_lt_i32_e32 vcc_lo, -1, v0
	v_cndmask_b32_e64 v21, -4, 0x7c, vcc_lo
; %bb.12620:                            ;   in Loop: Header=BB6_11393 Depth=4
	s_or_b32 exec_lo, exec_lo, s14
.LBB6_12621:                            ;   in Loop: Header=BB6_11393 Depth=4
	s_delay_alu instid0(SALU_CYCLE_1) | instskip(SKIP_3) | instid1(VALU_DEP_2)
	s_or_b32 exec_lo, exec_lo, s13
	v_and_b32_e32 v3, 0xff, v56
	v_dual_mov_b32 v0, 0 :: v_dual_mov_b32 v1, 0
	s_mov_b32 s14, exec_lo
	v_cmpx_ne_u16_e32 0, v3
	s_cbranch_execz .LBB6_12631
; %bb.12622:                            ;   in Loop: Header=BB6_11393 Depth=4
	v_bfrev_b32_e32 v1, 1
	s_mov_b32 s15, exec_lo
	v_cmpx_ne_u16_e32 0x80, v3
	s_cbranch_execz .LBB6_12630
; %bb.12623:                            ;   in Loop: Header=BB6_11393 Depth=4
	v_and_b32_e32 v1, 0x7c, v56
	v_and_b32_e32 v2, 3, v56
	s_delay_alu instid0(VALU_DEP_2) | instskip(SKIP_1) | instid1(SALU_CYCLE_1)
	v_cmp_ne_u32_e32 vcc_lo, 0x7c, v1
                                        ; implicit-def: $vgpr1
	s_and_saveexec_b32 s13, vcc_lo
	s_xor_b32 s13, exec_lo, s13
	s_cbranch_execz .LBB6_12627
; %bb.12624:                            ;   in Loop: Header=BB6_11393 Depth=4
	v_bfe_u32 v1, v3, 2, 5
	s_mov_b32 s75, exec_lo
	s_delay_alu instid0(VALU_DEP_1)
	v_cmpx_eq_u32_e32 0, v1
	s_cbranch_execz .LBB6_12626
; %bb.12625:                            ;   in Loop: Header=BB6_11393 Depth=4
	v_clz_i32_u32_e32 v1, v2
	s_delay_alu instid0(VALU_DEP_1) | instskip(SKIP_1) | instid1(VALU_DEP_2)
	v_min_u32_e32 v1, 32, v1
	v_mov_b32_e32 v57, v113
	v_subrev_nc_u32_e32 v2, 29, v1
	v_sub_nc_u32_e32 v1, 30, v1
	s_delay_alu instid0(VALU_DEP_2) | instskip(NEXT) | instid1(VALU_DEP_1)
	v_lshlrev_b64_e32 v[2:3], v2, v[56:57]
	v_and_b32_e32 v2, 3, v2
.LBB6_12626:                            ;   in Loop: Header=BB6_11393 Depth=4
	s_or_b32 exec_lo, exec_lo, s75
	v_lshlrev_b32_e32 v3, 24, v56
                                        ; implicit-def: $vgpr56
	s_delay_alu instid0(VALU_DEP_1) | instskip(NEXT) | instid1(VALU_DEP_1)
	v_and_b32_e32 v3, 0x80000000, v3
	v_lshl_add_u32 v1, v1, 23, v3
	s_delay_alu instid0(VALU_DEP_1) | instskip(NEXT) | instid1(VALU_DEP_1)
	v_lshl_or_b32 v1, v2, 21, v1
                                        ; implicit-def: $vgpr2
	v_add_nc_u32_e32 v1, 0x38000000, v1
.LBB6_12627:                            ;   in Loop: Header=BB6_11393 Depth=4
	s_and_not1_saveexec_b32 s75, s13
; %bb.12628:                            ;   in Loop: Header=BB6_11393 Depth=4
	v_bfe_i32 v1, v56, 0, 8
	v_cmp_eq_u32_e32 vcc_lo, 0, v2
	s_delay_alu instid0(VALU_DEP_2) | instskip(SKIP_1) | instid1(VALU_DEP_1)
	v_cmp_lt_i16_e64 s13, -1, v1
	v_mov_b32_e32 v1, 0x7f800000
	v_cndmask_b32_e64 v1, 0xff800000, v1, s13
	s_delay_alu instid0(VALU_DEP_1)
	v_cndmask_b32_e32 v1, 0x7f800001, v1, vcc_lo
; %bb.12629:                            ;   in Loop: Header=BB6_11393 Depth=4
	s_or_b32 exec_lo, exec_lo, s75
.LBB6_12630:                            ;   in Loop: Header=BB6_11393 Depth=4
	s_delay_alu instid0(SALU_CYCLE_1)
	s_or_b32 exec_lo, exec_lo, s15
.LBB6_12631:                            ;   in Loop: Header=BB6_11393 Depth=4
	s_delay_alu instid0(SALU_CYCLE_1) | instskip(NEXT) | instid1(SALU_CYCLE_1)
	s_or_b32 exec_lo, exec_lo, s14
	s_mov_b32 s14, exec_lo
	s_wait_loadcnt_dscnt 0x1c1c
	v_cmpx_ne_u16_e32 0, v18
	s_cbranch_execz .LBB6_12641
; %bb.12632:                            ;   in Loop: Header=BB6_11393 Depth=4
	v_bfrev_b32_e32 v0, 1
	s_mov_b32 s15, exec_lo
	v_cmpx_ne_u16_e32 0xff80, v18
	s_cbranch_execz .LBB6_12640
; %bb.12633:                            ;   in Loop: Header=BB6_11393 Depth=4
	v_and_b32_e32 v0, 0x7c, v18
	v_and_b32_e32 v2, 3, v18
	s_delay_alu instid0(VALU_DEP_2) | instskip(SKIP_1) | instid1(SALU_CYCLE_1)
	v_cmp_ne_u32_e32 vcc_lo, 0x7c, v0
                                        ; implicit-def: $vgpr0
	s_and_saveexec_b32 s13, vcc_lo
	s_xor_b32 s13, exec_lo, s13
	s_cbranch_execz .LBB6_12637
; %bb.12634:                            ;   in Loop: Header=BB6_11393 Depth=4
	v_and_b32_e32 v0, 0xff, v18
	s_mov_b32 s75, exec_lo
	s_delay_alu instid0(VALU_DEP_1) | instskip(NEXT) | instid1(VALU_DEP_1)
	v_bfe_u32 v0, v0, 2, 5
	v_cmpx_eq_u32_e32 0, v0
	s_cbranch_execz .LBB6_12636
; %bb.12635:                            ;   in Loop: Header=BB6_11393 Depth=4
	v_clz_i32_u32_e32 v0, v2
	s_delay_alu instid0(VALU_DEP_1) | instskip(SKIP_1) | instid1(VALU_DEP_2)
	v_min_u32_e32 v0, 32, v0
	v_mov_b32_e32 v19, v113
	v_subrev_nc_u32_e32 v2, 29, v0
	v_sub_nc_u32_e32 v0, 30, v0
	s_delay_alu instid0(VALU_DEP_2) | instskip(NEXT) | instid1(VALU_DEP_1)
	v_lshlrev_b64_e32 v[2:3], v2, v[18:19]
	v_and_b32_e32 v2, 3, v2
.LBB6_12636:                            ;   in Loop: Header=BB6_11393 Depth=4
	s_or_b32 exec_lo, exec_lo, s75
	v_bfe_i32 v3, v18, 0, 16
                                        ; implicit-def: $vgpr18
	s_delay_alu instid0(VALU_DEP_1) | instskip(NEXT) | instid1(VALU_DEP_1)
	v_and_b32_e32 v3, 0x80000000, v3
	v_lshl_add_u32 v0, v0, 23, v3
	s_delay_alu instid0(VALU_DEP_1) | instskip(NEXT) | instid1(VALU_DEP_1)
	v_lshl_or_b32 v0, v2, 21, v0
                                        ; implicit-def: $vgpr2
	v_add_nc_u32_e32 v0, 0x38000000, v0
.LBB6_12637:                            ;   in Loop: Header=BB6_11393 Depth=4
	s_and_not1_saveexec_b32 s75, s13
; %bb.12638:                            ;   in Loop: Header=BB6_11393 Depth=4
	v_cmp_lt_i16_e64 s13, -1, v18
	v_mov_b32_e32 v0, 0x7f800000
	v_cmp_eq_u32_e32 vcc_lo, 0, v2
	s_delay_alu instid0(VALU_DEP_2) | instskip(NEXT) | instid1(VALU_DEP_1)
	v_cndmask_b32_e64 v0, 0xff800000, v0, s13
	v_cndmask_b32_e32 v0, 0x7f800001, v0, vcc_lo
; %bb.12639:                            ;   in Loop: Header=BB6_11393 Depth=4
	s_or_b32 exec_lo, exec_lo, s75
.LBB6_12640:                            ;   in Loop: Header=BB6_11393 Depth=4
	s_delay_alu instid0(SALU_CYCLE_1)
	s_or_b32 exec_lo, exec_lo, s15
.LBB6_12641:                            ;   in Loop: Header=BB6_11393 Depth=4
	s_delay_alu instid0(SALU_CYCLE_1) | instskip(NEXT) | instid1(VALU_DEP_1)
	s_or_b32 exec_lo, exec_lo, s14
	v_add_f32_e32 v0, v1, v0
	v_mov_b32_e32 v3, v113
                                        ; implicit-def: $vgpr18
	s_mov_b32 s13, exec_lo
	s_delay_alu instid0(VALU_DEP_2) | instskip(SKIP_1) | instid1(VALU_DEP_2)
	v_and_b32_e32 v2, 0x7f800000, v0
	v_and_b32_e32 v112, 0x7fffff, v0
	v_cmpx_ne_u64_e32 0x7f800000, v[2:3]
	s_xor_b32 s14, exec_lo, s13
	s_cbranch_execz .LBB6_12659
; %bb.12642:                            ;   in Loop: Header=BB6_11393 Depth=4
	v_dual_mov_b32 v3, v113 :: v_dual_lshrrev_b32 v1, 24, v0
	v_and_b32_e32 v2, 0x7fffffff, v0
                                        ; implicit-def: $vgpr18
	s_mov_b32 s13, exec_lo
	s_delay_alu instid0(VALU_DEP_2) | instskip(NEXT) | instid1(VALU_DEP_2)
	v_and_b32_e32 v5, 0x80, v1
	v_cmpx_gt_u64_e32 0x47600001, v[2:3]
	s_xor_b32 s15, exec_lo, s13
	s_cbranch_execz .LBB6_12656
; %bb.12643:                            ;   in Loop: Header=BB6_11393 Depth=4
	v_mov_b32_e32 v18, 0
	s_mov_b32 s75, exec_lo
	v_cmpx_ne_u32_e32 0, v0
	s_cbranch_execz .LBB6_12655
; %bb.12644:                            ;   in Loop: Header=BB6_11393 Depth=4
	v_bfe_u32 v7, v0, 23, 8
	v_or_b32_e32 v1, 0x800000, v112
	s_delay_alu instid0(VALU_DEP_2) | instskip(SKIP_2) | instid1(VALU_DEP_2)
	v_cmp_gt_u32_e64 s13, 0x72, v7
	v_sub_nc_u32_e32 v0, 0x71, v7
	v_cmp_eq_u32_e32 vcc_lo, 0, v7
	v_cndmask_b32_e64 v0, 0, v0, s13
	s_delay_alu instid0(VALU_DEP_1) | instskip(SKIP_1) | instid1(VALU_DEP_2)
	v_cndmask_b32_e64 v15, v0, 0x70, vcc_lo
	v_cndmask_b32_e32 v0, v1, v112, vcc_lo
	v_dual_mov_b32 v1, v113 :: v_dual_add_nc_u32 v2, 21, v15
	v_add_nc_u32_e32 v17, 20, v15
	s_delay_alu instid0(VALU_DEP_2) | instskip(NEXT) | instid1(VALU_DEP_2)
	v_lshlrev_b64_e64 v[2:3], v2, -1
	v_lshlrev_b64_e64 v[18:19], v17, 1
	s_delay_alu instid0(VALU_DEP_2) | instskip(SKIP_1) | instid1(VALU_DEP_4)
	v_bfi_b32 v2, v2, 0, v0
	v_lshrrev_b64 v[0:1], v15, v[0:1]
	v_bfi_b32 v3, v3, 0, 0
	s_delay_alu instid0(VALU_DEP_1) | instskip(NEXT) | instid1(VALU_DEP_3)
	v_cmp_eq_u64_e64 s13, v[2:3], v[18:19]
	v_mov_b64_e32 v[2:3], v[0:1]
	s_and_saveexec_b32 s76, s13
; %bb.12645:                            ;   in Loop: Header=BB6_11393 Depth=4
	v_bfe_u32 v2, v0, 21, 1
	v_mov_b32_e32 v3, v113
	s_delay_alu instid0(VALU_DEP_1) | instskip(NEXT) | instid1(VALU_DEP_1)
	v_add_nc_u64_e32 v[2:3], v[0:1], v[2:3]
	v_add_nc_u64_e32 v[2:3], -1, v[2:3]
; %bb.12646:                            ;   in Loop: Header=BB6_11393 Depth=4
	s_or_b32 exec_lo, exec_lo, s76
	v_add_nc_u32_e32 v1, 0xffffff81, v7
	s_delay_alu instid0(VALU_DEP_2) | instskip(SKIP_2) | instid1(VALU_DEP_3)
	v_and_b32_e32 v2, 0x1fffff, v2
	v_lshrrev_b32_e32 v3, 23, v0
	s_mov_b32 s13, exec_lo
	v_cndmask_b32_e64 v1, v1, 0xffffff82, vcc_lo
	s_delay_alu instid0(VALU_DEP_3) | instskip(NEXT) | instid1(VALU_DEP_2)
	v_add_nc_u32_e32 v112, v2, v0
                                        ; implicit-def: $vgpr2
	v_add3_u32 v7, v15, v1, v3
                                        ; implicit-def: $vgpr0_vgpr1
	s_delay_alu instid0(VALU_DEP_1) | instskip(NEXT) | instid1(VALU_DEP_1)
	v_add_nc_u32_e32 v3, 14, v7
	v_cmpx_ne_u32_e32 0, v3
	s_xor_b32 s13, exec_lo, s13
; %bb.12647:                            ;   in Loop: Header=BB6_11393 Depth=4
	v_cmp_lt_u64_e32 vcc_lo, 0xffffff, v[112:113]
	v_add_nc_u32_e32 v0, 15, v7
	s_delay_alu instid0(VALU_DEP_1) | instskip(SKIP_1) | instid1(VALU_DEP_1)
	v_cndmask_b32_e32 v2, v3, v0, vcc_lo
	v_cndmask_b32_e64 v0, 0, 1, vcc_lo
	v_lshrrev_b64 v[0:1], v0, v[112:113]
; %bb.12648:                            ;   in Loop: Header=BB6_11393 Depth=4
	s_and_not1_saveexec_b32 s13, s13
; %bb.12649:                            ;   in Loop: Header=BB6_11393 Depth=4
	v_mov_b64_e32 v[0:1], v[112:113]
	v_bfe_u32 v2, v112, 23, 1
; %bb.12650:                            ;   in Loop: Header=BB6_11393 Depth=4
	s_or_b32 exec_lo, exec_lo, s13
	s_delay_alu instid0(VALU_DEP_2) | instskip(NEXT) | instid1(VALU_DEP_2)
	v_lshrrev_b64 v[0:1], 21, v[0:1]
	v_cmp_gt_i32_e32 vcc_lo, 32, v2
	v_cmp_ne_u32_e64 s13, 0, v2
                                        ; implicit-def: $vgpr18
	s_delay_alu instid0(VALU_DEP_3) | instskip(NEXT) | instid1(VALU_DEP_1)
	v_dual_cndmask_b32 v1, 0, v1 :: v_dual_cndmask_b32 v0, 3, v0
	v_cmp_ne_u64_e32 vcc_lo, 0, v[0:1]
	s_or_b32 s13, s13, vcc_lo
	s_delay_alu instid0(SALU_CYCLE_1) | instskip(NEXT) | instid1(SALU_CYCLE_1)
	s_and_saveexec_b32 s76, s13
	s_xor_b32 s13, exec_lo, s76
; %bb.12651:                            ;   in Loop: Header=BB6_11393 Depth=4
	v_min_i32_e32 v1, 31, v2
	s_delay_alu instid0(VALU_DEP_1) | instskip(NEXT) | instid1(VALU_DEP_1)
	v_lshl_or_b32 v1, v1, 2, v5
                                        ; implicit-def: $vgpr5
	v_and_or_b32 v18, v0, 3, v1
; %bb.12652:                            ;   in Loop: Header=BB6_11393 Depth=4
	s_and_not1_saveexec_b32 s13, s13
; %bb.12653:                            ;   in Loop: Header=BB6_11393 Depth=4
	v_mov_b32_e32 v18, v5
; %bb.12654:                            ;   in Loop: Header=BB6_11393 Depth=4
	s_or_b32 exec_lo, exec_lo, s13
.LBB6_12655:                            ;   in Loop: Header=BB6_11393 Depth=4
	s_delay_alu instid0(SALU_CYCLE_1)
	s_or_b32 exec_lo, exec_lo, s75
                                        ; implicit-def: $vgpr5
.LBB6_12656:                            ;   in Loop: Header=BB6_11393 Depth=4
	s_and_not1_saveexec_b32 s13, s15
; %bb.12657:                            ;   in Loop: Header=BB6_11393 Depth=4
	v_or_b32_e32 v18, 0x7b, v5
; %bb.12658:                            ;   in Loop: Header=BB6_11393 Depth=4
	s_or_b32 exec_lo, exec_lo, s13
                                        ; implicit-def: $vgpr0
.LBB6_12659:                            ;   in Loop: Header=BB6_11393 Depth=4
	s_and_not1_saveexec_b32 s13, s14
	s_cbranch_execz .LBB6_12665
; %bb.12660:                            ;   in Loop: Header=BB6_11393 Depth=4
	s_mov_b32 s14, exec_lo
                                        ; implicit-def: $vgpr18
	v_cmpx_ne_u64_e32 0, v[112:113]
	s_xor_b32 s14, exec_lo, s14
; %bb.12661:                            ;   in Loop: Header=BB6_11393 Depth=4
	v_lshrrev_b32_e32 v0, 24, v0
	s_delay_alu instid0(VALU_DEP_1)
	v_or_b32_e32 v18, 0x7f, v0
                                        ; implicit-def: $vgpr0
; %bb.12662:                            ;   in Loop: Header=BB6_11393 Depth=4
	s_and_not1_saveexec_b32 s14, s14
; %bb.12663:                            ;   in Loop: Header=BB6_11393 Depth=4
	v_cmp_lt_i32_e32 vcc_lo, -1, v0
	v_cndmask_b32_e64 v18, -4, 0x7c, vcc_lo
; %bb.12664:                            ;   in Loop: Header=BB6_11393 Depth=4
	s_or_b32 exec_lo, exec_lo, s14
.LBB6_12665:                            ;   in Loop: Header=BB6_11393 Depth=4
	s_delay_alu instid0(SALU_CYCLE_1) | instskip(SKIP_3) | instid1(VALU_DEP_2)
	s_or_b32 exec_lo, exec_lo, s13
	v_and_b32_e32 v3, 0xff, v84
	v_dual_mov_b32 v0, 0 :: v_dual_mov_b32 v1, 0
	s_mov_b32 s14, exec_lo
	v_cmpx_ne_u16_e32 0, v3
	s_cbranch_execz .LBB6_12675
; %bb.12666:                            ;   in Loop: Header=BB6_11393 Depth=4
	v_bfrev_b32_e32 v1, 1
	s_mov_b32 s15, exec_lo
	v_cmpx_ne_u16_e32 0x80, v3
	s_cbranch_execz .LBB6_12674
; %bb.12667:                            ;   in Loop: Header=BB6_11393 Depth=4
	v_and_b32_e32 v1, 0x7c, v84
	v_and_b32_e32 v2, 3, v84
	s_delay_alu instid0(VALU_DEP_2) | instskip(SKIP_1) | instid1(SALU_CYCLE_1)
	v_cmp_ne_u32_e32 vcc_lo, 0x7c, v1
                                        ; implicit-def: $vgpr1
	s_and_saveexec_b32 s13, vcc_lo
	s_xor_b32 s13, exec_lo, s13
	s_cbranch_execz .LBB6_12671
; %bb.12668:                            ;   in Loop: Header=BB6_11393 Depth=4
	v_bfe_u32 v1, v3, 2, 5
	s_mov_b32 s75, exec_lo
	s_delay_alu instid0(VALU_DEP_1)
	v_cmpx_eq_u32_e32 0, v1
	s_cbranch_execz .LBB6_12670
; %bb.12669:                            ;   in Loop: Header=BB6_11393 Depth=4
	v_clz_i32_u32_e32 v1, v2
	s_delay_alu instid0(VALU_DEP_1) | instskip(SKIP_1) | instid1(VALU_DEP_2)
	v_min_u32_e32 v1, 32, v1
	v_mov_b32_e32 v85, v113
	v_subrev_nc_u32_e32 v2, 29, v1
	v_sub_nc_u32_e32 v1, 30, v1
	s_delay_alu instid0(VALU_DEP_2) | instskip(NEXT) | instid1(VALU_DEP_1)
	v_lshlrev_b64_e32 v[2:3], v2, v[84:85]
	v_and_b32_e32 v2, 3, v2
.LBB6_12670:                            ;   in Loop: Header=BB6_11393 Depth=4
	s_or_b32 exec_lo, exec_lo, s75
	v_lshlrev_b32_e32 v3, 24, v84
                                        ; implicit-def: $vgpr84
	s_delay_alu instid0(VALU_DEP_1) | instskip(NEXT) | instid1(VALU_DEP_1)
	v_and_b32_e32 v3, 0x80000000, v3
	v_lshl_add_u32 v1, v1, 23, v3
	s_delay_alu instid0(VALU_DEP_1) | instskip(NEXT) | instid1(VALU_DEP_1)
	v_lshl_or_b32 v1, v2, 21, v1
                                        ; implicit-def: $vgpr2
	v_add_nc_u32_e32 v1, 0x38000000, v1
.LBB6_12671:                            ;   in Loop: Header=BB6_11393 Depth=4
	s_and_not1_saveexec_b32 s75, s13
; %bb.12672:                            ;   in Loop: Header=BB6_11393 Depth=4
	v_bfe_i32 v1, v84, 0, 8
	v_cmp_eq_u32_e32 vcc_lo, 0, v2
	s_delay_alu instid0(VALU_DEP_2) | instskip(SKIP_1) | instid1(VALU_DEP_1)
	v_cmp_lt_i16_e64 s13, -1, v1
	v_mov_b32_e32 v1, 0x7f800000
	v_cndmask_b32_e64 v1, 0xff800000, v1, s13
	s_delay_alu instid0(VALU_DEP_1)
	v_cndmask_b32_e32 v1, 0x7f800001, v1, vcc_lo
; %bb.12673:                            ;   in Loop: Header=BB6_11393 Depth=4
	s_or_b32 exec_lo, exec_lo, s75
.LBB6_12674:                            ;   in Loop: Header=BB6_11393 Depth=4
	s_delay_alu instid0(SALU_CYCLE_1)
	s_or_b32 exec_lo, exec_lo, s15
.LBB6_12675:                            ;   in Loop: Header=BB6_11393 Depth=4
	s_delay_alu instid0(SALU_CYCLE_1) | instskip(NEXT) | instid1(SALU_CYCLE_1)
	s_or_b32 exec_lo, exec_lo, s14
	s_mov_b32 s14, exec_lo
	s_wait_loadcnt_dscnt 0x1b1b
	v_cmpx_ne_u16_e32 0, v14
	s_cbranch_execz .LBB6_12685
; %bb.12676:                            ;   in Loop: Header=BB6_11393 Depth=4
	v_bfrev_b32_e32 v0, 1
	s_mov_b32 s15, exec_lo
	v_cmpx_ne_u16_e32 0xff80, v14
	s_cbranch_execz .LBB6_12684
; %bb.12677:                            ;   in Loop: Header=BB6_11393 Depth=4
	v_and_b32_e32 v0, 0x7c, v14
	v_and_b32_e32 v2, 3, v14
	s_delay_alu instid0(VALU_DEP_2) | instskip(SKIP_1) | instid1(SALU_CYCLE_1)
	v_cmp_ne_u32_e32 vcc_lo, 0x7c, v0
                                        ; implicit-def: $vgpr0
	s_and_saveexec_b32 s13, vcc_lo
	s_xor_b32 s13, exec_lo, s13
	s_cbranch_execz .LBB6_12681
; %bb.12678:                            ;   in Loop: Header=BB6_11393 Depth=4
	v_and_b32_e32 v0, 0xff, v14
	s_mov_b32 s75, exec_lo
	s_delay_alu instid0(VALU_DEP_1) | instskip(NEXT) | instid1(VALU_DEP_1)
	v_bfe_u32 v0, v0, 2, 5
	v_cmpx_eq_u32_e32 0, v0
	s_cbranch_execz .LBB6_12680
; %bb.12679:                            ;   in Loop: Header=BB6_11393 Depth=4
	v_clz_i32_u32_e32 v0, v2
	s_delay_alu instid0(VALU_DEP_1) | instskip(SKIP_1) | instid1(VALU_DEP_2)
	v_min_u32_e32 v0, 32, v0
	v_mov_b32_e32 v15, v113
	v_subrev_nc_u32_e32 v2, 29, v0
	v_sub_nc_u32_e32 v0, 30, v0
	s_delay_alu instid0(VALU_DEP_2) | instskip(NEXT) | instid1(VALU_DEP_1)
	v_lshlrev_b64_e32 v[2:3], v2, v[14:15]
	v_and_b32_e32 v2, 3, v2
.LBB6_12680:                            ;   in Loop: Header=BB6_11393 Depth=4
	s_or_b32 exec_lo, exec_lo, s75
	v_bfe_i32 v3, v14, 0, 16
                                        ; implicit-def: $vgpr14
	s_delay_alu instid0(VALU_DEP_1) | instskip(NEXT) | instid1(VALU_DEP_1)
	v_and_b32_e32 v3, 0x80000000, v3
	v_lshl_add_u32 v0, v0, 23, v3
	s_delay_alu instid0(VALU_DEP_1) | instskip(NEXT) | instid1(VALU_DEP_1)
	v_lshl_or_b32 v0, v2, 21, v0
                                        ; implicit-def: $vgpr2
	v_add_nc_u32_e32 v0, 0x38000000, v0
.LBB6_12681:                            ;   in Loop: Header=BB6_11393 Depth=4
	s_and_not1_saveexec_b32 s75, s13
; %bb.12682:                            ;   in Loop: Header=BB6_11393 Depth=4
	v_cmp_lt_i16_e64 s13, -1, v14
	v_mov_b32_e32 v0, 0x7f800000
	v_cmp_eq_u32_e32 vcc_lo, 0, v2
	s_delay_alu instid0(VALU_DEP_2) | instskip(NEXT) | instid1(VALU_DEP_1)
	v_cndmask_b32_e64 v0, 0xff800000, v0, s13
	v_cndmask_b32_e32 v0, 0x7f800001, v0, vcc_lo
; %bb.12683:                            ;   in Loop: Header=BB6_11393 Depth=4
	s_or_b32 exec_lo, exec_lo, s75
.LBB6_12684:                            ;   in Loop: Header=BB6_11393 Depth=4
	s_delay_alu instid0(SALU_CYCLE_1)
	s_or_b32 exec_lo, exec_lo, s15
.LBB6_12685:                            ;   in Loop: Header=BB6_11393 Depth=4
	s_delay_alu instid0(SALU_CYCLE_1) | instskip(NEXT) | instid1(VALU_DEP_1)
	s_or_b32 exec_lo, exec_lo, s14
	v_add_f32_e32 v0, v1, v0
	v_mov_b32_e32 v3, v113
                                        ; implicit-def: $vgpr14
	s_mov_b32 s13, exec_lo
	s_delay_alu instid0(VALU_DEP_2) | instskip(SKIP_1) | instid1(VALU_DEP_2)
	v_and_b32_e32 v2, 0x7f800000, v0
	v_and_b32_e32 v112, 0x7fffff, v0
	v_cmpx_ne_u64_e32 0x7f800000, v[2:3]
	s_xor_b32 s14, exec_lo, s13
	s_cbranch_execz .LBB6_12703
; %bb.12686:                            ;   in Loop: Header=BB6_11393 Depth=4
	v_dual_mov_b32 v3, v113 :: v_dual_lshrrev_b32 v1, 24, v0
	v_and_b32_e32 v2, 0x7fffffff, v0
                                        ; implicit-def: $vgpr14
	s_mov_b32 s13, exec_lo
	s_delay_alu instid0(VALU_DEP_2) | instskip(NEXT) | instid1(VALU_DEP_2)
	v_and_b32_e32 v5, 0x80, v1
	v_cmpx_gt_u64_e32 0x47600001, v[2:3]
	s_xor_b32 s15, exec_lo, s13
	s_cbranch_execz .LBB6_12700
; %bb.12687:                            ;   in Loop: Header=BB6_11393 Depth=4
	v_mov_b32_e32 v14, 0
	s_mov_b32 s75, exec_lo
	v_cmpx_ne_u32_e32 0, v0
	s_cbranch_execz .LBB6_12699
; %bb.12688:                            ;   in Loop: Header=BB6_11393 Depth=4
	v_bfe_u32 v7, v0, 23, 8
	v_or_b32_e32 v1, 0x800000, v112
	s_delay_alu instid0(VALU_DEP_2) | instskip(SKIP_2) | instid1(VALU_DEP_2)
	v_cmp_gt_u32_e64 s13, 0x72, v7
	v_sub_nc_u32_e32 v0, 0x71, v7
	v_cmp_eq_u32_e32 vcc_lo, 0, v7
	v_cndmask_b32_e64 v0, 0, v0, s13
	s_delay_alu instid0(VALU_DEP_1) | instskip(SKIP_1) | instid1(VALU_DEP_2)
	v_cndmask_b32_e64 v14, v0, 0x70, vcc_lo
	v_cndmask_b32_e32 v0, v1, v112, vcc_lo
	v_dual_mov_b32 v1, v113 :: v_dual_add_nc_u32 v2, 21, v14
	v_add_nc_u32_e32 v15, 20, v14
	s_delay_alu instid0(VALU_DEP_2) | instskip(NEXT) | instid1(VALU_DEP_2)
	v_lshlrev_b64_e64 v[2:3], v2, -1
	v_lshlrev_b64_e64 v[22:23], v15, 1
	s_delay_alu instid0(VALU_DEP_2) | instskip(SKIP_1) | instid1(VALU_DEP_4)
	v_bfi_b32 v2, v2, 0, v0
	v_lshrrev_b64 v[0:1], v14, v[0:1]
	v_bfi_b32 v3, v3, 0, 0
	s_delay_alu instid0(VALU_DEP_1) | instskip(NEXT) | instid1(VALU_DEP_3)
	v_cmp_eq_u64_e64 s13, v[2:3], v[22:23]
	v_mov_b64_e32 v[2:3], v[0:1]
	s_and_saveexec_b32 s76, s13
; %bb.12689:                            ;   in Loop: Header=BB6_11393 Depth=4
	v_bfe_u32 v2, v0, 21, 1
	v_mov_b32_e32 v3, v113
	s_delay_alu instid0(VALU_DEP_1) | instskip(NEXT) | instid1(VALU_DEP_1)
	v_add_nc_u64_e32 v[2:3], v[0:1], v[2:3]
	v_add_nc_u64_e32 v[2:3], -1, v[2:3]
; %bb.12690:                            ;   in Loop: Header=BB6_11393 Depth=4
	s_or_b32 exec_lo, exec_lo, s76
	v_add_nc_u32_e32 v1, 0xffffff81, v7
	s_delay_alu instid0(VALU_DEP_2) | instskip(SKIP_2) | instid1(VALU_DEP_3)
	v_and_b32_e32 v2, 0x1fffff, v2
	v_lshrrev_b32_e32 v3, 23, v0
	s_mov_b32 s13, exec_lo
	v_cndmask_b32_e64 v1, v1, 0xffffff82, vcc_lo
	s_delay_alu instid0(VALU_DEP_3) | instskip(NEXT) | instid1(VALU_DEP_2)
	v_add_nc_u32_e32 v112, v2, v0
                                        ; implicit-def: $vgpr2
	v_add3_u32 v7, v14, v1, v3
                                        ; implicit-def: $vgpr0_vgpr1
	s_delay_alu instid0(VALU_DEP_1) | instskip(NEXT) | instid1(VALU_DEP_1)
	v_add_nc_u32_e32 v3, 14, v7
	v_cmpx_ne_u32_e32 0, v3
	s_xor_b32 s13, exec_lo, s13
; %bb.12691:                            ;   in Loop: Header=BB6_11393 Depth=4
	v_cmp_lt_u64_e32 vcc_lo, 0xffffff, v[112:113]
	v_add_nc_u32_e32 v0, 15, v7
	s_delay_alu instid0(VALU_DEP_1) | instskip(SKIP_1) | instid1(VALU_DEP_1)
	v_cndmask_b32_e32 v2, v3, v0, vcc_lo
	v_cndmask_b32_e64 v0, 0, 1, vcc_lo
	v_lshrrev_b64 v[0:1], v0, v[112:113]
; %bb.12692:                            ;   in Loop: Header=BB6_11393 Depth=4
	s_and_not1_saveexec_b32 s13, s13
; %bb.12693:                            ;   in Loop: Header=BB6_11393 Depth=4
	v_mov_b64_e32 v[0:1], v[112:113]
	v_bfe_u32 v2, v112, 23, 1
; %bb.12694:                            ;   in Loop: Header=BB6_11393 Depth=4
	s_or_b32 exec_lo, exec_lo, s13
	s_delay_alu instid0(VALU_DEP_2) | instskip(NEXT) | instid1(VALU_DEP_2)
	v_lshrrev_b64 v[0:1], 21, v[0:1]
	v_cmp_gt_i32_e32 vcc_lo, 32, v2
	v_cmp_ne_u32_e64 s13, 0, v2
                                        ; implicit-def: $vgpr14
	s_delay_alu instid0(VALU_DEP_3) | instskip(NEXT) | instid1(VALU_DEP_1)
	v_dual_cndmask_b32 v1, 0, v1 :: v_dual_cndmask_b32 v0, 3, v0
	v_cmp_ne_u64_e32 vcc_lo, 0, v[0:1]
	s_or_b32 s13, s13, vcc_lo
	s_delay_alu instid0(SALU_CYCLE_1) | instskip(NEXT) | instid1(SALU_CYCLE_1)
	s_and_saveexec_b32 s76, s13
	s_xor_b32 s13, exec_lo, s76
; %bb.12695:                            ;   in Loop: Header=BB6_11393 Depth=4
	v_min_i32_e32 v1, 31, v2
	s_delay_alu instid0(VALU_DEP_1) | instskip(NEXT) | instid1(VALU_DEP_1)
	v_lshl_or_b32 v1, v1, 2, v5
                                        ; implicit-def: $vgpr5
	v_and_or_b32 v14, v0, 3, v1
; %bb.12696:                            ;   in Loop: Header=BB6_11393 Depth=4
	s_and_not1_saveexec_b32 s13, s13
; %bb.12697:                            ;   in Loop: Header=BB6_11393 Depth=4
	v_mov_b32_e32 v14, v5
; %bb.12698:                            ;   in Loop: Header=BB6_11393 Depth=4
	s_or_b32 exec_lo, exec_lo, s13
.LBB6_12699:                            ;   in Loop: Header=BB6_11393 Depth=4
	s_delay_alu instid0(SALU_CYCLE_1)
	s_or_b32 exec_lo, exec_lo, s75
                                        ; implicit-def: $vgpr5
.LBB6_12700:                            ;   in Loop: Header=BB6_11393 Depth=4
	s_and_not1_saveexec_b32 s13, s15
; %bb.12701:                            ;   in Loop: Header=BB6_11393 Depth=4
	v_or_b32_e32 v14, 0x7b, v5
; %bb.12702:                            ;   in Loop: Header=BB6_11393 Depth=4
	s_or_b32 exec_lo, exec_lo, s13
                                        ; implicit-def: $vgpr0
.LBB6_12703:                            ;   in Loop: Header=BB6_11393 Depth=4
	s_and_not1_saveexec_b32 s13, s14
	s_cbranch_execz .LBB6_12709
; %bb.12704:                            ;   in Loop: Header=BB6_11393 Depth=4
	s_mov_b32 s14, exec_lo
                                        ; implicit-def: $vgpr14
	v_cmpx_ne_u64_e32 0, v[112:113]
	s_xor_b32 s14, exec_lo, s14
; %bb.12705:                            ;   in Loop: Header=BB6_11393 Depth=4
	v_lshrrev_b32_e32 v0, 24, v0
	s_delay_alu instid0(VALU_DEP_1)
	v_or_b32_e32 v14, 0x7f, v0
                                        ; implicit-def: $vgpr0
; %bb.12706:                            ;   in Loop: Header=BB6_11393 Depth=4
	s_and_not1_saveexec_b32 s14, s14
; %bb.12707:                            ;   in Loop: Header=BB6_11393 Depth=4
	v_cmp_lt_i32_e32 vcc_lo, -1, v0
	v_cndmask_b32_e64 v14, -4, 0x7c, vcc_lo
; %bb.12708:                            ;   in Loop: Header=BB6_11393 Depth=4
	s_or_b32 exec_lo, exec_lo, s14
.LBB6_12709:                            ;   in Loop: Header=BB6_11393 Depth=4
	s_delay_alu instid0(SALU_CYCLE_1) | instskip(SKIP_3) | instid1(VALU_DEP_2)
	s_or_b32 exec_lo, exec_lo, s13
	v_and_b32_e32 v3, 0xff, v124
	v_dual_mov_b32 v0, 0 :: v_dual_mov_b32 v1, 0
	s_mov_b32 s14, exec_lo
	v_cmpx_ne_u16_e32 0, v3
	s_cbranch_execz .LBB6_12719
; %bb.12710:                            ;   in Loop: Header=BB6_11393 Depth=4
	v_bfrev_b32_e32 v1, 1
	s_mov_b32 s15, exec_lo
	v_cmpx_ne_u16_e32 0x80, v3
	s_cbranch_execz .LBB6_12718
; %bb.12711:                            ;   in Loop: Header=BB6_11393 Depth=4
	v_and_b32_e32 v1, 0x7c, v124
	v_and_b32_e32 v2, 3, v124
	s_delay_alu instid0(VALU_DEP_2) | instskip(SKIP_1) | instid1(SALU_CYCLE_1)
	v_cmp_ne_u32_e32 vcc_lo, 0x7c, v1
                                        ; implicit-def: $vgpr1
	s_and_saveexec_b32 s13, vcc_lo
	s_xor_b32 s13, exec_lo, s13
	s_cbranch_execz .LBB6_12715
; %bb.12712:                            ;   in Loop: Header=BB6_11393 Depth=4
	v_bfe_u32 v1, v3, 2, 5
	s_mov_b32 s75, exec_lo
	s_delay_alu instid0(VALU_DEP_1)
	v_cmpx_eq_u32_e32 0, v1
	s_cbranch_execz .LBB6_12714
; %bb.12713:                            ;   in Loop: Header=BB6_11393 Depth=4
	v_clz_i32_u32_e32 v1, v2
	s_delay_alu instid0(VALU_DEP_1) | instskip(SKIP_1) | instid1(VALU_DEP_2)
	v_min_u32_e32 v1, 32, v1
	v_mov_b32_e32 v125, v113
	v_subrev_nc_u32_e32 v2, 29, v1
	v_sub_nc_u32_e32 v1, 30, v1
	s_delay_alu instid0(VALU_DEP_2) | instskip(NEXT) | instid1(VALU_DEP_1)
	v_lshlrev_b64_e32 v[2:3], v2, v[124:125]
	v_and_b32_e32 v2, 3, v2
.LBB6_12714:                            ;   in Loop: Header=BB6_11393 Depth=4
	s_or_b32 exec_lo, exec_lo, s75
	v_lshlrev_b32_e32 v3, 24, v124
                                        ; implicit-def: $vgpr124
	s_delay_alu instid0(VALU_DEP_1) | instskip(NEXT) | instid1(VALU_DEP_1)
	v_and_b32_e32 v3, 0x80000000, v3
	v_lshl_add_u32 v1, v1, 23, v3
	s_delay_alu instid0(VALU_DEP_1) | instskip(NEXT) | instid1(VALU_DEP_1)
	v_lshl_or_b32 v1, v2, 21, v1
                                        ; implicit-def: $vgpr2
	v_add_nc_u32_e32 v1, 0x38000000, v1
.LBB6_12715:                            ;   in Loop: Header=BB6_11393 Depth=4
	s_and_not1_saveexec_b32 s75, s13
; %bb.12716:                            ;   in Loop: Header=BB6_11393 Depth=4
	v_bfe_i32 v1, v124, 0, 8
	v_cmp_eq_u32_e32 vcc_lo, 0, v2
	s_delay_alu instid0(VALU_DEP_2) | instskip(SKIP_1) | instid1(VALU_DEP_1)
	v_cmp_lt_i16_e64 s13, -1, v1
	v_mov_b32_e32 v1, 0x7f800000
	v_cndmask_b32_e64 v1, 0xff800000, v1, s13
	s_delay_alu instid0(VALU_DEP_1)
	v_cndmask_b32_e32 v1, 0x7f800001, v1, vcc_lo
; %bb.12717:                            ;   in Loop: Header=BB6_11393 Depth=4
	s_or_b32 exec_lo, exec_lo, s75
.LBB6_12718:                            ;   in Loop: Header=BB6_11393 Depth=4
	s_delay_alu instid0(SALU_CYCLE_1)
	s_or_b32 exec_lo, exec_lo, s15
.LBB6_12719:                            ;   in Loop: Header=BB6_11393 Depth=4
	s_delay_alu instid0(SALU_CYCLE_1) | instskip(NEXT) | instid1(SALU_CYCLE_1)
	s_or_b32 exec_lo, exec_lo, s14
	s_mov_b32 s14, exec_lo
	s_wait_loadcnt_dscnt 0x1a1a
	v_cmpx_ne_u16_e32 0, v44
	s_cbranch_execz .LBB6_12729
; %bb.12720:                            ;   in Loop: Header=BB6_11393 Depth=4
	v_bfrev_b32_e32 v0, 1
	s_mov_b32 s15, exec_lo
	v_cmpx_ne_u16_e32 0xff80, v44
	s_cbranch_execz .LBB6_12728
; %bb.12721:                            ;   in Loop: Header=BB6_11393 Depth=4
	v_and_b32_e32 v0, 0x7c, v44
	v_and_b32_e32 v2, 3, v44
	s_delay_alu instid0(VALU_DEP_2) | instskip(SKIP_1) | instid1(SALU_CYCLE_1)
	v_cmp_ne_u32_e32 vcc_lo, 0x7c, v0
                                        ; implicit-def: $vgpr0
	s_and_saveexec_b32 s13, vcc_lo
	s_xor_b32 s13, exec_lo, s13
	s_cbranch_execz .LBB6_12725
; %bb.12722:                            ;   in Loop: Header=BB6_11393 Depth=4
	v_and_b32_e32 v0, 0xff, v44
	s_mov_b32 s75, exec_lo
	s_delay_alu instid0(VALU_DEP_1) | instskip(NEXT) | instid1(VALU_DEP_1)
	v_bfe_u32 v0, v0, 2, 5
	v_cmpx_eq_u32_e32 0, v0
	s_cbranch_execz .LBB6_12724
; %bb.12723:                            ;   in Loop: Header=BB6_11393 Depth=4
	v_clz_i32_u32_e32 v0, v2
	s_delay_alu instid0(VALU_DEP_1) | instskip(SKIP_1) | instid1(VALU_DEP_2)
	v_min_u32_e32 v0, 32, v0
	v_mov_b32_e32 v45, v113
	v_subrev_nc_u32_e32 v2, 29, v0
	v_sub_nc_u32_e32 v0, 30, v0
	s_delay_alu instid0(VALU_DEP_2) | instskip(NEXT) | instid1(VALU_DEP_1)
	v_lshlrev_b64_e32 v[2:3], v2, v[44:45]
	v_and_b32_e32 v2, 3, v2
.LBB6_12724:                            ;   in Loop: Header=BB6_11393 Depth=4
	s_or_b32 exec_lo, exec_lo, s75
	v_bfe_i32 v3, v44, 0, 16
                                        ; implicit-def: $vgpr44
	s_delay_alu instid0(VALU_DEP_1) | instskip(NEXT) | instid1(VALU_DEP_1)
	v_and_b32_e32 v3, 0x80000000, v3
	v_lshl_add_u32 v0, v0, 23, v3
	s_delay_alu instid0(VALU_DEP_1) | instskip(NEXT) | instid1(VALU_DEP_1)
	v_lshl_or_b32 v0, v2, 21, v0
                                        ; implicit-def: $vgpr2
	v_add_nc_u32_e32 v0, 0x38000000, v0
.LBB6_12725:                            ;   in Loop: Header=BB6_11393 Depth=4
	s_and_not1_saveexec_b32 s75, s13
; %bb.12726:                            ;   in Loop: Header=BB6_11393 Depth=4
	v_cmp_lt_i16_e64 s13, -1, v44
	v_mov_b32_e32 v0, 0x7f800000
	v_cmp_eq_u32_e32 vcc_lo, 0, v2
	s_delay_alu instid0(VALU_DEP_2) | instskip(NEXT) | instid1(VALU_DEP_1)
	v_cndmask_b32_e64 v0, 0xff800000, v0, s13
	v_cndmask_b32_e32 v0, 0x7f800001, v0, vcc_lo
; %bb.12727:                            ;   in Loop: Header=BB6_11393 Depth=4
	s_or_b32 exec_lo, exec_lo, s75
.LBB6_12728:                            ;   in Loop: Header=BB6_11393 Depth=4
	s_delay_alu instid0(SALU_CYCLE_1)
	s_or_b32 exec_lo, exec_lo, s15
.LBB6_12729:                            ;   in Loop: Header=BB6_11393 Depth=4
	s_delay_alu instid0(SALU_CYCLE_1) | instskip(NEXT) | instid1(VALU_DEP_1)
	s_or_b32 exec_lo, exec_lo, s14
	v_add_f32_e32 v0, v1, v0
	v_mov_b32_e32 v3, v113
                                        ; implicit-def: $vgpr15
	s_mov_b32 s13, exec_lo
	s_delay_alu instid0(VALU_DEP_2) | instskip(SKIP_1) | instid1(VALU_DEP_2)
	v_and_b32_e32 v2, 0x7f800000, v0
	v_and_b32_e32 v112, 0x7fffff, v0
	v_cmpx_ne_u64_e32 0x7f800000, v[2:3]
	s_xor_b32 s14, exec_lo, s13
	s_cbranch_execz .LBB6_12747
; %bb.12730:                            ;   in Loop: Header=BB6_11393 Depth=4
	v_dual_mov_b32 v3, v113 :: v_dual_lshrrev_b32 v1, 24, v0
	v_and_b32_e32 v2, 0x7fffffff, v0
                                        ; implicit-def: $vgpr15
	s_mov_b32 s13, exec_lo
	s_delay_alu instid0(VALU_DEP_2) | instskip(NEXT) | instid1(VALU_DEP_2)
	v_and_b32_e32 v5, 0x80, v1
	v_cmpx_gt_u64_e32 0x47600001, v[2:3]
	s_xor_b32 s15, exec_lo, s13
	s_cbranch_execz .LBB6_12744
; %bb.12731:                            ;   in Loop: Header=BB6_11393 Depth=4
	v_mov_b32_e32 v15, 0
	s_mov_b32 s75, exec_lo
	v_cmpx_ne_u32_e32 0, v0
	s_cbranch_execz .LBB6_12743
; %bb.12732:                            ;   in Loop: Header=BB6_11393 Depth=4
	v_bfe_u32 v7, v0, 23, 8
	v_or_b32_e32 v1, 0x800000, v112
	s_delay_alu instid0(VALU_DEP_2) | instskip(SKIP_2) | instid1(VALU_DEP_2)
	v_cmp_gt_u32_e64 s13, 0x72, v7
	v_sub_nc_u32_e32 v0, 0x71, v7
	v_cmp_eq_u32_e32 vcc_lo, 0, v7
	v_cndmask_b32_e64 v0, 0, v0, s13
	s_delay_alu instid0(VALU_DEP_1) | instskip(SKIP_1) | instid1(VALU_DEP_2)
	v_cndmask_b32_e64 v15, v0, 0x70, vcc_lo
	v_cndmask_b32_e32 v0, v1, v112, vcc_lo
	v_dual_mov_b32 v1, v113 :: v_dual_add_nc_u32 v2, 21, v15
	v_add_nc_u32_e32 v17, 20, v15
	s_delay_alu instid0(VALU_DEP_2) | instskip(NEXT) | instid1(VALU_DEP_2)
	v_lshlrev_b64_e64 v[2:3], v2, -1
	v_lshlrev_b64_e64 v[22:23], v17, 1
	s_delay_alu instid0(VALU_DEP_2) | instskip(SKIP_1) | instid1(VALU_DEP_4)
	v_bfi_b32 v2, v2, 0, v0
	v_lshrrev_b64 v[0:1], v15, v[0:1]
	v_bfi_b32 v3, v3, 0, 0
	s_delay_alu instid0(VALU_DEP_1) | instskip(NEXT) | instid1(VALU_DEP_3)
	v_cmp_eq_u64_e64 s13, v[2:3], v[22:23]
	v_mov_b64_e32 v[2:3], v[0:1]
	s_and_saveexec_b32 s76, s13
; %bb.12733:                            ;   in Loop: Header=BB6_11393 Depth=4
	v_bfe_u32 v2, v0, 21, 1
	v_mov_b32_e32 v3, v113
	s_delay_alu instid0(VALU_DEP_1) | instskip(NEXT) | instid1(VALU_DEP_1)
	v_add_nc_u64_e32 v[2:3], v[0:1], v[2:3]
	v_add_nc_u64_e32 v[2:3], -1, v[2:3]
; %bb.12734:                            ;   in Loop: Header=BB6_11393 Depth=4
	s_or_b32 exec_lo, exec_lo, s76
	v_add_nc_u32_e32 v1, 0xffffff81, v7
	s_delay_alu instid0(VALU_DEP_2) | instskip(SKIP_2) | instid1(VALU_DEP_3)
	v_and_b32_e32 v2, 0x1fffff, v2
	v_lshrrev_b32_e32 v3, 23, v0
	s_mov_b32 s13, exec_lo
	v_cndmask_b32_e64 v1, v1, 0xffffff82, vcc_lo
	s_delay_alu instid0(VALU_DEP_3) | instskip(NEXT) | instid1(VALU_DEP_2)
	v_add_nc_u32_e32 v112, v2, v0
                                        ; implicit-def: $vgpr2
	v_add3_u32 v7, v15, v1, v3
                                        ; implicit-def: $vgpr0_vgpr1
	s_delay_alu instid0(VALU_DEP_1) | instskip(NEXT) | instid1(VALU_DEP_1)
	v_add_nc_u32_e32 v3, 14, v7
	v_cmpx_ne_u32_e32 0, v3
	s_xor_b32 s13, exec_lo, s13
; %bb.12735:                            ;   in Loop: Header=BB6_11393 Depth=4
	v_cmp_lt_u64_e32 vcc_lo, 0xffffff, v[112:113]
	v_add_nc_u32_e32 v0, 15, v7
	s_delay_alu instid0(VALU_DEP_1) | instskip(SKIP_1) | instid1(VALU_DEP_1)
	v_cndmask_b32_e32 v2, v3, v0, vcc_lo
	v_cndmask_b32_e64 v0, 0, 1, vcc_lo
	v_lshrrev_b64 v[0:1], v0, v[112:113]
; %bb.12736:                            ;   in Loop: Header=BB6_11393 Depth=4
	s_and_not1_saveexec_b32 s13, s13
; %bb.12737:                            ;   in Loop: Header=BB6_11393 Depth=4
	v_mov_b64_e32 v[0:1], v[112:113]
	v_bfe_u32 v2, v112, 23, 1
; %bb.12738:                            ;   in Loop: Header=BB6_11393 Depth=4
	s_or_b32 exec_lo, exec_lo, s13
	s_delay_alu instid0(VALU_DEP_2) | instskip(NEXT) | instid1(VALU_DEP_2)
	v_lshrrev_b64 v[0:1], 21, v[0:1]
	v_cmp_gt_i32_e32 vcc_lo, 32, v2
	v_cmp_ne_u32_e64 s13, 0, v2
                                        ; implicit-def: $vgpr15
	s_delay_alu instid0(VALU_DEP_3) | instskip(NEXT) | instid1(VALU_DEP_1)
	v_dual_cndmask_b32 v1, 0, v1 :: v_dual_cndmask_b32 v0, 3, v0
	v_cmp_ne_u64_e32 vcc_lo, 0, v[0:1]
	s_or_b32 s13, s13, vcc_lo
	s_delay_alu instid0(SALU_CYCLE_1) | instskip(NEXT) | instid1(SALU_CYCLE_1)
	s_and_saveexec_b32 s76, s13
	s_xor_b32 s13, exec_lo, s76
; %bb.12739:                            ;   in Loop: Header=BB6_11393 Depth=4
	v_min_i32_e32 v1, 31, v2
	s_delay_alu instid0(VALU_DEP_1) | instskip(NEXT) | instid1(VALU_DEP_1)
	v_lshl_or_b32 v1, v1, 2, v5
                                        ; implicit-def: $vgpr5
	v_and_or_b32 v15, v0, 3, v1
; %bb.12740:                            ;   in Loop: Header=BB6_11393 Depth=4
	s_and_not1_saveexec_b32 s13, s13
; %bb.12741:                            ;   in Loop: Header=BB6_11393 Depth=4
	v_mov_b32_e32 v15, v5
; %bb.12742:                            ;   in Loop: Header=BB6_11393 Depth=4
	s_or_b32 exec_lo, exec_lo, s13
.LBB6_12743:                            ;   in Loop: Header=BB6_11393 Depth=4
	s_delay_alu instid0(SALU_CYCLE_1)
	s_or_b32 exec_lo, exec_lo, s75
                                        ; implicit-def: $vgpr5
.LBB6_12744:                            ;   in Loop: Header=BB6_11393 Depth=4
	s_and_not1_saveexec_b32 s13, s15
; %bb.12745:                            ;   in Loop: Header=BB6_11393 Depth=4
	v_or_b32_e32 v15, 0x7b, v5
; %bb.12746:                            ;   in Loop: Header=BB6_11393 Depth=4
	s_or_b32 exec_lo, exec_lo, s13
                                        ; implicit-def: $vgpr0
.LBB6_12747:                            ;   in Loop: Header=BB6_11393 Depth=4
	s_and_not1_saveexec_b32 s13, s14
	s_cbranch_execz .LBB6_12753
; %bb.12748:                            ;   in Loop: Header=BB6_11393 Depth=4
	s_mov_b32 s14, exec_lo
                                        ; implicit-def: $vgpr15
	v_cmpx_ne_u64_e32 0, v[112:113]
	s_xor_b32 s14, exec_lo, s14
; %bb.12749:                            ;   in Loop: Header=BB6_11393 Depth=4
	v_lshrrev_b32_e32 v0, 24, v0
	s_delay_alu instid0(VALU_DEP_1)
	v_or_b32_e32 v15, 0x7f, v0
                                        ; implicit-def: $vgpr0
; %bb.12750:                            ;   in Loop: Header=BB6_11393 Depth=4
	s_and_not1_saveexec_b32 s14, s14
; %bb.12751:                            ;   in Loop: Header=BB6_11393 Depth=4
	v_cmp_lt_i32_e32 vcc_lo, -1, v0
	v_cndmask_b32_e64 v15, -4, 0x7c, vcc_lo
; %bb.12752:                            ;   in Loop: Header=BB6_11393 Depth=4
	s_or_b32 exec_lo, exec_lo, s14
.LBB6_12753:                            ;   in Loop: Header=BB6_11393 Depth=4
	s_delay_alu instid0(SALU_CYCLE_1) | instskip(SKIP_3) | instid1(VALU_DEP_2)
	s_or_b32 exec_lo, exec_lo, s13
	v_and_b32_e32 v3, 0xff, v114
	v_dual_mov_b32 v0, 0 :: v_dual_mov_b32 v1, 0
	s_mov_b32 s14, exec_lo
	v_cmpx_ne_u16_e32 0, v3
	s_cbranch_execz .LBB6_12763
; %bb.12754:                            ;   in Loop: Header=BB6_11393 Depth=4
	v_bfrev_b32_e32 v1, 1
	s_mov_b32 s15, exec_lo
	v_cmpx_ne_u16_e32 0x80, v3
	s_cbranch_execz .LBB6_12762
; %bb.12755:                            ;   in Loop: Header=BB6_11393 Depth=4
	v_and_b32_e32 v1, 0x7c, v114
	v_and_b32_e32 v2, 3, v114
	s_delay_alu instid0(VALU_DEP_2) | instskip(SKIP_1) | instid1(SALU_CYCLE_1)
	v_cmp_ne_u32_e32 vcc_lo, 0x7c, v1
                                        ; implicit-def: $vgpr1
	s_and_saveexec_b32 s13, vcc_lo
	s_xor_b32 s13, exec_lo, s13
	s_cbranch_execz .LBB6_12759
; %bb.12756:                            ;   in Loop: Header=BB6_11393 Depth=4
	v_bfe_u32 v1, v3, 2, 5
	s_mov_b32 s75, exec_lo
	s_delay_alu instid0(VALU_DEP_1)
	v_cmpx_eq_u32_e32 0, v1
	s_cbranch_execz .LBB6_12758
; %bb.12757:                            ;   in Loop: Header=BB6_11393 Depth=4
	v_clz_i32_u32_e32 v1, v2
	s_delay_alu instid0(VALU_DEP_1) | instskip(SKIP_1) | instid1(VALU_DEP_2)
	v_min_u32_e32 v1, 32, v1
	v_mov_b32_e32 v115, v113
	v_subrev_nc_u32_e32 v2, 29, v1
	v_sub_nc_u32_e32 v1, 30, v1
	s_delay_alu instid0(VALU_DEP_2) | instskip(NEXT) | instid1(VALU_DEP_1)
	v_lshlrev_b64_e32 v[2:3], v2, v[114:115]
	v_and_b32_e32 v2, 3, v2
.LBB6_12758:                            ;   in Loop: Header=BB6_11393 Depth=4
	s_or_b32 exec_lo, exec_lo, s75
	v_lshlrev_b32_e32 v3, 24, v114
                                        ; implicit-def: $vgpr114
	s_delay_alu instid0(VALU_DEP_1) | instskip(NEXT) | instid1(VALU_DEP_1)
	v_and_b32_e32 v3, 0x80000000, v3
	v_lshl_add_u32 v1, v1, 23, v3
	s_delay_alu instid0(VALU_DEP_1) | instskip(NEXT) | instid1(VALU_DEP_1)
	v_lshl_or_b32 v1, v2, 21, v1
                                        ; implicit-def: $vgpr2
	v_add_nc_u32_e32 v1, 0x38000000, v1
.LBB6_12759:                            ;   in Loop: Header=BB6_11393 Depth=4
	s_and_not1_saveexec_b32 s75, s13
; %bb.12760:                            ;   in Loop: Header=BB6_11393 Depth=4
	v_bfe_i32 v1, v114, 0, 8
	v_cmp_eq_u32_e32 vcc_lo, 0, v2
	s_delay_alu instid0(VALU_DEP_2) | instskip(SKIP_1) | instid1(VALU_DEP_1)
	v_cmp_lt_i16_e64 s13, -1, v1
	v_mov_b32_e32 v1, 0x7f800000
	v_cndmask_b32_e64 v1, 0xff800000, v1, s13
	s_delay_alu instid0(VALU_DEP_1)
	v_cndmask_b32_e32 v1, 0x7f800001, v1, vcc_lo
; %bb.12761:                            ;   in Loop: Header=BB6_11393 Depth=4
	s_or_b32 exec_lo, exec_lo, s75
.LBB6_12762:                            ;   in Loop: Header=BB6_11393 Depth=4
	s_delay_alu instid0(SALU_CYCLE_1)
	s_or_b32 exec_lo, exec_lo, s15
.LBB6_12763:                            ;   in Loop: Header=BB6_11393 Depth=4
	s_delay_alu instid0(SALU_CYCLE_1) | instskip(NEXT) | instid1(SALU_CYCLE_1)
	s_or_b32 exec_lo, exec_lo, s14
	s_mov_b32 s14, exec_lo
	s_wait_loadcnt_dscnt 0x1919
	v_cmpx_ne_u16_e32 0, v50
	s_cbranch_execz .LBB6_12773
; %bb.12764:                            ;   in Loop: Header=BB6_11393 Depth=4
	v_bfrev_b32_e32 v0, 1
	s_mov_b32 s15, exec_lo
	v_cmpx_ne_u16_e32 0xff80, v50
	s_cbranch_execz .LBB6_12772
; %bb.12765:                            ;   in Loop: Header=BB6_11393 Depth=4
	v_and_b32_e32 v0, 0x7c, v50
	v_and_b32_e32 v2, 3, v50
	s_delay_alu instid0(VALU_DEP_2) | instskip(SKIP_1) | instid1(SALU_CYCLE_1)
	v_cmp_ne_u32_e32 vcc_lo, 0x7c, v0
                                        ; implicit-def: $vgpr0
	s_and_saveexec_b32 s13, vcc_lo
	s_xor_b32 s13, exec_lo, s13
	s_cbranch_execz .LBB6_12769
; %bb.12766:                            ;   in Loop: Header=BB6_11393 Depth=4
	v_and_b32_e32 v0, 0xff, v50
	s_mov_b32 s75, exec_lo
	s_delay_alu instid0(VALU_DEP_1) | instskip(NEXT) | instid1(VALU_DEP_1)
	v_bfe_u32 v0, v0, 2, 5
	v_cmpx_eq_u32_e32 0, v0
	s_cbranch_execz .LBB6_12768
; %bb.12767:                            ;   in Loop: Header=BB6_11393 Depth=4
	v_clz_i32_u32_e32 v0, v2
	s_delay_alu instid0(VALU_DEP_1) | instskip(SKIP_1) | instid1(VALU_DEP_2)
	v_min_u32_e32 v0, 32, v0
	v_mov_b32_e32 v51, v113
	v_subrev_nc_u32_e32 v2, 29, v0
	v_sub_nc_u32_e32 v0, 30, v0
	s_delay_alu instid0(VALU_DEP_2) | instskip(NEXT) | instid1(VALU_DEP_1)
	v_lshlrev_b64_e32 v[2:3], v2, v[50:51]
	v_and_b32_e32 v2, 3, v2
.LBB6_12768:                            ;   in Loop: Header=BB6_11393 Depth=4
	s_or_b32 exec_lo, exec_lo, s75
	v_bfe_i32 v3, v50, 0, 16
                                        ; implicit-def: $vgpr50
	s_delay_alu instid0(VALU_DEP_1) | instskip(NEXT) | instid1(VALU_DEP_1)
	v_and_b32_e32 v3, 0x80000000, v3
	v_lshl_add_u32 v0, v0, 23, v3
	s_delay_alu instid0(VALU_DEP_1) | instskip(NEXT) | instid1(VALU_DEP_1)
	v_lshl_or_b32 v0, v2, 21, v0
                                        ; implicit-def: $vgpr2
	v_add_nc_u32_e32 v0, 0x38000000, v0
.LBB6_12769:                            ;   in Loop: Header=BB6_11393 Depth=4
	s_and_not1_saveexec_b32 s75, s13
; %bb.12770:                            ;   in Loop: Header=BB6_11393 Depth=4
	v_cmp_lt_i16_e64 s13, -1, v50
	v_mov_b32_e32 v0, 0x7f800000
	v_cmp_eq_u32_e32 vcc_lo, 0, v2
	s_delay_alu instid0(VALU_DEP_2) | instskip(NEXT) | instid1(VALU_DEP_1)
	v_cndmask_b32_e64 v0, 0xff800000, v0, s13
	v_cndmask_b32_e32 v0, 0x7f800001, v0, vcc_lo
; %bb.12771:                            ;   in Loop: Header=BB6_11393 Depth=4
	s_or_b32 exec_lo, exec_lo, s75
.LBB6_12772:                            ;   in Loop: Header=BB6_11393 Depth=4
	s_delay_alu instid0(SALU_CYCLE_1)
	s_or_b32 exec_lo, exec_lo, s15
.LBB6_12773:                            ;   in Loop: Header=BB6_11393 Depth=4
	s_delay_alu instid0(SALU_CYCLE_1) | instskip(NEXT) | instid1(VALU_DEP_1)
	s_or_b32 exec_lo, exec_lo, s14
	v_add_f32_e32 v0, v1, v0
	v_mov_b32_e32 v3, v113
                                        ; implicit-def: $vgpr19
	s_mov_b32 s13, exec_lo
	s_delay_alu instid0(VALU_DEP_2) | instskip(SKIP_1) | instid1(VALU_DEP_2)
	v_and_b32_e32 v2, 0x7f800000, v0
	v_and_b32_e32 v112, 0x7fffff, v0
	v_cmpx_ne_u64_e32 0x7f800000, v[2:3]
	s_xor_b32 s14, exec_lo, s13
	s_cbranch_execz .LBB6_12791
; %bb.12774:                            ;   in Loop: Header=BB6_11393 Depth=4
	v_dual_mov_b32 v3, v113 :: v_dual_lshrrev_b32 v1, 24, v0
	v_and_b32_e32 v2, 0x7fffffff, v0
                                        ; implicit-def: $vgpr19
	s_mov_b32 s13, exec_lo
	s_delay_alu instid0(VALU_DEP_2) | instskip(NEXT) | instid1(VALU_DEP_2)
	v_and_b32_e32 v5, 0x80, v1
	v_cmpx_gt_u64_e32 0x47600001, v[2:3]
	s_xor_b32 s15, exec_lo, s13
	s_cbranch_execz .LBB6_12788
; %bb.12775:                            ;   in Loop: Header=BB6_11393 Depth=4
	v_mov_b32_e32 v19, 0
	s_mov_b32 s75, exec_lo
	v_cmpx_ne_u32_e32 0, v0
	s_cbranch_execz .LBB6_12787
; %bb.12776:                            ;   in Loop: Header=BB6_11393 Depth=4
	v_bfe_u32 v7, v0, 23, 8
	v_or_b32_e32 v1, 0x800000, v112
	s_delay_alu instid0(VALU_DEP_2) | instskip(SKIP_2) | instid1(VALU_DEP_2)
	v_cmp_gt_u32_e64 s13, 0x72, v7
	v_sub_nc_u32_e32 v0, 0x71, v7
	v_cmp_eq_u32_e32 vcc_lo, 0, v7
	v_cndmask_b32_e64 v0, 0, v0, s13
	s_delay_alu instid0(VALU_DEP_1) | instskip(SKIP_1) | instid1(VALU_DEP_2)
	v_cndmask_b32_e64 v17, v0, 0x70, vcc_lo
	v_cndmask_b32_e32 v0, v1, v112, vcc_lo
	v_dual_mov_b32 v1, v113 :: v_dual_add_nc_u32 v2, 21, v17
	v_add_nc_u32_e32 v19, 20, v17
	s_delay_alu instid0(VALU_DEP_2) | instskip(NEXT) | instid1(VALU_DEP_2)
	v_lshlrev_b64_e64 v[2:3], v2, -1
	v_lshlrev_b64_e64 v[22:23], v19, 1
	s_delay_alu instid0(VALU_DEP_2) | instskip(SKIP_1) | instid1(VALU_DEP_4)
	v_bfi_b32 v2, v2, 0, v0
	v_lshrrev_b64 v[0:1], v17, v[0:1]
	v_bfi_b32 v3, v3, 0, 0
	s_delay_alu instid0(VALU_DEP_1) | instskip(NEXT) | instid1(VALU_DEP_3)
	v_cmp_eq_u64_e64 s13, v[2:3], v[22:23]
	v_mov_b64_e32 v[2:3], v[0:1]
	s_and_saveexec_b32 s76, s13
; %bb.12777:                            ;   in Loop: Header=BB6_11393 Depth=4
	v_bfe_u32 v2, v0, 21, 1
	v_mov_b32_e32 v3, v113
	s_delay_alu instid0(VALU_DEP_1) | instskip(NEXT) | instid1(VALU_DEP_1)
	v_add_nc_u64_e32 v[2:3], v[0:1], v[2:3]
	v_add_nc_u64_e32 v[2:3], -1, v[2:3]
; %bb.12778:                            ;   in Loop: Header=BB6_11393 Depth=4
	s_or_b32 exec_lo, exec_lo, s76
	v_add_nc_u32_e32 v1, 0xffffff81, v7
	s_delay_alu instid0(VALU_DEP_2) | instskip(SKIP_2) | instid1(VALU_DEP_3)
	v_and_b32_e32 v2, 0x1fffff, v2
	v_lshrrev_b32_e32 v3, 23, v0
	s_mov_b32 s13, exec_lo
	v_cndmask_b32_e64 v1, v1, 0xffffff82, vcc_lo
	s_delay_alu instid0(VALU_DEP_3) | instskip(NEXT) | instid1(VALU_DEP_2)
	v_add_nc_u32_e32 v112, v2, v0
                                        ; implicit-def: $vgpr2
	v_add3_u32 v7, v17, v1, v3
                                        ; implicit-def: $vgpr0_vgpr1
	s_delay_alu instid0(VALU_DEP_1) | instskip(NEXT) | instid1(VALU_DEP_1)
	v_add_nc_u32_e32 v3, 14, v7
	v_cmpx_ne_u32_e32 0, v3
	s_xor_b32 s13, exec_lo, s13
; %bb.12779:                            ;   in Loop: Header=BB6_11393 Depth=4
	v_cmp_lt_u64_e32 vcc_lo, 0xffffff, v[112:113]
	v_add_nc_u32_e32 v0, 15, v7
	s_delay_alu instid0(VALU_DEP_1) | instskip(SKIP_1) | instid1(VALU_DEP_1)
	v_cndmask_b32_e32 v2, v3, v0, vcc_lo
	v_cndmask_b32_e64 v0, 0, 1, vcc_lo
	v_lshrrev_b64 v[0:1], v0, v[112:113]
; %bb.12780:                            ;   in Loop: Header=BB6_11393 Depth=4
	s_and_not1_saveexec_b32 s13, s13
; %bb.12781:                            ;   in Loop: Header=BB6_11393 Depth=4
	v_mov_b64_e32 v[0:1], v[112:113]
	v_bfe_u32 v2, v112, 23, 1
; %bb.12782:                            ;   in Loop: Header=BB6_11393 Depth=4
	s_or_b32 exec_lo, exec_lo, s13
	s_delay_alu instid0(VALU_DEP_2) | instskip(NEXT) | instid1(VALU_DEP_2)
	v_lshrrev_b64 v[0:1], 21, v[0:1]
	v_cmp_gt_i32_e32 vcc_lo, 32, v2
	v_cmp_ne_u32_e64 s13, 0, v2
                                        ; implicit-def: $vgpr19
	s_delay_alu instid0(VALU_DEP_3) | instskip(NEXT) | instid1(VALU_DEP_1)
	v_dual_cndmask_b32 v1, 0, v1 :: v_dual_cndmask_b32 v0, 3, v0
	v_cmp_ne_u64_e32 vcc_lo, 0, v[0:1]
	s_or_b32 s13, s13, vcc_lo
	s_delay_alu instid0(SALU_CYCLE_1) | instskip(NEXT) | instid1(SALU_CYCLE_1)
	s_and_saveexec_b32 s76, s13
	s_xor_b32 s13, exec_lo, s76
; %bb.12783:                            ;   in Loop: Header=BB6_11393 Depth=4
	v_min_i32_e32 v1, 31, v2
	s_delay_alu instid0(VALU_DEP_1) | instskip(NEXT) | instid1(VALU_DEP_1)
	v_lshl_or_b32 v1, v1, 2, v5
                                        ; implicit-def: $vgpr5
	v_and_or_b32 v19, v0, 3, v1
; %bb.12784:                            ;   in Loop: Header=BB6_11393 Depth=4
	s_and_not1_saveexec_b32 s13, s13
; %bb.12785:                            ;   in Loop: Header=BB6_11393 Depth=4
	v_mov_b32_e32 v19, v5
; %bb.12786:                            ;   in Loop: Header=BB6_11393 Depth=4
	s_or_b32 exec_lo, exec_lo, s13
.LBB6_12787:                            ;   in Loop: Header=BB6_11393 Depth=4
	s_delay_alu instid0(SALU_CYCLE_1)
	s_or_b32 exec_lo, exec_lo, s75
                                        ; implicit-def: $vgpr5
.LBB6_12788:                            ;   in Loop: Header=BB6_11393 Depth=4
	s_and_not1_saveexec_b32 s13, s15
; %bb.12789:                            ;   in Loop: Header=BB6_11393 Depth=4
	v_or_b32_e32 v19, 0x7b, v5
; %bb.12790:                            ;   in Loop: Header=BB6_11393 Depth=4
	s_or_b32 exec_lo, exec_lo, s13
                                        ; implicit-def: $vgpr0
.LBB6_12791:                            ;   in Loop: Header=BB6_11393 Depth=4
	s_and_not1_saveexec_b32 s13, s14
	s_cbranch_execz .LBB6_12797
; %bb.12792:                            ;   in Loop: Header=BB6_11393 Depth=4
	s_mov_b32 s14, exec_lo
                                        ; implicit-def: $vgpr19
	v_cmpx_ne_u64_e32 0, v[112:113]
	s_xor_b32 s14, exec_lo, s14
; %bb.12793:                            ;   in Loop: Header=BB6_11393 Depth=4
	v_lshrrev_b32_e32 v0, 24, v0
	s_delay_alu instid0(VALU_DEP_1)
	v_or_b32_e32 v19, 0x7f, v0
                                        ; implicit-def: $vgpr0
; %bb.12794:                            ;   in Loop: Header=BB6_11393 Depth=4
	s_and_not1_saveexec_b32 s14, s14
; %bb.12795:                            ;   in Loop: Header=BB6_11393 Depth=4
	v_cmp_lt_i32_e32 vcc_lo, -1, v0
	v_cndmask_b32_e64 v19, -4, 0x7c, vcc_lo
; %bb.12796:                            ;   in Loop: Header=BB6_11393 Depth=4
	s_or_b32 exec_lo, exec_lo, s14
.LBB6_12797:                            ;   in Loop: Header=BB6_11393 Depth=4
	s_delay_alu instid0(SALU_CYCLE_1) | instskip(SKIP_3) | instid1(VALU_DEP_2)
	s_or_b32 exec_lo, exec_lo, s13
	v_and_b32_e32 v3, 0xff, v64
	v_dual_mov_b32 v0, 0 :: v_dual_mov_b32 v1, 0
	s_mov_b32 s14, exec_lo
	v_cmpx_ne_u16_e32 0, v3
	s_cbranch_execz .LBB6_12807
; %bb.12798:                            ;   in Loop: Header=BB6_11393 Depth=4
	v_bfrev_b32_e32 v1, 1
	s_mov_b32 s15, exec_lo
	v_cmpx_ne_u16_e32 0x80, v3
	s_cbranch_execz .LBB6_12806
; %bb.12799:                            ;   in Loop: Header=BB6_11393 Depth=4
	v_and_b32_e32 v1, 0x7c, v64
	v_and_b32_e32 v2, 3, v64
	s_delay_alu instid0(VALU_DEP_2) | instskip(SKIP_1) | instid1(SALU_CYCLE_1)
	v_cmp_ne_u32_e32 vcc_lo, 0x7c, v1
                                        ; implicit-def: $vgpr1
	s_and_saveexec_b32 s13, vcc_lo
	s_xor_b32 s13, exec_lo, s13
	s_cbranch_execz .LBB6_12803
; %bb.12800:                            ;   in Loop: Header=BB6_11393 Depth=4
	v_bfe_u32 v1, v3, 2, 5
	s_mov_b32 s75, exec_lo
	s_delay_alu instid0(VALU_DEP_1)
	v_cmpx_eq_u32_e32 0, v1
	s_cbranch_execz .LBB6_12802
; %bb.12801:                            ;   in Loop: Header=BB6_11393 Depth=4
	v_clz_i32_u32_e32 v1, v2
	s_delay_alu instid0(VALU_DEP_1) | instskip(SKIP_1) | instid1(VALU_DEP_2)
	v_min_u32_e32 v1, 32, v1
	v_mov_b32_e32 v65, v113
	v_subrev_nc_u32_e32 v2, 29, v1
	v_sub_nc_u32_e32 v1, 30, v1
	s_delay_alu instid0(VALU_DEP_2) | instskip(NEXT) | instid1(VALU_DEP_1)
	v_lshlrev_b64_e32 v[2:3], v2, v[64:65]
	v_and_b32_e32 v2, 3, v2
.LBB6_12802:                            ;   in Loop: Header=BB6_11393 Depth=4
	s_or_b32 exec_lo, exec_lo, s75
	v_lshlrev_b32_e32 v3, 24, v64
                                        ; implicit-def: $vgpr64
	s_delay_alu instid0(VALU_DEP_1) | instskip(NEXT) | instid1(VALU_DEP_1)
	v_and_b32_e32 v3, 0x80000000, v3
	v_lshl_add_u32 v1, v1, 23, v3
	s_delay_alu instid0(VALU_DEP_1) | instskip(NEXT) | instid1(VALU_DEP_1)
	v_lshl_or_b32 v1, v2, 21, v1
                                        ; implicit-def: $vgpr2
	v_add_nc_u32_e32 v1, 0x38000000, v1
.LBB6_12803:                            ;   in Loop: Header=BB6_11393 Depth=4
	s_and_not1_saveexec_b32 s75, s13
; %bb.12804:                            ;   in Loop: Header=BB6_11393 Depth=4
	v_bfe_i32 v1, v64, 0, 8
	v_cmp_eq_u32_e32 vcc_lo, 0, v2
	s_delay_alu instid0(VALU_DEP_2) | instskip(SKIP_1) | instid1(VALU_DEP_1)
	v_cmp_lt_i16_e64 s13, -1, v1
	v_mov_b32_e32 v1, 0x7f800000
	v_cndmask_b32_e64 v1, 0xff800000, v1, s13
	s_delay_alu instid0(VALU_DEP_1)
	v_cndmask_b32_e32 v1, 0x7f800001, v1, vcc_lo
; %bb.12805:                            ;   in Loop: Header=BB6_11393 Depth=4
	s_or_b32 exec_lo, exec_lo, s75
.LBB6_12806:                            ;   in Loop: Header=BB6_11393 Depth=4
	s_delay_alu instid0(SALU_CYCLE_1)
	s_or_b32 exec_lo, exec_lo, s15
.LBB6_12807:                            ;   in Loop: Header=BB6_11393 Depth=4
	s_delay_alu instid0(SALU_CYCLE_1) | instskip(NEXT) | instid1(SALU_CYCLE_1)
	s_or_b32 exec_lo, exec_lo, s14
	s_mov_b32 s14, exec_lo
	s_wait_loadcnt_dscnt 0x1818
	v_cmpx_ne_u16_e32 0, v32
	s_cbranch_execz .LBB6_12817
; %bb.12808:                            ;   in Loop: Header=BB6_11393 Depth=4
	v_bfrev_b32_e32 v0, 1
	s_mov_b32 s15, exec_lo
	v_cmpx_ne_u16_e32 0xff80, v32
	s_cbranch_execz .LBB6_12816
; %bb.12809:                            ;   in Loop: Header=BB6_11393 Depth=4
	v_and_b32_e32 v0, 0x7c, v32
	v_and_b32_e32 v2, 3, v32
	s_delay_alu instid0(VALU_DEP_2) | instskip(SKIP_1) | instid1(SALU_CYCLE_1)
	v_cmp_ne_u32_e32 vcc_lo, 0x7c, v0
                                        ; implicit-def: $vgpr0
	s_and_saveexec_b32 s13, vcc_lo
	s_xor_b32 s13, exec_lo, s13
	s_cbranch_execz .LBB6_12813
; %bb.12810:                            ;   in Loop: Header=BB6_11393 Depth=4
	v_and_b32_e32 v0, 0xff, v32
	s_mov_b32 s75, exec_lo
	s_delay_alu instid0(VALU_DEP_1) | instskip(NEXT) | instid1(VALU_DEP_1)
	v_bfe_u32 v0, v0, 2, 5
	v_cmpx_eq_u32_e32 0, v0
	s_cbranch_execz .LBB6_12812
; %bb.12811:                            ;   in Loop: Header=BB6_11393 Depth=4
	v_clz_i32_u32_e32 v0, v2
	s_delay_alu instid0(VALU_DEP_1) | instskip(SKIP_1) | instid1(VALU_DEP_2)
	v_min_u32_e32 v0, 32, v0
	v_mov_b32_e32 v33, v113
	v_subrev_nc_u32_e32 v2, 29, v0
	v_sub_nc_u32_e32 v0, 30, v0
	s_delay_alu instid0(VALU_DEP_2) | instskip(NEXT) | instid1(VALU_DEP_1)
	v_lshlrev_b64_e32 v[2:3], v2, v[32:33]
	v_and_b32_e32 v2, 3, v2
.LBB6_12812:                            ;   in Loop: Header=BB6_11393 Depth=4
	s_or_b32 exec_lo, exec_lo, s75
	v_bfe_i32 v3, v32, 0, 16
                                        ; implicit-def: $vgpr32
	s_delay_alu instid0(VALU_DEP_1) | instskip(NEXT) | instid1(VALU_DEP_1)
	v_and_b32_e32 v3, 0x80000000, v3
	v_lshl_add_u32 v0, v0, 23, v3
	s_delay_alu instid0(VALU_DEP_1) | instskip(NEXT) | instid1(VALU_DEP_1)
	v_lshl_or_b32 v0, v2, 21, v0
                                        ; implicit-def: $vgpr2
	v_add_nc_u32_e32 v0, 0x38000000, v0
.LBB6_12813:                            ;   in Loop: Header=BB6_11393 Depth=4
	s_and_not1_saveexec_b32 s75, s13
; %bb.12814:                            ;   in Loop: Header=BB6_11393 Depth=4
	v_cmp_lt_i16_e64 s13, -1, v32
	v_mov_b32_e32 v0, 0x7f800000
	v_cmp_eq_u32_e32 vcc_lo, 0, v2
	s_delay_alu instid0(VALU_DEP_2) | instskip(NEXT) | instid1(VALU_DEP_1)
	v_cndmask_b32_e64 v0, 0xff800000, v0, s13
	v_cndmask_b32_e32 v0, 0x7f800001, v0, vcc_lo
; %bb.12815:                            ;   in Loop: Header=BB6_11393 Depth=4
	s_or_b32 exec_lo, exec_lo, s75
.LBB6_12816:                            ;   in Loop: Header=BB6_11393 Depth=4
	s_delay_alu instid0(SALU_CYCLE_1)
	s_or_b32 exec_lo, exec_lo, s15
.LBB6_12817:                            ;   in Loop: Header=BB6_11393 Depth=4
	s_delay_alu instid0(SALU_CYCLE_1) | instskip(NEXT) | instid1(VALU_DEP_1)
	s_or_b32 exec_lo, exec_lo, s14
	v_add_f32_e32 v0, v1, v0
	v_mov_b32_e32 v3, v113
                                        ; implicit-def: $vgpr22
	s_mov_b32 s13, exec_lo
	s_delay_alu instid0(VALU_DEP_2) | instskip(SKIP_1) | instid1(VALU_DEP_2)
	v_and_b32_e32 v2, 0x7f800000, v0
	v_and_b32_e32 v112, 0x7fffff, v0
	v_cmpx_ne_u64_e32 0x7f800000, v[2:3]
	s_xor_b32 s14, exec_lo, s13
	s_cbranch_execz .LBB6_12835
; %bb.12818:                            ;   in Loop: Header=BB6_11393 Depth=4
	v_dual_mov_b32 v3, v113 :: v_dual_lshrrev_b32 v1, 24, v0
	v_and_b32_e32 v2, 0x7fffffff, v0
                                        ; implicit-def: $vgpr22
	s_mov_b32 s13, exec_lo
	s_delay_alu instid0(VALU_DEP_2) | instskip(NEXT) | instid1(VALU_DEP_2)
	v_and_b32_e32 v5, 0x80, v1
	v_cmpx_gt_u64_e32 0x47600001, v[2:3]
	s_xor_b32 s15, exec_lo, s13
	s_cbranch_execz .LBB6_12832
; %bb.12819:                            ;   in Loop: Header=BB6_11393 Depth=4
	v_mov_b32_e32 v22, 0
	s_mov_b32 s75, exec_lo
	v_cmpx_ne_u32_e32 0, v0
	s_cbranch_execz .LBB6_12831
; %bb.12820:                            ;   in Loop: Header=BB6_11393 Depth=4
	v_bfe_u32 v7, v0, 23, 8
	v_or_b32_e32 v1, 0x800000, v112
	s_delay_alu instid0(VALU_DEP_2) | instskip(SKIP_2) | instid1(VALU_DEP_2)
	v_cmp_gt_u32_e64 s13, 0x72, v7
	v_sub_nc_u32_e32 v0, 0x71, v7
	v_cmp_eq_u32_e32 vcc_lo, 0, v7
	v_cndmask_b32_e64 v0, 0, v0, s13
	s_delay_alu instid0(VALU_DEP_1) | instskip(SKIP_1) | instid1(VALU_DEP_2)
	v_cndmask_b32_e64 v17, v0, 0x70, vcc_lo
	v_cndmask_b32_e32 v0, v1, v112, vcc_lo
	v_dual_mov_b32 v1, v113 :: v_dual_add_nc_u32 v2, 21, v17
	v_add_nc_u32_e32 v22, 20, v17
	s_delay_alu instid0(VALU_DEP_2) | instskip(NEXT) | instid1(VALU_DEP_2)
	v_lshlrev_b64_e64 v[2:3], v2, -1
	v_lshlrev_b64_e64 v[22:23], v22, 1
	s_delay_alu instid0(VALU_DEP_2) | instskip(SKIP_1) | instid1(VALU_DEP_4)
	v_bfi_b32 v2, v2, 0, v0
	v_lshrrev_b64 v[0:1], v17, v[0:1]
	v_bfi_b32 v3, v3, 0, 0
	s_delay_alu instid0(VALU_DEP_1) | instskip(NEXT) | instid1(VALU_DEP_3)
	v_cmp_eq_u64_e64 s13, v[2:3], v[22:23]
	v_mov_b64_e32 v[2:3], v[0:1]
	s_and_saveexec_b32 s76, s13
; %bb.12821:                            ;   in Loop: Header=BB6_11393 Depth=4
	v_bfe_u32 v2, v0, 21, 1
	v_mov_b32_e32 v3, v113
	s_delay_alu instid0(VALU_DEP_1) | instskip(NEXT) | instid1(VALU_DEP_1)
	v_add_nc_u64_e32 v[2:3], v[0:1], v[2:3]
	v_add_nc_u64_e32 v[2:3], -1, v[2:3]
; %bb.12822:                            ;   in Loop: Header=BB6_11393 Depth=4
	s_or_b32 exec_lo, exec_lo, s76
	v_add_nc_u32_e32 v1, 0xffffff81, v7
	s_delay_alu instid0(VALU_DEP_2) | instskip(SKIP_2) | instid1(VALU_DEP_3)
	v_and_b32_e32 v2, 0x1fffff, v2
	v_lshrrev_b32_e32 v3, 23, v0
	s_mov_b32 s13, exec_lo
	v_cndmask_b32_e64 v1, v1, 0xffffff82, vcc_lo
	s_delay_alu instid0(VALU_DEP_3) | instskip(NEXT) | instid1(VALU_DEP_2)
	v_add_nc_u32_e32 v112, v2, v0
                                        ; implicit-def: $vgpr2
	v_add3_u32 v7, v17, v1, v3
                                        ; implicit-def: $vgpr0_vgpr1
	s_delay_alu instid0(VALU_DEP_1) | instskip(NEXT) | instid1(VALU_DEP_1)
	v_add_nc_u32_e32 v3, 14, v7
	v_cmpx_ne_u32_e32 0, v3
	s_xor_b32 s13, exec_lo, s13
; %bb.12823:                            ;   in Loop: Header=BB6_11393 Depth=4
	v_cmp_lt_u64_e32 vcc_lo, 0xffffff, v[112:113]
	v_add_nc_u32_e32 v0, 15, v7
	s_delay_alu instid0(VALU_DEP_1) | instskip(SKIP_1) | instid1(VALU_DEP_1)
	v_cndmask_b32_e32 v2, v3, v0, vcc_lo
	v_cndmask_b32_e64 v0, 0, 1, vcc_lo
	v_lshrrev_b64 v[0:1], v0, v[112:113]
; %bb.12824:                            ;   in Loop: Header=BB6_11393 Depth=4
	s_and_not1_saveexec_b32 s13, s13
; %bb.12825:                            ;   in Loop: Header=BB6_11393 Depth=4
	v_mov_b64_e32 v[0:1], v[112:113]
	v_bfe_u32 v2, v112, 23, 1
; %bb.12826:                            ;   in Loop: Header=BB6_11393 Depth=4
	s_or_b32 exec_lo, exec_lo, s13
	s_delay_alu instid0(VALU_DEP_2) | instskip(NEXT) | instid1(VALU_DEP_2)
	v_lshrrev_b64 v[0:1], 21, v[0:1]
	v_cmp_gt_i32_e32 vcc_lo, 32, v2
	v_cmp_ne_u32_e64 s13, 0, v2
                                        ; implicit-def: $vgpr22
	s_delay_alu instid0(VALU_DEP_3) | instskip(NEXT) | instid1(VALU_DEP_1)
	v_dual_cndmask_b32 v1, 0, v1 :: v_dual_cndmask_b32 v0, 3, v0
	v_cmp_ne_u64_e32 vcc_lo, 0, v[0:1]
	s_or_b32 s13, s13, vcc_lo
	s_delay_alu instid0(SALU_CYCLE_1) | instskip(NEXT) | instid1(SALU_CYCLE_1)
	s_and_saveexec_b32 s76, s13
	s_xor_b32 s13, exec_lo, s76
; %bb.12827:                            ;   in Loop: Header=BB6_11393 Depth=4
	v_min_i32_e32 v1, 31, v2
	s_delay_alu instid0(VALU_DEP_1) | instskip(NEXT) | instid1(VALU_DEP_1)
	v_lshl_or_b32 v1, v1, 2, v5
                                        ; implicit-def: $vgpr5
	v_and_or_b32 v22, v0, 3, v1
; %bb.12828:                            ;   in Loop: Header=BB6_11393 Depth=4
	s_and_not1_saveexec_b32 s13, s13
; %bb.12829:                            ;   in Loop: Header=BB6_11393 Depth=4
	v_mov_b32_e32 v22, v5
; %bb.12830:                            ;   in Loop: Header=BB6_11393 Depth=4
	s_or_b32 exec_lo, exec_lo, s13
.LBB6_12831:                            ;   in Loop: Header=BB6_11393 Depth=4
	s_delay_alu instid0(SALU_CYCLE_1)
	s_or_b32 exec_lo, exec_lo, s75
                                        ; implicit-def: $vgpr5
.LBB6_12832:                            ;   in Loop: Header=BB6_11393 Depth=4
	s_and_not1_saveexec_b32 s13, s15
; %bb.12833:                            ;   in Loop: Header=BB6_11393 Depth=4
	v_or_b32_e32 v22, 0x7b, v5
; %bb.12834:                            ;   in Loop: Header=BB6_11393 Depth=4
	s_or_b32 exec_lo, exec_lo, s13
                                        ; implicit-def: $vgpr0
.LBB6_12835:                            ;   in Loop: Header=BB6_11393 Depth=4
	s_and_not1_saveexec_b32 s13, s14
	s_cbranch_execz .LBB6_12841
; %bb.12836:                            ;   in Loop: Header=BB6_11393 Depth=4
	s_mov_b32 s14, exec_lo
                                        ; implicit-def: $vgpr22
	v_cmpx_ne_u64_e32 0, v[112:113]
	s_xor_b32 s14, exec_lo, s14
; %bb.12837:                            ;   in Loop: Header=BB6_11393 Depth=4
	v_lshrrev_b32_e32 v0, 24, v0
	s_delay_alu instid0(VALU_DEP_1)
	v_or_b32_e32 v22, 0x7f, v0
                                        ; implicit-def: $vgpr0
; %bb.12838:                            ;   in Loop: Header=BB6_11393 Depth=4
	s_and_not1_saveexec_b32 s14, s14
; %bb.12839:                            ;   in Loop: Header=BB6_11393 Depth=4
	v_cmp_lt_i32_e32 vcc_lo, -1, v0
	v_cndmask_b32_e64 v22, -4, 0x7c, vcc_lo
; %bb.12840:                            ;   in Loop: Header=BB6_11393 Depth=4
	s_or_b32 exec_lo, exec_lo, s14
.LBB6_12841:                            ;   in Loop: Header=BB6_11393 Depth=4
	s_delay_alu instid0(SALU_CYCLE_1) | instskip(SKIP_3) | instid1(VALU_DEP_2)
	s_or_b32 exec_lo, exec_lo, s13
	v_and_b32_e32 v3, 0xff, v122
	v_dual_mov_b32 v0, 0 :: v_dual_mov_b32 v1, 0
	s_mov_b32 s14, exec_lo
	v_cmpx_ne_u16_e32 0, v3
	s_cbranch_execz .LBB6_12851
; %bb.12842:                            ;   in Loop: Header=BB6_11393 Depth=4
	v_bfrev_b32_e32 v1, 1
	s_mov_b32 s15, exec_lo
	v_cmpx_ne_u16_e32 0x80, v3
	s_cbranch_execz .LBB6_12850
; %bb.12843:                            ;   in Loop: Header=BB6_11393 Depth=4
	v_and_b32_e32 v1, 0x7c, v122
	v_and_b32_e32 v2, 3, v122
	s_delay_alu instid0(VALU_DEP_2) | instskip(SKIP_1) | instid1(SALU_CYCLE_1)
	v_cmp_ne_u32_e32 vcc_lo, 0x7c, v1
                                        ; implicit-def: $vgpr1
	s_and_saveexec_b32 s13, vcc_lo
	s_xor_b32 s13, exec_lo, s13
	s_cbranch_execz .LBB6_12847
; %bb.12844:                            ;   in Loop: Header=BB6_11393 Depth=4
	v_bfe_u32 v1, v3, 2, 5
	s_mov_b32 s75, exec_lo
	s_delay_alu instid0(VALU_DEP_1)
	v_cmpx_eq_u32_e32 0, v1
	s_cbranch_execz .LBB6_12846
; %bb.12845:                            ;   in Loop: Header=BB6_11393 Depth=4
	v_clz_i32_u32_e32 v1, v2
	s_delay_alu instid0(VALU_DEP_1) | instskip(SKIP_1) | instid1(VALU_DEP_2)
	v_min_u32_e32 v1, 32, v1
	v_mov_b32_e32 v123, v113
	v_subrev_nc_u32_e32 v2, 29, v1
	v_sub_nc_u32_e32 v1, 30, v1
	s_delay_alu instid0(VALU_DEP_2) | instskip(NEXT) | instid1(VALU_DEP_1)
	v_lshlrev_b64_e32 v[2:3], v2, v[122:123]
	v_and_b32_e32 v2, 3, v2
.LBB6_12846:                            ;   in Loop: Header=BB6_11393 Depth=4
	s_or_b32 exec_lo, exec_lo, s75
	v_lshlrev_b32_e32 v3, 24, v122
                                        ; implicit-def: $vgpr122
	s_delay_alu instid0(VALU_DEP_1) | instskip(NEXT) | instid1(VALU_DEP_1)
	v_and_b32_e32 v3, 0x80000000, v3
	v_lshl_add_u32 v1, v1, 23, v3
	s_delay_alu instid0(VALU_DEP_1) | instskip(NEXT) | instid1(VALU_DEP_1)
	v_lshl_or_b32 v1, v2, 21, v1
                                        ; implicit-def: $vgpr2
	v_add_nc_u32_e32 v1, 0x38000000, v1
.LBB6_12847:                            ;   in Loop: Header=BB6_11393 Depth=4
	s_and_not1_saveexec_b32 s75, s13
; %bb.12848:                            ;   in Loop: Header=BB6_11393 Depth=4
	v_bfe_i32 v1, v122, 0, 8
	v_cmp_eq_u32_e32 vcc_lo, 0, v2
	s_delay_alu instid0(VALU_DEP_2) | instskip(SKIP_1) | instid1(VALU_DEP_1)
	v_cmp_lt_i16_e64 s13, -1, v1
	v_mov_b32_e32 v1, 0x7f800000
	v_cndmask_b32_e64 v1, 0xff800000, v1, s13
	s_delay_alu instid0(VALU_DEP_1)
	v_cndmask_b32_e32 v1, 0x7f800001, v1, vcc_lo
; %bb.12849:                            ;   in Loop: Header=BB6_11393 Depth=4
	s_or_b32 exec_lo, exec_lo, s75
.LBB6_12850:                            ;   in Loop: Header=BB6_11393 Depth=4
	s_delay_alu instid0(SALU_CYCLE_1)
	s_or_b32 exec_lo, exec_lo, s15
.LBB6_12851:                            ;   in Loop: Header=BB6_11393 Depth=4
	s_delay_alu instid0(SALU_CYCLE_1) | instskip(NEXT) | instid1(SALU_CYCLE_1)
	s_or_b32 exec_lo, exec_lo, s14
	s_mov_b32 s14, exec_lo
	s_wait_loadcnt_dscnt 0x1717
	v_cmpx_ne_u16_e32 0, v42
	s_cbranch_execz .LBB6_12861
; %bb.12852:                            ;   in Loop: Header=BB6_11393 Depth=4
	v_bfrev_b32_e32 v0, 1
	s_mov_b32 s15, exec_lo
	v_cmpx_ne_u16_e32 0xff80, v42
	s_cbranch_execz .LBB6_12860
; %bb.12853:                            ;   in Loop: Header=BB6_11393 Depth=4
	v_and_b32_e32 v0, 0x7c, v42
	v_and_b32_e32 v2, 3, v42
	s_delay_alu instid0(VALU_DEP_2) | instskip(SKIP_1) | instid1(SALU_CYCLE_1)
	v_cmp_ne_u32_e32 vcc_lo, 0x7c, v0
                                        ; implicit-def: $vgpr0
	s_and_saveexec_b32 s13, vcc_lo
	s_xor_b32 s13, exec_lo, s13
	s_cbranch_execz .LBB6_12857
; %bb.12854:                            ;   in Loop: Header=BB6_11393 Depth=4
	v_and_b32_e32 v0, 0xff, v42
	s_mov_b32 s75, exec_lo
	s_delay_alu instid0(VALU_DEP_1) | instskip(NEXT) | instid1(VALU_DEP_1)
	v_bfe_u32 v0, v0, 2, 5
	v_cmpx_eq_u32_e32 0, v0
	s_cbranch_execz .LBB6_12856
; %bb.12855:                            ;   in Loop: Header=BB6_11393 Depth=4
	v_clz_i32_u32_e32 v0, v2
	s_delay_alu instid0(VALU_DEP_1) | instskip(SKIP_1) | instid1(VALU_DEP_2)
	v_min_u32_e32 v0, 32, v0
	v_mov_b32_e32 v43, v113
	v_subrev_nc_u32_e32 v2, 29, v0
	v_sub_nc_u32_e32 v0, 30, v0
	s_delay_alu instid0(VALU_DEP_2) | instskip(NEXT) | instid1(VALU_DEP_1)
	v_lshlrev_b64_e32 v[2:3], v2, v[42:43]
	v_and_b32_e32 v2, 3, v2
.LBB6_12856:                            ;   in Loop: Header=BB6_11393 Depth=4
	s_or_b32 exec_lo, exec_lo, s75
	v_bfe_i32 v3, v42, 0, 16
                                        ; implicit-def: $vgpr42
	s_delay_alu instid0(VALU_DEP_1) | instskip(NEXT) | instid1(VALU_DEP_1)
	v_and_b32_e32 v3, 0x80000000, v3
	v_lshl_add_u32 v0, v0, 23, v3
	s_delay_alu instid0(VALU_DEP_1) | instskip(NEXT) | instid1(VALU_DEP_1)
	v_lshl_or_b32 v0, v2, 21, v0
                                        ; implicit-def: $vgpr2
	v_add_nc_u32_e32 v0, 0x38000000, v0
.LBB6_12857:                            ;   in Loop: Header=BB6_11393 Depth=4
	s_and_not1_saveexec_b32 s75, s13
; %bb.12858:                            ;   in Loop: Header=BB6_11393 Depth=4
	v_cmp_lt_i16_e64 s13, -1, v42
	v_mov_b32_e32 v0, 0x7f800000
	v_cmp_eq_u32_e32 vcc_lo, 0, v2
	s_delay_alu instid0(VALU_DEP_2) | instskip(NEXT) | instid1(VALU_DEP_1)
	v_cndmask_b32_e64 v0, 0xff800000, v0, s13
	v_cndmask_b32_e32 v0, 0x7f800001, v0, vcc_lo
; %bb.12859:                            ;   in Loop: Header=BB6_11393 Depth=4
	s_or_b32 exec_lo, exec_lo, s75
.LBB6_12860:                            ;   in Loop: Header=BB6_11393 Depth=4
	s_delay_alu instid0(SALU_CYCLE_1)
	s_or_b32 exec_lo, exec_lo, s15
.LBB6_12861:                            ;   in Loop: Header=BB6_11393 Depth=4
	s_delay_alu instid0(SALU_CYCLE_1) | instskip(NEXT) | instid1(VALU_DEP_1)
	s_or_b32 exec_lo, exec_lo, s14
	v_add_f32_e32 v0, v1, v0
	v_mov_b32_e32 v3, v113
                                        ; implicit-def: $vgpr23
	s_mov_b32 s13, exec_lo
	s_delay_alu instid0(VALU_DEP_2) | instskip(SKIP_1) | instid1(VALU_DEP_2)
	v_and_b32_e32 v2, 0x7f800000, v0
	v_and_b32_e32 v112, 0x7fffff, v0
	v_cmpx_ne_u64_e32 0x7f800000, v[2:3]
	s_xor_b32 s14, exec_lo, s13
	s_cbranch_execz .LBB6_12879
; %bb.12862:                            ;   in Loop: Header=BB6_11393 Depth=4
	v_dual_mov_b32 v3, v113 :: v_dual_lshrrev_b32 v1, 24, v0
	v_and_b32_e32 v2, 0x7fffffff, v0
                                        ; implicit-def: $vgpr23
	s_mov_b32 s13, exec_lo
	s_delay_alu instid0(VALU_DEP_2) | instskip(NEXT) | instid1(VALU_DEP_2)
	v_and_b32_e32 v5, 0x80, v1
	v_cmpx_gt_u64_e32 0x47600001, v[2:3]
	s_xor_b32 s15, exec_lo, s13
	s_cbranch_execz .LBB6_12876
; %bb.12863:                            ;   in Loop: Header=BB6_11393 Depth=4
	v_mov_b32_e32 v23, 0
	s_mov_b32 s75, exec_lo
	v_cmpx_ne_u32_e32 0, v0
	s_cbranch_execz .LBB6_12875
; %bb.12864:                            ;   in Loop: Header=BB6_11393 Depth=4
	v_bfe_u32 v7, v0, 23, 8
	v_or_b32_e32 v1, 0x800000, v112
	s_delay_alu instid0(VALU_DEP_2) | instskip(SKIP_2) | instid1(VALU_DEP_2)
	v_cmp_gt_u32_e64 s13, 0x72, v7
	v_sub_nc_u32_e32 v0, 0x71, v7
	v_cmp_eq_u32_e32 vcc_lo, 0, v7
	v_cndmask_b32_e64 v0, 0, v0, s13
	s_delay_alu instid0(VALU_DEP_1) | instskip(SKIP_1) | instid1(VALU_DEP_2)
	v_cndmask_b32_e64 v17, v0, 0x70, vcc_lo
	v_cndmask_b32_e32 v0, v1, v112, vcc_lo
	v_dual_mov_b32 v1, v113 :: v_dual_add_nc_u32 v2, 21, v17
	v_add_nc_u32_e32 v23, 20, v17
	s_delay_alu instid0(VALU_DEP_2) | instskip(NEXT) | instid1(VALU_DEP_2)
	v_lshlrev_b64_e64 v[2:3], v2, -1
	v_lshlrev_b64_e64 v[32:33], v23, 1
	s_delay_alu instid0(VALU_DEP_2) | instskip(SKIP_1) | instid1(VALU_DEP_4)
	v_bfi_b32 v2, v2, 0, v0
	v_lshrrev_b64 v[0:1], v17, v[0:1]
	v_bfi_b32 v3, v3, 0, 0
	s_delay_alu instid0(VALU_DEP_1) | instskip(NEXT) | instid1(VALU_DEP_3)
	v_cmp_eq_u64_e64 s13, v[2:3], v[32:33]
	v_mov_b64_e32 v[2:3], v[0:1]
	s_and_saveexec_b32 s76, s13
; %bb.12865:                            ;   in Loop: Header=BB6_11393 Depth=4
	v_bfe_u32 v2, v0, 21, 1
	v_mov_b32_e32 v3, v113
	s_delay_alu instid0(VALU_DEP_1) | instskip(NEXT) | instid1(VALU_DEP_1)
	v_add_nc_u64_e32 v[2:3], v[0:1], v[2:3]
	v_add_nc_u64_e32 v[2:3], -1, v[2:3]
; %bb.12866:                            ;   in Loop: Header=BB6_11393 Depth=4
	s_or_b32 exec_lo, exec_lo, s76
	v_add_nc_u32_e32 v1, 0xffffff81, v7
	s_delay_alu instid0(VALU_DEP_2) | instskip(SKIP_2) | instid1(VALU_DEP_3)
	v_and_b32_e32 v2, 0x1fffff, v2
	v_lshrrev_b32_e32 v3, 23, v0
	s_mov_b32 s13, exec_lo
	v_cndmask_b32_e64 v1, v1, 0xffffff82, vcc_lo
	s_delay_alu instid0(VALU_DEP_3) | instskip(NEXT) | instid1(VALU_DEP_2)
	v_add_nc_u32_e32 v112, v2, v0
                                        ; implicit-def: $vgpr2
	v_add3_u32 v7, v17, v1, v3
                                        ; implicit-def: $vgpr0_vgpr1
	s_delay_alu instid0(VALU_DEP_1) | instskip(NEXT) | instid1(VALU_DEP_1)
	v_add_nc_u32_e32 v3, 14, v7
	v_cmpx_ne_u32_e32 0, v3
	s_xor_b32 s13, exec_lo, s13
; %bb.12867:                            ;   in Loop: Header=BB6_11393 Depth=4
	v_cmp_lt_u64_e32 vcc_lo, 0xffffff, v[112:113]
	v_add_nc_u32_e32 v0, 15, v7
	s_delay_alu instid0(VALU_DEP_1) | instskip(SKIP_1) | instid1(VALU_DEP_1)
	v_cndmask_b32_e32 v2, v3, v0, vcc_lo
	v_cndmask_b32_e64 v0, 0, 1, vcc_lo
	v_lshrrev_b64 v[0:1], v0, v[112:113]
; %bb.12868:                            ;   in Loop: Header=BB6_11393 Depth=4
	s_and_not1_saveexec_b32 s13, s13
; %bb.12869:                            ;   in Loop: Header=BB6_11393 Depth=4
	v_mov_b64_e32 v[0:1], v[112:113]
	v_bfe_u32 v2, v112, 23, 1
; %bb.12870:                            ;   in Loop: Header=BB6_11393 Depth=4
	s_or_b32 exec_lo, exec_lo, s13
	s_delay_alu instid0(VALU_DEP_2) | instskip(NEXT) | instid1(VALU_DEP_2)
	v_lshrrev_b64 v[0:1], 21, v[0:1]
	v_cmp_gt_i32_e32 vcc_lo, 32, v2
	v_cmp_ne_u32_e64 s13, 0, v2
                                        ; implicit-def: $vgpr23
	s_delay_alu instid0(VALU_DEP_3) | instskip(NEXT) | instid1(VALU_DEP_1)
	v_dual_cndmask_b32 v1, 0, v1 :: v_dual_cndmask_b32 v0, 3, v0
	v_cmp_ne_u64_e32 vcc_lo, 0, v[0:1]
	s_or_b32 s13, s13, vcc_lo
	s_delay_alu instid0(SALU_CYCLE_1) | instskip(NEXT) | instid1(SALU_CYCLE_1)
	s_and_saveexec_b32 s76, s13
	s_xor_b32 s13, exec_lo, s76
; %bb.12871:                            ;   in Loop: Header=BB6_11393 Depth=4
	v_min_i32_e32 v1, 31, v2
	s_delay_alu instid0(VALU_DEP_1) | instskip(NEXT) | instid1(VALU_DEP_1)
	v_lshl_or_b32 v1, v1, 2, v5
                                        ; implicit-def: $vgpr5
	v_and_or_b32 v23, v0, 3, v1
; %bb.12872:                            ;   in Loop: Header=BB6_11393 Depth=4
	s_and_not1_saveexec_b32 s13, s13
; %bb.12873:                            ;   in Loop: Header=BB6_11393 Depth=4
	v_mov_b32_e32 v23, v5
; %bb.12874:                            ;   in Loop: Header=BB6_11393 Depth=4
	s_or_b32 exec_lo, exec_lo, s13
.LBB6_12875:                            ;   in Loop: Header=BB6_11393 Depth=4
	s_delay_alu instid0(SALU_CYCLE_1)
	s_or_b32 exec_lo, exec_lo, s75
                                        ; implicit-def: $vgpr5
.LBB6_12876:                            ;   in Loop: Header=BB6_11393 Depth=4
	s_and_not1_saveexec_b32 s13, s15
; %bb.12877:                            ;   in Loop: Header=BB6_11393 Depth=4
	v_or_b32_e32 v23, 0x7b, v5
; %bb.12878:                            ;   in Loop: Header=BB6_11393 Depth=4
	s_or_b32 exec_lo, exec_lo, s13
                                        ; implicit-def: $vgpr0
.LBB6_12879:                            ;   in Loop: Header=BB6_11393 Depth=4
	s_and_not1_saveexec_b32 s13, s14
	s_cbranch_execz .LBB6_12885
; %bb.12880:                            ;   in Loop: Header=BB6_11393 Depth=4
	s_mov_b32 s14, exec_lo
                                        ; implicit-def: $vgpr23
	v_cmpx_ne_u64_e32 0, v[112:113]
	s_xor_b32 s14, exec_lo, s14
; %bb.12881:                            ;   in Loop: Header=BB6_11393 Depth=4
	v_lshrrev_b32_e32 v0, 24, v0
	s_delay_alu instid0(VALU_DEP_1)
	v_or_b32_e32 v23, 0x7f, v0
                                        ; implicit-def: $vgpr0
; %bb.12882:                            ;   in Loop: Header=BB6_11393 Depth=4
	s_and_not1_saveexec_b32 s14, s14
; %bb.12883:                            ;   in Loop: Header=BB6_11393 Depth=4
	v_cmp_lt_i32_e32 vcc_lo, -1, v0
	v_cndmask_b32_e64 v23, -4, 0x7c, vcc_lo
; %bb.12884:                            ;   in Loop: Header=BB6_11393 Depth=4
	s_or_b32 exec_lo, exec_lo, s14
.LBB6_12885:                            ;   in Loop: Header=BB6_11393 Depth=4
	s_delay_alu instid0(SALU_CYCLE_1) | instskip(SKIP_3) | instid1(VALU_DEP_2)
	s_or_b32 exec_lo, exec_lo, s13
	v_and_b32_e32 v3, 0xff, v66
	v_dual_mov_b32 v0, 0 :: v_dual_mov_b32 v1, 0
	s_mov_b32 s14, exec_lo
	v_cmpx_ne_u16_e32 0, v3
	s_cbranch_execz .LBB6_12895
; %bb.12886:                            ;   in Loop: Header=BB6_11393 Depth=4
	v_bfrev_b32_e32 v1, 1
	s_mov_b32 s15, exec_lo
	v_cmpx_ne_u16_e32 0x80, v3
	s_cbranch_execz .LBB6_12894
; %bb.12887:                            ;   in Loop: Header=BB6_11393 Depth=4
	v_and_b32_e32 v1, 0x7c, v66
	v_and_b32_e32 v2, 3, v66
	s_delay_alu instid0(VALU_DEP_2) | instskip(SKIP_1) | instid1(SALU_CYCLE_1)
	v_cmp_ne_u32_e32 vcc_lo, 0x7c, v1
                                        ; implicit-def: $vgpr1
	s_and_saveexec_b32 s13, vcc_lo
	s_xor_b32 s13, exec_lo, s13
	s_cbranch_execz .LBB6_12891
; %bb.12888:                            ;   in Loop: Header=BB6_11393 Depth=4
	v_bfe_u32 v1, v3, 2, 5
	s_mov_b32 s75, exec_lo
	s_delay_alu instid0(VALU_DEP_1)
	v_cmpx_eq_u32_e32 0, v1
	s_cbranch_execz .LBB6_12890
; %bb.12889:                            ;   in Loop: Header=BB6_11393 Depth=4
	v_clz_i32_u32_e32 v1, v2
	s_delay_alu instid0(VALU_DEP_1) | instskip(SKIP_1) | instid1(VALU_DEP_2)
	v_min_u32_e32 v1, 32, v1
	v_mov_b32_e32 v67, v113
	v_subrev_nc_u32_e32 v2, 29, v1
	v_sub_nc_u32_e32 v1, 30, v1
	s_delay_alu instid0(VALU_DEP_2) | instskip(NEXT) | instid1(VALU_DEP_1)
	v_lshlrev_b64_e32 v[2:3], v2, v[66:67]
	v_and_b32_e32 v2, 3, v2
.LBB6_12890:                            ;   in Loop: Header=BB6_11393 Depth=4
	s_or_b32 exec_lo, exec_lo, s75
	v_lshlrev_b32_e32 v3, 24, v66
                                        ; implicit-def: $vgpr66
	s_delay_alu instid0(VALU_DEP_1) | instskip(NEXT) | instid1(VALU_DEP_1)
	v_and_b32_e32 v3, 0x80000000, v3
	v_lshl_add_u32 v1, v1, 23, v3
	s_delay_alu instid0(VALU_DEP_1) | instskip(NEXT) | instid1(VALU_DEP_1)
	v_lshl_or_b32 v1, v2, 21, v1
                                        ; implicit-def: $vgpr2
	v_add_nc_u32_e32 v1, 0x38000000, v1
.LBB6_12891:                            ;   in Loop: Header=BB6_11393 Depth=4
	s_and_not1_saveexec_b32 s75, s13
; %bb.12892:                            ;   in Loop: Header=BB6_11393 Depth=4
	v_bfe_i32 v1, v66, 0, 8
	v_cmp_eq_u32_e32 vcc_lo, 0, v2
	s_delay_alu instid0(VALU_DEP_2) | instskip(SKIP_1) | instid1(VALU_DEP_1)
	v_cmp_lt_i16_e64 s13, -1, v1
	v_mov_b32_e32 v1, 0x7f800000
	v_cndmask_b32_e64 v1, 0xff800000, v1, s13
	s_delay_alu instid0(VALU_DEP_1)
	v_cndmask_b32_e32 v1, 0x7f800001, v1, vcc_lo
; %bb.12893:                            ;   in Loop: Header=BB6_11393 Depth=4
	s_or_b32 exec_lo, exec_lo, s75
.LBB6_12894:                            ;   in Loop: Header=BB6_11393 Depth=4
	s_delay_alu instid0(SALU_CYCLE_1)
	s_or_b32 exec_lo, exec_lo, s15
.LBB6_12895:                            ;   in Loop: Header=BB6_11393 Depth=4
	s_delay_alu instid0(SALU_CYCLE_1) | instskip(NEXT) | instid1(SALU_CYCLE_1)
	s_or_b32 exec_lo, exec_lo, s14
	s_mov_b32 s14, exec_lo
	s_wait_loadcnt_dscnt 0x1616
	v_cmpx_ne_u16_e32 0, v80
	s_cbranch_execz .LBB6_12905
; %bb.12896:                            ;   in Loop: Header=BB6_11393 Depth=4
	v_bfrev_b32_e32 v0, 1
	s_mov_b32 s15, exec_lo
	v_cmpx_ne_u16_e32 0xff80, v80
	s_cbranch_execz .LBB6_12904
; %bb.12897:                            ;   in Loop: Header=BB6_11393 Depth=4
	v_and_b32_e32 v0, 0x7c, v80
	v_and_b32_e32 v2, 3, v80
	s_delay_alu instid0(VALU_DEP_2) | instskip(SKIP_1) | instid1(SALU_CYCLE_1)
	v_cmp_ne_u32_e32 vcc_lo, 0x7c, v0
                                        ; implicit-def: $vgpr0
	s_and_saveexec_b32 s13, vcc_lo
	s_xor_b32 s13, exec_lo, s13
	s_cbranch_execz .LBB6_12901
; %bb.12898:                            ;   in Loop: Header=BB6_11393 Depth=4
	v_and_b32_e32 v0, 0xff, v80
	s_mov_b32 s75, exec_lo
	s_delay_alu instid0(VALU_DEP_1) | instskip(NEXT) | instid1(VALU_DEP_1)
	v_bfe_u32 v0, v0, 2, 5
	v_cmpx_eq_u32_e32 0, v0
	s_cbranch_execz .LBB6_12900
; %bb.12899:                            ;   in Loop: Header=BB6_11393 Depth=4
	v_clz_i32_u32_e32 v0, v2
	s_delay_alu instid0(VALU_DEP_1) | instskip(SKIP_1) | instid1(VALU_DEP_2)
	v_min_u32_e32 v0, 32, v0
	v_mov_b32_e32 v81, v113
	v_subrev_nc_u32_e32 v2, 29, v0
	v_sub_nc_u32_e32 v0, 30, v0
	s_delay_alu instid0(VALU_DEP_2) | instskip(NEXT) | instid1(VALU_DEP_1)
	v_lshlrev_b64_e32 v[2:3], v2, v[80:81]
	v_and_b32_e32 v2, 3, v2
.LBB6_12900:                            ;   in Loop: Header=BB6_11393 Depth=4
	s_or_b32 exec_lo, exec_lo, s75
	v_bfe_i32 v3, v80, 0, 16
                                        ; implicit-def: $vgpr80
	s_delay_alu instid0(VALU_DEP_1) | instskip(NEXT) | instid1(VALU_DEP_1)
	v_and_b32_e32 v3, 0x80000000, v3
	v_lshl_add_u32 v0, v0, 23, v3
	s_delay_alu instid0(VALU_DEP_1) | instskip(NEXT) | instid1(VALU_DEP_1)
	v_lshl_or_b32 v0, v2, 21, v0
                                        ; implicit-def: $vgpr2
	v_add_nc_u32_e32 v0, 0x38000000, v0
.LBB6_12901:                            ;   in Loop: Header=BB6_11393 Depth=4
	s_and_not1_saveexec_b32 s75, s13
; %bb.12902:                            ;   in Loop: Header=BB6_11393 Depth=4
	v_cmp_lt_i16_e64 s13, -1, v80
	v_mov_b32_e32 v0, 0x7f800000
	v_cmp_eq_u32_e32 vcc_lo, 0, v2
	s_delay_alu instid0(VALU_DEP_2) | instskip(NEXT) | instid1(VALU_DEP_1)
	v_cndmask_b32_e64 v0, 0xff800000, v0, s13
	v_cndmask_b32_e32 v0, 0x7f800001, v0, vcc_lo
; %bb.12903:                            ;   in Loop: Header=BB6_11393 Depth=4
	s_or_b32 exec_lo, exec_lo, s75
.LBB6_12904:                            ;   in Loop: Header=BB6_11393 Depth=4
	s_delay_alu instid0(SALU_CYCLE_1)
	s_or_b32 exec_lo, exec_lo, s15
.LBB6_12905:                            ;   in Loop: Header=BB6_11393 Depth=4
	s_delay_alu instid0(SALU_CYCLE_1) | instskip(NEXT) | instid1(VALU_DEP_1)
	s_or_b32 exec_lo, exec_lo, s14
	v_add_f32_e32 v0, v1, v0
	v_mov_b32_e32 v3, v113
                                        ; implicit-def: $vgpr32
	s_mov_b32 s13, exec_lo
	s_delay_alu instid0(VALU_DEP_2) | instskip(SKIP_1) | instid1(VALU_DEP_2)
	v_and_b32_e32 v2, 0x7f800000, v0
	v_and_b32_e32 v112, 0x7fffff, v0
	v_cmpx_ne_u64_e32 0x7f800000, v[2:3]
	s_xor_b32 s14, exec_lo, s13
	s_cbranch_execz .LBB6_12923
; %bb.12906:                            ;   in Loop: Header=BB6_11393 Depth=4
	v_dual_mov_b32 v3, v113 :: v_dual_lshrrev_b32 v1, 24, v0
	v_and_b32_e32 v2, 0x7fffffff, v0
                                        ; implicit-def: $vgpr32
	s_mov_b32 s13, exec_lo
	s_delay_alu instid0(VALU_DEP_2) | instskip(NEXT) | instid1(VALU_DEP_2)
	v_and_b32_e32 v5, 0x80, v1
	v_cmpx_gt_u64_e32 0x47600001, v[2:3]
	s_xor_b32 s15, exec_lo, s13
	s_cbranch_execz .LBB6_12920
; %bb.12907:                            ;   in Loop: Header=BB6_11393 Depth=4
	v_mov_b32_e32 v32, 0
	s_mov_b32 s75, exec_lo
	v_cmpx_ne_u32_e32 0, v0
	s_cbranch_execz .LBB6_12919
; %bb.12908:                            ;   in Loop: Header=BB6_11393 Depth=4
	v_bfe_u32 v7, v0, 23, 8
	v_or_b32_e32 v1, 0x800000, v112
	s_delay_alu instid0(VALU_DEP_2) | instskip(SKIP_2) | instid1(VALU_DEP_2)
	v_cmp_gt_u32_e64 s13, 0x72, v7
	v_sub_nc_u32_e32 v0, 0x71, v7
	v_cmp_eq_u32_e32 vcc_lo, 0, v7
	v_cndmask_b32_e64 v0, 0, v0, s13
	s_delay_alu instid0(VALU_DEP_1) | instskip(SKIP_1) | instid1(VALU_DEP_2)
	v_cndmask_b32_e64 v17, v0, 0x70, vcc_lo
	v_cndmask_b32_e32 v0, v1, v112, vcc_lo
	v_dual_mov_b32 v1, v113 :: v_dual_add_nc_u32 v2, 21, v17
	v_add_nc_u32_e32 v25, 20, v17
	s_delay_alu instid0(VALU_DEP_2) | instskip(NEXT) | instid1(VALU_DEP_2)
	v_lshlrev_b64_e64 v[2:3], v2, -1
	v_lshlrev_b64_e64 v[32:33], v25, 1
	s_delay_alu instid0(VALU_DEP_2) | instskip(SKIP_1) | instid1(VALU_DEP_4)
	v_bfi_b32 v2, v2, 0, v0
	v_lshrrev_b64 v[0:1], v17, v[0:1]
	v_bfi_b32 v3, v3, 0, 0
	s_delay_alu instid0(VALU_DEP_1) | instskip(NEXT) | instid1(VALU_DEP_3)
	v_cmp_eq_u64_e64 s13, v[2:3], v[32:33]
	v_mov_b64_e32 v[2:3], v[0:1]
	s_and_saveexec_b32 s76, s13
; %bb.12909:                            ;   in Loop: Header=BB6_11393 Depth=4
	v_bfe_u32 v2, v0, 21, 1
	v_mov_b32_e32 v3, v113
	s_delay_alu instid0(VALU_DEP_1) | instskip(NEXT) | instid1(VALU_DEP_1)
	v_add_nc_u64_e32 v[2:3], v[0:1], v[2:3]
	v_add_nc_u64_e32 v[2:3], -1, v[2:3]
; %bb.12910:                            ;   in Loop: Header=BB6_11393 Depth=4
	s_or_b32 exec_lo, exec_lo, s76
	v_add_nc_u32_e32 v1, 0xffffff81, v7
	s_delay_alu instid0(VALU_DEP_2) | instskip(SKIP_2) | instid1(VALU_DEP_3)
	v_and_b32_e32 v2, 0x1fffff, v2
	v_lshrrev_b32_e32 v3, 23, v0
	s_mov_b32 s13, exec_lo
	v_cndmask_b32_e64 v1, v1, 0xffffff82, vcc_lo
	s_delay_alu instid0(VALU_DEP_3) | instskip(NEXT) | instid1(VALU_DEP_2)
	v_add_nc_u32_e32 v112, v2, v0
                                        ; implicit-def: $vgpr2
	v_add3_u32 v7, v17, v1, v3
                                        ; implicit-def: $vgpr0_vgpr1
	s_delay_alu instid0(VALU_DEP_1) | instskip(NEXT) | instid1(VALU_DEP_1)
	v_add_nc_u32_e32 v3, 14, v7
	v_cmpx_ne_u32_e32 0, v3
	s_xor_b32 s13, exec_lo, s13
; %bb.12911:                            ;   in Loop: Header=BB6_11393 Depth=4
	v_cmp_lt_u64_e32 vcc_lo, 0xffffff, v[112:113]
	v_add_nc_u32_e32 v0, 15, v7
	s_delay_alu instid0(VALU_DEP_1) | instskip(SKIP_1) | instid1(VALU_DEP_1)
	v_cndmask_b32_e32 v2, v3, v0, vcc_lo
	v_cndmask_b32_e64 v0, 0, 1, vcc_lo
	v_lshrrev_b64 v[0:1], v0, v[112:113]
; %bb.12912:                            ;   in Loop: Header=BB6_11393 Depth=4
	s_and_not1_saveexec_b32 s13, s13
; %bb.12913:                            ;   in Loop: Header=BB6_11393 Depth=4
	v_mov_b64_e32 v[0:1], v[112:113]
	v_bfe_u32 v2, v112, 23, 1
; %bb.12914:                            ;   in Loop: Header=BB6_11393 Depth=4
	s_or_b32 exec_lo, exec_lo, s13
	s_delay_alu instid0(VALU_DEP_2) | instskip(NEXT) | instid1(VALU_DEP_2)
	v_lshrrev_b64 v[0:1], 21, v[0:1]
	v_cmp_gt_i32_e32 vcc_lo, 32, v2
	v_cmp_ne_u32_e64 s13, 0, v2
                                        ; implicit-def: $vgpr32
	s_delay_alu instid0(VALU_DEP_3) | instskip(NEXT) | instid1(VALU_DEP_1)
	v_dual_cndmask_b32 v1, 0, v1 :: v_dual_cndmask_b32 v0, 3, v0
	v_cmp_ne_u64_e32 vcc_lo, 0, v[0:1]
	s_or_b32 s13, s13, vcc_lo
	s_delay_alu instid0(SALU_CYCLE_1) | instskip(NEXT) | instid1(SALU_CYCLE_1)
	s_and_saveexec_b32 s76, s13
	s_xor_b32 s13, exec_lo, s76
; %bb.12915:                            ;   in Loop: Header=BB6_11393 Depth=4
	v_min_i32_e32 v1, 31, v2
	s_delay_alu instid0(VALU_DEP_1) | instskip(NEXT) | instid1(VALU_DEP_1)
	v_lshl_or_b32 v1, v1, 2, v5
                                        ; implicit-def: $vgpr5
	v_and_or_b32 v32, v0, 3, v1
; %bb.12916:                            ;   in Loop: Header=BB6_11393 Depth=4
	s_and_not1_saveexec_b32 s13, s13
; %bb.12917:                            ;   in Loop: Header=BB6_11393 Depth=4
	v_mov_b32_e32 v32, v5
; %bb.12918:                            ;   in Loop: Header=BB6_11393 Depth=4
	s_or_b32 exec_lo, exec_lo, s13
.LBB6_12919:                            ;   in Loop: Header=BB6_11393 Depth=4
	s_delay_alu instid0(SALU_CYCLE_1)
	s_or_b32 exec_lo, exec_lo, s75
                                        ; implicit-def: $vgpr5
.LBB6_12920:                            ;   in Loop: Header=BB6_11393 Depth=4
	s_and_not1_saveexec_b32 s13, s15
; %bb.12921:                            ;   in Loop: Header=BB6_11393 Depth=4
	v_or_b32_e32 v32, 0x7b, v5
; %bb.12922:                            ;   in Loop: Header=BB6_11393 Depth=4
	s_or_b32 exec_lo, exec_lo, s13
                                        ; implicit-def: $vgpr0
.LBB6_12923:                            ;   in Loop: Header=BB6_11393 Depth=4
	s_and_not1_saveexec_b32 s13, s14
	s_cbranch_execz .LBB6_12929
; %bb.12924:                            ;   in Loop: Header=BB6_11393 Depth=4
	s_mov_b32 s14, exec_lo
                                        ; implicit-def: $vgpr32
	v_cmpx_ne_u64_e32 0, v[112:113]
	s_xor_b32 s14, exec_lo, s14
; %bb.12925:                            ;   in Loop: Header=BB6_11393 Depth=4
	v_lshrrev_b32_e32 v0, 24, v0
	s_delay_alu instid0(VALU_DEP_1)
	v_or_b32_e32 v32, 0x7f, v0
                                        ; implicit-def: $vgpr0
; %bb.12926:                            ;   in Loop: Header=BB6_11393 Depth=4
	s_and_not1_saveexec_b32 s14, s14
; %bb.12927:                            ;   in Loop: Header=BB6_11393 Depth=4
	v_cmp_lt_i32_e32 vcc_lo, -1, v0
	v_cndmask_b32_e64 v32, -4, 0x7c, vcc_lo
; %bb.12928:                            ;   in Loop: Header=BB6_11393 Depth=4
	s_or_b32 exec_lo, exec_lo, s14
.LBB6_12929:                            ;   in Loop: Header=BB6_11393 Depth=4
	s_delay_alu instid0(SALU_CYCLE_1) | instskip(SKIP_3) | instid1(VALU_DEP_2)
	s_or_b32 exec_lo, exec_lo, s13
	v_and_b32_e32 v3, 0xff, v4
	v_dual_mov_b32 v0, 0 :: v_dual_mov_b32 v1, 0
	s_mov_b32 s14, exec_lo
	v_cmpx_ne_u16_e32 0, v3
	s_cbranch_execz .LBB6_12939
; %bb.12930:                            ;   in Loop: Header=BB6_11393 Depth=4
	v_bfrev_b32_e32 v1, 1
	s_mov_b32 s15, exec_lo
	v_cmpx_ne_u16_e32 0x80, v3
	s_cbranch_execz .LBB6_12938
; %bb.12931:                            ;   in Loop: Header=BB6_11393 Depth=4
	v_and_b32_e32 v1, 0x7c, v4
	v_and_b32_e32 v2, 3, v4
	s_delay_alu instid0(VALU_DEP_2) | instskip(SKIP_1) | instid1(SALU_CYCLE_1)
	v_cmp_ne_u32_e32 vcc_lo, 0x7c, v1
                                        ; implicit-def: $vgpr1
	s_and_saveexec_b32 s13, vcc_lo
	s_xor_b32 s13, exec_lo, s13
	s_cbranch_execz .LBB6_12935
; %bb.12932:                            ;   in Loop: Header=BB6_11393 Depth=4
	v_bfe_u32 v1, v3, 2, 5
	s_mov_b32 s75, exec_lo
	s_delay_alu instid0(VALU_DEP_1)
	v_cmpx_eq_u32_e32 0, v1
	s_cbranch_execz .LBB6_12934
; %bb.12933:                            ;   in Loop: Header=BB6_11393 Depth=4
	v_clz_i32_u32_e32 v1, v2
	s_delay_alu instid0(VALU_DEP_1) | instskip(SKIP_1) | instid1(VALU_DEP_2)
	v_min_u32_e32 v1, 32, v1
	v_mov_b32_e32 v5, v113
	v_subrev_nc_u32_e32 v2, 29, v1
	v_sub_nc_u32_e32 v1, 30, v1
	s_delay_alu instid0(VALU_DEP_2) | instskip(NEXT) | instid1(VALU_DEP_1)
	v_lshlrev_b64_e32 v[2:3], v2, v[4:5]
	v_and_b32_e32 v2, 3, v2
.LBB6_12934:                            ;   in Loop: Header=BB6_11393 Depth=4
	s_or_b32 exec_lo, exec_lo, s75
	v_lshlrev_b32_e32 v3, 24, v4
                                        ; implicit-def: $vgpr4
	s_delay_alu instid0(VALU_DEP_1) | instskip(NEXT) | instid1(VALU_DEP_1)
	v_and_b32_e32 v3, 0x80000000, v3
	v_lshl_add_u32 v1, v1, 23, v3
	s_delay_alu instid0(VALU_DEP_1) | instskip(NEXT) | instid1(VALU_DEP_1)
	v_lshl_or_b32 v1, v2, 21, v1
                                        ; implicit-def: $vgpr2
	v_add_nc_u32_e32 v1, 0x38000000, v1
.LBB6_12935:                            ;   in Loop: Header=BB6_11393 Depth=4
	s_and_not1_saveexec_b32 s75, s13
; %bb.12936:                            ;   in Loop: Header=BB6_11393 Depth=4
	v_bfe_i32 v1, v4, 0, 8
	v_cmp_eq_u32_e32 vcc_lo, 0, v2
	s_delay_alu instid0(VALU_DEP_2) | instskip(SKIP_1) | instid1(VALU_DEP_1)
	v_cmp_lt_i16_e64 s13, -1, v1
	v_mov_b32_e32 v1, 0x7f800000
	v_cndmask_b32_e64 v1, 0xff800000, v1, s13
	s_delay_alu instid0(VALU_DEP_1)
	v_cndmask_b32_e32 v1, 0x7f800001, v1, vcc_lo
; %bb.12937:                            ;   in Loop: Header=BB6_11393 Depth=4
	s_or_b32 exec_lo, exec_lo, s75
.LBB6_12938:                            ;   in Loop: Header=BB6_11393 Depth=4
	s_delay_alu instid0(SALU_CYCLE_1)
	s_or_b32 exec_lo, exec_lo, s15
.LBB6_12939:                            ;   in Loop: Header=BB6_11393 Depth=4
	s_delay_alu instid0(SALU_CYCLE_1) | instskip(NEXT) | instid1(SALU_CYCLE_1)
	s_or_b32 exec_lo, exec_lo, s14
	s_mov_b32 s14, exec_lo
	s_wait_loadcnt_dscnt 0x1515
	v_cmpx_ne_u16_e32 0, v48
	s_cbranch_execz .LBB6_12949
; %bb.12940:                            ;   in Loop: Header=BB6_11393 Depth=4
	v_bfrev_b32_e32 v0, 1
	s_mov_b32 s15, exec_lo
	v_cmpx_ne_u16_e32 0xff80, v48
	s_cbranch_execz .LBB6_12948
; %bb.12941:                            ;   in Loop: Header=BB6_11393 Depth=4
	v_and_b32_e32 v0, 0x7c, v48
	v_and_b32_e32 v2, 3, v48
	s_delay_alu instid0(VALU_DEP_2) | instskip(SKIP_1) | instid1(SALU_CYCLE_1)
	v_cmp_ne_u32_e32 vcc_lo, 0x7c, v0
                                        ; implicit-def: $vgpr0
	s_and_saveexec_b32 s13, vcc_lo
	s_xor_b32 s13, exec_lo, s13
	s_cbranch_execz .LBB6_12945
; %bb.12942:                            ;   in Loop: Header=BB6_11393 Depth=4
	v_and_b32_e32 v0, 0xff, v48
	s_mov_b32 s75, exec_lo
	s_delay_alu instid0(VALU_DEP_1) | instskip(NEXT) | instid1(VALU_DEP_1)
	v_bfe_u32 v0, v0, 2, 5
	v_cmpx_eq_u32_e32 0, v0
	s_cbranch_execz .LBB6_12944
; %bb.12943:                            ;   in Loop: Header=BB6_11393 Depth=4
	v_clz_i32_u32_e32 v0, v2
	s_delay_alu instid0(VALU_DEP_1) | instskip(SKIP_1) | instid1(VALU_DEP_2)
	v_min_u32_e32 v0, 32, v0
	v_mov_b32_e32 v49, v113
	v_subrev_nc_u32_e32 v2, 29, v0
	v_sub_nc_u32_e32 v0, 30, v0
	s_delay_alu instid0(VALU_DEP_2) | instskip(NEXT) | instid1(VALU_DEP_1)
	v_lshlrev_b64_e32 v[2:3], v2, v[48:49]
	v_and_b32_e32 v2, 3, v2
.LBB6_12944:                            ;   in Loop: Header=BB6_11393 Depth=4
	s_or_b32 exec_lo, exec_lo, s75
	v_bfe_i32 v3, v48, 0, 16
                                        ; implicit-def: $vgpr48
	s_delay_alu instid0(VALU_DEP_1) | instskip(NEXT) | instid1(VALU_DEP_1)
	v_and_b32_e32 v3, 0x80000000, v3
	v_lshl_add_u32 v0, v0, 23, v3
	s_delay_alu instid0(VALU_DEP_1) | instskip(NEXT) | instid1(VALU_DEP_1)
	v_lshl_or_b32 v0, v2, 21, v0
                                        ; implicit-def: $vgpr2
	v_add_nc_u32_e32 v0, 0x38000000, v0
.LBB6_12945:                            ;   in Loop: Header=BB6_11393 Depth=4
	s_and_not1_saveexec_b32 s75, s13
; %bb.12946:                            ;   in Loop: Header=BB6_11393 Depth=4
	v_cmp_lt_i16_e64 s13, -1, v48
	v_mov_b32_e32 v0, 0x7f800000
	v_cmp_eq_u32_e32 vcc_lo, 0, v2
	s_delay_alu instid0(VALU_DEP_2) | instskip(NEXT) | instid1(VALU_DEP_1)
	v_cndmask_b32_e64 v0, 0xff800000, v0, s13
	v_cndmask_b32_e32 v0, 0x7f800001, v0, vcc_lo
; %bb.12947:                            ;   in Loop: Header=BB6_11393 Depth=4
	s_or_b32 exec_lo, exec_lo, s75
.LBB6_12948:                            ;   in Loop: Header=BB6_11393 Depth=4
	s_delay_alu instid0(SALU_CYCLE_1)
	s_or_b32 exec_lo, exec_lo, s15
.LBB6_12949:                            ;   in Loop: Header=BB6_11393 Depth=4
	s_delay_alu instid0(SALU_CYCLE_1) | instskip(NEXT) | instid1(VALU_DEP_1)
	s_or_b32 exec_lo, exec_lo, s14
	v_add_f32_e32 v0, v1, v0
	v_mov_b32_e32 v3, v113
                                        ; implicit-def: $vgpr4
	s_mov_b32 s13, exec_lo
	s_delay_alu instid0(VALU_DEP_2) | instskip(SKIP_1) | instid1(VALU_DEP_2)
	v_and_b32_e32 v2, 0x7f800000, v0
	v_and_b32_e32 v112, 0x7fffff, v0
	v_cmpx_ne_u64_e32 0x7f800000, v[2:3]
	s_xor_b32 s14, exec_lo, s13
	s_cbranch_execz .LBB6_12967
; %bb.12950:                            ;   in Loop: Header=BB6_11393 Depth=4
	v_dual_mov_b32 v3, v113 :: v_dual_lshrrev_b32 v1, 24, v0
	v_and_b32_e32 v2, 0x7fffffff, v0
                                        ; implicit-def: $vgpr4
	s_mov_b32 s13, exec_lo
	s_delay_alu instid0(VALU_DEP_2) | instskip(NEXT) | instid1(VALU_DEP_2)
	v_and_b32_e32 v5, 0x80, v1
	v_cmpx_gt_u64_e32 0x47600001, v[2:3]
	s_xor_b32 s15, exec_lo, s13
	s_cbranch_execz .LBB6_12964
; %bb.12951:                            ;   in Loop: Header=BB6_11393 Depth=4
	v_mov_b32_e32 v4, 0
	s_mov_b32 s75, exec_lo
	v_cmpx_ne_u32_e32 0, v0
	s_cbranch_execz .LBB6_12963
; %bb.12952:                            ;   in Loop: Header=BB6_11393 Depth=4
	v_bfe_u32 v4, v0, 23, 8
	v_or_b32_e32 v1, 0x800000, v112
	s_delay_alu instid0(VALU_DEP_2) | instskip(SKIP_2) | instid1(VALU_DEP_2)
	v_cmp_gt_u32_e64 s13, 0x72, v4
	v_sub_nc_u32_e32 v0, 0x71, v4
	v_cmp_eq_u32_e32 vcc_lo, 0, v4
	v_cndmask_b32_e64 v0, 0, v0, s13
	s_delay_alu instid0(VALU_DEP_1) | instskip(SKIP_1) | instid1(VALU_DEP_2)
	v_cndmask_b32_e64 v7, v0, 0x70, vcc_lo
	v_cndmask_b32_e32 v0, v1, v112, vcc_lo
	v_dual_mov_b32 v1, v113 :: v_dual_add_nc_u32 v2, 21, v7
	v_add_nc_u32_e32 v17, 20, v7
	s_delay_alu instid0(VALU_DEP_2) | instskip(NEXT) | instid1(VALU_DEP_2)
	v_lshlrev_b64_e64 v[2:3], v2, -1
	v_lshlrev_b64_e64 v[48:49], v17, 1
	s_delay_alu instid0(VALU_DEP_2) | instskip(SKIP_1) | instid1(VALU_DEP_4)
	v_bfi_b32 v2, v2, 0, v0
	v_lshrrev_b64 v[0:1], v7, v[0:1]
	v_bfi_b32 v3, v3, 0, 0
	s_delay_alu instid0(VALU_DEP_1) | instskip(NEXT) | instid1(VALU_DEP_3)
	v_cmp_eq_u64_e64 s13, v[2:3], v[48:49]
	v_mov_b64_e32 v[2:3], v[0:1]
	s_and_saveexec_b32 s76, s13
; %bb.12953:                            ;   in Loop: Header=BB6_11393 Depth=4
	v_bfe_u32 v2, v0, 21, 1
	v_mov_b32_e32 v3, v113
	s_delay_alu instid0(VALU_DEP_1) | instskip(NEXT) | instid1(VALU_DEP_1)
	v_add_nc_u64_e32 v[2:3], v[0:1], v[2:3]
	v_add_nc_u64_e32 v[2:3], -1, v[2:3]
; %bb.12954:                            ;   in Loop: Header=BB6_11393 Depth=4
	s_or_b32 exec_lo, exec_lo, s76
	v_add_nc_u32_e32 v1, 0xffffff81, v4
	s_delay_alu instid0(VALU_DEP_2) | instskip(SKIP_2) | instid1(VALU_DEP_3)
	v_and_b32_e32 v2, 0x1fffff, v2
	v_lshrrev_b32_e32 v3, 23, v0
	s_mov_b32 s13, exec_lo
	v_cndmask_b32_e64 v1, v1, 0xffffff82, vcc_lo
	s_delay_alu instid0(VALU_DEP_3) | instskip(NEXT) | instid1(VALU_DEP_2)
	v_add_nc_u32_e32 v112, v2, v0
                                        ; implicit-def: $vgpr2
	v_add3_u32 v4, v7, v1, v3
                                        ; implicit-def: $vgpr0_vgpr1
	s_delay_alu instid0(VALU_DEP_1) | instskip(NEXT) | instid1(VALU_DEP_1)
	v_add_nc_u32_e32 v3, 14, v4
	v_cmpx_ne_u32_e32 0, v3
	s_xor_b32 s13, exec_lo, s13
; %bb.12955:                            ;   in Loop: Header=BB6_11393 Depth=4
	v_cmp_lt_u64_e32 vcc_lo, 0xffffff, v[112:113]
	v_add_nc_u32_e32 v0, 15, v4
	s_delay_alu instid0(VALU_DEP_1) | instskip(SKIP_1) | instid1(VALU_DEP_1)
	v_cndmask_b32_e32 v2, v3, v0, vcc_lo
	v_cndmask_b32_e64 v0, 0, 1, vcc_lo
	v_lshrrev_b64 v[0:1], v0, v[112:113]
; %bb.12956:                            ;   in Loop: Header=BB6_11393 Depth=4
	s_and_not1_saveexec_b32 s13, s13
; %bb.12957:                            ;   in Loop: Header=BB6_11393 Depth=4
	v_mov_b64_e32 v[0:1], v[112:113]
	v_bfe_u32 v2, v112, 23, 1
; %bb.12958:                            ;   in Loop: Header=BB6_11393 Depth=4
	s_or_b32 exec_lo, exec_lo, s13
	s_delay_alu instid0(VALU_DEP_2) | instskip(NEXT) | instid1(VALU_DEP_2)
	v_lshrrev_b64 v[0:1], 21, v[0:1]
	v_cmp_gt_i32_e32 vcc_lo, 32, v2
	v_cmp_ne_u32_e64 s13, 0, v2
                                        ; implicit-def: $vgpr4
	s_delay_alu instid0(VALU_DEP_3) | instskip(NEXT) | instid1(VALU_DEP_1)
	v_dual_cndmask_b32 v1, 0, v1 :: v_dual_cndmask_b32 v0, 3, v0
	v_cmp_ne_u64_e32 vcc_lo, 0, v[0:1]
	s_or_b32 s13, s13, vcc_lo
	s_delay_alu instid0(SALU_CYCLE_1) | instskip(NEXT) | instid1(SALU_CYCLE_1)
	s_and_saveexec_b32 s76, s13
	s_xor_b32 s13, exec_lo, s76
; %bb.12959:                            ;   in Loop: Header=BB6_11393 Depth=4
	v_min_i32_e32 v1, 31, v2
	s_delay_alu instid0(VALU_DEP_1) | instskip(NEXT) | instid1(VALU_DEP_1)
	v_lshl_or_b32 v1, v1, 2, v5
                                        ; implicit-def: $vgpr5
	v_and_or_b32 v4, v0, 3, v1
; %bb.12960:                            ;   in Loop: Header=BB6_11393 Depth=4
	s_and_not1_saveexec_b32 s13, s13
; %bb.12961:                            ;   in Loop: Header=BB6_11393 Depth=4
	v_mov_b32_e32 v4, v5
; %bb.12962:                            ;   in Loop: Header=BB6_11393 Depth=4
	s_or_b32 exec_lo, exec_lo, s13
.LBB6_12963:                            ;   in Loop: Header=BB6_11393 Depth=4
	s_delay_alu instid0(SALU_CYCLE_1)
	s_or_b32 exec_lo, exec_lo, s75
                                        ; implicit-def: $vgpr5
.LBB6_12964:                            ;   in Loop: Header=BB6_11393 Depth=4
	s_and_not1_saveexec_b32 s13, s15
; %bb.12965:                            ;   in Loop: Header=BB6_11393 Depth=4
	v_or_b32_e32 v4, 0x7b, v5
; %bb.12966:                            ;   in Loop: Header=BB6_11393 Depth=4
	s_or_b32 exec_lo, exec_lo, s13
                                        ; implicit-def: $vgpr0
.LBB6_12967:                            ;   in Loop: Header=BB6_11393 Depth=4
	s_and_not1_saveexec_b32 s13, s14
	s_cbranch_execz .LBB6_12973
; %bb.12968:                            ;   in Loop: Header=BB6_11393 Depth=4
	s_mov_b32 s14, exec_lo
                                        ; implicit-def: $vgpr4
	v_cmpx_ne_u64_e32 0, v[112:113]
	s_xor_b32 s14, exec_lo, s14
; %bb.12969:                            ;   in Loop: Header=BB6_11393 Depth=4
	v_lshrrev_b32_e32 v0, 24, v0
	s_delay_alu instid0(VALU_DEP_1)
	v_or_b32_e32 v4, 0x7f, v0
                                        ; implicit-def: $vgpr0
; %bb.12970:                            ;   in Loop: Header=BB6_11393 Depth=4
	s_and_not1_saveexec_b32 s14, s14
; %bb.12971:                            ;   in Loop: Header=BB6_11393 Depth=4
	v_cmp_lt_i32_e32 vcc_lo, -1, v0
	v_cndmask_b32_e64 v4, -4, 0x7c, vcc_lo
; %bb.12972:                            ;   in Loop: Header=BB6_11393 Depth=4
	s_or_b32 exec_lo, exec_lo, s14
.LBB6_12973:                            ;   in Loop: Header=BB6_11393 Depth=4
	s_delay_alu instid0(SALU_CYCLE_1) | instskip(SKIP_3) | instid1(VALU_DEP_2)
	s_or_b32 exec_lo, exec_lo, s13
	v_and_b32_e32 v3, 0xff, v82
	v_dual_mov_b32 v0, 0 :: v_dual_mov_b32 v1, 0
	s_mov_b32 s14, exec_lo
	v_cmpx_ne_u16_e32 0, v3
	s_cbranch_execz .LBB6_12983
; %bb.12974:                            ;   in Loop: Header=BB6_11393 Depth=4
	v_bfrev_b32_e32 v1, 1
	s_mov_b32 s15, exec_lo
	v_cmpx_ne_u16_e32 0x80, v3
	s_cbranch_execz .LBB6_12982
; %bb.12975:                            ;   in Loop: Header=BB6_11393 Depth=4
	v_and_b32_e32 v1, 0x7c, v82
	v_and_b32_e32 v2, 3, v82
	s_delay_alu instid0(VALU_DEP_2) | instskip(SKIP_1) | instid1(SALU_CYCLE_1)
	v_cmp_ne_u32_e32 vcc_lo, 0x7c, v1
                                        ; implicit-def: $vgpr1
	s_and_saveexec_b32 s13, vcc_lo
	s_xor_b32 s13, exec_lo, s13
	s_cbranch_execz .LBB6_12979
; %bb.12976:                            ;   in Loop: Header=BB6_11393 Depth=4
	v_bfe_u32 v1, v3, 2, 5
	s_mov_b32 s75, exec_lo
	s_delay_alu instid0(VALU_DEP_1)
	v_cmpx_eq_u32_e32 0, v1
	s_cbranch_execz .LBB6_12978
; %bb.12977:                            ;   in Loop: Header=BB6_11393 Depth=4
	v_clz_i32_u32_e32 v1, v2
	s_delay_alu instid0(VALU_DEP_1) | instskip(SKIP_1) | instid1(VALU_DEP_2)
	v_min_u32_e32 v1, 32, v1
	v_mov_b32_e32 v83, v113
	v_subrev_nc_u32_e32 v2, 29, v1
	v_sub_nc_u32_e32 v1, 30, v1
	s_delay_alu instid0(VALU_DEP_2) | instskip(NEXT) | instid1(VALU_DEP_1)
	v_lshlrev_b64_e32 v[2:3], v2, v[82:83]
	v_and_b32_e32 v2, 3, v2
.LBB6_12978:                            ;   in Loop: Header=BB6_11393 Depth=4
	s_or_b32 exec_lo, exec_lo, s75
	v_lshlrev_b32_e32 v3, 24, v82
                                        ; implicit-def: $vgpr82
	s_delay_alu instid0(VALU_DEP_1) | instskip(NEXT) | instid1(VALU_DEP_1)
	v_and_b32_e32 v3, 0x80000000, v3
	v_lshl_add_u32 v1, v1, 23, v3
	s_delay_alu instid0(VALU_DEP_1) | instskip(NEXT) | instid1(VALU_DEP_1)
	v_lshl_or_b32 v1, v2, 21, v1
                                        ; implicit-def: $vgpr2
	v_add_nc_u32_e32 v1, 0x38000000, v1
.LBB6_12979:                            ;   in Loop: Header=BB6_11393 Depth=4
	s_and_not1_saveexec_b32 s75, s13
; %bb.12980:                            ;   in Loop: Header=BB6_11393 Depth=4
	v_bfe_i32 v1, v82, 0, 8
	v_cmp_eq_u32_e32 vcc_lo, 0, v2
	s_delay_alu instid0(VALU_DEP_2) | instskip(SKIP_1) | instid1(VALU_DEP_1)
	v_cmp_lt_i16_e64 s13, -1, v1
	v_mov_b32_e32 v1, 0x7f800000
	v_cndmask_b32_e64 v1, 0xff800000, v1, s13
	s_delay_alu instid0(VALU_DEP_1)
	v_cndmask_b32_e32 v1, 0x7f800001, v1, vcc_lo
; %bb.12981:                            ;   in Loop: Header=BB6_11393 Depth=4
	s_or_b32 exec_lo, exec_lo, s75
.LBB6_12982:                            ;   in Loop: Header=BB6_11393 Depth=4
	s_delay_alu instid0(SALU_CYCLE_1)
	s_or_b32 exec_lo, exec_lo, s15
.LBB6_12983:                            ;   in Loop: Header=BB6_11393 Depth=4
	s_delay_alu instid0(SALU_CYCLE_1) | instskip(NEXT) | instid1(SALU_CYCLE_1)
	s_or_b32 exec_lo, exec_lo, s14
	s_mov_b32 s14, exec_lo
	s_wait_loadcnt_dscnt 0x1414
	v_cmpx_ne_u16_e32 0, v52
	s_cbranch_execz .LBB6_12993
; %bb.12984:                            ;   in Loop: Header=BB6_11393 Depth=4
	v_bfrev_b32_e32 v0, 1
	s_mov_b32 s15, exec_lo
	v_cmpx_ne_u16_e32 0xff80, v52
	s_cbranch_execz .LBB6_12992
; %bb.12985:                            ;   in Loop: Header=BB6_11393 Depth=4
	v_and_b32_e32 v0, 0x7c, v52
	v_and_b32_e32 v2, 3, v52
	s_delay_alu instid0(VALU_DEP_2) | instskip(SKIP_1) | instid1(SALU_CYCLE_1)
	v_cmp_ne_u32_e32 vcc_lo, 0x7c, v0
                                        ; implicit-def: $vgpr0
	s_and_saveexec_b32 s13, vcc_lo
	s_xor_b32 s13, exec_lo, s13
	s_cbranch_execz .LBB6_12989
; %bb.12986:                            ;   in Loop: Header=BB6_11393 Depth=4
	v_and_b32_e32 v0, 0xff, v52
	s_mov_b32 s75, exec_lo
	s_delay_alu instid0(VALU_DEP_1) | instskip(NEXT) | instid1(VALU_DEP_1)
	v_bfe_u32 v0, v0, 2, 5
	v_cmpx_eq_u32_e32 0, v0
	s_cbranch_execz .LBB6_12988
; %bb.12987:                            ;   in Loop: Header=BB6_11393 Depth=4
	v_clz_i32_u32_e32 v0, v2
	s_delay_alu instid0(VALU_DEP_1) | instskip(SKIP_1) | instid1(VALU_DEP_2)
	v_min_u32_e32 v0, 32, v0
	v_mov_b32_e32 v53, v113
	v_subrev_nc_u32_e32 v2, 29, v0
	v_sub_nc_u32_e32 v0, 30, v0
	s_delay_alu instid0(VALU_DEP_2) | instskip(NEXT) | instid1(VALU_DEP_1)
	v_lshlrev_b64_e32 v[2:3], v2, v[52:53]
	v_and_b32_e32 v2, 3, v2
.LBB6_12988:                            ;   in Loop: Header=BB6_11393 Depth=4
	s_or_b32 exec_lo, exec_lo, s75
	v_bfe_i32 v3, v52, 0, 16
                                        ; implicit-def: $vgpr52
	s_delay_alu instid0(VALU_DEP_1) | instskip(NEXT) | instid1(VALU_DEP_1)
	v_and_b32_e32 v3, 0x80000000, v3
	v_lshl_add_u32 v0, v0, 23, v3
	s_delay_alu instid0(VALU_DEP_1) | instskip(NEXT) | instid1(VALU_DEP_1)
	v_lshl_or_b32 v0, v2, 21, v0
                                        ; implicit-def: $vgpr2
	v_add_nc_u32_e32 v0, 0x38000000, v0
.LBB6_12989:                            ;   in Loop: Header=BB6_11393 Depth=4
	s_and_not1_saveexec_b32 s75, s13
; %bb.12990:                            ;   in Loop: Header=BB6_11393 Depth=4
	v_cmp_lt_i16_e64 s13, -1, v52
	v_mov_b32_e32 v0, 0x7f800000
	v_cmp_eq_u32_e32 vcc_lo, 0, v2
	s_delay_alu instid0(VALU_DEP_2) | instskip(NEXT) | instid1(VALU_DEP_1)
	v_cndmask_b32_e64 v0, 0xff800000, v0, s13
	v_cndmask_b32_e32 v0, 0x7f800001, v0, vcc_lo
; %bb.12991:                            ;   in Loop: Header=BB6_11393 Depth=4
	s_or_b32 exec_lo, exec_lo, s75
.LBB6_12992:                            ;   in Loop: Header=BB6_11393 Depth=4
	s_delay_alu instid0(SALU_CYCLE_1)
	s_or_b32 exec_lo, exec_lo, s15
.LBB6_12993:                            ;   in Loop: Header=BB6_11393 Depth=4
	s_delay_alu instid0(SALU_CYCLE_1) | instskip(NEXT) | instid1(VALU_DEP_1)
	s_or_b32 exec_lo, exec_lo, s14
	v_add_f32_e32 v0, v1, v0
	v_mov_b32_e32 v3, v113
                                        ; implicit-def: $vgpr5
	s_mov_b32 s13, exec_lo
	s_delay_alu instid0(VALU_DEP_2) | instskip(SKIP_1) | instid1(VALU_DEP_2)
	v_and_b32_e32 v2, 0x7f800000, v0
	v_and_b32_e32 v112, 0x7fffff, v0
	v_cmpx_ne_u64_e32 0x7f800000, v[2:3]
	s_xor_b32 s14, exec_lo, s13
	s_cbranch_execz .LBB6_13011
; %bb.12994:                            ;   in Loop: Header=BB6_11393 Depth=4
	v_dual_mov_b32 v3, v113 :: v_dual_lshrrev_b32 v1, 24, v0
	v_and_b32_e32 v2, 0x7fffffff, v0
                                        ; implicit-def: $vgpr5
	s_mov_b32 s13, exec_lo
	s_delay_alu instid0(VALU_DEP_2) | instskip(NEXT) | instid1(VALU_DEP_2)
	v_and_b32_e32 v7, 0x80, v1
	v_cmpx_gt_u64_e32 0x47600001, v[2:3]
	s_xor_b32 s15, exec_lo, s13
	s_cbranch_execz .LBB6_13008
; %bb.12995:                            ;   in Loop: Header=BB6_11393 Depth=4
	v_mov_b32_e32 v5, 0
	s_mov_b32 s75, exec_lo
	v_cmpx_ne_u32_e32 0, v0
	s_cbranch_execz .LBB6_13007
; %bb.12996:                            ;   in Loop: Header=BB6_11393 Depth=4
	v_bfe_u32 v5, v0, 23, 8
	v_or_b32_e32 v1, 0x800000, v112
	s_delay_alu instid0(VALU_DEP_2) | instskip(SKIP_2) | instid1(VALU_DEP_2)
	v_cmp_gt_u32_e64 s13, 0x72, v5
	v_sub_nc_u32_e32 v0, 0x71, v5
	v_cmp_eq_u32_e32 vcc_lo, 0, v5
	v_cndmask_b32_e64 v0, 0, v0, s13
	s_delay_alu instid0(VALU_DEP_1) | instskip(SKIP_1) | instid1(VALU_DEP_2)
	v_cndmask_b32_e64 v17, v0, 0x70, vcc_lo
	v_cndmask_b32_e32 v0, v1, v112, vcc_lo
	v_dual_mov_b32 v1, v113 :: v_dual_add_nc_u32 v2, 21, v17
	v_add_nc_u32_e32 v25, 20, v17
	s_delay_alu instid0(VALU_DEP_2) | instskip(NEXT) | instid1(VALU_DEP_2)
	v_lshlrev_b64_e64 v[2:3], v2, -1
	v_lshlrev_b64_e64 v[48:49], v25, 1
	s_delay_alu instid0(VALU_DEP_2) | instskip(SKIP_1) | instid1(VALU_DEP_4)
	v_bfi_b32 v2, v2, 0, v0
	v_lshrrev_b64 v[0:1], v17, v[0:1]
	v_bfi_b32 v3, v3, 0, 0
	s_delay_alu instid0(VALU_DEP_1) | instskip(NEXT) | instid1(VALU_DEP_3)
	v_cmp_eq_u64_e64 s13, v[2:3], v[48:49]
	v_mov_b64_e32 v[2:3], v[0:1]
	s_and_saveexec_b32 s76, s13
; %bb.12997:                            ;   in Loop: Header=BB6_11393 Depth=4
	v_bfe_u32 v2, v0, 21, 1
	v_mov_b32_e32 v3, v113
	s_delay_alu instid0(VALU_DEP_1) | instskip(NEXT) | instid1(VALU_DEP_1)
	v_add_nc_u64_e32 v[2:3], v[0:1], v[2:3]
	v_add_nc_u64_e32 v[2:3], -1, v[2:3]
; %bb.12998:                            ;   in Loop: Header=BB6_11393 Depth=4
	s_or_b32 exec_lo, exec_lo, s76
	v_add_nc_u32_e32 v1, 0xffffff81, v5
	s_delay_alu instid0(VALU_DEP_2) | instskip(SKIP_2) | instid1(VALU_DEP_3)
	v_and_b32_e32 v2, 0x1fffff, v2
	v_lshrrev_b32_e32 v3, 23, v0
	s_mov_b32 s13, exec_lo
	v_cndmask_b32_e64 v1, v1, 0xffffff82, vcc_lo
	s_delay_alu instid0(VALU_DEP_3) | instskip(NEXT) | instid1(VALU_DEP_2)
	v_add_nc_u32_e32 v112, v2, v0
                                        ; implicit-def: $vgpr2
	v_add3_u32 v5, v17, v1, v3
                                        ; implicit-def: $vgpr0_vgpr1
	s_delay_alu instid0(VALU_DEP_1) | instskip(NEXT) | instid1(VALU_DEP_1)
	v_add_nc_u32_e32 v3, 14, v5
	v_cmpx_ne_u32_e32 0, v3
	s_xor_b32 s13, exec_lo, s13
; %bb.12999:                            ;   in Loop: Header=BB6_11393 Depth=4
	v_cmp_lt_u64_e32 vcc_lo, 0xffffff, v[112:113]
	v_add_nc_u32_e32 v0, 15, v5
	s_delay_alu instid0(VALU_DEP_1) | instskip(SKIP_1) | instid1(VALU_DEP_1)
	v_cndmask_b32_e32 v2, v3, v0, vcc_lo
	v_cndmask_b32_e64 v0, 0, 1, vcc_lo
	v_lshrrev_b64 v[0:1], v0, v[112:113]
; %bb.13000:                            ;   in Loop: Header=BB6_11393 Depth=4
	s_and_not1_saveexec_b32 s13, s13
; %bb.13001:                            ;   in Loop: Header=BB6_11393 Depth=4
	v_mov_b64_e32 v[0:1], v[112:113]
	v_bfe_u32 v2, v112, 23, 1
; %bb.13002:                            ;   in Loop: Header=BB6_11393 Depth=4
	s_or_b32 exec_lo, exec_lo, s13
	s_delay_alu instid0(VALU_DEP_2) | instskip(NEXT) | instid1(VALU_DEP_2)
	v_lshrrev_b64 v[0:1], 21, v[0:1]
	v_cmp_gt_i32_e32 vcc_lo, 32, v2
	v_cmp_ne_u32_e64 s13, 0, v2
                                        ; implicit-def: $vgpr5
	s_delay_alu instid0(VALU_DEP_3) | instskip(NEXT) | instid1(VALU_DEP_1)
	v_dual_cndmask_b32 v1, 0, v1 :: v_dual_cndmask_b32 v0, 3, v0
	v_cmp_ne_u64_e32 vcc_lo, 0, v[0:1]
	s_or_b32 s13, s13, vcc_lo
	s_delay_alu instid0(SALU_CYCLE_1) | instskip(NEXT) | instid1(SALU_CYCLE_1)
	s_and_saveexec_b32 s76, s13
	s_xor_b32 s13, exec_lo, s76
; %bb.13003:                            ;   in Loop: Header=BB6_11393 Depth=4
	v_min_i32_e32 v1, 31, v2
	s_delay_alu instid0(VALU_DEP_1) | instskip(NEXT) | instid1(VALU_DEP_1)
	v_lshl_or_b32 v1, v1, 2, v7
                                        ; implicit-def: $vgpr7
	v_and_or_b32 v5, v0, 3, v1
; %bb.13004:                            ;   in Loop: Header=BB6_11393 Depth=4
	s_and_not1_saveexec_b32 s13, s13
; %bb.13005:                            ;   in Loop: Header=BB6_11393 Depth=4
	v_mov_b32_e32 v5, v7
; %bb.13006:                            ;   in Loop: Header=BB6_11393 Depth=4
	s_or_b32 exec_lo, exec_lo, s13
.LBB6_13007:                            ;   in Loop: Header=BB6_11393 Depth=4
	s_delay_alu instid0(SALU_CYCLE_1)
	s_or_b32 exec_lo, exec_lo, s75
                                        ; implicit-def: $vgpr7
.LBB6_13008:                            ;   in Loop: Header=BB6_11393 Depth=4
	s_and_not1_saveexec_b32 s13, s15
; %bb.13009:                            ;   in Loop: Header=BB6_11393 Depth=4
	v_or_b32_e32 v5, 0x7b, v7
; %bb.13010:                            ;   in Loop: Header=BB6_11393 Depth=4
	s_or_b32 exec_lo, exec_lo, s13
                                        ; implicit-def: $vgpr0
.LBB6_13011:                            ;   in Loop: Header=BB6_11393 Depth=4
	s_and_not1_saveexec_b32 s13, s14
	s_cbranch_execz .LBB6_13017
; %bb.13012:                            ;   in Loop: Header=BB6_11393 Depth=4
	s_mov_b32 s14, exec_lo
                                        ; implicit-def: $vgpr5
	v_cmpx_ne_u64_e32 0, v[112:113]
	s_xor_b32 s14, exec_lo, s14
; %bb.13013:                            ;   in Loop: Header=BB6_11393 Depth=4
	v_lshrrev_b32_e32 v0, 24, v0
	s_delay_alu instid0(VALU_DEP_1)
	v_or_b32_e32 v5, 0x7f, v0
                                        ; implicit-def: $vgpr0
; %bb.13014:                            ;   in Loop: Header=BB6_11393 Depth=4
	s_and_not1_saveexec_b32 s14, s14
; %bb.13015:                            ;   in Loop: Header=BB6_11393 Depth=4
	v_cmp_lt_i32_e32 vcc_lo, -1, v0
	v_cndmask_b32_e64 v5, -4, 0x7c, vcc_lo
; %bb.13016:                            ;   in Loop: Header=BB6_11393 Depth=4
	s_or_b32 exec_lo, exec_lo, s14
.LBB6_13017:                            ;   in Loop: Header=BB6_11393 Depth=4
	s_delay_alu instid0(SALU_CYCLE_1) | instskip(SKIP_3) | instid1(VALU_DEP_2)
	s_or_b32 exec_lo, exec_lo, s13
	v_and_b32_e32 v3, 0xff, v30
	v_dual_mov_b32 v0, 0 :: v_dual_mov_b32 v1, 0
	s_mov_b32 s14, exec_lo
	v_cmpx_ne_u16_e32 0, v3
	s_cbranch_execz .LBB6_13027
; %bb.13018:                            ;   in Loop: Header=BB6_11393 Depth=4
	v_bfrev_b32_e32 v1, 1
	s_mov_b32 s15, exec_lo
	v_cmpx_ne_u16_e32 0x80, v3
	s_cbranch_execz .LBB6_13026
; %bb.13019:                            ;   in Loop: Header=BB6_11393 Depth=4
	v_and_b32_e32 v1, 0x7c, v30
	v_and_b32_e32 v2, 3, v30
	s_delay_alu instid0(VALU_DEP_2) | instskip(SKIP_1) | instid1(SALU_CYCLE_1)
	v_cmp_ne_u32_e32 vcc_lo, 0x7c, v1
                                        ; implicit-def: $vgpr1
	s_and_saveexec_b32 s13, vcc_lo
	s_xor_b32 s13, exec_lo, s13
	s_cbranch_execz .LBB6_13023
; %bb.13020:                            ;   in Loop: Header=BB6_11393 Depth=4
	v_bfe_u32 v1, v3, 2, 5
	s_mov_b32 s75, exec_lo
	s_delay_alu instid0(VALU_DEP_1)
	v_cmpx_eq_u32_e32 0, v1
	s_cbranch_execz .LBB6_13022
; %bb.13021:                            ;   in Loop: Header=BB6_11393 Depth=4
	v_clz_i32_u32_e32 v1, v2
	s_delay_alu instid0(VALU_DEP_1) | instskip(SKIP_1) | instid1(VALU_DEP_2)
	v_min_u32_e32 v1, 32, v1
	v_mov_b32_e32 v31, v113
	v_subrev_nc_u32_e32 v2, 29, v1
	v_sub_nc_u32_e32 v1, 30, v1
	s_delay_alu instid0(VALU_DEP_2) | instskip(NEXT) | instid1(VALU_DEP_1)
	v_lshlrev_b64_e32 v[2:3], v2, v[30:31]
	v_and_b32_e32 v2, 3, v2
.LBB6_13022:                            ;   in Loop: Header=BB6_11393 Depth=4
	s_or_b32 exec_lo, exec_lo, s75
	v_lshlrev_b32_e32 v3, 24, v30
                                        ; implicit-def: $vgpr30
	s_delay_alu instid0(VALU_DEP_1) | instskip(NEXT) | instid1(VALU_DEP_1)
	v_and_b32_e32 v3, 0x80000000, v3
	v_lshl_add_u32 v1, v1, 23, v3
	s_delay_alu instid0(VALU_DEP_1) | instskip(NEXT) | instid1(VALU_DEP_1)
	v_lshl_or_b32 v1, v2, 21, v1
                                        ; implicit-def: $vgpr2
	v_add_nc_u32_e32 v1, 0x38000000, v1
.LBB6_13023:                            ;   in Loop: Header=BB6_11393 Depth=4
	s_and_not1_saveexec_b32 s75, s13
; %bb.13024:                            ;   in Loop: Header=BB6_11393 Depth=4
	v_bfe_i32 v1, v30, 0, 8
	v_cmp_eq_u32_e32 vcc_lo, 0, v2
	s_delay_alu instid0(VALU_DEP_2) | instskip(SKIP_1) | instid1(VALU_DEP_1)
	v_cmp_lt_i16_e64 s13, -1, v1
	v_mov_b32_e32 v1, 0x7f800000
	v_cndmask_b32_e64 v1, 0xff800000, v1, s13
	s_delay_alu instid0(VALU_DEP_1)
	v_cndmask_b32_e32 v1, 0x7f800001, v1, vcc_lo
; %bb.13025:                            ;   in Loop: Header=BB6_11393 Depth=4
	s_or_b32 exec_lo, exec_lo, s75
.LBB6_13026:                            ;   in Loop: Header=BB6_11393 Depth=4
	s_delay_alu instid0(SALU_CYCLE_1)
	s_or_b32 exec_lo, exec_lo, s15
.LBB6_13027:                            ;   in Loop: Header=BB6_11393 Depth=4
	s_delay_alu instid0(SALU_CYCLE_1) | instskip(NEXT) | instid1(SALU_CYCLE_1)
	s_or_b32 exec_lo, exec_lo, s14
	s_mov_b32 s14, exec_lo
	s_wait_loadcnt_dscnt 0x1313
	v_cmpx_ne_u16_e32 0, v116
	s_cbranch_execz .LBB6_13037
; %bb.13028:                            ;   in Loop: Header=BB6_11393 Depth=4
	v_bfrev_b32_e32 v0, 1
	s_mov_b32 s15, exec_lo
	v_cmpx_ne_u16_e32 0xff80, v116
	s_cbranch_execz .LBB6_13036
; %bb.13029:                            ;   in Loop: Header=BB6_11393 Depth=4
	v_and_b32_e32 v0, 0x7c, v116
	v_and_b32_e32 v2, 3, v116
	s_delay_alu instid0(VALU_DEP_2) | instskip(SKIP_1) | instid1(SALU_CYCLE_1)
	v_cmp_ne_u32_e32 vcc_lo, 0x7c, v0
                                        ; implicit-def: $vgpr0
	s_and_saveexec_b32 s13, vcc_lo
	s_xor_b32 s13, exec_lo, s13
	s_cbranch_execz .LBB6_13033
; %bb.13030:                            ;   in Loop: Header=BB6_11393 Depth=4
	v_and_b32_e32 v0, 0xff, v116
	s_mov_b32 s75, exec_lo
	s_delay_alu instid0(VALU_DEP_1) | instskip(NEXT) | instid1(VALU_DEP_1)
	v_bfe_u32 v0, v0, 2, 5
	v_cmpx_eq_u32_e32 0, v0
	s_cbranch_execz .LBB6_13032
; %bb.13031:                            ;   in Loop: Header=BB6_11393 Depth=4
	v_clz_i32_u32_e32 v0, v2
	s_delay_alu instid0(VALU_DEP_1) | instskip(SKIP_1) | instid1(VALU_DEP_2)
	v_min_u32_e32 v0, 32, v0
	v_mov_b32_e32 v117, v113
	v_subrev_nc_u32_e32 v2, 29, v0
	v_sub_nc_u32_e32 v0, 30, v0
	s_delay_alu instid0(VALU_DEP_2) | instskip(NEXT) | instid1(VALU_DEP_1)
	v_lshlrev_b64_e32 v[2:3], v2, v[116:117]
	v_and_b32_e32 v2, 3, v2
.LBB6_13032:                            ;   in Loop: Header=BB6_11393 Depth=4
	s_or_b32 exec_lo, exec_lo, s75
	v_bfe_i32 v3, v116, 0, 16
                                        ; implicit-def: $vgpr116
	s_delay_alu instid0(VALU_DEP_1) | instskip(NEXT) | instid1(VALU_DEP_1)
	v_and_b32_e32 v3, 0x80000000, v3
	v_lshl_add_u32 v0, v0, 23, v3
	s_delay_alu instid0(VALU_DEP_1) | instskip(NEXT) | instid1(VALU_DEP_1)
	v_lshl_or_b32 v0, v2, 21, v0
                                        ; implicit-def: $vgpr2
	v_add_nc_u32_e32 v0, 0x38000000, v0
.LBB6_13033:                            ;   in Loop: Header=BB6_11393 Depth=4
	s_and_not1_saveexec_b32 s75, s13
; %bb.13034:                            ;   in Loop: Header=BB6_11393 Depth=4
	v_cmp_lt_i16_e64 s13, -1, v116
	v_mov_b32_e32 v0, 0x7f800000
	v_cmp_eq_u32_e32 vcc_lo, 0, v2
	s_delay_alu instid0(VALU_DEP_2) | instskip(NEXT) | instid1(VALU_DEP_1)
	v_cndmask_b32_e64 v0, 0xff800000, v0, s13
	v_cndmask_b32_e32 v0, 0x7f800001, v0, vcc_lo
; %bb.13035:                            ;   in Loop: Header=BB6_11393 Depth=4
	s_or_b32 exec_lo, exec_lo, s75
.LBB6_13036:                            ;   in Loop: Header=BB6_11393 Depth=4
	s_delay_alu instid0(SALU_CYCLE_1)
	s_or_b32 exec_lo, exec_lo, s15
.LBB6_13037:                            ;   in Loop: Header=BB6_11393 Depth=4
	s_delay_alu instid0(SALU_CYCLE_1) | instskip(NEXT) | instid1(VALU_DEP_1)
	s_or_b32 exec_lo, exec_lo, s14
	v_add_f32_e32 v0, v1, v0
	v_mov_b32_e32 v3, v113
                                        ; implicit-def: $vgpr30
	s_mov_b32 s13, exec_lo
	s_delay_alu instid0(VALU_DEP_2) | instskip(SKIP_1) | instid1(VALU_DEP_2)
	v_and_b32_e32 v2, 0x7f800000, v0
	v_and_b32_e32 v112, 0x7fffff, v0
	v_cmpx_ne_u64_e32 0x7f800000, v[2:3]
	s_xor_b32 s14, exec_lo, s13
	s_cbranch_execz .LBB6_13055
; %bb.13038:                            ;   in Loop: Header=BB6_11393 Depth=4
	v_dual_mov_b32 v3, v113 :: v_dual_lshrrev_b32 v1, 24, v0
	v_and_b32_e32 v2, 0x7fffffff, v0
                                        ; implicit-def: $vgpr30
	s_mov_b32 s13, exec_lo
	s_delay_alu instid0(VALU_DEP_2) | instskip(NEXT) | instid1(VALU_DEP_2)
	v_and_b32_e32 v7, 0x80, v1
	v_cmpx_gt_u64_e32 0x47600001, v[2:3]
	s_xor_b32 s15, exec_lo, s13
	s_cbranch_execz .LBB6_13052
; %bb.13039:                            ;   in Loop: Header=BB6_11393 Depth=4
	v_mov_b32_e32 v30, 0
	s_mov_b32 s75, exec_lo
	v_cmpx_ne_u32_e32 0, v0
	s_cbranch_execz .LBB6_13051
; %bb.13040:                            ;   in Loop: Header=BB6_11393 Depth=4
	v_bfe_u32 v17, v0, 23, 8
	v_or_b32_e32 v1, 0x800000, v112
	s_delay_alu instid0(VALU_DEP_2) | instskip(SKIP_2) | instid1(VALU_DEP_2)
	v_cmp_gt_u32_e64 s13, 0x72, v17
	v_sub_nc_u32_e32 v0, 0x71, v17
	v_cmp_eq_u32_e32 vcc_lo, 0, v17
	v_cndmask_b32_e64 v0, 0, v0, s13
	s_delay_alu instid0(VALU_DEP_1) | instskip(SKIP_1) | instid1(VALU_DEP_2)
	v_cndmask_b32_e64 v25, v0, 0x70, vcc_lo
	v_cndmask_b32_e32 v0, v1, v112, vcc_lo
	v_dual_mov_b32 v1, v113 :: v_dual_add_nc_u32 v2, 21, v25
	v_add_nc_u32_e32 v27, 20, v25
	s_delay_alu instid0(VALU_DEP_2) | instskip(NEXT) | instid1(VALU_DEP_2)
	v_lshlrev_b64_e64 v[2:3], v2, -1
	v_lshlrev_b64_e64 v[30:31], v27, 1
	s_delay_alu instid0(VALU_DEP_2) | instskip(SKIP_1) | instid1(VALU_DEP_4)
	v_bfi_b32 v2, v2, 0, v0
	v_lshrrev_b64 v[0:1], v25, v[0:1]
	v_bfi_b32 v3, v3, 0, 0
	s_delay_alu instid0(VALU_DEP_1) | instskip(NEXT) | instid1(VALU_DEP_3)
	v_cmp_eq_u64_e64 s13, v[2:3], v[30:31]
	v_mov_b64_e32 v[2:3], v[0:1]
	s_and_saveexec_b32 s76, s13
; %bb.13041:                            ;   in Loop: Header=BB6_11393 Depth=4
	v_bfe_u32 v2, v0, 21, 1
	v_mov_b32_e32 v3, v113
	s_delay_alu instid0(VALU_DEP_1) | instskip(NEXT) | instid1(VALU_DEP_1)
	v_add_nc_u64_e32 v[2:3], v[0:1], v[2:3]
	v_add_nc_u64_e32 v[2:3], -1, v[2:3]
; %bb.13042:                            ;   in Loop: Header=BB6_11393 Depth=4
	s_or_b32 exec_lo, exec_lo, s76
	v_add_nc_u32_e32 v1, 0xffffff81, v17
	s_delay_alu instid0(VALU_DEP_2) | instskip(SKIP_2) | instid1(VALU_DEP_3)
	v_and_b32_e32 v2, 0x1fffff, v2
	v_lshrrev_b32_e32 v3, 23, v0
	s_mov_b32 s13, exec_lo
	v_cndmask_b32_e64 v1, v1, 0xffffff82, vcc_lo
	s_delay_alu instid0(VALU_DEP_3) | instskip(NEXT) | instid1(VALU_DEP_2)
	v_add_nc_u32_e32 v112, v2, v0
                                        ; implicit-def: $vgpr2
	v_add3_u32 v17, v25, v1, v3
                                        ; implicit-def: $vgpr0_vgpr1
	s_delay_alu instid0(VALU_DEP_1) | instskip(NEXT) | instid1(VALU_DEP_1)
	v_add_nc_u32_e32 v3, 14, v17
	v_cmpx_ne_u32_e32 0, v3
	s_xor_b32 s13, exec_lo, s13
; %bb.13043:                            ;   in Loop: Header=BB6_11393 Depth=4
	v_cmp_lt_u64_e32 vcc_lo, 0xffffff, v[112:113]
	v_add_nc_u32_e32 v0, 15, v17
	s_delay_alu instid0(VALU_DEP_1) | instskip(SKIP_1) | instid1(VALU_DEP_1)
	v_cndmask_b32_e32 v2, v3, v0, vcc_lo
	v_cndmask_b32_e64 v0, 0, 1, vcc_lo
	v_lshrrev_b64 v[0:1], v0, v[112:113]
; %bb.13044:                            ;   in Loop: Header=BB6_11393 Depth=4
	s_and_not1_saveexec_b32 s13, s13
; %bb.13045:                            ;   in Loop: Header=BB6_11393 Depth=4
	v_mov_b64_e32 v[0:1], v[112:113]
	v_bfe_u32 v2, v112, 23, 1
; %bb.13046:                            ;   in Loop: Header=BB6_11393 Depth=4
	s_or_b32 exec_lo, exec_lo, s13
	s_delay_alu instid0(VALU_DEP_2) | instskip(NEXT) | instid1(VALU_DEP_2)
	v_lshrrev_b64 v[0:1], 21, v[0:1]
	v_cmp_gt_i32_e32 vcc_lo, 32, v2
	v_cmp_ne_u32_e64 s13, 0, v2
                                        ; implicit-def: $vgpr30
	s_delay_alu instid0(VALU_DEP_3) | instskip(NEXT) | instid1(VALU_DEP_1)
	v_dual_cndmask_b32 v1, 0, v1 :: v_dual_cndmask_b32 v0, 3, v0
	v_cmp_ne_u64_e32 vcc_lo, 0, v[0:1]
	s_or_b32 s13, s13, vcc_lo
	s_delay_alu instid0(SALU_CYCLE_1) | instskip(NEXT) | instid1(SALU_CYCLE_1)
	s_and_saveexec_b32 s76, s13
	s_xor_b32 s13, exec_lo, s76
; %bb.13047:                            ;   in Loop: Header=BB6_11393 Depth=4
	v_min_i32_e32 v1, 31, v2
	s_delay_alu instid0(VALU_DEP_1) | instskip(NEXT) | instid1(VALU_DEP_1)
	v_lshl_or_b32 v1, v1, 2, v7
                                        ; implicit-def: $vgpr7
	v_and_or_b32 v30, v0, 3, v1
; %bb.13048:                            ;   in Loop: Header=BB6_11393 Depth=4
	s_and_not1_saveexec_b32 s13, s13
; %bb.13049:                            ;   in Loop: Header=BB6_11393 Depth=4
	v_mov_b32_e32 v30, v7
; %bb.13050:                            ;   in Loop: Header=BB6_11393 Depth=4
	s_or_b32 exec_lo, exec_lo, s13
.LBB6_13051:                            ;   in Loop: Header=BB6_11393 Depth=4
	s_delay_alu instid0(SALU_CYCLE_1)
	s_or_b32 exec_lo, exec_lo, s75
                                        ; implicit-def: $vgpr7
.LBB6_13052:                            ;   in Loop: Header=BB6_11393 Depth=4
	s_and_not1_saveexec_b32 s13, s15
; %bb.13053:                            ;   in Loop: Header=BB6_11393 Depth=4
	v_or_b32_e32 v30, 0x7b, v7
; %bb.13054:                            ;   in Loop: Header=BB6_11393 Depth=4
	s_or_b32 exec_lo, exec_lo, s13
                                        ; implicit-def: $vgpr0
.LBB6_13055:                            ;   in Loop: Header=BB6_11393 Depth=4
	s_and_not1_saveexec_b32 s13, s14
	s_cbranch_execz .LBB6_13061
; %bb.13056:                            ;   in Loop: Header=BB6_11393 Depth=4
	s_mov_b32 s14, exec_lo
                                        ; implicit-def: $vgpr30
	v_cmpx_ne_u64_e32 0, v[112:113]
	s_xor_b32 s14, exec_lo, s14
; %bb.13057:                            ;   in Loop: Header=BB6_11393 Depth=4
	v_lshrrev_b32_e32 v0, 24, v0
	s_delay_alu instid0(VALU_DEP_1)
	v_or_b32_e32 v30, 0x7f, v0
                                        ; implicit-def: $vgpr0
; %bb.13058:                            ;   in Loop: Header=BB6_11393 Depth=4
	s_and_not1_saveexec_b32 s14, s14
; %bb.13059:                            ;   in Loop: Header=BB6_11393 Depth=4
	v_cmp_lt_i32_e32 vcc_lo, -1, v0
	v_cndmask_b32_e64 v30, -4, 0x7c, vcc_lo
; %bb.13060:                            ;   in Loop: Header=BB6_11393 Depth=4
	s_or_b32 exec_lo, exec_lo, s14
.LBB6_13061:                            ;   in Loop: Header=BB6_11393 Depth=4
	s_delay_alu instid0(SALU_CYCLE_1) | instskip(SKIP_3) | instid1(VALU_DEP_2)
	s_or_b32 exec_lo, exec_lo, s13
	v_and_b32_e32 v3, 0xff, v28
	v_dual_mov_b32 v0, 0 :: v_dual_mov_b32 v1, 0
	s_mov_b32 s14, exec_lo
	v_cmpx_ne_u16_e32 0, v3
	s_cbranch_execz .LBB6_13071
; %bb.13062:                            ;   in Loop: Header=BB6_11393 Depth=4
	v_bfrev_b32_e32 v1, 1
	s_mov_b32 s15, exec_lo
	v_cmpx_ne_u16_e32 0x80, v3
	s_cbranch_execz .LBB6_13070
; %bb.13063:                            ;   in Loop: Header=BB6_11393 Depth=4
	v_and_b32_e32 v1, 0x7c, v28
	v_and_b32_e32 v2, 3, v28
	s_delay_alu instid0(VALU_DEP_2) | instskip(SKIP_1) | instid1(SALU_CYCLE_1)
	v_cmp_ne_u32_e32 vcc_lo, 0x7c, v1
                                        ; implicit-def: $vgpr1
	s_and_saveexec_b32 s13, vcc_lo
	s_xor_b32 s13, exec_lo, s13
	s_cbranch_execz .LBB6_13067
; %bb.13064:                            ;   in Loop: Header=BB6_11393 Depth=4
	v_bfe_u32 v1, v3, 2, 5
	s_mov_b32 s75, exec_lo
	s_delay_alu instid0(VALU_DEP_1)
	v_cmpx_eq_u32_e32 0, v1
	s_cbranch_execz .LBB6_13066
; %bb.13065:                            ;   in Loop: Header=BB6_11393 Depth=4
	v_clz_i32_u32_e32 v1, v2
	s_delay_alu instid0(VALU_DEP_1) | instskip(SKIP_1) | instid1(VALU_DEP_2)
	v_min_u32_e32 v1, 32, v1
	v_mov_b32_e32 v29, v113
	v_subrev_nc_u32_e32 v2, 29, v1
	v_sub_nc_u32_e32 v1, 30, v1
	s_delay_alu instid0(VALU_DEP_2) | instskip(NEXT) | instid1(VALU_DEP_1)
	v_lshlrev_b64_e32 v[2:3], v2, v[28:29]
	v_and_b32_e32 v2, 3, v2
.LBB6_13066:                            ;   in Loop: Header=BB6_11393 Depth=4
	s_or_b32 exec_lo, exec_lo, s75
	v_lshlrev_b32_e32 v3, 24, v28
                                        ; implicit-def: $vgpr28
	s_delay_alu instid0(VALU_DEP_1) | instskip(NEXT) | instid1(VALU_DEP_1)
	v_and_b32_e32 v3, 0x80000000, v3
	v_lshl_add_u32 v1, v1, 23, v3
	s_delay_alu instid0(VALU_DEP_1) | instskip(NEXT) | instid1(VALU_DEP_1)
	v_lshl_or_b32 v1, v2, 21, v1
                                        ; implicit-def: $vgpr2
	v_add_nc_u32_e32 v1, 0x38000000, v1
.LBB6_13067:                            ;   in Loop: Header=BB6_11393 Depth=4
	s_and_not1_saveexec_b32 s75, s13
; %bb.13068:                            ;   in Loop: Header=BB6_11393 Depth=4
	v_bfe_i32 v1, v28, 0, 8
	v_cmp_eq_u32_e32 vcc_lo, 0, v2
	s_delay_alu instid0(VALU_DEP_2) | instskip(SKIP_1) | instid1(VALU_DEP_1)
	v_cmp_lt_i16_e64 s13, -1, v1
	v_mov_b32_e32 v1, 0x7f800000
	v_cndmask_b32_e64 v1, 0xff800000, v1, s13
	s_delay_alu instid0(VALU_DEP_1)
	v_cndmask_b32_e32 v1, 0x7f800001, v1, vcc_lo
; %bb.13069:                            ;   in Loop: Header=BB6_11393 Depth=4
	s_or_b32 exec_lo, exec_lo, s75
.LBB6_13070:                            ;   in Loop: Header=BB6_11393 Depth=4
	s_delay_alu instid0(SALU_CYCLE_1)
	s_or_b32 exec_lo, exec_lo, s15
.LBB6_13071:                            ;   in Loop: Header=BB6_11393 Depth=4
	s_delay_alu instid0(SALU_CYCLE_1) | instskip(NEXT) | instid1(SALU_CYCLE_1)
	s_or_b32 exec_lo, exec_lo, s14
	s_mov_b32 s14, exec_lo
	s_wait_loadcnt_dscnt 0x1212
	v_cmpx_ne_u16_e32 0, v86
	s_cbranch_execz .LBB6_13081
; %bb.13072:                            ;   in Loop: Header=BB6_11393 Depth=4
	v_bfrev_b32_e32 v0, 1
	s_mov_b32 s15, exec_lo
	v_cmpx_ne_u16_e32 0xff80, v86
	s_cbranch_execz .LBB6_13080
; %bb.13073:                            ;   in Loop: Header=BB6_11393 Depth=4
	v_and_b32_e32 v0, 0x7c, v86
	v_and_b32_e32 v2, 3, v86
	s_delay_alu instid0(VALU_DEP_2) | instskip(SKIP_1) | instid1(SALU_CYCLE_1)
	v_cmp_ne_u32_e32 vcc_lo, 0x7c, v0
                                        ; implicit-def: $vgpr0
	s_and_saveexec_b32 s13, vcc_lo
	s_xor_b32 s13, exec_lo, s13
	s_cbranch_execz .LBB6_13077
; %bb.13074:                            ;   in Loop: Header=BB6_11393 Depth=4
	v_and_b32_e32 v0, 0xff, v86
	s_mov_b32 s75, exec_lo
	s_delay_alu instid0(VALU_DEP_1) | instskip(NEXT) | instid1(VALU_DEP_1)
	v_bfe_u32 v0, v0, 2, 5
	v_cmpx_eq_u32_e32 0, v0
	s_cbranch_execz .LBB6_13076
; %bb.13075:                            ;   in Loop: Header=BB6_11393 Depth=4
	v_clz_i32_u32_e32 v0, v2
	s_delay_alu instid0(VALU_DEP_1) | instskip(SKIP_1) | instid1(VALU_DEP_2)
	v_min_u32_e32 v0, 32, v0
	v_mov_b32_e32 v87, v113
	v_subrev_nc_u32_e32 v2, 29, v0
	v_sub_nc_u32_e32 v0, 30, v0
	s_delay_alu instid0(VALU_DEP_2) | instskip(NEXT) | instid1(VALU_DEP_1)
	v_lshlrev_b64_e32 v[2:3], v2, v[86:87]
	v_and_b32_e32 v2, 3, v2
.LBB6_13076:                            ;   in Loop: Header=BB6_11393 Depth=4
	s_or_b32 exec_lo, exec_lo, s75
	v_bfe_i32 v3, v86, 0, 16
                                        ; implicit-def: $vgpr86
	s_delay_alu instid0(VALU_DEP_1) | instskip(NEXT) | instid1(VALU_DEP_1)
	v_and_b32_e32 v3, 0x80000000, v3
	v_lshl_add_u32 v0, v0, 23, v3
	s_delay_alu instid0(VALU_DEP_1) | instskip(NEXT) | instid1(VALU_DEP_1)
	v_lshl_or_b32 v0, v2, 21, v0
                                        ; implicit-def: $vgpr2
	v_add_nc_u32_e32 v0, 0x38000000, v0
.LBB6_13077:                            ;   in Loop: Header=BB6_11393 Depth=4
	s_and_not1_saveexec_b32 s75, s13
; %bb.13078:                            ;   in Loop: Header=BB6_11393 Depth=4
	v_cmp_lt_i16_e64 s13, -1, v86
	v_mov_b32_e32 v0, 0x7f800000
	v_cmp_eq_u32_e32 vcc_lo, 0, v2
	s_delay_alu instid0(VALU_DEP_2) | instskip(NEXT) | instid1(VALU_DEP_1)
	v_cndmask_b32_e64 v0, 0xff800000, v0, s13
	v_cndmask_b32_e32 v0, 0x7f800001, v0, vcc_lo
; %bb.13079:                            ;   in Loop: Header=BB6_11393 Depth=4
	s_or_b32 exec_lo, exec_lo, s75
.LBB6_13080:                            ;   in Loop: Header=BB6_11393 Depth=4
	s_delay_alu instid0(SALU_CYCLE_1)
	s_or_b32 exec_lo, exec_lo, s15
.LBB6_13081:                            ;   in Loop: Header=BB6_11393 Depth=4
	s_delay_alu instid0(SALU_CYCLE_1) | instskip(NEXT) | instid1(VALU_DEP_1)
	s_or_b32 exec_lo, exec_lo, s14
	v_add_f32_e32 v0, v1, v0
	v_mov_b32_e32 v3, v113
                                        ; implicit-def: $vgpr28
	s_mov_b32 s13, exec_lo
	s_delay_alu instid0(VALU_DEP_2) | instskip(SKIP_1) | instid1(VALU_DEP_2)
	v_and_b32_e32 v2, 0x7f800000, v0
	v_and_b32_e32 v112, 0x7fffff, v0
	v_cmpx_ne_u64_e32 0x7f800000, v[2:3]
	s_xor_b32 s14, exec_lo, s13
	s_cbranch_execz .LBB6_13099
; %bb.13082:                            ;   in Loop: Header=BB6_11393 Depth=4
	v_dual_mov_b32 v3, v113 :: v_dual_lshrrev_b32 v1, 24, v0
	v_and_b32_e32 v2, 0x7fffffff, v0
                                        ; implicit-def: $vgpr28
	s_mov_b32 s13, exec_lo
	s_delay_alu instid0(VALU_DEP_2) | instskip(NEXT) | instid1(VALU_DEP_2)
	v_and_b32_e32 v7, 0x80, v1
	v_cmpx_gt_u64_e32 0x47600001, v[2:3]
	s_xor_b32 s15, exec_lo, s13
	s_cbranch_execz .LBB6_13096
; %bb.13083:                            ;   in Loop: Header=BB6_11393 Depth=4
	v_mov_b32_e32 v28, 0
	s_mov_b32 s75, exec_lo
	v_cmpx_ne_u32_e32 0, v0
	s_cbranch_execz .LBB6_13095
; %bb.13084:                            ;   in Loop: Header=BB6_11393 Depth=4
	v_bfe_u32 v17, v0, 23, 8
	v_or_b32_e32 v1, 0x800000, v112
	s_delay_alu instid0(VALU_DEP_2) | instskip(SKIP_2) | instid1(VALU_DEP_2)
	v_cmp_gt_u32_e64 s13, 0x72, v17
	v_sub_nc_u32_e32 v0, 0x71, v17
	v_cmp_eq_u32_e32 vcc_lo, 0, v17
	v_cndmask_b32_e64 v0, 0, v0, s13
	s_delay_alu instid0(VALU_DEP_1) | instskip(SKIP_1) | instid1(VALU_DEP_2)
	v_cndmask_b32_e64 v25, v0, 0x70, vcc_lo
	v_cndmask_b32_e32 v0, v1, v112, vcc_lo
	v_dual_mov_b32 v1, v113 :: v_dual_add_nc_u32 v2, 21, v25
	v_add_nc_u32_e32 v27, 20, v25
	s_delay_alu instid0(VALU_DEP_2) | instskip(NEXT) | instid1(VALU_DEP_2)
	v_lshlrev_b64_e64 v[2:3], v2, -1
	v_lshlrev_b64_e64 v[28:29], v27, 1
	s_delay_alu instid0(VALU_DEP_2) | instskip(SKIP_1) | instid1(VALU_DEP_4)
	v_bfi_b32 v2, v2, 0, v0
	v_lshrrev_b64 v[0:1], v25, v[0:1]
	v_bfi_b32 v3, v3, 0, 0
	s_delay_alu instid0(VALU_DEP_1) | instskip(NEXT) | instid1(VALU_DEP_3)
	v_cmp_eq_u64_e64 s13, v[2:3], v[28:29]
	v_mov_b64_e32 v[2:3], v[0:1]
	s_and_saveexec_b32 s76, s13
; %bb.13085:                            ;   in Loop: Header=BB6_11393 Depth=4
	v_bfe_u32 v2, v0, 21, 1
	v_mov_b32_e32 v3, v113
	s_delay_alu instid0(VALU_DEP_1) | instskip(NEXT) | instid1(VALU_DEP_1)
	v_add_nc_u64_e32 v[2:3], v[0:1], v[2:3]
	v_add_nc_u64_e32 v[2:3], -1, v[2:3]
; %bb.13086:                            ;   in Loop: Header=BB6_11393 Depth=4
	s_or_b32 exec_lo, exec_lo, s76
	v_add_nc_u32_e32 v1, 0xffffff81, v17
	s_delay_alu instid0(VALU_DEP_2) | instskip(SKIP_2) | instid1(VALU_DEP_3)
	v_and_b32_e32 v2, 0x1fffff, v2
	v_lshrrev_b32_e32 v3, 23, v0
	s_mov_b32 s13, exec_lo
	v_cndmask_b32_e64 v1, v1, 0xffffff82, vcc_lo
	s_delay_alu instid0(VALU_DEP_3) | instskip(NEXT) | instid1(VALU_DEP_2)
	v_add_nc_u32_e32 v112, v2, v0
                                        ; implicit-def: $vgpr2
	v_add3_u32 v17, v25, v1, v3
                                        ; implicit-def: $vgpr0_vgpr1
	s_delay_alu instid0(VALU_DEP_1) | instskip(NEXT) | instid1(VALU_DEP_1)
	v_add_nc_u32_e32 v3, 14, v17
	v_cmpx_ne_u32_e32 0, v3
	s_xor_b32 s13, exec_lo, s13
; %bb.13087:                            ;   in Loop: Header=BB6_11393 Depth=4
	v_cmp_lt_u64_e32 vcc_lo, 0xffffff, v[112:113]
	v_add_nc_u32_e32 v0, 15, v17
	s_delay_alu instid0(VALU_DEP_1) | instskip(SKIP_1) | instid1(VALU_DEP_1)
	v_cndmask_b32_e32 v2, v3, v0, vcc_lo
	v_cndmask_b32_e64 v0, 0, 1, vcc_lo
	v_lshrrev_b64 v[0:1], v0, v[112:113]
; %bb.13088:                            ;   in Loop: Header=BB6_11393 Depth=4
	s_and_not1_saveexec_b32 s13, s13
; %bb.13089:                            ;   in Loop: Header=BB6_11393 Depth=4
	v_mov_b64_e32 v[0:1], v[112:113]
	v_bfe_u32 v2, v112, 23, 1
; %bb.13090:                            ;   in Loop: Header=BB6_11393 Depth=4
	s_or_b32 exec_lo, exec_lo, s13
	s_delay_alu instid0(VALU_DEP_2) | instskip(NEXT) | instid1(VALU_DEP_2)
	v_lshrrev_b64 v[0:1], 21, v[0:1]
	v_cmp_gt_i32_e32 vcc_lo, 32, v2
	v_cmp_ne_u32_e64 s13, 0, v2
                                        ; implicit-def: $vgpr28
	s_delay_alu instid0(VALU_DEP_3) | instskip(NEXT) | instid1(VALU_DEP_1)
	v_dual_cndmask_b32 v1, 0, v1 :: v_dual_cndmask_b32 v0, 3, v0
	v_cmp_ne_u64_e32 vcc_lo, 0, v[0:1]
	s_or_b32 s13, s13, vcc_lo
	s_delay_alu instid0(SALU_CYCLE_1) | instskip(NEXT) | instid1(SALU_CYCLE_1)
	s_and_saveexec_b32 s76, s13
	s_xor_b32 s13, exec_lo, s76
; %bb.13091:                            ;   in Loop: Header=BB6_11393 Depth=4
	v_min_i32_e32 v1, 31, v2
	s_delay_alu instid0(VALU_DEP_1) | instskip(NEXT) | instid1(VALU_DEP_1)
	v_lshl_or_b32 v1, v1, 2, v7
                                        ; implicit-def: $vgpr7
	v_and_or_b32 v28, v0, 3, v1
; %bb.13092:                            ;   in Loop: Header=BB6_11393 Depth=4
	s_and_not1_saveexec_b32 s13, s13
; %bb.13093:                            ;   in Loop: Header=BB6_11393 Depth=4
	v_mov_b32_e32 v28, v7
; %bb.13094:                            ;   in Loop: Header=BB6_11393 Depth=4
	s_or_b32 exec_lo, exec_lo, s13
.LBB6_13095:                            ;   in Loop: Header=BB6_11393 Depth=4
	s_delay_alu instid0(SALU_CYCLE_1)
	s_or_b32 exec_lo, exec_lo, s75
                                        ; implicit-def: $vgpr7
.LBB6_13096:                            ;   in Loop: Header=BB6_11393 Depth=4
	s_and_not1_saveexec_b32 s13, s15
; %bb.13097:                            ;   in Loop: Header=BB6_11393 Depth=4
	v_or_b32_e32 v28, 0x7b, v7
; %bb.13098:                            ;   in Loop: Header=BB6_11393 Depth=4
	s_or_b32 exec_lo, exec_lo, s13
                                        ; implicit-def: $vgpr0
.LBB6_13099:                            ;   in Loop: Header=BB6_11393 Depth=4
	s_and_not1_saveexec_b32 s13, s14
	s_cbranch_execz .LBB6_13105
; %bb.13100:                            ;   in Loop: Header=BB6_11393 Depth=4
	s_mov_b32 s14, exec_lo
                                        ; implicit-def: $vgpr28
	v_cmpx_ne_u64_e32 0, v[112:113]
	s_xor_b32 s14, exec_lo, s14
; %bb.13101:                            ;   in Loop: Header=BB6_11393 Depth=4
	v_lshrrev_b32_e32 v0, 24, v0
	s_delay_alu instid0(VALU_DEP_1)
	v_or_b32_e32 v28, 0x7f, v0
                                        ; implicit-def: $vgpr0
; %bb.13102:                            ;   in Loop: Header=BB6_11393 Depth=4
	s_and_not1_saveexec_b32 s14, s14
; %bb.13103:                            ;   in Loop: Header=BB6_11393 Depth=4
	v_cmp_lt_i32_e32 vcc_lo, -1, v0
	v_cndmask_b32_e64 v28, -4, 0x7c, vcc_lo
; %bb.13104:                            ;   in Loop: Header=BB6_11393 Depth=4
	s_or_b32 exec_lo, exec_lo, s14
.LBB6_13105:                            ;   in Loop: Header=BB6_11393 Depth=4
	s_delay_alu instid0(SALU_CYCLE_1) | instskip(SKIP_3) | instid1(VALU_DEP_2)
	s_or_b32 exec_lo, exec_lo, s13
	v_and_b32_e32 v3, 0xff, v26
	v_dual_mov_b32 v0, 0 :: v_dual_mov_b32 v1, 0
	s_mov_b32 s14, exec_lo
	v_cmpx_ne_u16_e32 0, v3
	s_cbranch_execz .LBB6_13115
; %bb.13106:                            ;   in Loop: Header=BB6_11393 Depth=4
	v_bfrev_b32_e32 v1, 1
	s_mov_b32 s15, exec_lo
	v_cmpx_ne_u16_e32 0x80, v3
	s_cbranch_execz .LBB6_13114
; %bb.13107:                            ;   in Loop: Header=BB6_11393 Depth=4
	v_and_b32_e32 v1, 0x7c, v26
	v_and_b32_e32 v2, 3, v26
	s_delay_alu instid0(VALU_DEP_2) | instskip(SKIP_1) | instid1(SALU_CYCLE_1)
	v_cmp_ne_u32_e32 vcc_lo, 0x7c, v1
                                        ; implicit-def: $vgpr1
	s_and_saveexec_b32 s13, vcc_lo
	s_xor_b32 s13, exec_lo, s13
	s_cbranch_execz .LBB6_13111
; %bb.13108:                            ;   in Loop: Header=BB6_11393 Depth=4
	v_bfe_u32 v1, v3, 2, 5
	s_mov_b32 s75, exec_lo
	s_delay_alu instid0(VALU_DEP_1)
	v_cmpx_eq_u32_e32 0, v1
	s_cbranch_execz .LBB6_13110
; %bb.13109:                            ;   in Loop: Header=BB6_11393 Depth=4
	v_clz_i32_u32_e32 v1, v2
	s_delay_alu instid0(VALU_DEP_1) | instskip(SKIP_1) | instid1(VALU_DEP_2)
	v_min_u32_e32 v1, 32, v1
	v_mov_b32_e32 v27, v113
	v_subrev_nc_u32_e32 v2, 29, v1
	v_sub_nc_u32_e32 v1, 30, v1
	s_delay_alu instid0(VALU_DEP_2) | instskip(NEXT) | instid1(VALU_DEP_1)
	v_lshlrev_b64_e32 v[2:3], v2, v[26:27]
	v_and_b32_e32 v2, 3, v2
.LBB6_13110:                            ;   in Loop: Header=BB6_11393 Depth=4
	s_or_b32 exec_lo, exec_lo, s75
	v_lshlrev_b32_e32 v3, 24, v26
                                        ; implicit-def: $vgpr26
	s_delay_alu instid0(VALU_DEP_1) | instskip(NEXT) | instid1(VALU_DEP_1)
	v_and_b32_e32 v3, 0x80000000, v3
	v_lshl_add_u32 v1, v1, 23, v3
	s_delay_alu instid0(VALU_DEP_1) | instskip(NEXT) | instid1(VALU_DEP_1)
	v_lshl_or_b32 v1, v2, 21, v1
                                        ; implicit-def: $vgpr2
	v_add_nc_u32_e32 v1, 0x38000000, v1
.LBB6_13111:                            ;   in Loop: Header=BB6_11393 Depth=4
	s_and_not1_saveexec_b32 s75, s13
; %bb.13112:                            ;   in Loop: Header=BB6_11393 Depth=4
	v_bfe_i32 v1, v26, 0, 8
	v_cmp_eq_u32_e32 vcc_lo, 0, v2
	s_delay_alu instid0(VALU_DEP_2) | instskip(SKIP_1) | instid1(VALU_DEP_1)
	v_cmp_lt_i16_e64 s13, -1, v1
	v_mov_b32_e32 v1, 0x7f800000
	v_cndmask_b32_e64 v1, 0xff800000, v1, s13
	s_delay_alu instid0(VALU_DEP_1)
	v_cndmask_b32_e32 v1, 0x7f800001, v1, vcc_lo
; %bb.13113:                            ;   in Loop: Header=BB6_11393 Depth=4
	s_or_b32 exec_lo, exec_lo, s75
.LBB6_13114:                            ;   in Loop: Header=BB6_11393 Depth=4
	s_delay_alu instid0(SALU_CYCLE_1)
	s_or_b32 exec_lo, exec_lo, s15
.LBB6_13115:                            ;   in Loop: Header=BB6_11393 Depth=4
	s_delay_alu instid0(SALU_CYCLE_1) | instskip(NEXT) | instid1(SALU_CYCLE_1)
	s_or_b32 exec_lo, exec_lo, s14
	s_mov_b32 s14, exec_lo
	s_wait_loadcnt_dscnt 0x1111
	v_cmpx_ne_u16_e32 0, v54
	s_cbranch_execz .LBB6_13125
; %bb.13116:                            ;   in Loop: Header=BB6_11393 Depth=4
	v_bfrev_b32_e32 v0, 1
	s_mov_b32 s15, exec_lo
	v_cmpx_ne_u16_e32 0xff80, v54
	s_cbranch_execz .LBB6_13124
; %bb.13117:                            ;   in Loop: Header=BB6_11393 Depth=4
	v_and_b32_e32 v0, 0x7c, v54
	v_and_b32_e32 v2, 3, v54
	s_delay_alu instid0(VALU_DEP_2) | instskip(SKIP_1) | instid1(SALU_CYCLE_1)
	v_cmp_ne_u32_e32 vcc_lo, 0x7c, v0
                                        ; implicit-def: $vgpr0
	s_and_saveexec_b32 s13, vcc_lo
	s_xor_b32 s13, exec_lo, s13
	s_cbranch_execz .LBB6_13121
; %bb.13118:                            ;   in Loop: Header=BB6_11393 Depth=4
	v_and_b32_e32 v0, 0xff, v54
	s_mov_b32 s75, exec_lo
	s_delay_alu instid0(VALU_DEP_1) | instskip(NEXT) | instid1(VALU_DEP_1)
	v_bfe_u32 v0, v0, 2, 5
	v_cmpx_eq_u32_e32 0, v0
	s_cbranch_execz .LBB6_13120
; %bb.13119:                            ;   in Loop: Header=BB6_11393 Depth=4
	v_clz_i32_u32_e32 v0, v2
	s_delay_alu instid0(VALU_DEP_1) | instskip(SKIP_1) | instid1(VALU_DEP_2)
	v_min_u32_e32 v0, 32, v0
	v_mov_b32_e32 v55, v113
	v_subrev_nc_u32_e32 v2, 29, v0
	v_sub_nc_u32_e32 v0, 30, v0
	s_delay_alu instid0(VALU_DEP_2) | instskip(NEXT) | instid1(VALU_DEP_1)
	v_lshlrev_b64_e32 v[2:3], v2, v[54:55]
	v_and_b32_e32 v2, 3, v2
.LBB6_13120:                            ;   in Loop: Header=BB6_11393 Depth=4
	s_or_b32 exec_lo, exec_lo, s75
	v_bfe_i32 v3, v54, 0, 16
                                        ; implicit-def: $vgpr54
	s_delay_alu instid0(VALU_DEP_1) | instskip(NEXT) | instid1(VALU_DEP_1)
	v_and_b32_e32 v3, 0x80000000, v3
	v_lshl_add_u32 v0, v0, 23, v3
	s_delay_alu instid0(VALU_DEP_1) | instskip(NEXT) | instid1(VALU_DEP_1)
	v_lshl_or_b32 v0, v2, 21, v0
                                        ; implicit-def: $vgpr2
	v_add_nc_u32_e32 v0, 0x38000000, v0
.LBB6_13121:                            ;   in Loop: Header=BB6_11393 Depth=4
	s_and_not1_saveexec_b32 s75, s13
; %bb.13122:                            ;   in Loop: Header=BB6_11393 Depth=4
	v_cmp_lt_i16_e64 s13, -1, v54
	v_mov_b32_e32 v0, 0x7f800000
	v_cmp_eq_u32_e32 vcc_lo, 0, v2
	s_delay_alu instid0(VALU_DEP_2) | instskip(NEXT) | instid1(VALU_DEP_1)
	v_cndmask_b32_e64 v0, 0xff800000, v0, s13
	v_cndmask_b32_e32 v0, 0x7f800001, v0, vcc_lo
; %bb.13123:                            ;   in Loop: Header=BB6_11393 Depth=4
	s_or_b32 exec_lo, exec_lo, s75
.LBB6_13124:                            ;   in Loop: Header=BB6_11393 Depth=4
	s_delay_alu instid0(SALU_CYCLE_1)
	s_or_b32 exec_lo, exec_lo, s15
.LBB6_13125:                            ;   in Loop: Header=BB6_11393 Depth=4
	s_delay_alu instid0(SALU_CYCLE_1) | instskip(NEXT) | instid1(VALU_DEP_1)
	s_or_b32 exec_lo, exec_lo, s14
	v_add_f32_e32 v0, v1, v0
	v_mov_b32_e32 v3, v113
                                        ; implicit-def: $vgpr26
	s_mov_b32 s13, exec_lo
	s_delay_alu instid0(VALU_DEP_2) | instskip(SKIP_1) | instid1(VALU_DEP_2)
	v_and_b32_e32 v2, 0x7f800000, v0
	v_and_b32_e32 v112, 0x7fffff, v0
	v_cmpx_ne_u64_e32 0x7f800000, v[2:3]
	s_xor_b32 s14, exec_lo, s13
	s_cbranch_execz .LBB6_13143
; %bb.13126:                            ;   in Loop: Header=BB6_11393 Depth=4
	v_dual_mov_b32 v3, v113 :: v_dual_lshrrev_b32 v1, 24, v0
	v_and_b32_e32 v2, 0x7fffffff, v0
                                        ; implicit-def: $vgpr26
	s_mov_b32 s13, exec_lo
	s_delay_alu instid0(VALU_DEP_2) | instskip(NEXT) | instid1(VALU_DEP_2)
	v_and_b32_e32 v7, 0x80, v1
	v_cmpx_gt_u64_e32 0x47600001, v[2:3]
	s_xor_b32 s15, exec_lo, s13
	s_cbranch_execz .LBB6_13140
; %bb.13127:                            ;   in Loop: Header=BB6_11393 Depth=4
	v_mov_b32_e32 v26, 0
	s_mov_b32 s75, exec_lo
	v_cmpx_ne_u32_e32 0, v0
	s_cbranch_execz .LBB6_13139
; %bb.13128:                            ;   in Loop: Header=BB6_11393 Depth=4
	v_bfe_u32 v17, v0, 23, 8
	v_or_b32_e32 v1, 0x800000, v112
	s_delay_alu instid0(VALU_DEP_2) | instskip(SKIP_2) | instid1(VALU_DEP_2)
	v_cmp_gt_u32_e64 s13, 0x72, v17
	v_sub_nc_u32_e32 v0, 0x71, v17
	v_cmp_eq_u32_e32 vcc_lo, 0, v17
	v_cndmask_b32_e64 v0, 0, v0, s13
	s_delay_alu instid0(VALU_DEP_1) | instskip(SKIP_1) | instid1(VALU_DEP_2)
	v_cndmask_b32_e64 v25, v0, 0x70, vcc_lo
	v_cndmask_b32_e32 v0, v1, v112, vcc_lo
	v_dual_mov_b32 v1, v113 :: v_dual_add_nc_u32 v2, 21, v25
	v_add_nc_u32_e32 v26, 20, v25
	s_delay_alu instid0(VALU_DEP_2) | instskip(NEXT) | instid1(VALU_DEP_2)
	v_lshlrev_b64_e64 v[2:3], v2, -1
	v_lshlrev_b64_e64 v[26:27], v26, 1
	s_delay_alu instid0(VALU_DEP_2) | instskip(SKIP_1) | instid1(VALU_DEP_4)
	v_bfi_b32 v2, v2, 0, v0
	v_lshrrev_b64 v[0:1], v25, v[0:1]
	v_bfi_b32 v3, v3, 0, 0
	s_delay_alu instid0(VALU_DEP_1) | instskip(NEXT) | instid1(VALU_DEP_3)
	v_cmp_eq_u64_e64 s13, v[2:3], v[26:27]
	v_mov_b64_e32 v[2:3], v[0:1]
	s_and_saveexec_b32 s76, s13
; %bb.13129:                            ;   in Loop: Header=BB6_11393 Depth=4
	v_bfe_u32 v2, v0, 21, 1
	v_mov_b32_e32 v3, v113
	s_delay_alu instid0(VALU_DEP_1) | instskip(NEXT) | instid1(VALU_DEP_1)
	v_add_nc_u64_e32 v[2:3], v[0:1], v[2:3]
	v_add_nc_u64_e32 v[2:3], -1, v[2:3]
; %bb.13130:                            ;   in Loop: Header=BB6_11393 Depth=4
	s_or_b32 exec_lo, exec_lo, s76
	v_add_nc_u32_e32 v1, 0xffffff81, v17
	s_delay_alu instid0(VALU_DEP_2) | instskip(SKIP_2) | instid1(VALU_DEP_3)
	v_and_b32_e32 v2, 0x1fffff, v2
	v_lshrrev_b32_e32 v3, 23, v0
	s_mov_b32 s13, exec_lo
	v_cndmask_b32_e64 v1, v1, 0xffffff82, vcc_lo
	s_delay_alu instid0(VALU_DEP_3) | instskip(NEXT) | instid1(VALU_DEP_2)
	v_add_nc_u32_e32 v112, v2, v0
                                        ; implicit-def: $vgpr2
	v_add3_u32 v17, v25, v1, v3
                                        ; implicit-def: $vgpr0_vgpr1
	s_delay_alu instid0(VALU_DEP_1) | instskip(NEXT) | instid1(VALU_DEP_1)
	v_add_nc_u32_e32 v3, 14, v17
	v_cmpx_ne_u32_e32 0, v3
	s_xor_b32 s13, exec_lo, s13
; %bb.13131:                            ;   in Loop: Header=BB6_11393 Depth=4
	v_cmp_lt_u64_e32 vcc_lo, 0xffffff, v[112:113]
	v_add_nc_u32_e32 v0, 15, v17
	s_delay_alu instid0(VALU_DEP_1) | instskip(SKIP_1) | instid1(VALU_DEP_1)
	v_cndmask_b32_e32 v2, v3, v0, vcc_lo
	v_cndmask_b32_e64 v0, 0, 1, vcc_lo
	v_lshrrev_b64 v[0:1], v0, v[112:113]
; %bb.13132:                            ;   in Loop: Header=BB6_11393 Depth=4
	s_and_not1_saveexec_b32 s13, s13
; %bb.13133:                            ;   in Loop: Header=BB6_11393 Depth=4
	v_mov_b64_e32 v[0:1], v[112:113]
	v_bfe_u32 v2, v112, 23, 1
; %bb.13134:                            ;   in Loop: Header=BB6_11393 Depth=4
	s_or_b32 exec_lo, exec_lo, s13
	s_delay_alu instid0(VALU_DEP_2) | instskip(NEXT) | instid1(VALU_DEP_2)
	v_lshrrev_b64 v[0:1], 21, v[0:1]
	v_cmp_gt_i32_e32 vcc_lo, 32, v2
	v_cmp_ne_u32_e64 s13, 0, v2
                                        ; implicit-def: $vgpr26
	s_delay_alu instid0(VALU_DEP_3) | instskip(NEXT) | instid1(VALU_DEP_1)
	v_dual_cndmask_b32 v1, 0, v1 :: v_dual_cndmask_b32 v0, 3, v0
	v_cmp_ne_u64_e32 vcc_lo, 0, v[0:1]
	s_or_b32 s13, s13, vcc_lo
	s_delay_alu instid0(SALU_CYCLE_1) | instskip(NEXT) | instid1(SALU_CYCLE_1)
	s_and_saveexec_b32 s76, s13
	s_xor_b32 s13, exec_lo, s76
; %bb.13135:                            ;   in Loop: Header=BB6_11393 Depth=4
	v_min_i32_e32 v1, 31, v2
	s_delay_alu instid0(VALU_DEP_1) | instskip(NEXT) | instid1(VALU_DEP_1)
	v_lshl_or_b32 v1, v1, 2, v7
                                        ; implicit-def: $vgpr7
	v_and_or_b32 v26, v0, 3, v1
; %bb.13136:                            ;   in Loop: Header=BB6_11393 Depth=4
	s_and_not1_saveexec_b32 s13, s13
; %bb.13137:                            ;   in Loop: Header=BB6_11393 Depth=4
	v_mov_b32_e32 v26, v7
; %bb.13138:                            ;   in Loop: Header=BB6_11393 Depth=4
	s_or_b32 exec_lo, exec_lo, s13
.LBB6_13139:                            ;   in Loop: Header=BB6_11393 Depth=4
	s_delay_alu instid0(SALU_CYCLE_1)
	s_or_b32 exec_lo, exec_lo, s75
                                        ; implicit-def: $vgpr7
.LBB6_13140:                            ;   in Loop: Header=BB6_11393 Depth=4
	s_and_not1_saveexec_b32 s13, s15
; %bb.13141:                            ;   in Loop: Header=BB6_11393 Depth=4
	v_or_b32_e32 v26, 0x7b, v7
; %bb.13142:                            ;   in Loop: Header=BB6_11393 Depth=4
	s_or_b32 exec_lo, exec_lo, s13
                                        ; implicit-def: $vgpr0
.LBB6_13143:                            ;   in Loop: Header=BB6_11393 Depth=4
	s_and_not1_saveexec_b32 s13, s14
	s_cbranch_execz .LBB6_13149
; %bb.13144:                            ;   in Loop: Header=BB6_11393 Depth=4
	s_mov_b32 s14, exec_lo
                                        ; implicit-def: $vgpr26
	v_cmpx_ne_u64_e32 0, v[112:113]
	s_xor_b32 s14, exec_lo, s14
; %bb.13145:                            ;   in Loop: Header=BB6_11393 Depth=4
	v_lshrrev_b32_e32 v0, 24, v0
	s_delay_alu instid0(VALU_DEP_1)
	v_or_b32_e32 v26, 0x7f, v0
                                        ; implicit-def: $vgpr0
; %bb.13146:                            ;   in Loop: Header=BB6_11393 Depth=4
	s_and_not1_saveexec_b32 s14, s14
; %bb.13147:                            ;   in Loop: Header=BB6_11393 Depth=4
	v_cmp_lt_i32_e32 vcc_lo, -1, v0
	v_cndmask_b32_e64 v26, -4, 0x7c, vcc_lo
; %bb.13148:                            ;   in Loop: Header=BB6_11393 Depth=4
	s_or_b32 exec_lo, exec_lo, s14
.LBB6_13149:                            ;   in Loop: Header=BB6_11393 Depth=4
	s_delay_alu instid0(SALU_CYCLE_1) | instskip(SKIP_3) | instid1(VALU_DEP_2)
	s_or_b32 exec_lo, exec_lo, s13
	v_and_b32_e32 v3, 0xff, v120
	v_dual_mov_b32 v0, 0 :: v_dual_mov_b32 v1, 0
	s_mov_b32 s14, exec_lo
	v_cmpx_ne_u16_e32 0, v3
	s_cbranch_execz .LBB6_13159
; %bb.13150:                            ;   in Loop: Header=BB6_11393 Depth=4
	v_bfrev_b32_e32 v1, 1
	s_mov_b32 s15, exec_lo
	v_cmpx_ne_u16_e32 0x80, v3
	s_cbranch_execz .LBB6_13158
; %bb.13151:                            ;   in Loop: Header=BB6_11393 Depth=4
	v_and_b32_e32 v1, 0x7c, v120
	v_and_b32_e32 v2, 3, v120
	s_delay_alu instid0(VALU_DEP_2) | instskip(SKIP_1) | instid1(SALU_CYCLE_1)
	v_cmp_ne_u32_e32 vcc_lo, 0x7c, v1
                                        ; implicit-def: $vgpr1
	s_and_saveexec_b32 s13, vcc_lo
	s_xor_b32 s13, exec_lo, s13
	s_cbranch_execz .LBB6_13155
; %bb.13152:                            ;   in Loop: Header=BB6_11393 Depth=4
	v_bfe_u32 v1, v3, 2, 5
	s_mov_b32 s75, exec_lo
	s_delay_alu instid0(VALU_DEP_1)
	v_cmpx_eq_u32_e32 0, v1
	s_cbranch_execz .LBB6_13154
; %bb.13153:                            ;   in Loop: Header=BB6_11393 Depth=4
	v_clz_i32_u32_e32 v1, v2
	s_delay_alu instid0(VALU_DEP_1) | instskip(SKIP_1) | instid1(VALU_DEP_2)
	v_min_u32_e32 v1, 32, v1
	v_mov_b32_e32 v121, v113
	v_subrev_nc_u32_e32 v2, 29, v1
	v_sub_nc_u32_e32 v1, 30, v1
	s_delay_alu instid0(VALU_DEP_2) | instskip(NEXT) | instid1(VALU_DEP_1)
	v_lshlrev_b64_e32 v[2:3], v2, v[120:121]
	v_and_b32_e32 v2, 3, v2
.LBB6_13154:                            ;   in Loop: Header=BB6_11393 Depth=4
	s_or_b32 exec_lo, exec_lo, s75
	v_lshlrev_b32_e32 v3, 24, v120
                                        ; implicit-def: $vgpr120
	s_delay_alu instid0(VALU_DEP_1) | instskip(NEXT) | instid1(VALU_DEP_1)
	v_and_b32_e32 v3, 0x80000000, v3
	v_lshl_add_u32 v1, v1, 23, v3
	s_delay_alu instid0(VALU_DEP_1) | instskip(NEXT) | instid1(VALU_DEP_1)
	v_lshl_or_b32 v1, v2, 21, v1
                                        ; implicit-def: $vgpr2
	v_add_nc_u32_e32 v1, 0x38000000, v1
.LBB6_13155:                            ;   in Loop: Header=BB6_11393 Depth=4
	s_and_not1_saveexec_b32 s75, s13
; %bb.13156:                            ;   in Loop: Header=BB6_11393 Depth=4
	v_bfe_i32 v1, v120, 0, 8
	v_cmp_eq_u32_e32 vcc_lo, 0, v2
	s_delay_alu instid0(VALU_DEP_2) | instskip(SKIP_1) | instid1(VALU_DEP_1)
	v_cmp_lt_i16_e64 s13, -1, v1
	v_mov_b32_e32 v1, 0x7f800000
	v_cndmask_b32_e64 v1, 0xff800000, v1, s13
	s_delay_alu instid0(VALU_DEP_1)
	v_cndmask_b32_e32 v1, 0x7f800001, v1, vcc_lo
; %bb.13157:                            ;   in Loop: Header=BB6_11393 Depth=4
	s_or_b32 exec_lo, exec_lo, s75
.LBB6_13158:                            ;   in Loop: Header=BB6_11393 Depth=4
	s_delay_alu instid0(SALU_CYCLE_1)
	s_or_b32 exec_lo, exec_lo, s15
.LBB6_13159:                            ;   in Loop: Header=BB6_11393 Depth=4
	s_delay_alu instid0(SALU_CYCLE_1) | instskip(NEXT) | instid1(SALU_CYCLE_1)
	s_or_b32 exec_lo, exec_lo, s14
	s_mov_b32 s14, exec_lo
	s_wait_loadcnt_dscnt 0x1010
	v_cmpx_ne_u16_e32 0, v70
	s_cbranch_execz .LBB6_13169
; %bb.13160:                            ;   in Loop: Header=BB6_11393 Depth=4
	v_bfrev_b32_e32 v0, 1
	s_mov_b32 s15, exec_lo
	v_cmpx_ne_u16_e32 0xff80, v70
	s_cbranch_execz .LBB6_13168
; %bb.13161:                            ;   in Loop: Header=BB6_11393 Depth=4
	v_and_b32_e32 v0, 0x7c, v70
	v_and_b32_e32 v2, 3, v70
	s_delay_alu instid0(VALU_DEP_2) | instskip(SKIP_1) | instid1(SALU_CYCLE_1)
	v_cmp_ne_u32_e32 vcc_lo, 0x7c, v0
                                        ; implicit-def: $vgpr0
	s_and_saveexec_b32 s13, vcc_lo
	s_xor_b32 s13, exec_lo, s13
	s_cbranch_execz .LBB6_13165
; %bb.13162:                            ;   in Loop: Header=BB6_11393 Depth=4
	v_and_b32_e32 v0, 0xff, v70
	s_mov_b32 s75, exec_lo
	s_delay_alu instid0(VALU_DEP_1) | instskip(NEXT) | instid1(VALU_DEP_1)
	v_bfe_u32 v0, v0, 2, 5
	v_cmpx_eq_u32_e32 0, v0
	s_cbranch_execz .LBB6_13164
; %bb.13163:                            ;   in Loop: Header=BB6_11393 Depth=4
	v_clz_i32_u32_e32 v0, v2
	s_delay_alu instid0(VALU_DEP_1) | instskip(SKIP_1) | instid1(VALU_DEP_2)
	v_min_u32_e32 v0, 32, v0
	v_mov_b32_e32 v71, v113
	v_subrev_nc_u32_e32 v2, 29, v0
	v_sub_nc_u32_e32 v0, 30, v0
	s_delay_alu instid0(VALU_DEP_2) | instskip(NEXT) | instid1(VALU_DEP_1)
	v_lshlrev_b64_e32 v[2:3], v2, v[70:71]
	v_and_b32_e32 v2, 3, v2
.LBB6_13164:                            ;   in Loop: Header=BB6_11393 Depth=4
	s_or_b32 exec_lo, exec_lo, s75
	v_bfe_i32 v3, v70, 0, 16
                                        ; implicit-def: $vgpr70
	s_delay_alu instid0(VALU_DEP_1) | instskip(NEXT) | instid1(VALU_DEP_1)
	v_and_b32_e32 v3, 0x80000000, v3
	v_lshl_add_u32 v0, v0, 23, v3
	s_delay_alu instid0(VALU_DEP_1) | instskip(NEXT) | instid1(VALU_DEP_1)
	v_lshl_or_b32 v0, v2, 21, v0
                                        ; implicit-def: $vgpr2
	v_add_nc_u32_e32 v0, 0x38000000, v0
.LBB6_13165:                            ;   in Loop: Header=BB6_11393 Depth=4
	s_and_not1_saveexec_b32 s75, s13
; %bb.13166:                            ;   in Loop: Header=BB6_11393 Depth=4
	v_cmp_lt_i16_e64 s13, -1, v70
	v_mov_b32_e32 v0, 0x7f800000
	v_cmp_eq_u32_e32 vcc_lo, 0, v2
	s_delay_alu instid0(VALU_DEP_2) | instskip(NEXT) | instid1(VALU_DEP_1)
	v_cndmask_b32_e64 v0, 0xff800000, v0, s13
	v_cndmask_b32_e32 v0, 0x7f800001, v0, vcc_lo
; %bb.13167:                            ;   in Loop: Header=BB6_11393 Depth=4
	s_or_b32 exec_lo, exec_lo, s75
.LBB6_13168:                            ;   in Loop: Header=BB6_11393 Depth=4
	s_delay_alu instid0(SALU_CYCLE_1)
	s_or_b32 exec_lo, exec_lo, s15
.LBB6_13169:                            ;   in Loop: Header=BB6_11393 Depth=4
	s_delay_alu instid0(SALU_CYCLE_1) | instskip(NEXT) | instid1(VALU_DEP_1)
	s_or_b32 exec_lo, exec_lo, s14
	v_add_f32_e32 v0, v1, v0
	v_mov_b32_e32 v3, v113
                                        ; implicit-def: $vgpr27
	s_mov_b32 s13, exec_lo
	s_delay_alu instid0(VALU_DEP_2) | instskip(SKIP_1) | instid1(VALU_DEP_2)
	v_and_b32_e32 v2, 0x7f800000, v0
	v_and_b32_e32 v112, 0x7fffff, v0
	v_cmpx_ne_u64_e32 0x7f800000, v[2:3]
	s_xor_b32 s14, exec_lo, s13
	s_cbranch_execz .LBB6_13187
; %bb.13170:                            ;   in Loop: Header=BB6_11393 Depth=4
	v_dual_mov_b32 v3, v113 :: v_dual_lshrrev_b32 v1, 24, v0
	v_and_b32_e32 v2, 0x7fffffff, v0
                                        ; implicit-def: $vgpr27
	s_mov_b32 s13, exec_lo
	s_delay_alu instid0(VALU_DEP_2) | instskip(NEXT) | instid1(VALU_DEP_2)
	v_and_b32_e32 v7, 0x80, v1
	v_cmpx_gt_u64_e32 0x47600001, v[2:3]
	s_xor_b32 s15, exec_lo, s13
	s_cbranch_execz .LBB6_13184
; %bb.13171:                            ;   in Loop: Header=BB6_11393 Depth=4
	v_mov_b32_e32 v27, 0
	s_mov_b32 s75, exec_lo
	v_cmpx_ne_u32_e32 0, v0
	s_cbranch_execz .LBB6_13183
; %bb.13172:                            ;   in Loop: Header=BB6_11393 Depth=4
	v_bfe_u32 v17, v0, 23, 8
	v_or_b32_e32 v1, 0x800000, v112
	s_delay_alu instid0(VALU_DEP_2) | instskip(SKIP_2) | instid1(VALU_DEP_2)
	v_cmp_gt_u32_e64 s13, 0x72, v17
	v_sub_nc_u32_e32 v0, 0x71, v17
	v_cmp_eq_u32_e32 vcc_lo, 0, v17
	v_cndmask_b32_e64 v0, 0, v0, s13
	s_delay_alu instid0(VALU_DEP_1) | instskip(SKIP_1) | instid1(VALU_DEP_2)
	v_cndmask_b32_e64 v25, v0, 0x70, vcc_lo
	v_cndmask_b32_e32 v0, v1, v112, vcc_lo
	v_dual_mov_b32 v1, v113 :: v_dual_add_nc_u32 v2, 21, v25
	v_add_nc_u32_e32 v27, 20, v25
	s_delay_alu instid0(VALU_DEP_2) | instskip(NEXT) | instid1(VALU_DEP_2)
	v_lshlrev_b64_e64 v[2:3], v2, -1
	v_lshlrev_b64_e64 v[48:49], v27, 1
	s_delay_alu instid0(VALU_DEP_2) | instskip(SKIP_1) | instid1(VALU_DEP_4)
	v_bfi_b32 v2, v2, 0, v0
	v_lshrrev_b64 v[0:1], v25, v[0:1]
	v_bfi_b32 v3, v3, 0, 0
	s_delay_alu instid0(VALU_DEP_1) | instskip(NEXT) | instid1(VALU_DEP_3)
	v_cmp_eq_u64_e64 s13, v[2:3], v[48:49]
	v_mov_b64_e32 v[2:3], v[0:1]
	s_and_saveexec_b32 s76, s13
; %bb.13173:                            ;   in Loop: Header=BB6_11393 Depth=4
	v_bfe_u32 v2, v0, 21, 1
	v_mov_b32_e32 v3, v113
	s_delay_alu instid0(VALU_DEP_1) | instskip(NEXT) | instid1(VALU_DEP_1)
	v_add_nc_u64_e32 v[2:3], v[0:1], v[2:3]
	v_add_nc_u64_e32 v[2:3], -1, v[2:3]
; %bb.13174:                            ;   in Loop: Header=BB6_11393 Depth=4
	s_or_b32 exec_lo, exec_lo, s76
	v_add_nc_u32_e32 v1, 0xffffff81, v17
	s_delay_alu instid0(VALU_DEP_2) | instskip(SKIP_2) | instid1(VALU_DEP_3)
	v_and_b32_e32 v2, 0x1fffff, v2
	v_lshrrev_b32_e32 v3, 23, v0
	s_mov_b32 s13, exec_lo
	v_cndmask_b32_e64 v1, v1, 0xffffff82, vcc_lo
	s_delay_alu instid0(VALU_DEP_3) | instskip(NEXT) | instid1(VALU_DEP_2)
	v_add_nc_u32_e32 v112, v2, v0
                                        ; implicit-def: $vgpr2
	v_add3_u32 v17, v25, v1, v3
                                        ; implicit-def: $vgpr0_vgpr1
	s_delay_alu instid0(VALU_DEP_1) | instskip(NEXT) | instid1(VALU_DEP_1)
	v_add_nc_u32_e32 v3, 14, v17
	v_cmpx_ne_u32_e32 0, v3
	s_xor_b32 s13, exec_lo, s13
; %bb.13175:                            ;   in Loop: Header=BB6_11393 Depth=4
	v_cmp_lt_u64_e32 vcc_lo, 0xffffff, v[112:113]
	v_add_nc_u32_e32 v0, 15, v17
	s_delay_alu instid0(VALU_DEP_1) | instskip(SKIP_1) | instid1(VALU_DEP_1)
	v_cndmask_b32_e32 v2, v3, v0, vcc_lo
	v_cndmask_b32_e64 v0, 0, 1, vcc_lo
	v_lshrrev_b64 v[0:1], v0, v[112:113]
; %bb.13176:                            ;   in Loop: Header=BB6_11393 Depth=4
	s_and_not1_saveexec_b32 s13, s13
; %bb.13177:                            ;   in Loop: Header=BB6_11393 Depth=4
	v_mov_b64_e32 v[0:1], v[112:113]
	v_bfe_u32 v2, v112, 23, 1
; %bb.13178:                            ;   in Loop: Header=BB6_11393 Depth=4
	s_or_b32 exec_lo, exec_lo, s13
	s_delay_alu instid0(VALU_DEP_2) | instskip(NEXT) | instid1(VALU_DEP_2)
	v_lshrrev_b64 v[0:1], 21, v[0:1]
	v_cmp_gt_i32_e32 vcc_lo, 32, v2
	v_cmp_ne_u32_e64 s13, 0, v2
                                        ; implicit-def: $vgpr27
	s_delay_alu instid0(VALU_DEP_3) | instskip(NEXT) | instid1(VALU_DEP_1)
	v_dual_cndmask_b32 v1, 0, v1 :: v_dual_cndmask_b32 v0, 3, v0
	v_cmp_ne_u64_e32 vcc_lo, 0, v[0:1]
	s_or_b32 s13, s13, vcc_lo
	s_delay_alu instid0(SALU_CYCLE_1) | instskip(NEXT) | instid1(SALU_CYCLE_1)
	s_and_saveexec_b32 s76, s13
	s_xor_b32 s13, exec_lo, s76
; %bb.13179:                            ;   in Loop: Header=BB6_11393 Depth=4
	v_min_i32_e32 v1, 31, v2
	s_delay_alu instid0(VALU_DEP_1) | instskip(NEXT) | instid1(VALU_DEP_1)
	v_lshl_or_b32 v1, v1, 2, v7
                                        ; implicit-def: $vgpr7
	v_and_or_b32 v27, v0, 3, v1
; %bb.13180:                            ;   in Loop: Header=BB6_11393 Depth=4
	s_and_not1_saveexec_b32 s13, s13
; %bb.13181:                            ;   in Loop: Header=BB6_11393 Depth=4
	v_mov_b32_e32 v27, v7
; %bb.13182:                            ;   in Loop: Header=BB6_11393 Depth=4
	s_or_b32 exec_lo, exec_lo, s13
.LBB6_13183:                            ;   in Loop: Header=BB6_11393 Depth=4
	s_delay_alu instid0(SALU_CYCLE_1)
	s_or_b32 exec_lo, exec_lo, s75
                                        ; implicit-def: $vgpr7
.LBB6_13184:                            ;   in Loop: Header=BB6_11393 Depth=4
	s_and_not1_saveexec_b32 s13, s15
; %bb.13185:                            ;   in Loop: Header=BB6_11393 Depth=4
	v_or_b32_e32 v27, 0x7b, v7
; %bb.13186:                            ;   in Loop: Header=BB6_11393 Depth=4
	s_or_b32 exec_lo, exec_lo, s13
                                        ; implicit-def: $vgpr0
.LBB6_13187:                            ;   in Loop: Header=BB6_11393 Depth=4
	s_and_not1_saveexec_b32 s13, s14
	s_cbranch_execz .LBB6_13193
; %bb.13188:                            ;   in Loop: Header=BB6_11393 Depth=4
	s_mov_b32 s14, exec_lo
                                        ; implicit-def: $vgpr27
	v_cmpx_ne_u64_e32 0, v[112:113]
	s_xor_b32 s14, exec_lo, s14
; %bb.13189:                            ;   in Loop: Header=BB6_11393 Depth=4
	v_lshrrev_b32_e32 v0, 24, v0
	s_delay_alu instid0(VALU_DEP_1)
	v_or_b32_e32 v27, 0x7f, v0
                                        ; implicit-def: $vgpr0
; %bb.13190:                            ;   in Loop: Header=BB6_11393 Depth=4
	s_and_not1_saveexec_b32 s14, s14
; %bb.13191:                            ;   in Loop: Header=BB6_11393 Depth=4
	v_cmp_lt_i32_e32 vcc_lo, -1, v0
	v_cndmask_b32_e64 v27, -4, 0x7c, vcc_lo
; %bb.13192:                            ;   in Loop: Header=BB6_11393 Depth=4
	s_or_b32 exec_lo, exec_lo, s14
.LBB6_13193:                            ;   in Loop: Header=BB6_11393 Depth=4
	s_delay_alu instid0(SALU_CYCLE_1) | instskip(SKIP_3) | instid1(VALU_DEP_2)
	s_or_b32 exec_lo, exec_lo, s13
	v_and_b32_e32 v3, 0xff, v108
	v_dual_mov_b32 v0, 0 :: v_dual_mov_b32 v1, 0
	s_mov_b32 s14, exec_lo
	v_cmpx_ne_u16_e32 0, v3
	s_cbranch_execz .LBB6_13203
; %bb.13194:                            ;   in Loop: Header=BB6_11393 Depth=4
	v_bfrev_b32_e32 v1, 1
	s_mov_b32 s15, exec_lo
	v_cmpx_ne_u16_e32 0x80, v3
	s_cbranch_execz .LBB6_13202
; %bb.13195:                            ;   in Loop: Header=BB6_11393 Depth=4
	v_and_b32_e32 v1, 0x7c, v108
	v_and_b32_e32 v2, 3, v108
	s_delay_alu instid0(VALU_DEP_2) | instskip(SKIP_1) | instid1(SALU_CYCLE_1)
	v_cmp_ne_u32_e32 vcc_lo, 0x7c, v1
                                        ; implicit-def: $vgpr1
	s_and_saveexec_b32 s13, vcc_lo
	s_xor_b32 s13, exec_lo, s13
	s_cbranch_execz .LBB6_13199
; %bb.13196:                            ;   in Loop: Header=BB6_11393 Depth=4
	v_bfe_u32 v1, v3, 2, 5
	s_mov_b32 s75, exec_lo
	s_delay_alu instid0(VALU_DEP_1)
	v_cmpx_eq_u32_e32 0, v1
	s_cbranch_execz .LBB6_13198
; %bb.13197:                            ;   in Loop: Header=BB6_11393 Depth=4
	v_clz_i32_u32_e32 v1, v2
	s_delay_alu instid0(VALU_DEP_1) | instskip(SKIP_1) | instid1(VALU_DEP_2)
	v_min_u32_e32 v1, 32, v1
	v_mov_b32_e32 v109, v113
	v_subrev_nc_u32_e32 v2, 29, v1
	v_sub_nc_u32_e32 v1, 30, v1
	s_delay_alu instid0(VALU_DEP_2) | instskip(NEXT) | instid1(VALU_DEP_1)
	v_lshlrev_b64_e32 v[2:3], v2, v[108:109]
	v_and_b32_e32 v2, 3, v2
.LBB6_13198:                            ;   in Loop: Header=BB6_11393 Depth=4
	s_or_b32 exec_lo, exec_lo, s75
	v_lshlrev_b32_e32 v3, 24, v108
                                        ; implicit-def: $vgpr108
	s_delay_alu instid0(VALU_DEP_1) | instskip(NEXT) | instid1(VALU_DEP_1)
	v_and_b32_e32 v3, 0x80000000, v3
	v_lshl_add_u32 v1, v1, 23, v3
	s_delay_alu instid0(VALU_DEP_1) | instskip(NEXT) | instid1(VALU_DEP_1)
	v_lshl_or_b32 v1, v2, 21, v1
                                        ; implicit-def: $vgpr2
	v_add_nc_u32_e32 v1, 0x38000000, v1
.LBB6_13199:                            ;   in Loop: Header=BB6_11393 Depth=4
	s_and_not1_saveexec_b32 s75, s13
; %bb.13200:                            ;   in Loop: Header=BB6_11393 Depth=4
	v_bfe_i32 v1, v108, 0, 8
	v_cmp_eq_u32_e32 vcc_lo, 0, v2
	s_delay_alu instid0(VALU_DEP_2) | instskip(SKIP_1) | instid1(VALU_DEP_1)
	v_cmp_lt_i16_e64 s13, -1, v1
	v_mov_b32_e32 v1, 0x7f800000
	v_cndmask_b32_e64 v1, 0xff800000, v1, s13
	s_delay_alu instid0(VALU_DEP_1)
	v_cndmask_b32_e32 v1, 0x7f800001, v1, vcc_lo
; %bb.13201:                            ;   in Loop: Header=BB6_11393 Depth=4
	s_or_b32 exec_lo, exec_lo, s75
.LBB6_13202:                            ;   in Loop: Header=BB6_11393 Depth=4
	s_delay_alu instid0(SALU_CYCLE_1)
	s_or_b32 exec_lo, exec_lo, s15
.LBB6_13203:                            ;   in Loop: Header=BB6_11393 Depth=4
	s_delay_alu instid0(SALU_CYCLE_1) | instskip(NEXT) | instid1(SALU_CYCLE_1)
	s_or_b32 exec_lo, exec_lo, s14
	s_mov_b32 s14, exec_lo
	s_wait_loadcnt_dscnt 0xf0f
	v_cmpx_ne_u16_e32 0, v98
	s_cbranch_execz .LBB6_13213
; %bb.13204:                            ;   in Loop: Header=BB6_11393 Depth=4
	v_bfrev_b32_e32 v0, 1
	s_mov_b32 s15, exec_lo
	v_cmpx_ne_u16_e32 0xff80, v98
	s_cbranch_execz .LBB6_13212
; %bb.13205:                            ;   in Loop: Header=BB6_11393 Depth=4
	v_and_b32_e32 v0, 0x7c, v98
	v_and_b32_e32 v2, 3, v98
	s_delay_alu instid0(VALU_DEP_2) | instskip(SKIP_1) | instid1(SALU_CYCLE_1)
	v_cmp_ne_u32_e32 vcc_lo, 0x7c, v0
                                        ; implicit-def: $vgpr0
	s_and_saveexec_b32 s13, vcc_lo
	s_xor_b32 s13, exec_lo, s13
	s_cbranch_execz .LBB6_13209
; %bb.13206:                            ;   in Loop: Header=BB6_11393 Depth=4
	v_and_b32_e32 v0, 0xff, v98
	s_mov_b32 s75, exec_lo
	s_delay_alu instid0(VALU_DEP_1) | instskip(NEXT) | instid1(VALU_DEP_1)
	v_bfe_u32 v0, v0, 2, 5
	v_cmpx_eq_u32_e32 0, v0
	s_cbranch_execz .LBB6_13208
; %bb.13207:                            ;   in Loop: Header=BB6_11393 Depth=4
	v_clz_i32_u32_e32 v0, v2
	s_delay_alu instid0(VALU_DEP_1) | instskip(SKIP_1) | instid1(VALU_DEP_2)
	v_min_u32_e32 v0, 32, v0
	v_mov_b32_e32 v99, v113
	v_subrev_nc_u32_e32 v2, 29, v0
	v_sub_nc_u32_e32 v0, 30, v0
	s_delay_alu instid0(VALU_DEP_2) | instskip(NEXT) | instid1(VALU_DEP_1)
	v_lshlrev_b64_e32 v[2:3], v2, v[98:99]
	v_and_b32_e32 v2, 3, v2
.LBB6_13208:                            ;   in Loop: Header=BB6_11393 Depth=4
	s_or_b32 exec_lo, exec_lo, s75
	v_bfe_i32 v3, v98, 0, 16
                                        ; implicit-def: $vgpr98
	s_delay_alu instid0(VALU_DEP_1) | instskip(NEXT) | instid1(VALU_DEP_1)
	v_and_b32_e32 v3, 0x80000000, v3
	v_lshl_add_u32 v0, v0, 23, v3
	s_delay_alu instid0(VALU_DEP_1) | instskip(NEXT) | instid1(VALU_DEP_1)
	v_lshl_or_b32 v0, v2, 21, v0
                                        ; implicit-def: $vgpr2
	v_add_nc_u32_e32 v0, 0x38000000, v0
.LBB6_13209:                            ;   in Loop: Header=BB6_11393 Depth=4
	s_and_not1_saveexec_b32 s75, s13
; %bb.13210:                            ;   in Loop: Header=BB6_11393 Depth=4
	v_cmp_lt_i16_e64 s13, -1, v98
	v_mov_b32_e32 v0, 0x7f800000
	v_cmp_eq_u32_e32 vcc_lo, 0, v2
	s_delay_alu instid0(VALU_DEP_2) | instskip(NEXT) | instid1(VALU_DEP_1)
	v_cndmask_b32_e64 v0, 0xff800000, v0, s13
	v_cndmask_b32_e32 v0, 0x7f800001, v0, vcc_lo
; %bb.13211:                            ;   in Loop: Header=BB6_11393 Depth=4
	s_or_b32 exec_lo, exec_lo, s75
.LBB6_13212:                            ;   in Loop: Header=BB6_11393 Depth=4
	s_delay_alu instid0(SALU_CYCLE_1)
	s_or_b32 exec_lo, exec_lo, s15
.LBB6_13213:                            ;   in Loop: Header=BB6_11393 Depth=4
	s_delay_alu instid0(SALU_CYCLE_1) | instskip(NEXT) | instid1(VALU_DEP_1)
	s_or_b32 exec_lo, exec_lo, s14
	v_add_f32_e32 v0, v1, v0
	v_mov_b32_e32 v3, v113
                                        ; implicit-def: $vgpr29
	s_mov_b32 s13, exec_lo
	s_delay_alu instid0(VALU_DEP_2) | instskip(SKIP_1) | instid1(VALU_DEP_2)
	v_and_b32_e32 v2, 0x7f800000, v0
	v_and_b32_e32 v112, 0x7fffff, v0
	v_cmpx_ne_u64_e32 0x7f800000, v[2:3]
	s_xor_b32 s14, exec_lo, s13
	s_cbranch_execz .LBB6_13231
; %bb.13214:                            ;   in Loop: Header=BB6_11393 Depth=4
	v_dual_mov_b32 v3, v113 :: v_dual_lshrrev_b32 v1, 24, v0
	v_and_b32_e32 v2, 0x7fffffff, v0
                                        ; implicit-def: $vgpr29
	s_mov_b32 s13, exec_lo
	s_delay_alu instid0(VALU_DEP_2) | instskip(NEXT) | instid1(VALU_DEP_2)
	v_and_b32_e32 v7, 0x80, v1
	v_cmpx_gt_u64_e32 0x47600001, v[2:3]
	s_xor_b32 s15, exec_lo, s13
	s_cbranch_execz .LBB6_13228
; %bb.13215:                            ;   in Loop: Header=BB6_11393 Depth=4
	v_mov_b32_e32 v29, 0
	s_mov_b32 s75, exec_lo
	v_cmpx_ne_u32_e32 0, v0
	s_cbranch_execz .LBB6_13227
; %bb.13216:                            ;   in Loop: Header=BB6_11393 Depth=4
	v_bfe_u32 v17, v0, 23, 8
	v_or_b32_e32 v1, 0x800000, v112
	s_delay_alu instid0(VALU_DEP_2) | instskip(SKIP_2) | instid1(VALU_DEP_2)
	v_cmp_gt_u32_e64 s13, 0x72, v17
	v_sub_nc_u32_e32 v0, 0x71, v17
	v_cmp_eq_u32_e32 vcc_lo, 0, v17
	v_cndmask_b32_e64 v0, 0, v0, s13
	s_delay_alu instid0(VALU_DEP_1) | instskip(SKIP_1) | instid1(VALU_DEP_2)
	v_cndmask_b32_e64 v25, v0, 0x70, vcc_lo
	v_cndmask_b32_e32 v0, v1, v112, vcc_lo
	v_dual_mov_b32 v1, v113 :: v_dual_add_nc_u32 v2, 21, v25
	v_add_nc_u32_e32 v29, 20, v25
	s_delay_alu instid0(VALU_DEP_2) | instskip(NEXT) | instid1(VALU_DEP_2)
	v_lshlrev_b64_e64 v[2:3], v2, -1
	v_lshlrev_b64_e64 v[48:49], v29, 1
	s_delay_alu instid0(VALU_DEP_2) | instskip(SKIP_1) | instid1(VALU_DEP_4)
	v_bfi_b32 v2, v2, 0, v0
	v_lshrrev_b64 v[0:1], v25, v[0:1]
	v_bfi_b32 v3, v3, 0, 0
	s_delay_alu instid0(VALU_DEP_1) | instskip(NEXT) | instid1(VALU_DEP_3)
	v_cmp_eq_u64_e64 s13, v[2:3], v[48:49]
	v_mov_b64_e32 v[2:3], v[0:1]
	s_and_saveexec_b32 s76, s13
; %bb.13217:                            ;   in Loop: Header=BB6_11393 Depth=4
	v_bfe_u32 v2, v0, 21, 1
	v_mov_b32_e32 v3, v113
	s_delay_alu instid0(VALU_DEP_1) | instskip(NEXT) | instid1(VALU_DEP_1)
	v_add_nc_u64_e32 v[2:3], v[0:1], v[2:3]
	v_add_nc_u64_e32 v[2:3], -1, v[2:3]
; %bb.13218:                            ;   in Loop: Header=BB6_11393 Depth=4
	s_or_b32 exec_lo, exec_lo, s76
	v_add_nc_u32_e32 v1, 0xffffff81, v17
	s_delay_alu instid0(VALU_DEP_2) | instskip(SKIP_2) | instid1(VALU_DEP_3)
	v_and_b32_e32 v2, 0x1fffff, v2
	v_lshrrev_b32_e32 v3, 23, v0
	s_mov_b32 s13, exec_lo
	v_cndmask_b32_e64 v1, v1, 0xffffff82, vcc_lo
	s_delay_alu instid0(VALU_DEP_3) | instskip(NEXT) | instid1(VALU_DEP_2)
	v_add_nc_u32_e32 v112, v2, v0
                                        ; implicit-def: $vgpr2
	v_add3_u32 v17, v25, v1, v3
                                        ; implicit-def: $vgpr0_vgpr1
	s_delay_alu instid0(VALU_DEP_1) | instskip(NEXT) | instid1(VALU_DEP_1)
	v_add_nc_u32_e32 v3, 14, v17
	v_cmpx_ne_u32_e32 0, v3
	s_xor_b32 s13, exec_lo, s13
; %bb.13219:                            ;   in Loop: Header=BB6_11393 Depth=4
	v_cmp_lt_u64_e32 vcc_lo, 0xffffff, v[112:113]
	v_add_nc_u32_e32 v0, 15, v17
	s_delay_alu instid0(VALU_DEP_1) | instskip(SKIP_1) | instid1(VALU_DEP_1)
	v_cndmask_b32_e32 v2, v3, v0, vcc_lo
	v_cndmask_b32_e64 v0, 0, 1, vcc_lo
	v_lshrrev_b64 v[0:1], v0, v[112:113]
; %bb.13220:                            ;   in Loop: Header=BB6_11393 Depth=4
	s_and_not1_saveexec_b32 s13, s13
; %bb.13221:                            ;   in Loop: Header=BB6_11393 Depth=4
	v_mov_b64_e32 v[0:1], v[112:113]
	v_bfe_u32 v2, v112, 23, 1
; %bb.13222:                            ;   in Loop: Header=BB6_11393 Depth=4
	s_or_b32 exec_lo, exec_lo, s13
	s_delay_alu instid0(VALU_DEP_2) | instskip(NEXT) | instid1(VALU_DEP_2)
	v_lshrrev_b64 v[0:1], 21, v[0:1]
	v_cmp_gt_i32_e32 vcc_lo, 32, v2
	v_cmp_ne_u32_e64 s13, 0, v2
                                        ; implicit-def: $vgpr29
	s_delay_alu instid0(VALU_DEP_3) | instskip(NEXT) | instid1(VALU_DEP_1)
	v_dual_cndmask_b32 v1, 0, v1 :: v_dual_cndmask_b32 v0, 3, v0
	v_cmp_ne_u64_e32 vcc_lo, 0, v[0:1]
	s_or_b32 s13, s13, vcc_lo
	s_delay_alu instid0(SALU_CYCLE_1) | instskip(NEXT) | instid1(SALU_CYCLE_1)
	s_and_saveexec_b32 s76, s13
	s_xor_b32 s13, exec_lo, s76
; %bb.13223:                            ;   in Loop: Header=BB6_11393 Depth=4
	v_min_i32_e32 v1, 31, v2
	s_delay_alu instid0(VALU_DEP_1) | instskip(NEXT) | instid1(VALU_DEP_1)
	v_lshl_or_b32 v1, v1, 2, v7
                                        ; implicit-def: $vgpr7
	v_and_or_b32 v29, v0, 3, v1
; %bb.13224:                            ;   in Loop: Header=BB6_11393 Depth=4
	s_and_not1_saveexec_b32 s13, s13
; %bb.13225:                            ;   in Loop: Header=BB6_11393 Depth=4
	v_mov_b32_e32 v29, v7
; %bb.13226:                            ;   in Loop: Header=BB6_11393 Depth=4
	s_or_b32 exec_lo, exec_lo, s13
.LBB6_13227:                            ;   in Loop: Header=BB6_11393 Depth=4
	s_delay_alu instid0(SALU_CYCLE_1)
	s_or_b32 exec_lo, exec_lo, s75
                                        ; implicit-def: $vgpr7
.LBB6_13228:                            ;   in Loop: Header=BB6_11393 Depth=4
	s_and_not1_saveexec_b32 s13, s15
; %bb.13229:                            ;   in Loop: Header=BB6_11393 Depth=4
	v_or_b32_e32 v29, 0x7b, v7
; %bb.13230:                            ;   in Loop: Header=BB6_11393 Depth=4
	s_or_b32 exec_lo, exec_lo, s13
                                        ; implicit-def: $vgpr0
.LBB6_13231:                            ;   in Loop: Header=BB6_11393 Depth=4
	s_and_not1_saveexec_b32 s13, s14
	s_cbranch_execz .LBB6_13237
; %bb.13232:                            ;   in Loop: Header=BB6_11393 Depth=4
	s_mov_b32 s14, exec_lo
                                        ; implicit-def: $vgpr29
	v_cmpx_ne_u64_e32 0, v[112:113]
	s_xor_b32 s14, exec_lo, s14
; %bb.13233:                            ;   in Loop: Header=BB6_11393 Depth=4
	v_lshrrev_b32_e32 v0, 24, v0
	s_delay_alu instid0(VALU_DEP_1)
	v_or_b32_e32 v29, 0x7f, v0
                                        ; implicit-def: $vgpr0
; %bb.13234:                            ;   in Loop: Header=BB6_11393 Depth=4
	s_and_not1_saveexec_b32 s14, s14
; %bb.13235:                            ;   in Loop: Header=BB6_11393 Depth=4
	v_cmp_lt_i32_e32 vcc_lo, -1, v0
	v_cndmask_b32_e64 v29, -4, 0x7c, vcc_lo
; %bb.13236:                            ;   in Loop: Header=BB6_11393 Depth=4
	s_or_b32 exec_lo, exec_lo, s14
.LBB6_13237:                            ;   in Loop: Header=BB6_11393 Depth=4
	s_delay_alu instid0(SALU_CYCLE_1) | instskip(SKIP_3) | instid1(VALU_DEP_2)
	s_or_b32 exec_lo, exec_lo, s13
	v_and_b32_e32 v3, 0xff, v106
	v_dual_mov_b32 v0, 0 :: v_dual_mov_b32 v1, 0
	s_mov_b32 s14, exec_lo
	v_cmpx_ne_u16_e32 0, v3
	s_cbranch_execz .LBB6_13247
; %bb.13238:                            ;   in Loop: Header=BB6_11393 Depth=4
	v_bfrev_b32_e32 v1, 1
	s_mov_b32 s15, exec_lo
	v_cmpx_ne_u16_e32 0x80, v3
	s_cbranch_execz .LBB6_13246
; %bb.13239:                            ;   in Loop: Header=BB6_11393 Depth=4
	v_and_b32_e32 v1, 0x7c, v106
	v_and_b32_e32 v2, 3, v106
	s_delay_alu instid0(VALU_DEP_2) | instskip(SKIP_1) | instid1(SALU_CYCLE_1)
	v_cmp_ne_u32_e32 vcc_lo, 0x7c, v1
                                        ; implicit-def: $vgpr1
	s_and_saveexec_b32 s13, vcc_lo
	s_xor_b32 s13, exec_lo, s13
	s_cbranch_execz .LBB6_13243
; %bb.13240:                            ;   in Loop: Header=BB6_11393 Depth=4
	v_bfe_u32 v1, v3, 2, 5
	s_mov_b32 s75, exec_lo
	s_delay_alu instid0(VALU_DEP_1)
	v_cmpx_eq_u32_e32 0, v1
	s_cbranch_execz .LBB6_13242
; %bb.13241:                            ;   in Loop: Header=BB6_11393 Depth=4
	v_clz_i32_u32_e32 v1, v2
	s_delay_alu instid0(VALU_DEP_1) | instskip(SKIP_1) | instid1(VALU_DEP_2)
	v_min_u32_e32 v1, 32, v1
	v_mov_b32_e32 v107, v113
	v_subrev_nc_u32_e32 v2, 29, v1
	v_sub_nc_u32_e32 v1, 30, v1
	s_delay_alu instid0(VALU_DEP_2) | instskip(NEXT) | instid1(VALU_DEP_1)
	v_lshlrev_b64_e32 v[2:3], v2, v[106:107]
	v_and_b32_e32 v2, 3, v2
.LBB6_13242:                            ;   in Loop: Header=BB6_11393 Depth=4
	s_or_b32 exec_lo, exec_lo, s75
	v_lshlrev_b32_e32 v3, 24, v106
                                        ; implicit-def: $vgpr106
	s_delay_alu instid0(VALU_DEP_1) | instskip(NEXT) | instid1(VALU_DEP_1)
	v_and_b32_e32 v3, 0x80000000, v3
	v_lshl_add_u32 v1, v1, 23, v3
	s_delay_alu instid0(VALU_DEP_1) | instskip(NEXT) | instid1(VALU_DEP_1)
	v_lshl_or_b32 v1, v2, 21, v1
                                        ; implicit-def: $vgpr2
	v_add_nc_u32_e32 v1, 0x38000000, v1
.LBB6_13243:                            ;   in Loop: Header=BB6_11393 Depth=4
	s_and_not1_saveexec_b32 s75, s13
; %bb.13244:                            ;   in Loop: Header=BB6_11393 Depth=4
	v_bfe_i32 v1, v106, 0, 8
	v_cmp_eq_u32_e32 vcc_lo, 0, v2
	s_delay_alu instid0(VALU_DEP_2) | instskip(SKIP_1) | instid1(VALU_DEP_1)
	v_cmp_lt_i16_e64 s13, -1, v1
	v_mov_b32_e32 v1, 0x7f800000
	v_cndmask_b32_e64 v1, 0xff800000, v1, s13
	s_delay_alu instid0(VALU_DEP_1)
	v_cndmask_b32_e32 v1, 0x7f800001, v1, vcc_lo
; %bb.13245:                            ;   in Loop: Header=BB6_11393 Depth=4
	s_or_b32 exec_lo, exec_lo, s75
.LBB6_13246:                            ;   in Loop: Header=BB6_11393 Depth=4
	s_delay_alu instid0(SALU_CYCLE_1)
	s_or_b32 exec_lo, exec_lo, s15
.LBB6_13247:                            ;   in Loop: Header=BB6_11393 Depth=4
	s_delay_alu instid0(SALU_CYCLE_1) | instskip(NEXT) | instid1(SALU_CYCLE_1)
	s_or_b32 exec_lo, exec_lo, s14
	s_mov_b32 s14, exec_lo
	s_wait_loadcnt_dscnt 0xe0e
	v_cmpx_ne_u16_e32 0, v68
	s_cbranch_execz .LBB6_13257
; %bb.13248:                            ;   in Loop: Header=BB6_11393 Depth=4
	v_bfrev_b32_e32 v0, 1
	s_mov_b32 s15, exec_lo
	v_cmpx_ne_u16_e32 0xff80, v68
	s_cbranch_execz .LBB6_13256
; %bb.13249:                            ;   in Loop: Header=BB6_11393 Depth=4
	v_and_b32_e32 v0, 0x7c, v68
	v_and_b32_e32 v2, 3, v68
	s_delay_alu instid0(VALU_DEP_2) | instskip(SKIP_1) | instid1(SALU_CYCLE_1)
	v_cmp_ne_u32_e32 vcc_lo, 0x7c, v0
                                        ; implicit-def: $vgpr0
	s_and_saveexec_b32 s13, vcc_lo
	s_xor_b32 s13, exec_lo, s13
	s_cbranch_execz .LBB6_13253
; %bb.13250:                            ;   in Loop: Header=BB6_11393 Depth=4
	v_and_b32_e32 v0, 0xff, v68
	s_mov_b32 s75, exec_lo
	s_delay_alu instid0(VALU_DEP_1) | instskip(NEXT) | instid1(VALU_DEP_1)
	v_bfe_u32 v0, v0, 2, 5
	v_cmpx_eq_u32_e32 0, v0
	s_cbranch_execz .LBB6_13252
; %bb.13251:                            ;   in Loop: Header=BB6_11393 Depth=4
	v_clz_i32_u32_e32 v0, v2
	s_delay_alu instid0(VALU_DEP_1) | instskip(SKIP_1) | instid1(VALU_DEP_2)
	v_min_u32_e32 v0, 32, v0
	v_mov_b32_e32 v69, v113
	v_subrev_nc_u32_e32 v2, 29, v0
	v_sub_nc_u32_e32 v0, 30, v0
	s_delay_alu instid0(VALU_DEP_2) | instskip(NEXT) | instid1(VALU_DEP_1)
	v_lshlrev_b64_e32 v[2:3], v2, v[68:69]
	v_and_b32_e32 v2, 3, v2
.LBB6_13252:                            ;   in Loop: Header=BB6_11393 Depth=4
	s_or_b32 exec_lo, exec_lo, s75
	v_bfe_i32 v3, v68, 0, 16
                                        ; implicit-def: $vgpr68
	s_delay_alu instid0(VALU_DEP_1) | instskip(NEXT) | instid1(VALU_DEP_1)
	v_and_b32_e32 v3, 0x80000000, v3
	v_lshl_add_u32 v0, v0, 23, v3
	s_delay_alu instid0(VALU_DEP_1) | instskip(NEXT) | instid1(VALU_DEP_1)
	v_lshl_or_b32 v0, v2, 21, v0
                                        ; implicit-def: $vgpr2
	v_add_nc_u32_e32 v0, 0x38000000, v0
.LBB6_13253:                            ;   in Loop: Header=BB6_11393 Depth=4
	s_and_not1_saveexec_b32 s75, s13
; %bb.13254:                            ;   in Loop: Header=BB6_11393 Depth=4
	v_cmp_lt_i16_e64 s13, -1, v68
	v_mov_b32_e32 v0, 0x7f800000
	v_cmp_eq_u32_e32 vcc_lo, 0, v2
	s_delay_alu instid0(VALU_DEP_2) | instskip(NEXT) | instid1(VALU_DEP_1)
	v_cndmask_b32_e64 v0, 0xff800000, v0, s13
	v_cndmask_b32_e32 v0, 0x7f800001, v0, vcc_lo
; %bb.13255:                            ;   in Loop: Header=BB6_11393 Depth=4
	s_or_b32 exec_lo, exec_lo, s75
.LBB6_13256:                            ;   in Loop: Header=BB6_11393 Depth=4
	s_delay_alu instid0(SALU_CYCLE_1)
	s_or_b32 exec_lo, exec_lo, s15
.LBB6_13257:                            ;   in Loop: Header=BB6_11393 Depth=4
	s_delay_alu instid0(SALU_CYCLE_1) | instskip(NEXT) | instid1(VALU_DEP_1)
	s_or_b32 exec_lo, exec_lo, s14
	v_add_f32_e32 v0, v1, v0
	v_mov_b32_e32 v3, v113
                                        ; implicit-def: $vgpr31
	s_mov_b32 s13, exec_lo
	s_delay_alu instid0(VALU_DEP_2) | instskip(SKIP_1) | instid1(VALU_DEP_2)
	v_and_b32_e32 v2, 0x7f800000, v0
	v_and_b32_e32 v112, 0x7fffff, v0
	v_cmpx_ne_u64_e32 0x7f800000, v[2:3]
	s_xor_b32 s14, exec_lo, s13
	s_cbranch_execz .LBB6_13275
; %bb.13258:                            ;   in Loop: Header=BB6_11393 Depth=4
	v_dual_mov_b32 v3, v113 :: v_dual_lshrrev_b32 v1, 24, v0
	v_and_b32_e32 v2, 0x7fffffff, v0
                                        ; implicit-def: $vgpr31
	s_mov_b32 s13, exec_lo
	s_delay_alu instid0(VALU_DEP_2) | instskip(NEXT) | instid1(VALU_DEP_2)
	v_and_b32_e32 v7, 0x80, v1
	v_cmpx_gt_u64_e32 0x47600001, v[2:3]
	s_xor_b32 s15, exec_lo, s13
	s_cbranch_execz .LBB6_13272
; %bb.13259:                            ;   in Loop: Header=BB6_11393 Depth=4
	v_mov_b32_e32 v31, 0
	s_mov_b32 s75, exec_lo
	v_cmpx_ne_u32_e32 0, v0
	s_cbranch_execz .LBB6_13271
; %bb.13260:                            ;   in Loop: Header=BB6_11393 Depth=4
	v_bfe_u32 v17, v0, 23, 8
	v_or_b32_e32 v1, 0x800000, v112
	s_delay_alu instid0(VALU_DEP_2) | instskip(SKIP_2) | instid1(VALU_DEP_2)
	v_cmp_gt_u32_e64 s13, 0x72, v17
	v_sub_nc_u32_e32 v0, 0x71, v17
	v_cmp_eq_u32_e32 vcc_lo, 0, v17
	v_cndmask_b32_e64 v0, 0, v0, s13
	s_delay_alu instid0(VALU_DEP_1) | instskip(SKIP_1) | instid1(VALU_DEP_2)
	v_cndmask_b32_e64 v25, v0, 0x70, vcc_lo
	v_cndmask_b32_e32 v0, v1, v112, vcc_lo
	v_dual_mov_b32 v1, v113 :: v_dual_add_nc_u32 v2, 21, v25
	v_add_nc_u32_e32 v31, 20, v25
	s_delay_alu instid0(VALU_DEP_2) | instskip(NEXT) | instid1(VALU_DEP_2)
	v_lshlrev_b64_e64 v[2:3], v2, -1
	v_lshlrev_b64_e64 v[48:49], v31, 1
	s_delay_alu instid0(VALU_DEP_2) | instskip(SKIP_1) | instid1(VALU_DEP_4)
	v_bfi_b32 v2, v2, 0, v0
	v_lshrrev_b64 v[0:1], v25, v[0:1]
	v_bfi_b32 v3, v3, 0, 0
	s_delay_alu instid0(VALU_DEP_1) | instskip(NEXT) | instid1(VALU_DEP_3)
	v_cmp_eq_u64_e64 s13, v[2:3], v[48:49]
	v_mov_b64_e32 v[2:3], v[0:1]
	s_and_saveexec_b32 s76, s13
; %bb.13261:                            ;   in Loop: Header=BB6_11393 Depth=4
	v_bfe_u32 v2, v0, 21, 1
	v_mov_b32_e32 v3, v113
	s_delay_alu instid0(VALU_DEP_1) | instskip(NEXT) | instid1(VALU_DEP_1)
	v_add_nc_u64_e32 v[2:3], v[0:1], v[2:3]
	v_add_nc_u64_e32 v[2:3], -1, v[2:3]
; %bb.13262:                            ;   in Loop: Header=BB6_11393 Depth=4
	s_or_b32 exec_lo, exec_lo, s76
	v_add_nc_u32_e32 v1, 0xffffff81, v17
	s_delay_alu instid0(VALU_DEP_2) | instskip(SKIP_2) | instid1(VALU_DEP_3)
	v_and_b32_e32 v2, 0x1fffff, v2
	v_lshrrev_b32_e32 v3, 23, v0
	s_mov_b32 s13, exec_lo
	v_cndmask_b32_e64 v1, v1, 0xffffff82, vcc_lo
	s_delay_alu instid0(VALU_DEP_3) | instskip(NEXT) | instid1(VALU_DEP_2)
	v_add_nc_u32_e32 v112, v2, v0
                                        ; implicit-def: $vgpr2
	v_add3_u32 v17, v25, v1, v3
                                        ; implicit-def: $vgpr0_vgpr1
	s_delay_alu instid0(VALU_DEP_1) | instskip(NEXT) | instid1(VALU_DEP_1)
	v_add_nc_u32_e32 v3, 14, v17
	v_cmpx_ne_u32_e32 0, v3
	s_xor_b32 s13, exec_lo, s13
; %bb.13263:                            ;   in Loop: Header=BB6_11393 Depth=4
	v_cmp_lt_u64_e32 vcc_lo, 0xffffff, v[112:113]
	v_add_nc_u32_e32 v0, 15, v17
	s_delay_alu instid0(VALU_DEP_1) | instskip(SKIP_1) | instid1(VALU_DEP_1)
	v_cndmask_b32_e32 v2, v3, v0, vcc_lo
	v_cndmask_b32_e64 v0, 0, 1, vcc_lo
	v_lshrrev_b64 v[0:1], v0, v[112:113]
; %bb.13264:                            ;   in Loop: Header=BB6_11393 Depth=4
	s_and_not1_saveexec_b32 s13, s13
; %bb.13265:                            ;   in Loop: Header=BB6_11393 Depth=4
	v_mov_b64_e32 v[0:1], v[112:113]
	v_bfe_u32 v2, v112, 23, 1
; %bb.13266:                            ;   in Loop: Header=BB6_11393 Depth=4
	s_or_b32 exec_lo, exec_lo, s13
	s_delay_alu instid0(VALU_DEP_2) | instskip(NEXT) | instid1(VALU_DEP_2)
	v_lshrrev_b64 v[0:1], 21, v[0:1]
	v_cmp_gt_i32_e32 vcc_lo, 32, v2
	v_cmp_ne_u32_e64 s13, 0, v2
                                        ; implicit-def: $vgpr31
	s_delay_alu instid0(VALU_DEP_3) | instskip(NEXT) | instid1(VALU_DEP_1)
	v_dual_cndmask_b32 v1, 0, v1 :: v_dual_cndmask_b32 v0, 3, v0
	v_cmp_ne_u64_e32 vcc_lo, 0, v[0:1]
	s_or_b32 s13, s13, vcc_lo
	s_delay_alu instid0(SALU_CYCLE_1) | instskip(NEXT) | instid1(SALU_CYCLE_1)
	s_and_saveexec_b32 s76, s13
	s_xor_b32 s13, exec_lo, s76
; %bb.13267:                            ;   in Loop: Header=BB6_11393 Depth=4
	v_min_i32_e32 v1, 31, v2
	s_delay_alu instid0(VALU_DEP_1) | instskip(NEXT) | instid1(VALU_DEP_1)
	v_lshl_or_b32 v1, v1, 2, v7
                                        ; implicit-def: $vgpr7
	v_and_or_b32 v31, v0, 3, v1
; %bb.13268:                            ;   in Loop: Header=BB6_11393 Depth=4
	s_and_not1_saveexec_b32 s13, s13
; %bb.13269:                            ;   in Loop: Header=BB6_11393 Depth=4
	v_mov_b32_e32 v31, v7
; %bb.13270:                            ;   in Loop: Header=BB6_11393 Depth=4
	s_or_b32 exec_lo, exec_lo, s13
.LBB6_13271:                            ;   in Loop: Header=BB6_11393 Depth=4
	s_delay_alu instid0(SALU_CYCLE_1)
	s_or_b32 exec_lo, exec_lo, s75
                                        ; implicit-def: $vgpr7
.LBB6_13272:                            ;   in Loop: Header=BB6_11393 Depth=4
	s_and_not1_saveexec_b32 s13, s15
; %bb.13273:                            ;   in Loop: Header=BB6_11393 Depth=4
	v_or_b32_e32 v31, 0x7b, v7
; %bb.13274:                            ;   in Loop: Header=BB6_11393 Depth=4
	s_or_b32 exec_lo, exec_lo, s13
                                        ; implicit-def: $vgpr0
.LBB6_13275:                            ;   in Loop: Header=BB6_11393 Depth=4
	s_and_not1_saveexec_b32 s13, s14
	s_cbranch_execz .LBB6_13281
; %bb.13276:                            ;   in Loop: Header=BB6_11393 Depth=4
	s_mov_b32 s14, exec_lo
                                        ; implicit-def: $vgpr31
	v_cmpx_ne_u64_e32 0, v[112:113]
	s_xor_b32 s14, exec_lo, s14
; %bb.13277:                            ;   in Loop: Header=BB6_11393 Depth=4
	v_lshrrev_b32_e32 v0, 24, v0
	s_delay_alu instid0(VALU_DEP_1)
	v_or_b32_e32 v31, 0x7f, v0
                                        ; implicit-def: $vgpr0
; %bb.13278:                            ;   in Loop: Header=BB6_11393 Depth=4
	s_and_not1_saveexec_b32 s14, s14
; %bb.13279:                            ;   in Loop: Header=BB6_11393 Depth=4
	v_cmp_lt_i32_e32 vcc_lo, -1, v0
	v_cndmask_b32_e64 v31, -4, 0x7c, vcc_lo
; %bb.13280:                            ;   in Loop: Header=BB6_11393 Depth=4
	s_or_b32 exec_lo, exec_lo, s14
.LBB6_13281:                            ;   in Loop: Header=BB6_11393 Depth=4
	s_delay_alu instid0(SALU_CYCLE_1) | instskip(SKIP_3) | instid1(VALU_DEP_2)
	s_or_b32 exec_lo, exec_lo, s13
	v_and_b32_e32 v3, 0xff, v104
	v_dual_mov_b32 v0, 0 :: v_dual_mov_b32 v1, 0
	s_mov_b32 s14, exec_lo
	v_cmpx_ne_u16_e32 0, v3
	s_cbranch_execz .LBB6_13291
; %bb.13282:                            ;   in Loop: Header=BB6_11393 Depth=4
	v_bfrev_b32_e32 v1, 1
	s_mov_b32 s15, exec_lo
	v_cmpx_ne_u16_e32 0x80, v3
	s_cbranch_execz .LBB6_13290
; %bb.13283:                            ;   in Loop: Header=BB6_11393 Depth=4
	v_and_b32_e32 v1, 0x7c, v104
	v_and_b32_e32 v2, 3, v104
	s_delay_alu instid0(VALU_DEP_2) | instskip(SKIP_1) | instid1(SALU_CYCLE_1)
	v_cmp_ne_u32_e32 vcc_lo, 0x7c, v1
                                        ; implicit-def: $vgpr1
	s_and_saveexec_b32 s13, vcc_lo
	s_xor_b32 s13, exec_lo, s13
	s_cbranch_execz .LBB6_13287
; %bb.13284:                            ;   in Loop: Header=BB6_11393 Depth=4
	v_bfe_u32 v1, v3, 2, 5
	s_mov_b32 s75, exec_lo
	s_delay_alu instid0(VALU_DEP_1)
	v_cmpx_eq_u32_e32 0, v1
	s_cbranch_execz .LBB6_13286
; %bb.13285:                            ;   in Loop: Header=BB6_11393 Depth=4
	v_clz_i32_u32_e32 v1, v2
	s_delay_alu instid0(VALU_DEP_1) | instskip(SKIP_1) | instid1(VALU_DEP_2)
	v_min_u32_e32 v1, 32, v1
	v_mov_b32_e32 v105, v113
	v_subrev_nc_u32_e32 v2, 29, v1
	v_sub_nc_u32_e32 v1, 30, v1
	s_delay_alu instid0(VALU_DEP_2) | instskip(NEXT) | instid1(VALU_DEP_1)
	v_lshlrev_b64_e32 v[2:3], v2, v[104:105]
	v_and_b32_e32 v2, 3, v2
.LBB6_13286:                            ;   in Loop: Header=BB6_11393 Depth=4
	s_or_b32 exec_lo, exec_lo, s75
	v_lshlrev_b32_e32 v3, 24, v104
                                        ; implicit-def: $vgpr104
	s_delay_alu instid0(VALU_DEP_1) | instskip(NEXT) | instid1(VALU_DEP_1)
	v_and_b32_e32 v3, 0x80000000, v3
	v_lshl_add_u32 v1, v1, 23, v3
	s_delay_alu instid0(VALU_DEP_1) | instskip(NEXT) | instid1(VALU_DEP_1)
	v_lshl_or_b32 v1, v2, 21, v1
                                        ; implicit-def: $vgpr2
	v_add_nc_u32_e32 v1, 0x38000000, v1
.LBB6_13287:                            ;   in Loop: Header=BB6_11393 Depth=4
	s_and_not1_saveexec_b32 s75, s13
; %bb.13288:                            ;   in Loop: Header=BB6_11393 Depth=4
	v_bfe_i32 v1, v104, 0, 8
	v_cmp_eq_u32_e32 vcc_lo, 0, v2
	s_delay_alu instid0(VALU_DEP_2) | instskip(SKIP_1) | instid1(VALU_DEP_1)
	v_cmp_lt_i16_e64 s13, -1, v1
	v_mov_b32_e32 v1, 0x7f800000
	v_cndmask_b32_e64 v1, 0xff800000, v1, s13
	s_delay_alu instid0(VALU_DEP_1)
	v_cndmask_b32_e32 v1, 0x7f800001, v1, vcc_lo
; %bb.13289:                            ;   in Loop: Header=BB6_11393 Depth=4
	s_or_b32 exec_lo, exec_lo, s75
.LBB6_13290:                            ;   in Loop: Header=BB6_11393 Depth=4
	s_delay_alu instid0(SALU_CYCLE_1)
	s_or_b32 exec_lo, exec_lo, s15
.LBB6_13291:                            ;   in Loop: Header=BB6_11393 Depth=4
	s_delay_alu instid0(SALU_CYCLE_1) | instskip(NEXT) | instid1(SALU_CYCLE_1)
	s_or_b32 exec_lo, exec_lo, s14
	s_mov_b32 s14, exec_lo
	s_wait_loadcnt_dscnt 0xd0d
	v_cmpx_ne_u16_e32 0, v46
	s_cbranch_execz .LBB6_13301
; %bb.13292:                            ;   in Loop: Header=BB6_11393 Depth=4
	v_bfrev_b32_e32 v0, 1
	s_mov_b32 s15, exec_lo
	v_cmpx_ne_u16_e32 0xff80, v46
	s_cbranch_execz .LBB6_13300
; %bb.13293:                            ;   in Loop: Header=BB6_11393 Depth=4
	v_and_b32_e32 v0, 0x7c, v46
	v_and_b32_e32 v2, 3, v46
	s_delay_alu instid0(VALU_DEP_2) | instskip(SKIP_1) | instid1(SALU_CYCLE_1)
	v_cmp_ne_u32_e32 vcc_lo, 0x7c, v0
                                        ; implicit-def: $vgpr0
	s_and_saveexec_b32 s13, vcc_lo
	s_xor_b32 s13, exec_lo, s13
	s_cbranch_execz .LBB6_13297
; %bb.13294:                            ;   in Loop: Header=BB6_11393 Depth=4
	v_and_b32_e32 v0, 0xff, v46
	s_mov_b32 s75, exec_lo
	s_delay_alu instid0(VALU_DEP_1) | instskip(NEXT) | instid1(VALU_DEP_1)
	v_bfe_u32 v0, v0, 2, 5
	v_cmpx_eq_u32_e32 0, v0
	s_cbranch_execz .LBB6_13296
; %bb.13295:                            ;   in Loop: Header=BB6_11393 Depth=4
	v_clz_i32_u32_e32 v0, v2
	s_delay_alu instid0(VALU_DEP_1) | instskip(SKIP_1) | instid1(VALU_DEP_2)
	v_min_u32_e32 v0, 32, v0
	v_mov_b32_e32 v47, v113
	v_subrev_nc_u32_e32 v2, 29, v0
	v_sub_nc_u32_e32 v0, 30, v0
	s_delay_alu instid0(VALU_DEP_2) | instskip(NEXT) | instid1(VALU_DEP_1)
	v_lshlrev_b64_e32 v[2:3], v2, v[46:47]
	v_and_b32_e32 v2, 3, v2
.LBB6_13296:                            ;   in Loop: Header=BB6_11393 Depth=4
	s_or_b32 exec_lo, exec_lo, s75
	v_bfe_i32 v3, v46, 0, 16
                                        ; implicit-def: $vgpr46
	s_delay_alu instid0(VALU_DEP_1) | instskip(NEXT) | instid1(VALU_DEP_1)
	v_and_b32_e32 v3, 0x80000000, v3
	v_lshl_add_u32 v0, v0, 23, v3
	s_delay_alu instid0(VALU_DEP_1) | instskip(NEXT) | instid1(VALU_DEP_1)
	v_lshl_or_b32 v0, v2, 21, v0
                                        ; implicit-def: $vgpr2
	v_add_nc_u32_e32 v0, 0x38000000, v0
.LBB6_13297:                            ;   in Loop: Header=BB6_11393 Depth=4
	s_and_not1_saveexec_b32 s75, s13
; %bb.13298:                            ;   in Loop: Header=BB6_11393 Depth=4
	v_cmp_lt_i16_e64 s13, -1, v46
	v_mov_b32_e32 v0, 0x7f800000
	v_cmp_eq_u32_e32 vcc_lo, 0, v2
	s_delay_alu instid0(VALU_DEP_2) | instskip(NEXT) | instid1(VALU_DEP_1)
	v_cndmask_b32_e64 v0, 0xff800000, v0, s13
	v_cndmask_b32_e32 v0, 0x7f800001, v0, vcc_lo
; %bb.13299:                            ;   in Loop: Header=BB6_11393 Depth=4
	s_or_b32 exec_lo, exec_lo, s75
.LBB6_13300:                            ;   in Loop: Header=BB6_11393 Depth=4
	s_delay_alu instid0(SALU_CYCLE_1)
	s_or_b32 exec_lo, exec_lo, s15
.LBB6_13301:                            ;   in Loop: Header=BB6_11393 Depth=4
	s_delay_alu instid0(SALU_CYCLE_1) | instskip(NEXT) | instid1(VALU_DEP_1)
	s_or_b32 exec_lo, exec_lo, s14
	v_add_f32_e32 v0, v1, v0
	v_mov_b32_e32 v3, v113
                                        ; implicit-def: $vgpr33
	s_mov_b32 s13, exec_lo
	s_delay_alu instid0(VALU_DEP_2) | instskip(SKIP_1) | instid1(VALU_DEP_2)
	v_and_b32_e32 v2, 0x7f800000, v0
	v_and_b32_e32 v112, 0x7fffff, v0
	v_cmpx_ne_u64_e32 0x7f800000, v[2:3]
	s_xor_b32 s14, exec_lo, s13
	s_cbranch_execz .LBB6_13319
; %bb.13302:                            ;   in Loop: Header=BB6_11393 Depth=4
	v_dual_mov_b32 v3, v113 :: v_dual_lshrrev_b32 v1, 24, v0
	v_and_b32_e32 v2, 0x7fffffff, v0
                                        ; implicit-def: $vgpr33
	s_mov_b32 s13, exec_lo
	s_delay_alu instid0(VALU_DEP_2) | instskip(NEXT) | instid1(VALU_DEP_2)
	v_and_b32_e32 v7, 0x80, v1
	v_cmpx_gt_u64_e32 0x47600001, v[2:3]
	s_xor_b32 s15, exec_lo, s13
	s_cbranch_execz .LBB6_13316
; %bb.13303:                            ;   in Loop: Header=BB6_11393 Depth=4
	v_mov_b32_e32 v33, 0
	s_mov_b32 s75, exec_lo
	v_cmpx_ne_u32_e32 0, v0
	s_cbranch_execz .LBB6_13315
; %bb.13304:                            ;   in Loop: Header=BB6_11393 Depth=4
	v_bfe_u32 v17, v0, 23, 8
	v_or_b32_e32 v1, 0x800000, v112
	s_delay_alu instid0(VALU_DEP_2) | instskip(SKIP_2) | instid1(VALU_DEP_2)
	v_cmp_gt_u32_e64 s13, 0x72, v17
	v_sub_nc_u32_e32 v0, 0x71, v17
	v_cmp_eq_u32_e32 vcc_lo, 0, v17
	v_cndmask_b32_e64 v0, 0, v0, s13
	s_delay_alu instid0(VALU_DEP_1) | instskip(SKIP_1) | instid1(VALU_DEP_2)
	v_cndmask_b32_e64 v25, v0, 0x70, vcc_lo
	v_cndmask_b32_e32 v0, v1, v112, vcc_lo
	v_dual_mov_b32 v1, v113 :: v_dual_add_nc_u32 v2, 21, v25
	v_add_nc_u32_e32 v33, 20, v25
	s_delay_alu instid0(VALU_DEP_2) | instskip(NEXT) | instid1(VALU_DEP_2)
	v_lshlrev_b64_e64 v[2:3], v2, -1
	v_lshlrev_b64_e64 v[48:49], v33, 1
	s_delay_alu instid0(VALU_DEP_2) | instskip(SKIP_1) | instid1(VALU_DEP_4)
	v_bfi_b32 v2, v2, 0, v0
	v_lshrrev_b64 v[0:1], v25, v[0:1]
	v_bfi_b32 v3, v3, 0, 0
	s_delay_alu instid0(VALU_DEP_1) | instskip(NEXT) | instid1(VALU_DEP_3)
	v_cmp_eq_u64_e64 s13, v[2:3], v[48:49]
	v_mov_b64_e32 v[2:3], v[0:1]
	s_and_saveexec_b32 s76, s13
; %bb.13305:                            ;   in Loop: Header=BB6_11393 Depth=4
	v_bfe_u32 v2, v0, 21, 1
	v_mov_b32_e32 v3, v113
	s_delay_alu instid0(VALU_DEP_1) | instskip(NEXT) | instid1(VALU_DEP_1)
	v_add_nc_u64_e32 v[2:3], v[0:1], v[2:3]
	v_add_nc_u64_e32 v[2:3], -1, v[2:3]
; %bb.13306:                            ;   in Loop: Header=BB6_11393 Depth=4
	s_or_b32 exec_lo, exec_lo, s76
	v_add_nc_u32_e32 v1, 0xffffff81, v17
	s_delay_alu instid0(VALU_DEP_2) | instskip(SKIP_2) | instid1(VALU_DEP_3)
	v_and_b32_e32 v2, 0x1fffff, v2
	v_lshrrev_b32_e32 v3, 23, v0
	s_mov_b32 s13, exec_lo
	v_cndmask_b32_e64 v1, v1, 0xffffff82, vcc_lo
	s_delay_alu instid0(VALU_DEP_3) | instskip(NEXT) | instid1(VALU_DEP_2)
	v_add_nc_u32_e32 v112, v2, v0
                                        ; implicit-def: $vgpr2
	v_add3_u32 v17, v25, v1, v3
                                        ; implicit-def: $vgpr0_vgpr1
	s_delay_alu instid0(VALU_DEP_1) | instskip(NEXT) | instid1(VALU_DEP_1)
	v_add_nc_u32_e32 v3, 14, v17
	v_cmpx_ne_u32_e32 0, v3
	s_xor_b32 s13, exec_lo, s13
; %bb.13307:                            ;   in Loop: Header=BB6_11393 Depth=4
	v_cmp_lt_u64_e32 vcc_lo, 0xffffff, v[112:113]
	v_add_nc_u32_e32 v0, 15, v17
	s_delay_alu instid0(VALU_DEP_1) | instskip(SKIP_1) | instid1(VALU_DEP_1)
	v_cndmask_b32_e32 v2, v3, v0, vcc_lo
	v_cndmask_b32_e64 v0, 0, 1, vcc_lo
	v_lshrrev_b64 v[0:1], v0, v[112:113]
; %bb.13308:                            ;   in Loop: Header=BB6_11393 Depth=4
	s_and_not1_saveexec_b32 s13, s13
; %bb.13309:                            ;   in Loop: Header=BB6_11393 Depth=4
	v_mov_b64_e32 v[0:1], v[112:113]
	v_bfe_u32 v2, v112, 23, 1
; %bb.13310:                            ;   in Loop: Header=BB6_11393 Depth=4
	s_or_b32 exec_lo, exec_lo, s13
	s_delay_alu instid0(VALU_DEP_2) | instskip(NEXT) | instid1(VALU_DEP_2)
	v_lshrrev_b64 v[0:1], 21, v[0:1]
	v_cmp_gt_i32_e32 vcc_lo, 32, v2
	v_cmp_ne_u32_e64 s13, 0, v2
                                        ; implicit-def: $vgpr33
	s_delay_alu instid0(VALU_DEP_3) | instskip(NEXT) | instid1(VALU_DEP_1)
	v_dual_cndmask_b32 v1, 0, v1 :: v_dual_cndmask_b32 v0, 3, v0
	v_cmp_ne_u64_e32 vcc_lo, 0, v[0:1]
	s_or_b32 s13, s13, vcc_lo
	s_delay_alu instid0(SALU_CYCLE_1) | instskip(NEXT) | instid1(SALU_CYCLE_1)
	s_and_saveexec_b32 s76, s13
	s_xor_b32 s13, exec_lo, s76
; %bb.13311:                            ;   in Loop: Header=BB6_11393 Depth=4
	v_min_i32_e32 v1, 31, v2
	s_delay_alu instid0(VALU_DEP_1) | instskip(NEXT) | instid1(VALU_DEP_1)
	v_lshl_or_b32 v1, v1, 2, v7
                                        ; implicit-def: $vgpr7
	v_and_or_b32 v33, v0, 3, v1
; %bb.13312:                            ;   in Loop: Header=BB6_11393 Depth=4
	s_and_not1_saveexec_b32 s13, s13
; %bb.13313:                            ;   in Loop: Header=BB6_11393 Depth=4
	v_mov_b32_e32 v33, v7
; %bb.13314:                            ;   in Loop: Header=BB6_11393 Depth=4
	s_or_b32 exec_lo, exec_lo, s13
.LBB6_13315:                            ;   in Loop: Header=BB6_11393 Depth=4
	s_delay_alu instid0(SALU_CYCLE_1)
	s_or_b32 exec_lo, exec_lo, s75
                                        ; implicit-def: $vgpr7
.LBB6_13316:                            ;   in Loop: Header=BB6_11393 Depth=4
	s_and_not1_saveexec_b32 s13, s15
; %bb.13317:                            ;   in Loop: Header=BB6_11393 Depth=4
	v_or_b32_e32 v33, 0x7b, v7
; %bb.13318:                            ;   in Loop: Header=BB6_11393 Depth=4
	s_or_b32 exec_lo, exec_lo, s13
                                        ; implicit-def: $vgpr0
.LBB6_13319:                            ;   in Loop: Header=BB6_11393 Depth=4
	s_and_not1_saveexec_b32 s13, s14
	s_cbranch_execz .LBB6_13325
; %bb.13320:                            ;   in Loop: Header=BB6_11393 Depth=4
	s_mov_b32 s14, exec_lo
                                        ; implicit-def: $vgpr33
	v_cmpx_ne_u64_e32 0, v[112:113]
	s_xor_b32 s14, exec_lo, s14
; %bb.13321:                            ;   in Loop: Header=BB6_11393 Depth=4
	v_lshrrev_b32_e32 v0, 24, v0
	s_delay_alu instid0(VALU_DEP_1)
	v_or_b32_e32 v33, 0x7f, v0
                                        ; implicit-def: $vgpr0
; %bb.13322:                            ;   in Loop: Header=BB6_11393 Depth=4
	s_and_not1_saveexec_b32 s14, s14
; %bb.13323:                            ;   in Loop: Header=BB6_11393 Depth=4
	v_cmp_lt_i32_e32 vcc_lo, -1, v0
	v_cndmask_b32_e64 v33, -4, 0x7c, vcc_lo
; %bb.13324:                            ;   in Loop: Header=BB6_11393 Depth=4
	s_or_b32 exec_lo, exec_lo, s14
.LBB6_13325:                            ;   in Loop: Header=BB6_11393 Depth=4
	s_delay_alu instid0(SALU_CYCLE_1) | instskip(SKIP_3) | instid1(VALU_DEP_2)
	s_or_b32 exec_lo, exec_lo, s13
	v_and_b32_e32 v3, 0xff, v92
	v_dual_mov_b32 v0, 0 :: v_dual_mov_b32 v1, 0
	s_mov_b32 s14, exec_lo
	v_cmpx_ne_u16_e32 0, v3
	s_cbranch_execz .LBB6_13335
; %bb.13326:                            ;   in Loop: Header=BB6_11393 Depth=4
	v_bfrev_b32_e32 v1, 1
	s_mov_b32 s15, exec_lo
	v_cmpx_ne_u16_e32 0x80, v3
	s_cbranch_execz .LBB6_13334
; %bb.13327:                            ;   in Loop: Header=BB6_11393 Depth=4
	v_and_b32_e32 v1, 0x7c, v92
	v_and_b32_e32 v2, 3, v92
	s_delay_alu instid0(VALU_DEP_2) | instskip(SKIP_1) | instid1(SALU_CYCLE_1)
	v_cmp_ne_u32_e32 vcc_lo, 0x7c, v1
                                        ; implicit-def: $vgpr1
	s_and_saveexec_b32 s13, vcc_lo
	s_xor_b32 s13, exec_lo, s13
	s_cbranch_execz .LBB6_13331
; %bb.13328:                            ;   in Loop: Header=BB6_11393 Depth=4
	v_bfe_u32 v1, v3, 2, 5
	s_mov_b32 s75, exec_lo
	s_delay_alu instid0(VALU_DEP_1)
	v_cmpx_eq_u32_e32 0, v1
	s_cbranch_execz .LBB6_13330
; %bb.13329:                            ;   in Loop: Header=BB6_11393 Depth=4
	v_clz_i32_u32_e32 v1, v2
	s_delay_alu instid0(VALU_DEP_1) | instskip(SKIP_1) | instid1(VALU_DEP_2)
	v_min_u32_e32 v1, 32, v1
	v_mov_b32_e32 v93, v113
	v_subrev_nc_u32_e32 v2, 29, v1
	v_sub_nc_u32_e32 v1, 30, v1
	s_delay_alu instid0(VALU_DEP_2) | instskip(NEXT) | instid1(VALU_DEP_1)
	v_lshlrev_b64_e32 v[2:3], v2, v[92:93]
	v_and_b32_e32 v2, 3, v2
.LBB6_13330:                            ;   in Loop: Header=BB6_11393 Depth=4
	s_or_b32 exec_lo, exec_lo, s75
	v_lshlrev_b32_e32 v3, 24, v92
                                        ; implicit-def: $vgpr92
	s_delay_alu instid0(VALU_DEP_1) | instskip(NEXT) | instid1(VALU_DEP_1)
	v_and_b32_e32 v3, 0x80000000, v3
	v_lshl_add_u32 v1, v1, 23, v3
	s_delay_alu instid0(VALU_DEP_1) | instskip(NEXT) | instid1(VALU_DEP_1)
	v_lshl_or_b32 v1, v2, 21, v1
                                        ; implicit-def: $vgpr2
	v_add_nc_u32_e32 v1, 0x38000000, v1
.LBB6_13331:                            ;   in Loop: Header=BB6_11393 Depth=4
	s_and_not1_saveexec_b32 s75, s13
; %bb.13332:                            ;   in Loop: Header=BB6_11393 Depth=4
	v_bfe_i32 v1, v92, 0, 8
	v_cmp_eq_u32_e32 vcc_lo, 0, v2
	s_delay_alu instid0(VALU_DEP_2) | instskip(SKIP_1) | instid1(VALU_DEP_1)
	v_cmp_lt_i16_e64 s13, -1, v1
	v_mov_b32_e32 v1, 0x7f800000
	v_cndmask_b32_e64 v1, 0xff800000, v1, s13
	s_delay_alu instid0(VALU_DEP_1)
	v_cndmask_b32_e32 v1, 0x7f800001, v1, vcc_lo
; %bb.13333:                            ;   in Loop: Header=BB6_11393 Depth=4
	s_or_b32 exec_lo, exec_lo, s75
.LBB6_13334:                            ;   in Loop: Header=BB6_11393 Depth=4
	s_delay_alu instid0(SALU_CYCLE_1)
	s_or_b32 exec_lo, exec_lo, s15
.LBB6_13335:                            ;   in Loop: Header=BB6_11393 Depth=4
	s_delay_alu instid0(SALU_CYCLE_1) | instskip(NEXT) | instid1(SALU_CYCLE_1)
	s_or_b32 exec_lo, exec_lo, s14
	s_mov_b32 s14, exec_lo
	s_wait_loadcnt_dscnt 0xc0c
	v_cmpx_ne_u16_e32 0, v36
	s_cbranch_execz .LBB6_13345
; %bb.13336:                            ;   in Loop: Header=BB6_11393 Depth=4
	v_bfrev_b32_e32 v0, 1
	s_mov_b32 s15, exec_lo
	v_cmpx_ne_u16_e32 0xff80, v36
	s_cbranch_execz .LBB6_13344
; %bb.13337:                            ;   in Loop: Header=BB6_11393 Depth=4
	v_and_b32_e32 v0, 0x7c, v36
	v_and_b32_e32 v2, 3, v36
	s_delay_alu instid0(VALU_DEP_2) | instskip(SKIP_1) | instid1(SALU_CYCLE_1)
	v_cmp_ne_u32_e32 vcc_lo, 0x7c, v0
                                        ; implicit-def: $vgpr0
	s_and_saveexec_b32 s13, vcc_lo
	s_xor_b32 s13, exec_lo, s13
	s_cbranch_execz .LBB6_13341
; %bb.13338:                            ;   in Loop: Header=BB6_11393 Depth=4
	v_and_b32_e32 v0, 0xff, v36
	s_mov_b32 s75, exec_lo
	s_delay_alu instid0(VALU_DEP_1) | instskip(NEXT) | instid1(VALU_DEP_1)
	v_bfe_u32 v0, v0, 2, 5
	v_cmpx_eq_u32_e32 0, v0
	s_cbranch_execz .LBB6_13340
; %bb.13339:                            ;   in Loop: Header=BB6_11393 Depth=4
	v_clz_i32_u32_e32 v0, v2
	s_delay_alu instid0(VALU_DEP_1) | instskip(SKIP_1) | instid1(VALU_DEP_2)
	v_min_u32_e32 v0, 32, v0
	v_mov_b32_e32 v37, v113
	v_subrev_nc_u32_e32 v2, 29, v0
	v_sub_nc_u32_e32 v0, 30, v0
	s_delay_alu instid0(VALU_DEP_2) | instskip(NEXT) | instid1(VALU_DEP_1)
	v_lshlrev_b64_e32 v[2:3], v2, v[36:37]
	v_and_b32_e32 v2, 3, v2
.LBB6_13340:                            ;   in Loop: Header=BB6_11393 Depth=4
	s_or_b32 exec_lo, exec_lo, s75
	v_bfe_i32 v3, v36, 0, 16
                                        ; implicit-def: $vgpr36
	s_delay_alu instid0(VALU_DEP_1) | instskip(NEXT) | instid1(VALU_DEP_1)
	v_and_b32_e32 v3, 0x80000000, v3
	v_lshl_add_u32 v0, v0, 23, v3
	s_delay_alu instid0(VALU_DEP_1) | instskip(NEXT) | instid1(VALU_DEP_1)
	v_lshl_or_b32 v0, v2, 21, v0
                                        ; implicit-def: $vgpr2
	v_add_nc_u32_e32 v0, 0x38000000, v0
.LBB6_13341:                            ;   in Loop: Header=BB6_11393 Depth=4
	s_and_not1_saveexec_b32 s75, s13
; %bb.13342:                            ;   in Loop: Header=BB6_11393 Depth=4
	v_cmp_lt_i16_e64 s13, -1, v36
	v_mov_b32_e32 v0, 0x7f800000
	v_cmp_eq_u32_e32 vcc_lo, 0, v2
	s_delay_alu instid0(VALU_DEP_2) | instskip(NEXT) | instid1(VALU_DEP_1)
	v_cndmask_b32_e64 v0, 0xff800000, v0, s13
	v_cndmask_b32_e32 v0, 0x7f800001, v0, vcc_lo
; %bb.13343:                            ;   in Loop: Header=BB6_11393 Depth=4
	s_or_b32 exec_lo, exec_lo, s75
.LBB6_13344:                            ;   in Loop: Header=BB6_11393 Depth=4
	s_delay_alu instid0(SALU_CYCLE_1)
	s_or_b32 exec_lo, exec_lo, s15
.LBB6_13345:                            ;   in Loop: Header=BB6_11393 Depth=4
	s_delay_alu instid0(SALU_CYCLE_1) | instskip(NEXT) | instid1(VALU_DEP_1)
	s_or_b32 exec_lo, exec_lo, s14
	v_add_f32_e32 v0, v1, v0
	v_mov_b32_e32 v3, v113
                                        ; implicit-def: $vgpr35
	s_mov_b32 s13, exec_lo
	s_delay_alu instid0(VALU_DEP_2) | instskip(SKIP_1) | instid1(VALU_DEP_2)
	v_and_b32_e32 v2, 0x7f800000, v0
	v_and_b32_e32 v112, 0x7fffff, v0
	v_cmpx_ne_u64_e32 0x7f800000, v[2:3]
	s_xor_b32 s14, exec_lo, s13
	s_cbranch_execz .LBB6_13363
; %bb.13346:                            ;   in Loop: Header=BB6_11393 Depth=4
	v_dual_mov_b32 v3, v113 :: v_dual_lshrrev_b32 v1, 24, v0
	v_and_b32_e32 v2, 0x7fffffff, v0
                                        ; implicit-def: $vgpr35
	s_mov_b32 s13, exec_lo
	s_delay_alu instid0(VALU_DEP_2) | instskip(NEXT) | instid1(VALU_DEP_2)
	v_and_b32_e32 v7, 0x80, v1
	v_cmpx_gt_u64_e32 0x47600001, v[2:3]
	s_xor_b32 s15, exec_lo, s13
	s_cbranch_execz .LBB6_13360
; %bb.13347:                            ;   in Loop: Header=BB6_11393 Depth=4
	v_mov_b32_e32 v35, 0
	s_mov_b32 s75, exec_lo
	v_cmpx_ne_u32_e32 0, v0
	s_cbranch_execz .LBB6_13359
; %bb.13348:                            ;   in Loop: Header=BB6_11393 Depth=4
	v_bfe_u32 v17, v0, 23, 8
	v_or_b32_e32 v1, 0x800000, v112
	s_delay_alu instid0(VALU_DEP_2) | instskip(SKIP_2) | instid1(VALU_DEP_2)
	v_cmp_gt_u32_e64 s13, 0x72, v17
	v_sub_nc_u32_e32 v0, 0x71, v17
	v_cmp_eq_u32_e32 vcc_lo, 0, v17
	v_cndmask_b32_e64 v0, 0, v0, s13
	s_delay_alu instid0(VALU_DEP_1) | instskip(SKIP_1) | instid1(VALU_DEP_2)
	v_cndmask_b32_e64 v25, v0, 0x70, vcc_lo
	v_cndmask_b32_e32 v0, v1, v112, vcc_lo
	v_dual_mov_b32 v1, v113 :: v_dual_add_nc_u32 v2, 21, v25
	v_add_nc_u32_e32 v35, 20, v25
	s_delay_alu instid0(VALU_DEP_2) | instskip(NEXT) | instid1(VALU_DEP_2)
	v_lshlrev_b64_e64 v[2:3], v2, -1
	v_lshlrev_b64_e64 v[36:37], v35, 1
	s_delay_alu instid0(VALU_DEP_2) | instskip(SKIP_1) | instid1(VALU_DEP_4)
	v_bfi_b32 v2, v2, 0, v0
	v_lshrrev_b64 v[0:1], v25, v[0:1]
	v_bfi_b32 v3, v3, 0, 0
	s_delay_alu instid0(VALU_DEP_1) | instskip(NEXT) | instid1(VALU_DEP_3)
	v_cmp_eq_u64_e64 s13, v[2:3], v[36:37]
	v_mov_b64_e32 v[2:3], v[0:1]
	s_and_saveexec_b32 s76, s13
; %bb.13349:                            ;   in Loop: Header=BB6_11393 Depth=4
	v_bfe_u32 v2, v0, 21, 1
	v_mov_b32_e32 v3, v113
	s_delay_alu instid0(VALU_DEP_1) | instskip(NEXT) | instid1(VALU_DEP_1)
	v_add_nc_u64_e32 v[2:3], v[0:1], v[2:3]
	v_add_nc_u64_e32 v[2:3], -1, v[2:3]
; %bb.13350:                            ;   in Loop: Header=BB6_11393 Depth=4
	s_or_b32 exec_lo, exec_lo, s76
	v_add_nc_u32_e32 v1, 0xffffff81, v17
	s_delay_alu instid0(VALU_DEP_2) | instskip(SKIP_2) | instid1(VALU_DEP_3)
	v_and_b32_e32 v2, 0x1fffff, v2
	v_lshrrev_b32_e32 v3, 23, v0
	s_mov_b32 s13, exec_lo
	v_cndmask_b32_e64 v1, v1, 0xffffff82, vcc_lo
	s_delay_alu instid0(VALU_DEP_3) | instskip(NEXT) | instid1(VALU_DEP_2)
	v_add_nc_u32_e32 v112, v2, v0
                                        ; implicit-def: $vgpr2
	v_add3_u32 v17, v25, v1, v3
                                        ; implicit-def: $vgpr0_vgpr1
	s_delay_alu instid0(VALU_DEP_1) | instskip(NEXT) | instid1(VALU_DEP_1)
	v_add_nc_u32_e32 v3, 14, v17
	v_cmpx_ne_u32_e32 0, v3
	s_xor_b32 s13, exec_lo, s13
; %bb.13351:                            ;   in Loop: Header=BB6_11393 Depth=4
	v_cmp_lt_u64_e32 vcc_lo, 0xffffff, v[112:113]
	v_add_nc_u32_e32 v0, 15, v17
	s_delay_alu instid0(VALU_DEP_1) | instskip(SKIP_1) | instid1(VALU_DEP_1)
	v_cndmask_b32_e32 v2, v3, v0, vcc_lo
	v_cndmask_b32_e64 v0, 0, 1, vcc_lo
	v_lshrrev_b64 v[0:1], v0, v[112:113]
; %bb.13352:                            ;   in Loop: Header=BB6_11393 Depth=4
	s_and_not1_saveexec_b32 s13, s13
; %bb.13353:                            ;   in Loop: Header=BB6_11393 Depth=4
	v_mov_b64_e32 v[0:1], v[112:113]
	v_bfe_u32 v2, v112, 23, 1
; %bb.13354:                            ;   in Loop: Header=BB6_11393 Depth=4
	s_or_b32 exec_lo, exec_lo, s13
	s_delay_alu instid0(VALU_DEP_2) | instskip(NEXT) | instid1(VALU_DEP_2)
	v_lshrrev_b64 v[0:1], 21, v[0:1]
	v_cmp_gt_i32_e32 vcc_lo, 32, v2
	v_cmp_ne_u32_e64 s13, 0, v2
                                        ; implicit-def: $vgpr35
	s_delay_alu instid0(VALU_DEP_3) | instskip(NEXT) | instid1(VALU_DEP_1)
	v_dual_cndmask_b32 v1, 0, v1 :: v_dual_cndmask_b32 v0, 3, v0
	v_cmp_ne_u64_e32 vcc_lo, 0, v[0:1]
	s_or_b32 s13, s13, vcc_lo
	s_delay_alu instid0(SALU_CYCLE_1) | instskip(NEXT) | instid1(SALU_CYCLE_1)
	s_and_saveexec_b32 s76, s13
	s_xor_b32 s13, exec_lo, s76
; %bb.13355:                            ;   in Loop: Header=BB6_11393 Depth=4
	v_min_i32_e32 v1, 31, v2
	s_delay_alu instid0(VALU_DEP_1) | instskip(NEXT) | instid1(VALU_DEP_1)
	v_lshl_or_b32 v1, v1, 2, v7
                                        ; implicit-def: $vgpr7
	v_and_or_b32 v35, v0, 3, v1
; %bb.13356:                            ;   in Loop: Header=BB6_11393 Depth=4
	s_and_not1_saveexec_b32 s13, s13
; %bb.13357:                            ;   in Loop: Header=BB6_11393 Depth=4
	v_mov_b32_e32 v35, v7
; %bb.13358:                            ;   in Loop: Header=BB6_11393 Depth=4
	s_or_b32 exec_lo, exec_lo, s13
.LBB6_13359:                            ;   in Loop: Header=BB6_11393 Depth=4
	s_delay_alu instid0(SALU_CYCLE_1)
	s_or_b32 exec_lo, exec_lo, s75
                                        ; implicit-def: $vgpr7
.LBB6_13360:                            ;   in Loop: Header=BB6_11393 Depth=4
	s_and_not1_saveexec_b32 s13, s15
; %bb.13361:                            ;   in Loop: Header=BB6_11393 Depth=4
	v_or_b32_e32 v35, 0x7b, v7
; %bb.13362:                            ;   in Loop: Header=BB6_11393 Depth=4
	s_or_b32 exec_lo, exec_lo, s13
                                        ; implicit-def: $vgpr0
.LBB6_13363:                            ;   in Loop: Header=BB6_11393 Depth=4
	s_and_not1_saveexec_b32 s13, s14
	s_cbranch_execz .LBB6_13369
; %bb.13364:                            ;   in Loop: Header=BB6_11393 Depth=4
	s_mov_b32 s14, exec_lo
                                        ; implicit-def: $vgpr35
	v_cmpx_ne_u64_e32 0, v[112:113]
	s_xor_b32 s14, exec_lo, s14
; %bb.13365:                            ;   in Loop: Header=BB6_11393 Depth=4
	v_lshrrev_b32_e32 v0, 24, v0
	s_delay_alu instid0(VALU_DEP_1)
	v_or_b32_e32 v35, 0x7f, v0
                                        ; implicit-def: $vgpr0
; %bb.13366:                            ;   in Loop: Header=BB6_11393 Depth=4
	s_and_not1_saveexec_b32 s14, s14
; %bb.13367:                            ;   in Loop: Header=BB6_11393 Depth=4
	v_cmp_lt_i32_e32 vcc_lo, -1, v0
	v_cndmask_b32_e64 v35, -4, 0x7c, vcc_lo
; %bb.13368:                            ;   in Loop: Header=BB6_11393 Depth=4
	s_or_b32 exec_lo, exec_lo, s14
.LBB6_13369:                            ;   in Loop: Header=BB6_11393 Depth=4
	s_delay_alu instid0(SALU_CYCLE_1) | instskip(SKIP_3) | instid1(VALU_DEP_2)
	s_or_b32 exec_lo, exec_lo, s13
	v_and_b32_e32 v3, 0xff, v90
	v_dual_mov_b32 v0, 0 :: v_dual_mov_b32 v1, 0
	s_mov_b32 s14, exec_lo
	v_cmpx_ne_u16_e32 0, v3
	s_cbranch_execz .LBB6_13379
; %bb.13370:                            ;   in Loop: Header=BB6_11393 Depth=4
	v_bfrev_b32_e32 v1, 1
	s_mov_b32 s15, exec_lo
	v_cmpx_ne_u16_e32 0x80, v3
	s_cbranch_execz .LBB6_13378
; %bb.13371:                            ;   in Loop: Header=BB6_11393 Depth=4
	v_and_b32_e32 v1, 0x7c, v90
	v_and_b32_e32 v2, 3, v90
	s_delay_alu instid0(VALU_DEP_2) | instskip(SKIP_1) | instid1(SALU_CYCLE_1)
	v_cmp_ne_u32_e32 vcc_lo, 0x7c, v1
                                        ; implicit-def: $vgpr1
	s_and_saveexec_b32 s13, vcc_lo
	s_xor_b32 s13, exec_lo, s13
	s_cbranch_execz .LBB6_13375
; %bb.13372:                            ;   in Loop: Header=BB6_11393 Depth=4
	v_bfe_u32 v1, v3, 2, 5
	s_mov_b32 s75, exec_lo
	s_delay_alu instid0(VALU_DEP_1)
	v_cmpx_eq_u32_e32 0, v1
	s_cbranch_execz .LBB6_13374
; %bb.13373:                            ;   in Loop: Header=BB6_11393 Depth=4
	v_clz_i32_u32_e32 v1, v2
	s_delay_alu instid0(VALU_DEP_1) | instskip(SKIP_1) | instid1(VALU_DEP_2)
	v_min_u32_e32 v1, 32, v1
	v_mov_b32_e32 v91, v113
	v_subrev_nc_u32_e32 v2, 29, v1
	v_sub_nc_u32_e32 v1, 30, v1
	s_delay_alu instid0(VALU_DEP_2) | instskip(NEXT) | instid1(VALU_DEP_1)
	v_lshlrev_b64_e32 v[2:3], v2, v[90:91]
	v_and_b32_e32 v2, 3, v2
.LBB6_13374:                            ;   in Loop: Header=BB6_11393 Depth=4
	s_or_b32 exec_lo, exec_lo, s75
	v_lshlrev_b32_e32 v3, 24, v90
                                        ; implicit-def: $vgpr90
	s_delay_alu instid0(VALU_DEP_1) | instskip(NEXT) | instid1(VALU_DEP_1)
	v_and_b32_e32 v3, 0x80000000, v3
	v_lshl_add_u32 v1, v1, 23, v3
	s_delay_alu instid0(VALU_DEP_1) | instskip(NEXT) | instid1(VALU_DEP_1)
	v_lshl_or_b32 v1, v2, 21, v1
                                        ; implicit-def: $vgpr2
	v_add_nc_u32_e32 v1, 0x38000000, v1
.LBB6_13375:                            ;   in Loop: Header=BB6_11393 Depth=4
	s_and_not1_saveexec_b32 s75, s13
; %bb.13376:                            ;   in Loop: Header=BB6_11393 Depth=4
	v_bfe_i32 v1, v90, 0, 8
	v_cmp_eq_u32_e32 vcc_lo, 0, v2
	s_delay_alu instid0(VALU_DEP_2) | instskip(SKIP_1) | instid1(VALU_DEP_1)
	v_cmp_lt_i16_e64 s13, -1, v1
	v_mov_b32_e32 v1, 0x7f800000
	v_cndmask_b32_e64 v1, 0xff800000, v1, s13
	s_delay_alu instid0(VALU_DEP_1)
	v_cndmask_b32_e32 v1, 0x7f800001, v1, vcc_lo
; %bb.13377:                            ;   in Loop: Header=BB6_11393 Depth=4
	s_or_b32 exec_lo, exec_lo, s75
.LBB6_13378:                            ;   in Loop: Header=BB6_11393 Depth=4
	s_delay_alu instid0(SALU_CYCLE_1)
	s_or_b32 exec_lo, exec_lo, s15
.LBB6_13379:                            ;   in Loop: Header=BB6_11393 Depth=4
	s_delay_alu instid0(SALU_CYCLE_1) | instskip(NEXT) | instid1(SALU_CYCLE_1)
	s_or_b32 exec_lo, exec_lo, s14
	s_mov_b32 s14, exec_lo
	s_wait_loadcnt_dscnt 0xb0b
	v_cmpx_ne_u16_e32 0, v6
	s_cbranch_execz .LBB6_13389
; %bb.13380:                            ;   in Loop: Header=BB6_11393 Depth=4
	v_bfrev_b32_e32 v0, 1
	s_mov_b32 s15, exec_lo
	v_cmpx_ne_u16_e32 0xff80, v6
	s_cbranch_execz .LBB6_13388
; %bb.13381:                            ;   in Loop: Header=BB6_11393 Depth=4
	v_and_b32_e32 v0, 0x7c, v6
	v_and_b32_e32 v2, 3, v6
	s_delay_alu instid0(VALU_DEP_2) | instskip(SKIP_1) | instid1(SALU_CYCLE_1)
	v_cmp_ne_u32_e32 vcc_lo, 0x7c, v0
                                        ; implicit-def: $vgpr0
	s_and_saveexec_b32 s13, vcc_lo
	s_xor_b32 s13, exec_lo, s13
	s_cbranch_execz .LBB6_13385
; %bb.13382:                            ;   in Loop: Header=BB6_11393 Depth=4
	v_and_b32_e32 v0, 0xff, v6
	s_mov_b32 s75, exec_lo
	s_delay_alu instid0(VALU_DEP_1) | instskip(NEXT) | instid1(VALU_DEP_1)
	v_bfe_u32 v0, v0, 2, 5
	v_cmpx_eq_u32_e32 0, v0
	s_cbranch_execz .LBB6_13384
; %bb.13383:                            ;   in Loop: Header=BB6_11393 Depth=4
	v_clz_i32_u32_e32 v0, v2
	s_delay_alu instid0(VALU_DEP_1) | instskip(SKIP_1) | instid1(VALU_DEP_2)
	v_min_u32_e32 v0, 32, v0
	v_mov_b32_e32 v7, v113
	v_subrev_nc_u32_e32 v2, 29, v0
	v_sub_nc_u32_e32 v0, 30, v0
	s_delay_alu instid0(VALU_DEP_2) | instskip(NEXT) | instid1(VALU_DEP_1)
	v_lshlrev_b64_e32 v[2:3], v2, v[6:7]
	v_and_b32_e32 v2, 3, v2
.LBB6_13384:                            ;   in Loop: Header=BB6_11393 Depth=4
	s_or_b32 exec_lo, exec_lo, s75
	v_bfe_i32 v3, v6, 0, 16
                                        ; implicit-def: $vgpr6
	s_delay_alu instid0(VALU_DEP_1) | instskip(NEXT) | instid1(VALU_DEP_1)
	v_and_b32_e32 v3, 0x80000000, v3
	v_lshl_add_u32 v0, v0, 23, v3
	s_delay_alu instid0(VALU_DEP_1) | instskip(NEXT) | instid1(VALU_DEP_1)
	v_lshl_or_b32 v0, v2, 21, v0
                                        ; implicit-def: $vgpr2
	v_add_nc_u32_e32 v0, 0x38000000, v0
.LBB6_13385:                            ;   in Loop: Header=BB6_11393 Depth=4
	s_and_not1_saveexec_b32 s75, s13
; %bb.13386:                            ;   in Loop: Header=BB6_11393 Depth=4
	v_cmp_lt_i16_e64 s13, -1, v6
	v_mov_b32_e32 v0, 0x7f800000
	v_cmp_eq_u32_e32 vcc_lo, 0, v2
	s_delay_alu instid0(VALU_DEP_2) | instskip(NEXT) | instid1(VALU_DEP_1)
	v_cndmask_b32_e64 v0, 0xff800000, v0, s13
	v_cndmask_b32_e32 v0, 0x7f800001, v0, vcc_lo
; %bb.13387:                            ;   in Loop: Header=BB6_11393 Depth=4
	s_or_b32 exec_lo, exec_lo, s75
.LBB6_13388:                            ;   in Loop: Header=BB6_11393 Depth=4
	s_delay_alu instid0(SALU_CYCLE_1)
	s_or_b32 exec_lo, exec_lo, s15
.LBB6_13389:                            ;   in Loop: Header=BB6_11393 Depth=4
	s_delay_alu instid0(SALU_CYCLE_1) | instskip(NEXT) | instid1(VALU_DEP_1)
	s_or_b32 exec_lo, exec_lo, s14
	v_add_f32_e32 v0, v1, v0
	v_mov_b32_e32 v3, v113
                                        ; implicit-def: $vgpr6
	s_mov_b32 s13, exec_lo
	s_delay_alu instid0(VALU_DEP_2) | instskip(SKIP_1) | instid1(VALU_DEP_2)
	v_and_b32_e32 v2, 0x7f800000, v0
	v_and_b32_e32 v112, 0x7fffff, v0
	v_cmpx_ne_u64_e32 0x7f800000, v[2:3]
	s_xor_b32 s14, exec_lo, s13
	s_cbranch_execz .LBB6_13407
; %bb.13390:                            ;   in Loop: Header=BB6_11393 Depth=4
	v_dual_mov_b32 v3, v113 :: v_dual_lshrrev_b32 v1, 24, v0
	v_and_b32_e32 v2, 0x7fffffff, v0
                                        ; implicit-def: $vgpr6
	s_mov_b32 s13, exec_lo
	s_delay_alu instid0(VALU_DEP_2) | instskip(NEXT) | instid1(VALU_DEP_2)
	v_and_b32_e32 v7, 0x80, v1
	v_cmpx_gt_u64_e32 0x47600001, v[2:3]
	s_xor_b32 s15, exec_lo, s13
	s_cbranch_execz .LBB6_13404
; %bb.13391:                            ;   in Loop: Header=BB6_11393 Depth=4
	v_mov_b32_e32 v6, 0
	s_mov_b32 s75, exec_lo
	v_cmpx_ne_u32_e32 0, v0
	s_cbranch_execz .LBB6_13403
; %bb.13392:                            ;   in Loop: Header=BB6_11393 Depth=4
	v_bfe_u32 v6, v0, 23, 8
	v_or_b32_e32 v1, 0x800000, v112
	s_delay_alu instid0(VALU_DEP_2) | instskip(SKIP_2) | instid1(VALU_DEP_2)
	v_cmp_gt_u32_e64 s13, 0x72, v6
	v_sub_nc_u32_e32 v0, 0x71, v6
	v_cmp_eq_u32_e32 vcc_lo, 0, v6
	v_cndmask_b32_e64 v0, 0, v0, s13
	s_delay_alu instid0(VALU_DEP_1) | instskip(SKIP_1) | instid1(VALU_DEP_2)
	v_cndmask_b32_e64 v17, v0, 0x70, vcc_lo
	v_cndmask_b32_e32 v0, v1, v112, vcc_lo
	v_dual_mov_b32 v1, v113 :: v_dual_add_nc_u32 v2, 21, v17
	v_add_nc_u32_e32 v25, 20, v17
	s_delay_alu instid0(VALU_DEP_2) | instskip(NEXT) | instid1(VALU_DEP_2)
	v_lshlrev_b64_e64 v[2:3], v2, -1
	v_lshlrev_b64_e64 v[36:37], v25, 1
	s_delay_alu instid0(VALU_DEP_2) | instskip(SKIP_1) | instid1(VALU_DEP_4)
	v_bfi_b32 v2, v2, 0, v0
	v_lshrrev_b64 v[0:1], v17, v[0:1]
	v_bfi_b32 v3, v3, 0, 0
	s_delay_alu instid0(VALU_DEP_1) | instskip(NEXT) | instid1(VALU_DEP_3)
	v_cmp_eq_u64_e64 s13, v[2:3], v[36:37]
	v_mov_b64_e32 v[2:3], v[0:1]
	s_and_saveexec_b32 s76, s13
; %bb.13393:                            ;   in Loop: Header=BB6_11393 Depth=4
	v_bfe_u32 v2, v0, 21, 1
	v_mov_b32_e32 v3, v113
	s_delay_alu instid0(VALU_DEP_1) | instskip(NEXT) | instid1(VALU_DEP_1)
	v_add_nc_u64_e32 v[2:3], v[0:1], v[2:3]
	v_add_nc_u64_e32 v[2:3], -1, v[2:3]
; %bb.13394:                            ;   in Loop: Header=BB6_11393 Depth=4
	s_or_b32 exec_lo, exec_lo, s76
	v_add_nc_u32_e32 v1, 0xffffff81, v6
	s_delay_alu instid0(VALU_DEP_2) | instskip(SKIP_2) | instid1(VALU_DEP_3)
	v_and_b32_e32 v2, 0x1fffff, v2
	v_lshrrev_b32_e32 v3, 23, v0
	s_mov_b32 s13, exec_lo
	v_cndmask_b32_e64 v1, v1, 0xffffff82, vcc_lo
	s_delay_alu instid0(VALU_DEP_3) | instskip(NEXT) | instid1(VALU_DEP_2)
	v_add_nc_u32_e32 v112, v2, v0
                                        ; implicit-def: $vgpr2
	v_add3_u32 v6, v17, v1, v3
                                        ; implicit-def: $vgpr0_vgpr1
	s_delay_alu instid0(VALU_DEP_1) | instskip(NEXT) | instid1(VALU_DEP_1)
	v_add_nc_u32_e32 v3, 14, v6
	v_cmpx_ne_u32_e32 0, v3
	s_xor_b32 s13, exec_lo, s13
; %bb.13395:                            ;   in Loop: Header=BB6_11393 Depth=4
	v_cmp_lt_u64_e32 vcc_lo, 0xffffff, v[112:113]
	v_add_nc_u32_e32 v0, 15, v6
	s_delay_alu instid0(VALU_DEP_1) | instskip(SKIP_1) | instid1(VALU_DEP_1)
	v_cndmask_b32_e32 v2, v3, v0, vcc_lo
	v_cndmask_b32_e64 v0, 0, 1, vcc_lo
	v_lshrrev_b64 v[0:1], v0, v[112:113]
; %bb.13396:                            ;   in Loop: Header=BB6_11393 Depth=4
	s_and_not1_saveexec_b32 s13, s13
; %bb.13397:                            ;   in Loop: Header=BB6_11393 Depth=4
	v_mov_b64_e32 v[0:1], v[112:113]
	v_bfe_u32 v2, v112, 23, 1
; %bb.13398:                            ;   in Loop: Header=BB6_11393 Depth=4
	s_or_b32 exec_lo, exec_lo, s13
	s_delay_alu instid0(VALU_DEP_2) | instskip(NEXT) | instid1(VALU_DEP_2)
	v_lshrrev_b64 v[0:1], 21, v[0:1]
	v_cmp_gt_i32_e32 vcc_lo, 32, v2
	v_cmp_ne_u32_e64 s13, 0, v2
                                        ; implicit-def: $vgpr6
	s_delay_alu instid0(VALU_DEP_3) | instskip(NEXT) | instid1(VALU_DEP_1)
	v_dual_cndmask_b32 v1, 0, v1 :: v_dual_cndmask_b32 v0, 3, v0
	v_cmp_ne_u64_e32 vcc_lo, 0, v[0:1]
	s_or_b32 s13, s13, vcc_lo
	s_delay_alu instid0(SALU_CYCLE_1) | instskip(NEXT) | instid1(SALU_CYCLE_1)
	s_and_saveexec_b32 s76, s13
	s_xor_b32 s13, exec_lo, s76
; %bb.13399:                            ;   in Loop: Header=BB6_11393 Depth=4
	v_min_i32_e32 v1, 31, v2
	s_delay_alu instid0(VALU_DEP_1) | instskip(NEXT) | instid1(VALU_DEP_1)
	v_lshl_or_b32 v1, v1, 2, v7
                                        ; implicit-def: $vgpr7
	v_and_or_b32 v6, v0, 3, v1
; %bb.13400:                            ;   in Loop: Header=BB6_11393 Depth=4
	s_and_not1_saveexec_b32 s13, s13
; %bb.13401:                            ;   in Loop: Header=BB6_11393 Depth=4
	v_mov_b32_e32 v6, v7
; %bb.13402:                            ;   in Loop: Header=BB6_11393 Depth=4
	s_or_b32 exec_lo, exec_lo, s13
.LBB6_13403:                            ;   in Loop: Header=BB6_11393 Depth=4
	s_delay_alu instid0(SALU_CYCLE_1)
	s_or_b32 exec_lo, exec_lo, s75
                                        ; implicit-def: $vgpr7
.LBB6_13404:                            ;   in Loop: Header=BB6_11393 Depth=4
	s_and_not1_saveexec_b32 s13, s15
; %bb.13405:                            ;   in Loop: Header=BB6_11393 Depth=4
	v_or_b32_e32 v6, 0x7b, v7
; %bb.13406:                            ;   in Loop: Header=BB6_11393 Depth=4
	s_or_b32 exec_lo, exec_lo, s13
                                        ; implicit-def: $vgpr0
.LBB6_13407:                            ;   in Loop: Header=BB6_11393 Depth=4
	s_and_not1_saveexec_b32 s13, s14
	s_cbranch_execz .LBB6_13413
; %bb.13408:                            ;   in Loop: Header=BB6_11393 Depth=4
	s_mov_b32 s14, exec_lo
                                        ; implicit-def: $vgpr6
	v_cmpx_ne_u64_e32 0, v[112:113]
	s_xor_b32 s14, exec_lo, s14
; %bb.13409:                            ;   in Loop: Header=BB6_11393 Depth=4
	v_lshrrev_b32_e32 v0, 24, v0
	s_delay_alu instid0(VALU_DEP_1)
	v_or_b32_e32 v6, 0x7f, v0
                                        ; implicit-def: $vgpr0
; %bb.13410:                            ;   in Loop: Header=BB6_11393 Depth=4
	s_and_not1_saveexec_b32 s14, s14
; %bb.13411:                            ;   in Loop: Header=BB6_11393 Depth=4
	v_cmp_lt_i32_e32 vcc_lo, -1, v0
	v_cndmask_b32_e64 v6, -4, 0x7c, vcc_lo
; %bb.13412:                            ;   in Loop: Header=BB6_11393 Depth=4
	s_or_b32 exec_lo, exec_lo, s14
.LBB6_13413:                            ;   in Loop: Header=BB6_11393 Depth=4
	s_delay_alu instid0(SALU_CYCLE_1) | instskip(SKIP_3) | instid1(VALU_DEP_2)
	s_or_b32 exec_lo, exec_lo, s13
	v_and_b32_e32 v3, 0xff, v88
	v_dual_mov_b32 v0, 0 :: v_dual_mov_b32 v1, 0
	s_mov_b32 s14, exec_lo
	v_cmpx_ne_u16_e32 0, v3
	s_cbranch_execz .LBB6_13423
; %bb.13414:                            ;   in Loop: Header=BB6_11393 Depth=4
	v_bfrev_b32_e32 v1, 1
	s_mov_b32 s15, exec_lo
	v_cmpx_ne_u16_e32 0x80, v3
	s_cbranch_execz .LBB6_13422
; %bb.13415:                            ;   in Loop: Header=BB6_11393 Depth=4
	v_and_b32_e32 v1, 0x7c, v88
	v_and_b32_e32 v2, 3, v88
	s_delay_alu instid0(VALU_DEP_2) | instskip(SKIP_1) | instid1(SALU_CYCLE_1)
	v_cmp_ne_u32_e32 vcc_lo, 0x7c, v1
                                        ; implicit-def: $vgpr1
	s_and_saveexec_b32 s13, vcc_lo
	s_xor_b32 s13, exec_lo, s13
	s_cbranch_execz .LBB6_13419
; %bb.13416:                            ;   in Loop: Header=BB6_11393 Depth=4
	v_bfe_u32 v1, v3, 2, 5
	s_mov_b32 s75, exec_lo
	s_delay_alu instid0(VALU_DEP_1)
	v_cmpx_eq_u32_e32 0, v1
	s_cbranch_execz .LBB6_13418
; %bb.13417:                            ;   in Loop: Header=BB6_11393 Depth=4
	v_clz_i32_u32_e32 v1, v2
	s_delay_alu instid0(VALU_DEP_1) | instskip(SKIP_1) | instid1(VALU_DEP_2)
	v_min_u32_e32 v1, 32, v1
	v_mov_b32_e32 v89, v113
	v_subrev_nc_u32_e32 v2, 29, v1
	v_sub_nc_u32_e32 v1, 30, v1
	s_delay_alu instid0(VALU_DEP_2) | instskip(NEXT) | instid1(VALU_DEP_1)
	v_lshlrev_b64_e32 v[2:3], v2, v[88:89]
	v_and_b32_e32 v2, 3, v2
.LBB6_13418:                            ;   in Loop: Header=BB6_11393 Depth=4
	s_or_b32 exec_lo, exec_lo, s75
	v_lshlrev_b32_e32 v3, 24, v88
                                        ; implicit-def: $vgpr88
	s_delay_alu instid0(VALU_DEP_1) | instskip(NEXT) | instid1(VALU_DEP_1)
	v_and_b32_e32 v3, 0x80000000, v3
	v_lshl_add_u32 v1, v1, 23, v3
	s_delay_alu instid0(VALU_DEP_1) | instskip(NEXT) | instid1(VALU_DEP_1)
	v_lshl_or_b32 v1, v2, 21, v1
                                        ; implicit-def: $vgpr2
	v_add_nc_u32_e32 v1, 0x38000000, v1
.LBB6_13419:                            ;   in Loop: Header=BB6_11393 Depth=4
	s_and_not1_saveexec_b32 s75, s13
; %bb.13420:                            ;   in Loop: Header=BB6_11393 Depth=4
	v_bfe_i32 v1, v88, 0, 8
	v_cmp_eq_u32_e32 vcc_lo, 0, v2
	s_delay_alu instid0(VALU_DEP_2) | instskip(SKIP_1) | instid1(VALU_DEP_1)
	v_cmp_lt_i16_e64 s13, -1, v1
	v_mov_b32_e32 v1, 0x7f800000
	v_cndmask_b32_e64 v1, 0xff800000, v1, s13
	s_delay_alu instid0(VALU_DEP_1)
	v_cndmask_b32_e32 v1, 0x7f800001, v1, vcc_lo
; %bb.13421:                            ;   in Loop: Header=BB6_11393 Depth=4
	s_or_b32 exec_lo, exec_lo, s75
.LBB6_13422:                            ;   in Loop: Header=BB6_11393 Depth=4
	s_delay_alu instid0(SALU_CYCLE_1)
	s_or_b32 exec_lo, exec_lo, s15
.LBB6_13423:                            ;   in Loop: Header=BB6_11393 Depth=4
	s_delay_alu instid0(SALU_CYCLE_1) | instskip(NEXT) | instid1(SALU_CYCLE_1)
	s_or_b32 exec_lo, exec_lo, s14
	s_mov_b32 s14, exec_lo
	s_wait_loadcnt_dscnt 0xa0a
	v_cmpx_ne_u16_e32 0, v38
	s_cbranch_execz .LBB6_13433
; %bb.13424:                            ;   in Loop: Header=BB6_11393 Depth=4
	v_bfrev_b32_e32 v0, 1
	s_mov_b32 s15, exec_lo
	v_cmpx_ne_u16_e32 0xff80, v38
	s_cbranch_execz .LBB6_13432
; %bb.13425:                            ;   in Loop: Header=BB6_11393 Depth=4
	v_and_b32_e32 v0, 0x7c, v38
	v_and_b32_e32 v2, 3, v38
	s_delay_alu instid0(VALU_DEP_2) | instskip(SKIP_1) | instid1(SALU_CYCLE_1)
	v_cmp_ne_u32_e32 vcc_lo, 0x7c, v0
                                        ; implicit-def: $vgpr0
	s_and_saveexec_b32 s13, vcc_lo
	s_xor_b32 s13, exec_lo, s13
	s_cbranch_execz .LBB6_13429
; %bb.13426:                            ;   in Loop: Header=BB6_11393 Depth=4
	v_and_b32_e32 v0, 0xff, v38
	s_mov_b32 s75, exec_lo
	s_delay_alu instid0(VALU_DEP_1) | instskip(NEXT) | instid1(VALU_DEP_1)
	v_bfe_u32 v0, v0, 2, 5
	v_cmpx_eq_u32_e32 0, v0
	s_cbranch_execz .LBB6_13428
; %bb.13427:                            ;   in Loop: Header=BB6_11393 Depth=4
	v_clz_i32_u32_e32 v0, v2
	s_delay_alu instid0(VALU_DEP_1) | instskip(SKIP_1) | instid1(VALU_DEP_2)
	v_min_u32_e32 v0, 32, v0
	v_mov_b32_e32 v39, v113
	v_subrev_nc_u32_e32 v2, 29, v0
	v_sub_nc_u32_e32 v0, 30, v0
	s_delay_alu instid0(VALU_DEP_2) | instskip(NEXT) | instid1(VALU_DEP_1)
	v_lshlrev_b64_e32 v[2:3], v2, v[38:39]
	v_and_b32_e32 v2, 3, v2
.LBB6_13428:                            ;   in Loop: Header=BB6_11393 Depth=4
	s_or_b32 exec_lo, exec_lo, s75
	v_bfe_i32 v3, v38, 0, 16
                                        ; implicit-def: $vgpr38
	s_delay_alu instid0(VALU_DEP_1) | instskip(NEXT) | instid1(VALU_DEP_1)
	v_and_b32_e32 v3, 0x80000000, v3
	v_lshl_add_u32 v0, v0, 23, v3
	s_delay_alu instid0(VALU_DEP_1) | instskip(NEXT) | instid1(VALU_DEP_1)
	v_lshl_or_b32 v0, v2, 21, v0
                                        ; implicit-def: $vgpr2
	v_add_nc_u32_e32 v0, 0x38000000, v0
.LBB6_13429:                            ;   in Loop: Header=BB6_11393 Depth=4
	s_and_not1_saveexec_b32 s75, s13
; %bb.13430:                            ;   in Loop: Header=BB6_11393 Depth=4
	v_cmp_lt_i16_e64 s13, -1, v38
	v_mov_b32_e32 v0, 0x7f800000
	v_cmp_eq_u32_e32 vcc_lo, 0, v2
	s_delay_alu instid0(VALU_DEP_2) | instskip(NEXT) | instid1(VALU_DEP_1)
	v_cndmask_b32_e64 v0, 0xff800000, v0, s13
	v_cndmask_b32_e32 v0, 0x7f800001, v0, vcc_lo
; %bb.13431:                            ;   in Loop: Header=BB6_11393 Depth=4
	s_or_b32 exec_lo, exec_lo, s75
.LBB6_13432:                            ;   in Loop: Header=BB6_11393 Depth=4
	s_delay_alu instid0(SALU_CYCLE_1)
	s_or_b32 exec_lo, exec_lo, s15
.LBB6_13433:                            ;   in Loop: Header=BB6_11393 Depth=4
	s_delay_alu instid0(SALU_CYCLE_1) | instskip(NEXT) | instid1(VALU_DEP_1)
	s_or_b32 exec_lo, exec_lo, s14
	v_add_f32_e32 v0, v1, v0
	v_mov_b32_e32 v3, v113
                                        ; implicit-def: $vgpr7
	s_mov_b32 s13, exec_lo
	s_delay_alu instid0(VALU_DEP_2) | instskip(SKIP_1) | instid1(VALU_DEP_2)
	v_and_b32_e32 v2, 0x7f800000, v0
	v_and_b32_e32 v112, 0x7fffff, v0
	v_cmpx_ne_u64_e32 0x7f800000, v[2:3]
	s_xor_b32 s14, exec_lo, s13
	s_cbranch_execz .LBB6_13451
; %bb.13434:                            ;   in Loop: Header=BB6_11393 Depth=4
	v_dual_mov_b32 v3, v113 :: v_dual_lshrrev_b32 v1, 24, v0
	v_and_b32_e32 v2, 0x7fffffff, v0
                                        ; implicit-def: $vgpr7
	s_mov_b32 s13, exec_lo
	s_delay_alu instid0(VALU_DEP_2) | instskip(NEXT) | instid1(VALU_DEP_2)
	v_and_b32_e32 v17, 0x80, v1
	v_cmpx_gt_u64_e32 0x47600001, v[2:3]
	s_xor_b32 s15, exec_lo, s13
	s_cbranch_execz .LBB6_13448
; %bb.13435:                            ;   in Loop: Header=BB6_11393 Depth=4
	v_mov_b32_e32 v7, 0
	s_mov_b32 s75, exec_lo
	v_cmpx_ne_u32_e32 0, v0
	s_cbranch_execz .LBB6_13447
; %bb.13436:                            ;   in Loop: Header=BB6_11393 Depth=4
	v_bfe_u32 v7, v0, 23, 8
	v_or_b32_e32 v1, 0x800000, v112
	s_delay_alu instid0(VALU_DEP_2) | instskip(SKIP_2) | instid1(VALU_DEP_2)
	v_cmp_gt_u32_e64 s13, 0x72, v7
	v_sub_nc_u32_e32 v0, 0x71, v7
	v_cmp_eq_u32_e32 vcc_lo, 0, v7
	v_cndmask_b32_e64 v0, 0, v0, s13
	s_delay_alu instid0(VALU_DEP_1) | instskip(SKIP_1) | instid1(VALU_DEP_2)
	v_cndmask_b32_e64 v25, v0, 0x70, vcc_lo
	v_cndmask_b32_e32 v0, v1, v112, vcc_lo
	v_dual_mov_b32 v1, v113 :: v_dual_add_nc_u32 v2, 21, v25
	v_add_nc_u32_e32 v36, 20, v25
	s_delay_alu instid0(VALU_DEP_2) | instskip(NEXT) | instid1(VALU_DEP_2)
	v_lshlrev_b64_e64 v[2:3], v2, -1
	v_lshlrev_b64_e64 v[36:37], v36, 1
	s_delay_alu instid0(VALU_DEP_2) | instskip(SKIP_1) | instid1(VALU_DEP_4)
	v_bfi_b32 v2, v2, 0, v0
	v_lshrrev_b64 v[0:1], v25, v[0:1]
	v_bfi_b32 v3, v3, 0, 0
	s_delay_alu instid0(VALU_DEP_1) | instskip(NEXT) | instid1(VALU_DEP_3)
	v_cmp_eq_u64_e64 s13, v[2:3], v[36:37]
	v_mov_b64_e32 v[2:3], v[0:1]
	s_and_saveexec_b32 s76, s13
; %bb.13437:                            ;   in Loop: Header=BB6_11393 Depth=4
	v_bfe_u32 v2, v0, 21, 1
	v_mov_b32_e32 v3, v113
	s_delay_alu instid0(VALU_DEP_1) | instskip(NEXT) | instid1(VALU_DEP_1)
	v_add_nc_u64_e32 v[2:3], v[0:1], v[2:3]
	v_add_nc_u64_e32 v[2:3], -1, v[2:3]
; %bb.13438:                            ;   in Loop: Header=BB6_11393 Depth=4
	s_or_b32 exec_lo, exec_lo, s76
	v_add_nc_u32_e32 v1, 0xffffff81, v7
	s_delay_alu instid0(VALU_DEP_2) | instskip(SKIP_2) | instid1(VALU_DEP_3)
	v_and_b32_e32 v2, 0x1fffff, v2
	v_lshrrev_b32_e32 v3, 23, v0
	s_mov_b32 s13, exec_lo
	v_cndmask_b32_e64 v1, v1, 0xffffff82, vcc_lo
	s_delay_alu instid0(VALU_DEP_3) | instskip(NEXT) | instid1(VALU_DEP_2)
	v_add_nc_u32_e32 v112, v2, v0
                                        ; implicit-def: $vgpr2
	v_add3_u32 v7, v25, v1, v3
                                        ; implicit-def: $vgpr0_vgpr1
	s_delay_alu instid0(VALU_DEP_1) | instskip(NEXT) | instid1(VALU_DEP_1)
	v_add_nc_u32_e32 v3, 14, v7
	v_cmpx_ne_u32_e32 0, v3
	s_xor_b32 s13, exec_lo, s13
; %bb.13439:                            ;   in Loop: Header=BB6_11393 Depth=4
	v_cmp_lt_u64_e32 vcc_lo, 0xffffff, v[112:113]
	v_add_nc_u32_e32 v0, 15, v7
	s_delay_alu instid0(VALU_DEP_1) | instskip(SKIP_1) | instid1(VALU_DEP_1)
	v_cndmask_b32_e32 v2, v3, v0, vcc_lo
	v_cndmask_b32_e64 v0, 0, 1, vcc_lo
	v_lshrrev_b64 v[0:1], v0, v[112:113]
; %bb.13440:                            ;   in Loop: Header=BB6_11393 Depth=4
	s_and_not1_saveexec_b32 s13, s13
; %bb.13441:                            ;   in Loop: Header=BB6_11393 Depth=4
	v_mov_b64_e32 v[0:1], v[112:113]
	v_bfe_u32 v2, v112, 23, 1
; %bb.13442:                            ;   in Loop: Header=BB6_11393 Depth=4
	s_or_b32 exec_lo, exec_lo, s13
	s_delay_alu instid0(VALU_DEP_2) | instskip(NEXT) | instid1(VALU_DEP_2)
	v_lshrrev_b64 v[0:1], 21, v[0:1]
	v_cmp_gt_i32_e32 vcc_lo, 32, v2
	v_cmp_ne_u32_e64 s13, 0, v2
                                        ; implicit-def: $vgpr7
	s_delay_alu instid0(VALU_DEP_3) | instskip(NEXT) | instid1(VALU_DEP_1)
	v_dual_cndmask_b32 v1, 0, v1 :: v_dual_cndmask_b32 v0, 3, v0
	v_cmp_ne_u64_e32 vcc_lo, 0, v[0:1]
	s_or_b32 s13, s13, vcc_lo
	s_delay_alu instid0(SALU_CYCLE_1) | instskip(NEXT) | instid1(SALU_CYCLE_1)
	s_and_saveexec_b32 s76, s13
	s_xor_b32 s13, exec_lo, s76
; %bb.13443:                            ;   in Loop: Header=BB6_11393 Depth=4
	v_min_i32_e32 v1, 31, v2
	s_delay_alu instid0(VALU_DEP_1) | instskip(NEXT) | instid1(VALU_DEP_1)
	v_lshl_or_b32 v1, v1, 2, v17
                                        ; implicit-def: $vgpr17
	v_and_or_b32 v7, v0, 3, v1
; %bb.13444:                            ;   in Loop: Header=BB6_11393 Depth=4
	s_and_not1_saveexec_b32 s13, s13
; %bb.13445:                            ;   in Loop: Header=BB6_11393 Depth=4
	v_mov_b32_e32 v7, v17
; %bb.13446:                            ;   in Loop: Header=BB6_11393 Depth=4
	s_or_b32 exec_lo, exec_lo, s13
.LBB6_13447:                            ;   in Loop: Header=BB6_11393 Depth=4
	s_delay_alu instid0(SALU_CYCLE_1)
	s_or_b32 exec_lo, exec_lo, s75
                                        ; implicit-def: $vgpr17
.LBB6_13448:                            ;   in Loop: Header=BB6_11393 Depth=4
	s_and_not1_saveexec_b32 s13, s15
; %bb.13449:                            ;   in Loop: Header=BB6_11393 Depth=4
	v_or_b32_e32 v7, 0x7b, v17
; %bb.13450:                            ;   in Loop: Header=BB6_11393 Depth=4
	s_or_b32 exec_lo, exec_lo, s13
                                        ; implicit-def: $vgpr0
.LBB6_13451:                            ;   in Loop: Header=BB6_11393 Depth=4
	s_and_not1_saveexec_b32 s13, s14
	s_cbranch_execz .LBB6_13457
; %bb.13452:                            ;   in Loop: Header=BB6_11393 Depth=4
	s_mov_b32 s14, exec_lo
                                        ; implicit-def: $vgpr7
	v_cmpx_ne_u64_e32 0, v[112:113]
	s_xor_b32 s14, exec_lo, s14
; %bb.13453:                            ;   in Loop: Header=BB6_11393 Depth=4
	v_lshrrev_b32_e32 v0, 24, v0
	s_delay_alu instid0(VALU_DEP_1)
	v_or_b32_e32 v7, 0x7f, v0
                                        ; implicit-def: $vgpr0
; %bb.13454:                            ;   in Loop: Header=BB6_11393 Depth=4
	s_and_not1_saveexec_b32 s14, s14
; %bb.13455:                            ;   in Loop: Header=BB6_11393 Depth=4
	v_cmp_lt_i32_e32 vcc_lo, -1, v0
	v_cndmask_b32_e64 v7, -4, 0x7c, vcc_lo
; %bb.13456:                            ;   in Loop: Header=BB6_11393 Depth=4
	s_or_b32 exec_lo, exec_lo, s14
.LBB6_13457:                            ;   in Loop: Header=BB6_11393 Depth=4
	s_delay_alu instid0(SALU_CYCLE_1) | instskip(SKIP_3) | instid1(VALU_DEP_2)
	s_or_b32 exec_lo, exec_lo, s13
	v_and_b32_e32 v3, 0xff, v78
	v_dual_mov_b32 v0, 0 :: v_dual_mov_b32 v1, 0
	s_mov_b32 s14, exec_lo
	v_cmpx_ne_u16_e32 0, v3
	s_cbranch_execz .LBB6_13467
; %bb.13458:                            ;   in Loop: Header=BB6_11393 Depth=4
	v_bfrev_b32_e32 v1, 1
	s_mov_b32 s15, exec_lo
	v_cmpx_ne_u16_e32 0x80, v3
	s_cbranch_execz .LBB6_13466
; %bb.13459:                            ;   in Loop: Header=BB6_11393 Depth=4
	v_and_b32_e32 v1, 0x7c, v78
	v_and_b32_e32 v2, 3, v78
	s_delay_alu instid0(VALU_DEP_2) | instskip(SKIP_1) | instid1(SALU_CYCLE_1)
	v_cmp_ne_u32_e32 vcc_lo, 0x7c, v1
                                        ; implicit-def: $vgpr1
	s_and_saveexec_b32 s13, vcc_lo
	s_xor_b32 s13, exec_lo, s13
	s_cbranch_execz .LBB6_13463
; %bb.13460:                            ;   in Loop: Header=BB6_11393 Depth=4
	v_bfe_u32 v1, v3, 2, 5
	s_mov_b32 s75, exec_lo
	s_delay_alu instid0(VALU_DEP_1)
	v_cmpx_eq_u32_e32 0, v1
	s_cbranch_execz .LBB6_13462
; %bb.13461:                            ;   in Loop: Header=BB6_11393 Depth=4
	v_clz_i32_u32_e32 v1, v2
	s_delay_alu instid0(VALU_DEP_1) | instskip(SKIP_1) | instid1(VALU_DEP_2)
	v_min_u32_e32 v1, 32, v1
	v_mov_b32_e32 v79, v113
	v_subrev_nc_u32_e32 v2, 29, v1
	v_sub_nc_u32_e32 v1, 30, v1
	s_delay_alu instid0(VALU_DEP_2) | instskip(NEXT) | instid1(VALU_DEP_1)
	v_lshlrev_b64_e32 v[2:3], v2, v[78:79]
	v_and_b32_e32 v2, 3, v2
.LBB6_13462:                            ;   in Loop: Header=BB6_11393 Depth=4
	s_or_b32 exec_lo, exec_lo, s75
	v_lshlrev_b32_e32 v3, 24, v78
                                        ; implicit-def: $vgpr78
	s_delay_alu instid0(VALU_DEP_1) | instskip(NEXT) | instid1(VALU_DEP_1)
	v_and_b32_e32 v3, 0x80000000, v3
	v_lshl_add_u32 v1, v1, 23, v3
	s_delay_alu instid0(VALU_DEP_1) | instskip(NEXT) | instid1(VALU_DEP_1)
	v_lshl_or_b32 v1, v2, 21, v1
                                        ; implicit-def: $vgpr2
	v_add_nc_u32_e32 v1, 0x38000000, v1
.LBB6_13463:                            ;   in Loop: Header=BB6_11393 Depth=4
	s_and_not1_saveexec_b32 s75, s13
; %bb.13464:                            ;   in Loop: Header=BB6_11393 Depth=4
	v_bfe_i32 v1, v78, 0, 8
	v_cmp_eq_u32_e32 vcc_lo, 0, v2
	s_delay_alu instid0(VALU_DEP_2) | instskip(SKIP_1) | instid1(VALU_DEP_1)
	v_cmp_lt_i16_e64 s13, -1, v1
	v_mov_b32_e32 v1, 0x7f800000
	v_cndmask_b32_e64 v1, 0xff800000, v1, s13
	s_delay_alu instid0(VALU_DEP_1)
	v_cndmask_b32_e32 v1, 0x7f800001, v1, vcc_lo
; %bb.13465:                            ;   in Loop: Header=BB6_11393 Depth=4
	s_or_b32 exec_lo, exec_lo, s75
.LBB6_13466:                            ;   in Loop: Header=BB6_11393 Depth=4
	s_delay_alu instid0(SALU_CYCLE_1)
	s_or_b32 exec_lo, exec_lo, s15
.LBB6_13467:                            ;   in Loop: Header=BB6_11393 Depth=4
	s_delay_alu instid0(SALU_CYCLE_1) | instskip(NEXT) | instid1(SALU_CYCLE_1)
	s_or_b32 exec_lo, exec_lo, s14
	s_mov_b32 s14, exec_lo
	s_wait_loadcnt_dscnt 0x909
	v_cmpx_ne_u16_e32 0, v96
	s_cbranch_execz .LBB6_13477
; %bb.13468:                            ;   in Loop: Header=BB6_11393 Depth=4
	v_bfrev_b32_e32 v0, 1
	s_mov_b32 s15, exec_lo
	v_cmpx_ne_u16_e32 0xff80, v96
	s_cbranch_execz .LBB6_13476
; %bb.13469:                            ;   in Loop: Header=BB6_11393 Depth=4
	v_and_b32_e32 v0, 0x7c, v96
	v_and_b32_e32 v2, 3, v96
	s_delay_alu instid0(VALU_DEP_2) | instskip(SKIP_1) | instid1(SALU_CYCLE_1)
	v_cmp_ne_u32_e32 vcc_lo, 0x7c, v0
                                        ; implicit-def: $vgpr0
	s_and_saveexec_b32 s13, vcc_lo
	s_xor_b32 s13, exec_lo, s13
	s_cbranch_execz .LBB6_13473
; %bb.13470:                            ;   in Loop: Header=BB6_11393 Depth=4
	v_and_b32_e32 v0, 0xff, v96
	s_mov_b32 s75, exec_lo
	s_delay_alu instid0(VALU_DEP_1) | instskip(NEXT) | instid1(VALU_DEP_1)
	v_bfe_u32 v0, v0, 2, 5
	v_cmpx_eq_u32_e32 0, v0
	s_cbranch_execz .LBB6_13472
; %bb.13471:                            ;   in Loop: Header=BB6_11393 Depth=4
	v_clz_i32_u32_e32 v0, v2
	s_delay_alu instid0(VALU_DEP_1) | instskip(SKIP_1) | instid1(VALU_DEP_2)
	v_min_u32_e32 v0, 32, v0
	v_mov_b32_e32 v97, v113
	v_subrev_nc_u32_e32 v2, 29, v0
	v_sub_nc_u32_e32 v0, 30, v0
	s_delay_alu instid0(VALU_DEP_2) | instskip(NEXT) | instid1(VALU_DEP_1)
	v_lshlrev_b64_e32 v[2:3], v2, v[96:97]
	v_and_b32_e32 v2, 3, v2
.LBB6_13472:                            ;   in Loop: Header=BB6_11393 Depth=4
	s_or_b32 exec_lo, exec_lo, s75
	v_bfe_i32 v3, v96, 0, 16
                                        ; implicit-def: $vgpr96
	s_delay_alu instid0(VALU_DEP_1) | instskip(NEXT) | instid1(VALU_DEP_1)
	v_and_b32_e32 v3, 0x80000000, v3
	v_lshl_add_u32 v0, v0, 23, v3
	s_delay_alu instid0(VALU_DEP_1) | instskip(NEXT) | instid1(VALU_DEP_1)
	v_lshl_or_b32 v0, v2, 21, v0
                                        ; implicit-def: $vgpr2
	v_add_nc_u32_e32 v0, 0x38000000, v0
.LBB6_13473:                            ;   in Loop: Header=BB6_11393 Depth=4
	s_and_not1_saveexec_b32 s75, s13
; %bb.13474:                            ;   in Loop: Header=BB6_11393 Depth=4
	v_cmp_lt_i16_e64 s13, -1, v96
	v_mov_b32_e32 v0, 0x7f800000
	v_cmp_eq_u32_e32 vcc_lo, 0, v2
	s_delay_alu instid0(VALU_DEP_2) | instskip(NEXT) | instid1(VALU_DEP_1)
	v_cndmask_b32_e64 v0, 0xff800000, v0, s13
	v_cndmask_b32_e32 v0, 0x7f800001, v0, vcc_lo
; %bb.13475:                            ;   in Loop: Header=BB6_11393 Depth=4
	s_or_b32 exec_lo, exec_lo, s75
.LBB6_13476:                            ;   in Loop: Header=BB6_11393 Depth=4
	s_delay_alu instid0(SALU_CYCLE_1)
	s_or_b32 exec_lo, exec_lo, s15
.LBB6_13477:                            ;   in Loop: Header=BB6_11393 Depth=4
	s_delay_alu instid0(SALU_CYCLE_1) | instskip(NEXT) | instid1(VALU_DEP_1)
	s_or_b32 exec_lo, exec_lo, s14
	v_add_f32_e32 v0, v1, v0
	v_mov_b32_e32 v3, v113
                                        ; implicit-def: $vgpr36
	s_mov_b32 s13, exec_lo
	s_delay_alu instid0(VALU_DEP_2) | instskip(SKIP_1) | instid1(VALU_DEP_2)
	v_and_b32_e32 v2, 0x7f800000, v0
	v_and_b32_e32 v112, 0x7fffff, v0
	v_cmpx_ne_u64_e32 0x7f800000, v[2:3]
	s_xor_b32 s14, exec_lo, s13
	s_cbranch_execz .LBB6_13495
; %bb.13478:                            ;   in Loop: Header=BB6_11393 Depth=4
	v_dual_mov_b32 v3, v113 :: v_dual_lshrrev_b32 v1, 24, v0
	v_and_b32_e32 v2, 0x7fffffff, v0
                                        ; implicit-def: $vgpr36
	s_mov_b32 s13, exec_lo
	s_delay_alu instid0(VALU_DEP_2) | instskip(NEXT) | instid1(VALU_DEP_2)
	v_and_b32_e32 v17, 0x80, v1
	v_cmpx_gt_u64_e32 0x47600001, v[2:3]
	s_xor_b32 s15, exec_lo, s13
	s_cbranch_execz .LBB6_13492
; %bb.13479:                            ;   in Loop: Header=BB6_11393 Depth=4
	v_mov_b32_e32 v36, 0
	s_mov_b32 s75, exec_lo
	v_cmpx_ne_u32_e32 0, v0
	s_cbranch_execz .LBB6_13491
; %bb.13480:                            ;   in Loop: Header=BB6_11393 Depth=4
	v_bfe_u32 v25, v0, 23, 8
	v_or_b32_e32 v1, 0x800000, v112
	s_delay_alu instid0(VALU_DEP_2) | instskip(SKIP_2) | instid1(VALU_DEP_2)
	v_cmp_gt_u32_e64 s13, 0x72, v25
	v_sub_nc_u32_e32 v0, 0x71, v25
	v_cmp_eq_u32_e32 vcc_lo, 0, v25
	v_cndmask_b32_e64 v0, 0, v0, s13
	s_delay_alu instid0(VALU_DEP_1) | instskip(SKIP_1) | instid1(VALU_DEP_2)
	v_cndmask_b32_e64 v36, v0, 0x70, vcc_lo
	v_cndmask_b32_e32 v0, v1, v112, vcc_lo
	v_dual_mov_b32 v1, v113 :: v_dual_add_nc_u32 v2, 21, v36
	v_add_nc_u32_e32 v37, 20, v36
	s_delay_alu instid0(VALU_DEP_2) | instskip(NEXT) | instid1(VALU_DEP_2)
	v_lshlrev_b64_e64 v[2:3], v2, -1
	v_lshlrev_b64_e64 v[38:39], v37, 1
	s_delay_alu instid0(VALU_DEP_2) | instskip(SKIP_1) | instid1(VALU_DEP_4)
	v_bfi_b32 v2, v2, 0, v0
	v_lshrrev_b64 v[0:1], v36, v[0:1]
	v_bfi_b32 v3, v3, 0, 0
	s_delay_alu instid0(VALU_DEP_1) | instskip(NEXT) | instid1(VALU_DEP_3)
	v_cmp_eq_u64_e64 s13, v[2:3], v[38:39]
	v_mov_b64_e32 v[2:3], v[0:1]
	s_and_saveexec_b32 s76, s13
; %bb.13481:                            ;   in Loop: Header=BB6_11393 Depth=4
	v_bfe_u32 v2, v0, 21, 1
	v_mov_b32_e32 v3, v113
	s_delay_alu instid0(VALU_DEP_1) | instskip(NEXT) | instid1(VALU_DEP_1)
	v_add_nc_u64_e32 v[2:3], v[0:1], v[2:3]
	v_add_nc_u64_e32 v[2:3], -1, v[2:3]
; %bb.13482:                            ;   in Loop: Header=BB6_11393 Depth=4
	s_or_b32 exec_lo, exec_lo, s76
	v_add_nc_u32_e32 v1, 0xffffff81, v25
	s_delay_alu instid0(VALU_DEP_2) | instskip(SKIP_2) | instid1(VALU_DEP_3)
	v_and_b32_e32 v2, 0x1fffff, v2
	v_lshrrev_b32_e32 v3, 23, v0
	s_mov_b32 s13, exec_lo
	v_cndmask_b32_e64 v1, v1, 0xffffff82, vcc_lo
	s_delay_alu instid0(VALU_DEP_3) | instskip(NEXT) | instid1(VALU_DEP_2)
	v_add_nc_u32_e32 v112, v2, v0
                                        ; implicit-def: $vgpr2
	v_add3_u32 v25, v36, v1, v3
                                        ; implicit-def: $vgpr0_vgpr1
	s_delay_alu instid0(VALU_DEP_1) | instskip(NEXT) | instid1(VALU_DEP_1)
	v_add_nc_u32_e32 v3, 14, v25
	v_cmpx_ne_u32_e32 0, v3
	s_xor_b32 s13, exec_lo, s13
; %bb.13483:                            ;   in Loop: Header=BB6_11393 Depth=4
	v_cmp_lt_u64_e32 vcc_lo, 0xffffff, v[112:113]
	v_add_nc_u32_e32 v0, 15, v25
	s_delay_alu instid0(VALU_DEP_1) | instskip(SKIP_1) | instid1(VALU_DEP_1)
	v_cndmask_b32_e32 v2, v3, v0, vcc_lo
	v_cndmask_b32_e64 v0, 0, 1, vcc_lo
	v_lshrrev_b64 v[0:1], v0, v[112:113]
; %bb.13484:                            ;   in Loop: Header=BB6_11393 Depth=4
	s_and_not1_saveexec_b32 s13, s13
; %bb.13485:                            ;   in Loop: Header=BB6_11393 Depth=4
	v_mov_b64_e32 v[0:1], v[112:113]
	v_bfe_u32 v2, v112, 23, 1
; %bb.13486:                            ;   in Loop: Header=BB6_11393 Depth=4
	s_or_b32 exec_lo, exec_lo, s13
	s_delay_alu instid0(VALU_DEP_2) | instskip(NEXT) | instid1(VALU_DEP_2)
	v_lshrrev_b64 v[0:1], 21, v[0:1]
	v_cmp_gt_i32_e32 vcc_lo, 32, v2
	v_cmp_ne_u32_e64 s13, 0, v2
                                        ; implicit-def: $vgpr36
	s_delay_alu instid0(VALU_DEP_3) | instskip(NEXT) | instid1(VALU_DEP_1)
	v_dual_cndmask_b32 v1, 0, v1 :: v_dual_cndmask_b32 v0, 3, v0
	v_cmp_ne_u64_e32 vcc_lo, 0, v[0:1]
	s_or_b32 s13, s13, vcc_lo
	s_delay_alu instid0(SALU_CYCLE_1) | instskip(NEXT) | instid1(SALU_CYCLE_1)
	s_and_saveexec_b32 s76, s13
	s_xor_b32 s13, exec_lo, s76
; %bb.13487:                            ;   in Loop: Header=BB6_11393 Depth=4
	v_min_i32_e32 v1, 31, v2
	s_delay_alu instid0(VALU_DEP_1) | instskip(NEXT) | instid1(VALU_DEP_1)
	v_lshl_or_b32 v1, v1, 2, v17
                                        ; implicit-def: $vgpr17
	v_and_or_b32 v36, v0, 3, v1
; %bb.13488:                            ;   in Loop: Header=BB6_11393 Depth=4
	s_and_not1_saveexec_b32 s13, s13
; %bb.13489:                            ;   in Loop: Header=BB6_11393 Depth=4
	v_mov_b32_e32 v36, v17
; %bb.13490:                            ;   in Loop: Header=BB6_11393 Depth=4
	s_or_b32 exec_lo, exec_lo, s13
.LBB6_13491:                            ;   in Loop: Header=BB6_11393 Depth=4
	s_delay_alu instid0(SALU_CYCLE_1)
	s_or_b32 exec_lo, exec_lo, s75
                                        ; implicit-def: $vgpr17
.LBB6_13492:                            ;   in Loop: Header=BB6_11393 Depth=4
	s_and_not1_saveexec_b32 s13, s15
; %bb.13493:                            ;   in Loop: Header=BB6_11393 Depth=4
	v_or_b32_e32 v36, 0x7b, v17
; %bb.13494:                            ;   in Loop: Header=BB6_11393 Depth=4
	s_or_b32 exec_lo, exec_lo, s13
                                        ; implicit-def: $vgpr0
.LBB6_13495:                            ;   in Loop: Header=BB6_11393 Depth=4
	s_and_not1_saveexec_b32 s13, s14
	s_cbranch_execz .LBB6_13501
; %bb.13496:                            ;   in Loop: Header=BB6_11393 Depth=4
	s_mov_b32 s14, exec_lo
                                        ; implicit-def: $vgpr36
	v_cmpx_ne_u64_e32 0, v[112:113]
	s_xor_b32 s14, exec_lo, s14
; %bb.13497:                            ;   in Loop: Header=BB6_11393 Depth=4
	v_lshrrev_b32_e32 v0, 24, v0
	s_delay_alu instid0(VALU_DEP_1)
	v_or_b32_e32 v36, 0x7f, v0
                                        ; implicit-def: $vgpr0
; %bb.13498:                            ;   in Loop: Header=BB6_11393 Depth=4
	s_and_not1_saveexec_b32 s14, s14
; %bb.13499:                            ;   in Loop: Header=BB6_11393 Depth=4
	v_cmp_lt_i32_e32 vcc_lo, -1, v0
	v_cndmask_b32_e64 v36, -4, 0x7c, vcc_lo
; %bb.13500:                            ;   in Loop: Header=BB6_11393 Depth=4
	s_or_b32 exec_lo, exec_lo, s14
.LBB6_13501:                            ;   in Loop: Header=BB6_11393 Depth=4
	s_delay_alu instid0(SALU_CYCLE_1) | instskip(SKIP_3) | instid1(VALU_DEP_2)
	s_or_b32 exec_lo, exec_lo, s13
	v_and_b32_e32 v3, 0xff, v74
	v_dual_mov_b32 v0, 0 :: v_dual_mov_b32 v1, 0
	s_mov_b32 s14, exec_lo
	v_cmpx_ne_u16_e32 0, v3
	s_cbranch_execz .LBB6_13511
; %bb.13502:                            ;   in Loop: Header=BB6_11393 Depth=4
	v_bfrev_b32_e32 v1, 1
	s_mov_b32 s15, exec_lo
	v_cmpx_ne_u16_e32 0x80, v3
	s_cbranch_execz .LBB6_13510
; %bb.13503:                            ;   in Loop: Header=BB6_11393 Depth=4
	v_and_b32_e32 v1, 0x7c, v74
	v_and_b32_e32 v2, 3, v74
	s_delay_alu instid0(VALU_DEP_2) | instskip(SKIP_1) | instid1(SALU_CYCLE_1)
	v_cmp_ne_u32_e32 vcc_lo, 0x7c, v1
                                        ; implicit-def: $vgpr1
	s_and_saveexec_b32 s13, vcc_lo
	s_xor_b32 s13, exec_lo, s13
	s_cbranch_execz .LBB6_13507
; %bb.13504:                            ;   in Loop: Header=BB6_11393 Depth=4
	v_bfe_u32 v1, v3, 2, 5
	s_mov_b32 s75, exec_lo
	s_delay_alu instid0(VALU_DEP_1)
	v_cmpx_eq_u32_e32 0, v1
	s_cbranch_execz .LBB6_13506
; %bb.13505:                            ;   in Loop: Header=BB6_11393 Depth=4
	v_clz_i32_u32_e32 v1, v2
	s_delay_alu instid0(VALU_DEP_1) | instskip(SKIP_1) | instid1(VALU_DEP_2)
	v_min_u32_e32 v1, 32, v1
	v_mov_b32_e32 v75, v113
	v_subrev_nc_u32_e32 v2, 29, v1
	v_sub_nc_u32_e32 v1, 30, v1
	s_delay_alu instid0(VALU_DEP_2) | instskip(NEXT) | instid1(VALU_DEP_1)
	v_lshlrev_b64_e32 v[2:3], v2, v[74:75]
	v_and_b32_e32 v2, 3, v2
.LBB6_13506:                            ;   in Loop: Header=BB6_11393 Depth=4
	s_or_b32 exec_lo, exec_lo, s75
	v_lshlrev_b32_e32 v3, 24, v74
                                        ; implicit-def: $vgpr74
	s_delay_alu instid0(VALU_DEP_1) | instskip(NEXT) | instid1(VALU_DEP_1)
	v_and_b32_e32 v3, 0x80000000, v3
	v_lshl_add_u32 v1, v1, 23, v3
	s_delay_alu instid0(VALU_DEP_1) | instskip(NEXT) | instid1(VALU_DEP_1)
	v_lshl_or_b32 v1, v2, 21, v1
                                        ; implicit-def: $vgpr2
	v_add_nc_u32_e32 v1, 0x38000000, v1
.LBB6_13507:                            ;   in Loop: Header=BB6_11393 Depth=4
	s_and_not1_saveexec_b32 s75, s13
; %bb.13508:                            ;   in Loop: Header=BB6_11393 Depth=4
	v_bfe_i32 v1, v74, 0, 8
	v_cmp_eq_u32_e32 vcc_lo, 0, v2
	s_delay_alu instid0(VALU_DEP_2) | instskip(SKIP_1) | instid1(VALU_DEP_1)
	v_cmp_lt_i16_e64 s13, -1, v1
	v_mov_b32_e32 v1, 0x7f800000
	v_cndmask_b32_e64 v1, 0xff800000, v1, s13
	s_delay_alu instid0(VALU_DEP_1)
	v_cndmask_b32_e32 v1, 0x7f800001, v1, vcc_lo
; %bb.13509:                            ;   in Loop: Header=BB6_11393 Depth=4
	s_or_b32 exec_lo, exec_lo, s75
.LBB6_13510:                            ;   in Loop: Header=BB6_11393 Depth=4
	s_delay_alu instid0(SALU_CYCLE_1)
	s_or_b32 exec_lo, exec_lo, s15
.LBB6_13511:                            ;   in Loop: Header=BB6_11393 Depth=4
	s_delay_alu instid0(SALU_CYCLE_1) | instskip(NEXT) | instid1(SALU_CYCLE_1)
	s_or_b32 exec_lo, exec_lo, s14
	s_mov_b32 s14, exec_lo
	s_wait_loadcnt_dscnt 0x808
	v_cmpx_ne_u16_e32 0, v102
	s_cbranch_execz .LBB6_13521
; %bb.13512:                            ;   in Loop: Header=BB6_11393 Depth=4
	v_bfrev_b32_e32 v0, 1
	s_mov_b32 s15, exec_lo
	v_cmpx_ne_u16_e32 0xff80, v102
	s_cbranch_execz .LBB6_13520
; %bb.13513:                            ;   in Loop: Header=BB6_11393 Depth=4
	v_and_b32_e32 v0, 0x7c, v102
	v_and_b32_e32 v2, 3, v102
	s_delay_alu instid0(VALU_DEP_2) | instskip(SKIP_1) | instid1(SALU_CYCLE_1)
	v_cmp_ne_u32_e32 vcc_lo, 0x7c, v0
                                        ; implicit-def: $vgpr0
	s_and_saveexec_b32 s13, vcc_lo
	s_xor_b32 s13, exec_lo, s13
	s_cbranch_execz .LBB6_13517
; %bb.13514:                            ;   in Loop: Header=BB6_11393 Depth=4
	v_and_b32_e32 v0, 0xff, v102
	s_mov_b32 s75, exec_lo
	s_delay_alu instid0(VALU_DEP_1) | instskip(NEXT) | instid1(VALU_DEP_1)
	v_bfe_u32 v0, v0, 2, 5
	v_cmpx_eq_u32_e32 0, v0
	s_cbranch_execz .LBB6_13516
; %bb.13515:                            ;   in Loop: Header=BB6_11393 Depth=4
	v_clz_i32_u32_e32 v0, v2
	s_delay_alu instid0(VALU_DEP_1) | instskip(SKIP_1) | instid1(VALU_DEP_2)
	v_min_u32_e32 v0, 32, v0
	v_mov_b32_e32 v103, v113
	v_subrev_nc_u32_e32 v2, 29, v0
	v_sub_nc_u32_e32 v0, 30, v0
	s_delay_alu instid0(VALU_DEP_2) | instskip(NEXT) | instid1(VALU_DEP_1)
	v_lshlrev_b64_e32 v[2:3], v2, v[102:103]
	v_and_b32_e32 v2, 3, v2
.LBB6_13516:                            ;   in Loop: Header=BB6_11393 Depth=4
	s_or_b32 exec_lo, exec_lo, s75
	v_bfe_i32 v3, v102, 0, 16
                                        ; implicit-def: $vgpr102
	s_delay_alu instid0(VALU_DEP_1) | instskip(NEXT) | instid1(VALU_DEP_1)
	v_and_b32_e32 v3, 0x80000000, v3
	v_lshl_add_u32 v0, v0, 23, v3
	s_delay_alu instid0(VALU_DEP_1) | instskip(NEXT) | instid1(VALU_DEP_1)
	v_lshl_or_b32 v0, v2, 21, v0
                                        ; implicit-def: $vgpr2
	v_add_nc_u32_e32 v0, 0x38000000, v0
.LBB6_13517:                            ;   in Loop: Header=BB6_11393 Depth=4
	s_and_not1_saveexec_b32 s75, s13
; %bb.13518:                            ;   in Loop: Header=BB6_11393 Depth=4
	v_cmp_lt_i16_e64 s13, -1, v102
	v_mov_b32_e32 v0, 0x7f800000
	v_cmp_eq_u32_e32 vcc_lo, 0, v2
	s_delay_alu instid0(VALU_DEP_2) | instskip(NEXT) | instid1(VALU_DEP_1)
	v_cndmask_b32_e64 v0, 0xff800000, v0, s13
	v_cndmask_b32_e32 v0, 0x7f800001, v0, vcc_lo
; %bb.13519:                            ;   in Loop: Header=BB6_11393 Depth=4
	s_or_b32 exec_lo, exec_lo, s75
.LBB6_13520:                            ;   in Loop: Header=BB6_11393 Depth=4
	s_delay_alu instid0(SALU_CYCLE_1)
	s_or_b32 exec_lo, exec_lo, s15
.LBB6_13521:                            ;   in Loop: Header=BB6_11393 Depth=4
	s_delay_alu instid0(SALU_CYCLE_1) | instskip(NEXT) | instid1(VALU_DEP_1)
	s_or_b32 exec_lo, exec_lo, s14
	v_add_f32_e32 v0, v1, v0
	v_mov_b32_e32 v3, v113
                                        ; implicit-def: $vgpr37
	s_mov_b32 s13, exec_lo
	s_delay_alu instid0(VALU_DEP_2) | instskip(SKIP_1) | instid1(VALU_DEP_2)
	v_and_b32_e32 v2, 0x7f800000, v0
	v_and_b32_e32 v112, 0x7fffff, v0
	v_cmpx_ne_u64_e32 0x7f800000, v[2:3]
	s_xor_b32 s14, exec_lo, s13
	s_cbranch_execz .LBB6_13539
; %bb.13522:                            ;   in Loop: Header=BB6_11393 Depth=4
	v_dual_mov_b32 v3, v113 :: v_dual_lshrrev_b32 v1, 24, v0
	v_and_b32_e32 v2, 0x7fffffff, v0
                                        ; implicit-def: $vgpr37
	s_mov_b32 s13, exec_lo
	s_delay_alu instid0(VALU_DEP_2) | instskip(NEXT) | instid1(VALU_DEP_2)
	v_and_b32_e32 v17, 0x80, v1
	v_cmpx_gt_u64_e32 0x47600001, v[2:3]
	s_xor_b32 s15, exec_lo, s13
	s_cbranch_execz .LBB6_13536
; %bb.13523:                            ;   in Loop: Header=BB6_11393 Depth=4
	v_mov_b32_e32 v37, 0
	s_mov_b32 s75, exec_lo
	v_cmpx_ne_u32_e32 0, v0
	s_cbranch_execz .LBB6_13535
; %bb.13524:                            ;   in Loop: Header=BB6_11393 Depth=4
	v_bfe_u32 v25, v0, 23, 8
	v_or_b32_e32 v1, 0x800000, v112
	s_delay_alu instid0(VALU_DEP_2) | instskip(SKIP_2) | instid1(VALU_DEP_2)
	v_cmp_gt_u32_e64 s13, 0x72, v25
	v_sub_nc_u32_e32 v0, 0x71, v25
	v_cmp_eq_u32_e32 vcc_lo, 0, v25
	v_cndmask_b32_e64 v0, 0, v0, s13
	s_delay_alu instid0(VALU_DEP_1) | instskip(SKIP_1) | instid1(VALU_DEP_2)
	v_cndmask_b32_e64 v37, v0, 0x70, vcc_lo
	v_cndmask_b32_e32 v0, v1, v112, vcc_lo
	v_dual_mov_b32 v1, v113 :: v_dual_add_nc_u32 v2, 21, v37
	v_add_nc_u32_e32 v38, 20, v37
	s_delay_alu instid0(VALU_DEP_2) | instskip(NEXT) | instid1(VALU_DEP_2)
	v_lshlrev_b64_e64 v[2:3], v2, -1
	v_lshlrev_b64_e64 v[38:39], v38, 1
	s_delay_alu instid0(VALU_DEP_2) | instskip(SKIP_1) | instid1(VALU_DEP_4)
	v_bfi_b32 v2, v2, 0, v0
	v_lshrrev_b64 v[0:1], v37, v[0:1]
	v_bfi_b32 v3, v3, 0, 0
	s_delay_alu instid0(VALU_DEP_1) | instskip(NEXT) | instid1(VALU_DEP_3)
	v_cmp_eq_u64_e64 s13, v[2:3], v[38:39]
	v_mov_b64_e32 v[2:3], v[0:1]
	s_and_saveexec_b32 s76, s13
; %bb.13525:                            ;   in Loop: Header=BB6_11393 Depth=4
	v_bfe_u32 v2, v0, 21, 1
	v_mov_b32_e32 v3, v113
	s_delay_alu instid0(VALU_DEP_1) | instskip(NEXT) | instid1(VALU_DEP_1)
	v_add_nc_u64_e32 v[2:3], v[0:1], v[2:3]
	v_add_nc_u64_e32 v[2:3], -1, v[2:3]
; %bb.13526:                            ;   in Loop: Header=BB6_11393 Depth=4
	s_or_b32 exec_lo, exec_lo, s76
	v_add_nc_u32_e32 v1, 0xffffff81, v25
	s_delay_alu instid0(VALU_DEP_2) | instskip(SKIP_2) | instid1(VALU_DEP_3)
	v_and_b32_e32 v2, 0x1fffff, v2
	v_lshrrev_b32_e32 v3, 23, v0
	s_mov_b32 s13, exec_lo
	v_cndmask_b32_e64 v1, v1, 0xffffff82, vcc_lo
	s_delay_alu instid0(VALU_DEP_3) | instskip(NEXT) | instid1(VALU_DEP_2)
	v_add_nc_u32_e32 v112, v2, v0
                                        ; implicit-def: $vgpr2
	v_add3_u32 v25, v37, v1, v3
                                        ; implicit-def: $vgpr0_vgpr1
	s_delay_alu instid0(VALU_DEP_1) | instskip(NEXT) | instid1(VALU_DEP_1)
	v_add_nc_u32_e32 v3, 14, v25
	v_cmpx_ne_u32_e32 0, v3
	s_xor_b32 s13, exec_lo, s13
; %bb.13527:                            ;   in Loop: Header=BB6_11393 Depth=4
	v_cmp_lt_u64_e32 vcc_lo, 0xffffff, v[112:113]
	v_add_nc_u32_e32 v0, 15, v25
	s_delay_alu instid0(VALU_DEP_1) | instskip(SKIP_1) | instid1(VALU_DEP_1)
	v_cndmask_b32_e32 v2, v3, v0, vcc_lo
	v_cndmask_b32_e64 v0, 0, 1, vcc_lo
	v_lshrrev_b64 v[0:1], v0, v[112:113]
; %bb.13528:                            ;   in Loop: Header=BB6_11393 Depth=4
	s_and_not1_saveexec_b32 s13, s13
; %bb.13529:                            ;   in Loop: Header=BB6_11393 Depth=4
	v_mov_b64_e32 v[0:1], v[112:113]
	v_bfe_u32 v2, v112, 23, 1
; %bb.13530:                            ;   in Loop: Header=BB6_11393 Depth=4
	s_or_b32 exec_lo, exec_lo, s13
	s_delay_alu instid0(VALU_DEP_2) | instskip(NEXT) | instid1(VALU_DEP_2)
	v_lshrrev_b64 v[0:1], 21, v[0:1]
	v_cmp_gt_i32_e32 vcc_lo, 32, v2
	v_cmp_ne_u32_e64 s13, 0, v2
                                        ; implicit-def: $vgpr37
	s_delay_alu instid0(VALU_DEP_3) | instskip(NEXT) | instid1(VALU_DEP_1)
	v_dual_cndmask_b32 v1, 0, v1 :: v_dual_cndmask_b32 v0, 3, v0
	v_cmp_ne_u64_e32 vcc_lo, 0, v[0:1]
	s_or_b32 s13, s13, vcc_lo
	s_delay_alu instid0(SALU_CYCLE_1) | instskip(NEXT) | instid1(SALU_CYCLE_1)
	s_and_saveexec_b32 s76, s13
	s_xor_b32 s13, exec_lo, s76
; %bb.13531:                            ;   in Loop: Header=BB6_11393 Depth=4
	v_min_i32_e32 v1, 31, v2
	s_delay_alu instid0(VALU_DEP_1) | instskip(NEXT) | instid1(VALU_DEP_1)
	v_lshl_or_b32 v1, v1, 2, v17
                                        ; implicit-def: $vgpr17
	v_and_or_b32 v37, v0, 3, v1
; %bb.13532:                            ;   in Loop: Header=BB6_11393 Depth=4
	s_and_not1_saveexec_b32 s13, s13
; %bb.13533:                            ;   in Loop: Header=BB6_11393 Depth=4
	v_mov_b32_e32 v37, v17
; %bb.13534:                            ;   in Loop: Header=BB6_11393 Depth=4
	s_or_b32 exec_lo, exec_lo, s13
.LBB6_13535:                            ;   in Loop: Header=BB6_11393 Depth=4
	s_delay_alu instid0(SALU_CYCLE_1)
	s_or_b32 exec_lo, exec_lo, s75
                                        ; implicit-def: $vgpr17
.LBB6_13536:                            ;   in Loop: Header=BB6_11393 Depth=4
	s_and_not1_saveexec_b32 s13, s15
; %bb.13537:                            ;   in Loop: Header=BB6_11393 Depth=4
	v_or_b32_e32 v37, 0x7b, v17
; %bb.13538:                            ;   in Loop: Header=BB6_11393 Depth=4
	s_or_b32 exec_lo, exec_lo, s13
                                        ; implicit-def: $vgpr0
.LBB6_13539:                            ;   in Loop: Header=BB6_11393 Depth=4
	s_and_not1_saveexec_b32 s13, s14
	s_cbranch_execz .LBB6_13545
; %bb.13540:                            ;   in Loop: Header=BB6_11393 Depth=4
	s_mov_b32 s14, exec_lo
                                        ; implicit-def: $vgpr37
	v_cmpx_ne_u64_e32 0, v[112:113]
	s_xor_b32 s14, exec_lo, s14
; %bb.13541:                            ;   in Loop: Header=BB6_11393 Depth=4
	v_lshrrev_b32_e32 v0, 24, v0
	s_delay_alu instid0(VALU_DEP_1)
	v_or_b32_e32 v37, 0x7f, v0
                                        ; implicit-def: $vgpr0
; %bb.13542:                            ;   in Loop: Header=BB6_11393 Depth=4
	s_and_not1_saveexec_b32 s14, s14
; %bb.13543:                            ;   in Loop: Header=BB6_11393 Depth=4
	v_cmp_lt_i32_e32 vcc_lo, -1, v0
	v_cndmask_b32_e64 v37, -4, 0x7c, vcc_lo
; %bb.13544:                            ;   in Loop: Header=BB6_11393 Depth=4
	s_or_b32 exec_lo, exec_lo, s14
.LBB6_13545:                            ;   in Loop: Header=BB6_11393 Depth=4
	s_delay_alu instid0(SALU_CYCLE_1) | instskip(SKIP_3) | instid1(VALU_DEP_2)
	s_or_b32 exec_lo, exec_lo, s13
	v_and_b32_e32 v3, 0xff, v72
	v_dual_mov_b32 v0, 0 :: v_dual_mov_b32 v1, 0
	s_mov_b32 s14, exec_lo
	v_cmpx_ne_u16_e32 0, v3
	s_cbranch_execz .LBB6_13555
; %bb.13546:                            ;   in Loop: Header=BB6_11393 Depth=4
	v_bfrev_b32_e32 v1, 1
	s_mov_b32 s15, exec_lo
	v_cmpx_ne_u16_e32 0x80, v3
	s_cbranch_execz .LBB6_13554
; %bb.13547:                            ;   in Loop: Header=BB6_11393 Depth=4
	v_and_b32_e32 v1, 0x7c, v72
	v_and_b32_e32 v2, 3, v72
	s_delay_alu instid0(VALU_DEP_2) | instskip(SKIP_1) | instid1(SALU_CYCLE_1)
	v_cmp_ne_u32_e32 vcc_lo, 0x7c, v1
                                        ; implicit-def: $vgpr1
	s_and_saveexec_b32 s13, vcc_lo
	s_xor_b32 s13, exec_lo, s13
	s_cbranch_execz .LBB6_13551
; %bb.13548:                            ;   in Loop: Header=BB6_11393 Depth=4
	v_bfe_u32 v1, v3, 2, 5
	s_mov_b32 s75, exec_lo
	s_delay_alu instid0(VALU_DEP_1)
	v_cmpx_eq_u32_e32 0, v1
	s_cbranch_execz .LBB6_13550
; %bb.13549:                            ;   in Loop: Header=BB6_11393 Depth=4
	v_clz_i32_u32_e32 v1, v2
	s_delay_alu instid0(VALU_DEP_1) | instskip(SKIP_1) | instid1(VALU_DEP_2)
	v_min_u32_e32 v1, 32, v1
	v_mov_b32_e32 v73, v113
	v_subrev_nc_u32_e32 v2, 29, v1
	v_sub_nc_u32_e32 v1, 30, v1
	s_delay_alu instid0(VALU_DEP_2) | instskip(NEXT) | instid1(VALU_DEP_1)
	v_lshlrev_b64_e32 v[2:3], v2, v[72:73]
	v_and_b32_e32 v2, 3, v2
.LBB6_13550:                            ;   in Loop: Header=BB6_11393 Depth=4
	s_or_b32 exec_lo, exec_lo, s75
	v_lshlrev_b32_e32 v3, 24, v72
                                        ; implicit-def: $vgpr72
	s_delay_alu instid0(VALU_DEP_1) | instskip(NEXT) | instid1(VALU_DEP_1)
	v_and_b32_e32 v3, 0x80000000, v3
	v_lshl_add_u32 v1, v1, 23, v3
	s_delay_alu instid0(VALU_DEP_1) | instskip(NEXT) | instid1(VALU_DEP_1)
	v_lshl_or_b32 v1, v2, 21, v1
                                        ; implicit-def: $vgpr2
	v_add_nc_u32_e32 v1, 0x38000000, v1
.LBB6_13551:                            ;   in Loop: Header=BB6_11393 Depth=4
	s_and_not1_saveexec_b32 s75, s13
; %bb.13552:                            ;   in Loop: Header=BB6_11393 Depth=4
	v_bfe_i32 v1, v72, 0, 8
	v_cmp_eq_u32_e32 vcc_lo, 0, v2
	s_delay_alu instid0(VALU_DEP_2) | instskip(SKIP_1) | instid1(VALU_DEP_1)
	v_cmp_lt_i16_e64 s13, -1, v1
	v_mov_b32_e32 v1, 0x7f800000
	v_cndmask_b32_e64 v1, 0xff800000, v1, s13
	s_delay_alu instid0(VALU_DEP_1)
	v_cndmask_b32_e32 v1, 0x7f800001, v1, vcc_lo
; %bb.13553:                            ;   in Loop: Header=BB6_11393 Depth=4
	s_or_b32 exec_lo, exec_lo, s75
.LBB6_13554:                            ;   in Loop: Header=BB6_11393 Depth=4
	s_delay_alu instid0(SALU_CYCLE_1)
	s_or_b32 exec_lo, exec_lo, s15
.LBB6_13555:                            ;   in Loop: Header=BB6_11393 Depth=4
	s_delay_alu instid0(SALU_CYCLE_1) | instskip(NEXT) | instid1(SALU_CYCLE_1)
	s_or_b32 exec_lo, exec_lo, s14
	s_mov_b32 s14, exec_lo
	s_wait_loadcnt_dscnt 0x707
	v_cmpx_ne_u16_e32 0, v40
	s_cbranch_execz .LBB6_13565
; %bb.13556:                            ;   in Loop: Header=BB6_11393 Depth=4
	v_bfrev_b32_e32 v0, 1
	s_mov_b32 s15, exec_lo
	v_cmpx_ne_u16_e32 0xff80, v40
	s_cbranch_execz .LBB6_13564
; %bb.13557:                            ;   in Loop: Header=BB6_11393 Depth=4
	v_and_b32_e32 v0, 0x7c, v40
	v_and_b32_e32 v2, 3, v40
	s_delay_alu instid0(VALU_DEP_2) | instskip(SKIP_1) | instid1(SALU_CYCLE_1)
	v_cmp_ne_u32_e32 vcc_lo, 0x7c, v0
                                        ; implicit-def: $vgpr0
	s_and_saveexec_b32 s13, vcc_lo
	s_xor_b32 s13, exec_lo, s13
	s_cbranch_execz .LBB6_13561
; %bb.13558:                            ;   in Loop: Header=BB6_11393 Depth=4
	v_and_b32_e32 v0, 0xff, v40
	s_mov_b32 s75, exec_lo
	s_delay_alu instid0(VALU_DEP_1) | instskip(NEXT) | instid1(VALU_DEP_1)
	v_bfe_u32 v0, v0, 2, 5
	v_cmpx_eq_u32_e32 0, v0
	s_cbranch_execz .LBB6_13560
; %bb.13559:                            ;   in Loop: Header=BB6_11393 Depth=4
	v_clz_i32_u32_e32 v0, v2
	s_delay_alu instid0(VALU_DEP_1) | instskip(SKIP_1) | instid1(VALU_DEP_2)
	v_min_u32_e32 v0, 32, v0
	v_mov_b32_e32 v41, v113
	v_subrev_nc_u32_e32 v2, 29, v0
	v_sub_nc_u32_e32 v0, 30, v0
	s_delay_alu instid0(VALU_DEP_2) | instskip(NEXT) | instid1(VALU_DEP_1)
	v_lshlrev_b64_e32 v[2:3], v2, v[40:41]
	v_and_b32_e32 v2, 3, v2
.LBB6_13560:                            ;   in Loop: Header=BB6_11393 Depth=4
	s_or_b32 exec_lo, exec_lo, s75
	v_bfe_i32 v3, v40, 0, 16
                                        ; implicit-def: $vgpr40
	s_delay_alu instid0(VALU_DEP_1) | instskip(NEXT) | instid1(VALU_DEP_1)
	v_and_b32_e32 v3, 0x80000000, v3
	v_lshl_add_u32 v0, v0, 23, v3
	s_delay_alu instid0(VALU_DEP_1) | instskip(NEXT) | instid1(VALU_DEP_1)
	v_lshl_or_b32 v0, v2, 21, v0
                                        ; implicit-def: $vgpr2
	v_add_nc_u32_e32 v0, 0x38000000, v0
.LBB6_13561:                            ;   in Loop: Header=BB6_11393 Depth=4
	s_and_not1_saveexec_b32 s75, s13
; %bb.13562:                            ;   in Loop: Header=BB6_11393 Depth=4
	v_cmp_lt_i16_e64 s13, -1, v40
	v_mov_b32_e32 v0, 0x7f800000
	v_cmp_eq_u32_e32 vcc_lo, 0, v2
	s_delay_alu instid0(VALU_DEP_2) | instskip(NEXT) | instid1(VALU_DEP_1)
	v_cndmask_b32_e64 v0, 0xff800000, v0, s13
	v_cndmask_b32_e32 v0, 0x7f800001, v0, vcc_lo
; %bb.13563:                            ;   in Loop: Header=BB6_11393 Depth=4
	s_or_b32 exec_lo, exec_lo, s75
.LBB6_13564:                            ;   in Loop: Header=BB6_11393 Depth=4
	s_delay_alu instid0(SALU_CYCLE_1)
	s_or_b32 exec_lo, exec_lo, s15
.LBB6_13565:                            ;   in Loop: Header=BB6_11393 Depth=4
	s_delay_alu instid0(SALU_CYCLE_1) | instskip(NEXT) | instid1(VALU_DEP_1)
	s_or_b32 exec_lo, exec_lo, s14
	v_add_f32_e32 v0, v1, v0
	v_mov_b32_e32 v3, v113
                                        ; implicit-def: $vgpr38
	s_mov_b32 s13, exec_lo
	s_delay_alu instid0(VALU_DEP_2) | instskip(SKIP_1) | instid1(VALU_DEP_2)
	v_and_b32_e32 v2, 0x7f800000, v0
	v_and_b32_e32 v112, 0x7fffff, v0
	v_cmpx_ne_u64_e32 0x7f800000, v[2:3]
	s_xor_b32 s14, exec_lo, s13
	s_cbranch_execz .LBB6_13583
; %bb.13566:                            ;   in Loop: Header=BB6_11393 Depth=4
	v_dual_mov_b32 v3, v113 :: v_dual_lshrrev_b32 v1, 24, v0
	v_and_b32_e32 v2, 0x7fffffff, v0
                                        ; implicit-def: $vgpr38
	s_mov_b32 s13, exec_lo
	s_delay_alu instid0(VALU_DEP_2) | instskip(NEXT) | instid1(VALU_DEP_2)
	v_and_b32_e32 v17, 0x80, v1
	v_cmpx_gt_u64_e32 0x47600001, v[2:3]
	s_xor_b32 s15, exec_lo, s13
	s_cbranch_execz .LBB6_13580
; %bb.13567:                            ;   in Loop: Header=BB6_11393 Depth=4
	v_mov_b32_e32 v38, 0
	s_mov_b32 s75, exec_lo
	v_cmpx_ne_u32_e32 0, v0
	s_cbranch_execz .LBB6_13579
; %bb.13568:                            ;   in Loop: Header=BB6_11393 Depth=4
	v_bfe_u32 v25, v0, 23, 8
	v_or_b32_e32 v1, 0x800000, v112
	s_delay_alu instid0(VALU_DEP_2) | instskip(SKIP_2) | instid1(VALU_DEP_2)
	v_cmp_gt_u32_e64 s13, 0x72, v25
	v_sub_nc_u32_e32 v0, 0x71, v25
	v_cmp_eq_u32_e32 vcc_lo, 0, v25
	v_cndmask_b32_e64 v0, 0, v0, s13
	s_delay_alu instid0(VALU_DEP_1) | instskip(SKIP_1) | instid1(VALU_DEP_2)
	v_cndmask_b32_e64 v38, v0, 0x70, vcc_lo
	v_cndmask_b32_e32 v0, v1, v112, vcc_lo
	v_dual_mov_b32 v1, v113 :: v_dual_add_nc_u32 v2, 21, v38
	v_add_nc_u32_e32 v39, 20, v38
	s_delay_alu instid0(VALU_DEP_2) | instskip(NEXT) | instid1(VALU_DEP_2)
	v_lshlrev_b64_e64 v[2:3], v2, -1
	v_lshlrev_b64_e64 v[48:49], v39, 1
	s_delay_alu instid0(VALU_DEP_2) | instskip(SKIP_1) | instid1(VALU_DEP_4)
	v_bfi_b32 v2, v2, 0, v0
	v_lshrrev_b64 v[0:1], v38, v[0:1]
	v_bfi_b32 v3, v3, 0, 0
	s_delay_alu instid0(VALU_DEP_1) | instskip(NEXT) | instid1(VALU_DEP_3)
	v_cmp_eq_u64_e64 s13, v[2:3], v[48:49]
	v_mov_b64_e32 v[2:3], v[0:1]
	s_and_saveexec_b32 s76, s13
; %bb.13569:                            ;   in Loop: Header=BB6_11393 Depth=4
	v_bfe_u32 v2, v0, 21, 1
	v_mov_b32_e32 v3, v113
	s_delay_alu instid0(VALU_DEP_1) | instskip(NEXT) | instid1(VALU_DEP_1)
	v_add_nc_u64_e32 v[2:3], v[0:1], v[2:3]
	v_add_nc_u64_e32 v[2:3], -1, v[2:3]
; %bb.13570:                            ;   in Loop: Header=BB6_11393 Depth=4
	s_or_b32 exec_lo, exec_lo, s76
	v_add_nc_u32_e32 v1, 0xffffff81, v25
	s_delay_alu instid0(VALU_DEP_2) | instskip(SKIP_2) | instid1(VALU_DEP_3)
	v_and_b32_e32 v2, 0x1fffff, v2
	v_lshrrev_b32_e32 v3, 23, v0
	s_mov_b32 s13, exec_lo
	v_cndmask_b32_e64 v1, v1, 0xffffff82, vcc_lo
	s_delay_alu instid0(VALU_DEP_3) | instskip(NEXT) | instid1(VALU_DEP_2)
	v_add_nc_u32_e32 v112, v2, v0
                                        ; implicit-def: $vgpr2
	v_add3_u32 v25, v38, v1, v3
                                        ; implicit-def: $vgpr0_vgpr1
	s_delay_alu instid0(VALU_DEP_1) | instskip(NEXT) | instid1(VALU_DEP_1)
	v_add_nc_u32_e32 v3, 14, v25
	v_cmpx_ne_u32_e32 0, v3
	s_xor_b32 s13, exec_lo, s13
; %bb.13571:                            ;   in Loop: Header=BB6_11393 Depth=4
	v_cmp_lt_u64_e32 vcc_lo, 0xffffff, v[112:113]
	v_add_nc_u32_e32 v0, 15, v25
	s_delay_alu instid0(VALU_DEP_1) | instskip(SKIP_1) | instid1(VALU_DEP_1)
	v_cndmask_b32_e32 v2, v3, v0, vcc_lo
	v_cndmask_b32_e64 v0, 0, 1, vcc_lo
	v_lshrrev_b64 v[0:1], v0, v[112:113]
; %bb.13572:                            ;   in Loop: Header=BB6_11393 Depth=4
	s_and_not1_saveexec_b32 s13, s13
; %bb.13573:                            ;   in Loop: Header=BB6_11393 Depth=4
	v_mov_b64_e32 v[0:1], v[112:113]
	v_bfe_u32 v2, v112, 23, 1
; %bb.13574:                            ;   in Loop: Header=BB6_11393 Depth=4
	s_or_b32 exec_lo, exec_lo, s13
	s_delay_alu instid0(VALU_DEP_2) | instskip(NEXT) | instid1(VALU_DEP_2)
	v_lshrrev_b64 v[0:1], 21, v[0:1]
	v_cmp_gt_i32_e32 vcc_lo, 32, v2
	v_cmp_ne_u32_e64 s13, 0, v2
                                        ; implicit-def: $vgpr38
	s_delay_alu instid0(VALU_DEP_3) | instskip(NEXT) | instid1(VALU_DEP_1)
	v_dual_cndmask_b32 v1, 0, v1 :: v_dual_cndmask_b32 v0, 3, v0
	v_cmp_ne_u64_e32 vcc_lo, 0, v[0:1]
	s_or_b32 s13, s13, vcc_lo
	s_delay_alu instid0(SALU_CYCLE_1) | instskip(NEXT) | instid1(SALU_CYCLE_1)
	s_and_saveexec_b32 s76, s13
	s_xor_b32 s13, exec_lo, s76
; %bb.13575:                            ;   in Loop: Header=BB6_11393 Depth=4
	v_min_i32_e32 v1, 31, v2
	s_delay_alu instid0(VALU_DEP_1) | instskip(NEXT) | instid1(VALU_DEP_1)
	v_lshl_or_b32 v1, v1, 2, v17
                                        ; implicit-def: $vgpr17
	v_and_or_b32 v38, v0, 3, v1
; %bb.13576:                            ;   in Loop: Header=BB6_11393 Depth=4
	s_and_not1_saveexec_b32 s13, s13
; %bb.13577:                            ;   in Loop: Header=BB6_11393 Depth=4
	v_mov_b32_e32 v38, v17
; %bb.13578:                            ;   in Loop: Header=BB6_11393 Depth=4
	s_or_b32 exec_lo, exec_lo, s13
.LBB6_13579:                            ;   in Loop: Header=BB6_11393 Depth=4
	s_delay_alu instid0(SALU_CYCLE_1)
	s_or_b32 exec_lo, exec_lo, s75
                                        ; implicit-def: $vgpr17
.LBB6_13580:                            ;   in Loop: Header=BB6_11393 Depth=4
	s_and_not1_saveexec_b32 s13, s15
; %bb.13581:                            ;   in Loop: Header=BB6_11393 Depth=4
	v_or_b32_e32 v38, 0x7b, v17
; %bb.13582:                            ;   in Loop: Header=BB6_11393 Depth=4
	s_or_b32 exec_lo, exec_lo, s13
                                        ; implicit-def: $vgpr0
.LBB6_13583:                            ;   in Loop: Header=BB6_11393 Depth=4
	s_and_not1_saveexec_b32 s13, s14
	s_cbranch_execz .LBB6_13589
; %bb.13584:                            ;   in Loop: Header=BB6_11393 Depth=4
	s_mov_b32 s14, exec_lo
                                        ; implicit-def: $vgpr38
	v_cmpx_ne_u64_e32 0, v[112:113]
	s_xor_b32 s14, exec_lo, s14
; %bb.13585:                            ;   in Loop: Header=BB6_11393 Depth=4
	v_lshrrev_b32_e32 v0, 24, v0
	s_delay_alu instid0(VALU_DEP_1)
	v_or_b32_e32 v38, 0x7f, v0
                                        ; implicit-def: $vgpr0
; %bb.13586:                            ;   in Loop: Header=BB6_11393 Depth=4
	s_and_not1_saveexec_b32 s14, s14
; %bb.13587:                            ;   in Loop: Header=BB6_11393 Depth=4
	v_cmp_lt_i32_e32 vcc_lo, -1, v0
	v_cndmask_b32_e64 v38, -4, 0x7c, vcc_lo
; %bb.13588:                            ;   in Loop: Header=BB6_11393 Depth=4
	s_or_b32 exec_lo, exec_lo, s14
.LBB6_13589:                            ;   in Loop: Header=BB6_11393 Depth=4
	s_delay_alu instid0(SALU_CYCLE_1)
	s_or_b32 exec_lo, exec_lo, s13
	scratch_load_b64 v[0:1], off, s33 offset:256 ; 8-byte Folded Reload
	s_mov_b32 s14, exec_lo
	s_wait_loadcnt 0x0
	v_mov_b32_e32 v1, 0
	v_and_b32_e32 v3, 0xff, v0
	v_mov_b32_e32 v0, 0
	s_wait_xcnt 0x0
	s_delay_alu instid0(VALU_DEP_2)
	v_cmpx_ne_u16_e32 0, v3
	s_cbranch_execz .LBB6_13599
; %bb.13590:                            ;   in Loop: Header=BB6_11393 Depth=4
	v_bfrev_b32_e32 v1, 1
	s_mov_b32 s15, exec_lo
	v_cmpx_ne_u16_e32 0x80, v3
	s_cbranch_execz .LBB6_13598
; %bb.13591:                            ;   in Loop: Header=BB6_11393 Depth=4
	scratch_load_b64 v[48:49], off, s33 offset:256 ; 8-byte Folded Reload
	s_wait_loadcnt 0x0
	v_mov_b32_e32 v2, v48
	s_delay_alu instid0(VALU_DEP_1) | instskip(SKIP_1) | instid1(VALU_DEP_2)
	v_and_b32_e32 v1, 0x7c, v2
	v_and_b32_e32 v2, 3, v2
	v_cmp_ne_u32_e32 vcc_lo, 0x7c, v1
                                        ; implicit-def: $vgpr1
	s_wait_xcnt 0x0
	s_and_saveexec_b32 s13, vcc_lo
	s_delay_alu instid0(SALU_CYCLE_1)
	s_xor_b32 s13, exec_lo, s13
	s_cbranch_execz .LBB6_13595
; %bb.13592:                            ;   in Loop: Header=BB6_11393 Depth=4
	v_bfe_u32 v1, v3, 2, 5
	s_mov_b32 s75, exec_lo
	s_delay_alu instid0(VALU_DEP_1)
	v_cmpx_eq_u32_e32 0, v1
	s_cbranch_execz .LBB6_13594
; %bb.13593:                            ;   in Loop: Header=BB6_11393 Depth=4
	scratch_load_b64 v[48:49], off, s33 offset:256 th:TH_LOAD_LU ; 8-byte Folded Reload
	v_clz_i32_u32_e32 v1, v2
	s_wait_loadcnt 0x0
	v_mov_b32_e32 v49, v113
	s_delay_alu instid0(VALU_DEP_2) | instskip(NEXT) | instid1(VALU_DEP_1)
	v_min_u32_e32 v1, 32, v1
	v_subrev_nc_u32_e32 v2, 29, v1
	v_mov_b32_e32 v50, v48
	s_delay_alu instid0(VALU_DEP_2)
	v_lshlrev_b64_e32 v[2:3], v2, v[48:49]
	v_sub_nc_u32_e32 v1, 30, v1
	scratch_store_b64 off, v[50:51], s33 offset:256 ; 8-byte Folded Spill
	v_and_b32_e32 v2, 3, v2
.LBB6_13594:                            ;   in Loop: Header=BB6_11393 Depth=4
	s_wait_xcnt 0x0
	s_or_b32 exec_lo, exec_lo, s75
	scratch_load_b64 v[48:49], off, s33 offset:256 th:TH_LOAD_LU ; 8-byte Folded Reload
	s_wait_loadcnt 0x0
	v_lshlrev_b32_e32 v3, 24, v48
                                        ; implicit-def: $vgpr48
	scratch_store_b64 off, v[48:49], s33 offset:256 ; 8-byte Folded Spill
	v_and_b32_e32 v3, 0x80000000, v3
	s_delay_alu instid0(VALU_DEP_1) | instskip(NEXT) | instid1(VALU_DEP_1)
	v_lshl_add_u32 v1, v1, 23, v3
	v_lshl_or_b32 v1, v2, 21, v1
                                        ; implicit-def: $vgpr2
	s_delay_alu instid0(VALU_DEP_1)
	v_add_nc_u32_e32 v1, 0x38000000, v1
.LBB6_13595:                            ;   in Loop: Header=BB6_11393 Depth=4
	s_wait_xcnt 0x0
	s_and_not1_saveexec_b32 s75, s13
	s_cbranch_execz .LBB6_13597
; %bb.13596:                            ;   in Loop: Header=BB6_11393 Depth=4
	v_cmp_eq_u32_e32 vcc_lo, 0, v2
	scratch_load_b64 v[2:3], off, s33 offset:256 th:TH_LOAD_LU ; 8-byte Folded Reload
	s_wait_loadcnt 0x0
	v_bfe_i32 v1, v2, 0, 8
	s_delay_alu instid0(VALU_DEP_1) | instskip(SKIP_1) | instid1(VALU_DEP_1)
	v_cmp_lt_i16_e64 s13, -1, v1
	v_mov_b32_e32 v1, 0x7f800000
	v_cndmask_b32_e64 v1, 0xff800000, v1, s13
	s_delay_alu instid0(VALU_DEP_1)
	v_cndmask_b32_e32 v1, 0x7f800001, v1, vcc_lo
.LBB6_13597:                            ;   in Loop: Header=BB6_11393 Depth=4
	s_wait_xcnt 0x0
	s_or_b32 exec_lo, exec_lo, s75
.LBB6_13598:                            ;   in Loop: Header=BB6_11393 Depth=4
	s_delay_alu instid0(SALU_CYCLE_1)
	s_or_b32 exec_lo, exec_lo, s15
.LBB6_13599:                            ;   in Loop: Header=BB6_11393 Depth=4
	s_delay_alu instid0(SALU_CYCLE_1) | instskip(NEXT) | instid1(SALU_CYCLE_1)
	s_or_b32 exec_lo, exec_lo, s14
	s_mov_b32 s14, exec_lo
	s_wait_dscnt 0x6
	v_cmpx_ne_u16_e32 0, v118
	s_cbranch_execz .LBB6_13609
; %bb.13600:                            ;   in Loop: Header=BB6_11393 Depth=4
	v_bfrev_b32_e32 v0, 1
	s_mov_b32 s15, exec_lo
	v_cmpx_ne_u16_e32 0xff80, v118
	s_cbranch_execz .LBB6_13608
; %bb.13601:                            ;   in Loop: Header=BB6_11393 Depth=4
	v_and_b32_e32 v0, 0x7c, v118
	v_and_b32_e32 v2, 3, v118
	s_delay_alu instid0(VALU_DEP_2) | instskip(SKIP_1) | instid1(SALU_CYCLE_1)
	v_cmp_ne_u32_e32 vcc_lo, 0x7c, v0
                                        ; implicit-def: $vgpr0
	s_and_saveexec_b32 s13, vcc_lo
	s_xor_b32 s13, exec_lo, s13
	s_cbranch_execz .LBB6_13605
; %bb.13602:                            ;   in Loop: Header=BB6_11393 Depth=4
	v_and_b32_e32 v0, 0xff, v118
	s_mov_b32 s75, exec_lo
	s_delay_alu instid0(VALU_DEP_1) | instskip(NEXT) | instid1(VALU_DEP_1)
	v_bfe_u32 v0, v0, 2, 5
	v_cmpx_eq_u32_e32 0, v0
	s_cbranch_execz .LBB6_13604
; %bb.13603:                            ;   in Loop: Header=BB6_11393 Depth=4
	v_clz_i32_u32_e32 v0, v2
	s_delay_alu instid0(VALU_DEP_1) | instskip(SKIP_1) | instid1(VALU_DEP_2)
	v_min_u32_e32 v0, 32, v0
	v_mov_b32_e32 v119, v113
	v_subrev_nc_u32_e32 v2, 29, v0
	v_sub_nc_u32_e32 v0, 30, v0
	s_delay_alu instid0(VALU_DEP_2) | instskip(NEXT) | instid1(VALU_DEP_1)
	v_lshlrev_b64_e32 v[2:3], v2, v[118:119]
	v_and_b32_e32 v2, 3, v2
.LBB6_13604:                            ;   in Loop: Header=BB6_11393 Depth=4
	s_or_b32 exec_lo, exec_lo, s75
	v_bfe_i32 v3, v118, 0, 16
                                        ; implicit-def: $vgpr118
	s_delay_alu instid0(VALU_DEP_1) | instskip(NEXT) | instid1(VALU_DEP_1)
	v_and_b32_e32 v3, 0x80000000, v3
	v_lshl_add_u32 v0, v0, 23, v3
	s_delay_alu instid0(VALU_DEP_1) | instskip(NEXT) | instid1(VALU_DEP_1)
	v_lshl_or_b32 v0, v2, 21, v0
                                        ; implicit-def: $vgpr2
	v_add_nc_u32_e32 v0, 0x38000000, v0
.LBB6_13605:                            ;   in Loop: Header=BB6_11393 Depth=4
	s_and_not1_saveexec_b32 s75, s13
; %bb.13606:                            ;   in Loop: Header=BB6_11393 Depth=4
	v_cmp_lt_i16_e64 s13, -1, v118
	v_mov_b32_e32 v0, 0x7f800000
	v_cmp_eq_u32_e32 vcc_lo, 0, v2
	s_delay_alu instid0(VALU_DEP_2) | instskip(NEXT) | instid1(VALU_DEP_1)
	v_cndmask_b32_e64 v0, 0xff800000, v0, s13
	v_cndmask_b32_e32 v0, 0x7f800001, v0, vcc_lo
; %bb.13607:                            ;   in Loop: Header=BB6_11393 Depth=4
	s_or_b32 exec_lo, exec_lo, s75
.LBB6_13608:                            ;   in Loop: Header=BB6_11393 Depth=4
	s_delay_alu instid0(SALU_CYCLE_1)
	s_or_b32 exec_lo, exec_lo, s15
.LBB6_13609:                            ;   in Loop: Header=BB6_11393 Depth=4
	s_delay_alu instid0(SALU_CYCLE_1) | instskip(NEXT) | instid1(VALU_DEP_1)
	s_or_b32 exec_lo, exec_lo, s14
	v_add_f32_e32 v0, v1, v0
	v_mov_b32_e32 v3, v113
                                        ; implicit-def: $vgpr39
	s_mov_b32 s13, exec_lo
	s_delay_alu instid0(VALU_DEP_2) | instskip(SKIP_1) | instid1(VALU_DEP_2)
	v_and_b32_e32 v2, 0x7f800000, v0
	v_and_b32_e32 v112, 0x7fffff, v0
	v_cmpx_ne_u64_e32 0x7f800000, v[2:3]
	s_xor_b32 s14, exec_lo, s13
	s_cbranch_execz .LBB6_13627
; %bb.13610:                            ;   in Loop: Header=BB6_11393 Depth=4
	v_dual_mov_b32 v3, v113 :: v_dual_lshrrev_b32 v1, 24, v0
	v_and_b32_e32 v2, 0x7fffffff, v0
                                        ; implicit-def: $vgpr39
	s_mov_b32 s13, exec_lo
	s_delay_alu instid0(VALU_DEP_2) | instskip(NEXT) | instid1(VALU_DEP_2)
	v_and_b32_e32 v17, 0x80, v1
	v_cmpx_gt_u64_e32 0x47600001, v[2:3]
	s_xor_b32 s15, exec_lo, s13
	s_cbranch_execz .LBB6_13624
; %bb.13611:                            ;   in Loop: Header=BB6_11393 Depth=4
	v_mov_b32_e32 v39, 0
	s_mov_b32 s75, exec_lo
	v_cmpx_ne_u32_e32 0, v0
	s_cbranch_execz .LBB6_13623
; %bb.13612:                            ;   in Loop: Header=BB6_11393 Depth=4
	v_bfe_u32 v25, v0, 23, 8
	v_or_b32_e32 v1, 0x800000, v112
	s_delay_alu instid0(VALU_DEP_2) | instskip(SKIP_2) | instid1(VALU_DEP_2)
	v_cmp_gt_u32_e64 s13, 0x72, v25
	v_sub_nc_u32_e32 v0, 0x71, v25
	v_cmp_eq_u32_e32 vcc_lo, 0, v25
	v_cndmask_b32_e64 v0, 0, v0, s13
	s_delay_alu instid0(VALU_DEP_1) | instskip(SKIP_1) | instid1(VALU_DEP_2)
	v_cndmask_b32_e64 v39, v0, 0x70, vcc_lo
	v_cndmask_b32_e32 v0, v1, v112, vcc_lo
	v_dual_mov_b32 v1, v113 :: v_dual_add_nc_u32 v2, 21, v39
	v_add_nc_u32_e32 v48, 20, v39
	s_delay_alu instid0(VALU_DEP_2) | instskip(NEXT) | instid1(VALU_DEP_2)
	v_lshlrev_b64_e64 v[2:3], v2, -1
	v_lshlrev_b64_e64 v[48:49], v48, 1
	s_delay_alu instid0(VALU_DEP_2) | instskip(SKIP_1) | instid1(VALU_DEP_4)
	v_bfi_b32 v2, v2, 0, v0
	v_lshrrev_b64 v[0:1], v39, v[0:1]
	v_bfi_b32 v3, v3, 0, 0
	s_delay_alu instid0(VALU_DEP_1) | instskip(NEXT) | instid1(VALU_DEP_3)
	v_cmp_eq_u64_e64 s13, v[2:3], v[48:49]
	v_mov_b64_e32 v[2:3], v[0:1]
	s_and_saveexec_b32 s76, s13
; %bb.13613:                            ;   in Loop: Header=BB6_11393 Depth=4
	v_bfe_u32 v2, v0, 21, 1
	v_mov_b32_e32 v3, v113
	s_delay_alu instid0(VALU_DEP_1) | instskip(NEXT) | instid1(VALU_DEP_1)
	v_add_nc_u64_e32 v[2:3], v[0:1], v[2:3]
	v_add_nc_u64_e32 v[2:3], -1, v[2:3]
; %bb.13614:                            ;   in Loop: Header=BB6_11393 Depth=4
	s_or_b32 exec_lo, exec_lo, s76
	v_add_nc_u32_e32 v1, 0xffffff81, v25
	s_delay_alu instid0(VALU_DEP_2) | instskip(SKIP_2) | instid1(VALU_DEP_3)
	v_and_b32_e32 v2, 0x1fffff, v2
	v_lshrrev_b32_e32 v3, 23, v0
	s_mov_b32 s13, exec_lo
	v_cndmask_b32_e64 v1, v1, 0xffffff82, vcc_lo
	s_delay_alu instid0(VALU_DEP_3) | instskip(NEXT) | instid1(VALU_DEP_2)
	v_add_nc_u32_e32 v112, v2, v0
                                        ; implicit-def: $vgpr2
	v_add3_u32 v25, v39, v1, v3
                                        ; implicit-def: $vgpr0_vgpr1
	s_delay_alu instid0(VALU_DEP_1) | instskip(NEXT) | instid1(VALU_DEP_1)
	v_add_nc_u32_e32 v3, 14, v25
	v_cmpx_ne_u32_e32 0, v3
	s_xor_b32 s13, exec_lo, s13
; %bb.13615:                            ;   in Loop: Header=BB6_11393 Depth=4
	v_cmp_lt_u64_e32 vcc_lo, 0xffffff, v[112:113]
	v_add_nc_u32_e32 v0, 15, v25
	s_delay_alu instid0(VALU_DEP_1) | instskip(SKIP_1) | instid1(VALU_DEP_1)
	v_cndmask_b32_e32 v2, v3, v0, vcc_lo
	v_cndmask_b32_e64 v0, 0, 1, vcc_lo
	v_lshrrev_b64 v[0:1], v0, v[112:113]
; %bb.13616:                            ;   in Loop: Header=BB6_11393 Depth=4
	s_and_not1_saveexec_b32 s13, s13
; %bb.13617:                            ;   in Loop: Header=BB6_11393 Depth=4
	v_mov_b64_e32 v[0:1], v[112:113]
	v_bfe_u32 v2, v112, 23, 1
; %bb.13618:                            ;   in Loop: Header=BB6_11393 Depth=4
	s_or_b32 exec_lo, exec_lo, s13
	s_delay_alu instid0(VALU_DEP_2) | instskip(NEXT) | instid1(VALU_DEP_2)
	v_lshrrev_b64 v[0:1], 21, v[0:1]
	v_cmp_gt_i32_e32 vcc_lo, 32, v2
	v_cmp_ne_u32_e64 s13, 0, v2
                                        ; implicit-def: $vgpr39
	s_delay_alu instid0(VALU_DEP_3) | instskip(NEXT) | instid1(VALU_DEP_1)
	v_dual_cndmask_b32 v1, 0, v1 :: v_dual_cndmask_b32 v0, 3, v0
	v_cmp_ne_u64_e32 vcc_lo, 0, v[0:1]
	s_or_b32 s13, s13, vcc_lo
	s_delay_alu instid0(SALU_CYCLE_1) | instskip(NEXT) | instid1(SALU_CYCLE_1)
	s_and_saveexec_b32 s76, s13
	s_xor_b32 s13, exec_lo, s76
; %bb.13619:                            ;   in Loop: Header=BB6_11393 Depth=4
	v_min_i32_e32 v1, 31, v2
	s_delay_alu instid0(VALU_DEP_1) | instskip(NEXT) | instid1(VALU_DEP_1)
	v_lshl_or_b32 v1, v1, 2, v17
                                        ; implicit-def: $vgpr17
	v_and_or_b32 v39, v0, 3, v1
; %bb.13620:                            ;   in Loop: Header=BB6_11393 Depth=4
	s_and_not1_saveexec_b32 s13, s13
; %bb.13621:                            ;   in Loop: Header=BB6_11393 Depth=4
	v_mov_b32_e32 v39, v17
; %bb.13622:                            ;   in Loop: Header=BB6_11393 Depth=4
	s_or_b32 exec_lo, exec_lo, s13
.LBB6_13623:                            ;   in Loop: Header=BB6_11393 Depth=4
	s_delay_alu instid0(SALU_CYCLE_1)
	s_or_b32 exec_lo, exec_lo, s75
                                        ; implicit-def: $vgpr17
.LBB6_13624:                            ;   in Loop: Header=BB6_11393 Depth=4
	s_and_not1_saveexec_b32 s13, s15
; %bb.13625:                            ;   in Loop: Header=BB6_11393 Depth=4
	v_or_b32_e32 v39, 0x7b, v17
; %bb.13626:                            ;   in Loop: Header=BB6_11393 Depth=4
	s_or_b32 exec_lo, exec_lo, s13
                                        ; implicit-def: $vgpr0
.LBB6_13627:                            ;   in Loop: Header=BB6_11393 Depth=4
	s_and_not1_saveexec_b32 s13, s14
	s_cbranch_execz .LBB6_13633
; %bb.13628:                            ;   in Loop: Header=BB6_11393 Depth=4
	s_mov_b32 s14, exec_lo
                                        ; implicit-def: $vgpr39
	v_cmpx_ne_u64_e32 0, v[112:113]
	s_xor_b32 s14, exec_lo, s14
; %bb.13629:                            ;   in Loop: Header=BB6_11393 Depth=4
	v_lshrrev_b32_e32 v0, 24, v0
	s_delay_alu instid0(VALU_DEP_1)
	v_or_b32_e32 v39, 0x7f, v0
                                        ; implicit-def: $vgpr0
; %bb.13630:                            ;   in Loop: Header=BB6_11393 Depth=4
	s_and_not1_saveexec_b32 s14, s14
; %bb.13631:                            ;   in Loop: Header=BB6_11393 Depth=4
	v_cmp_lt_i32_e32 vcc_lo, -1, v0
	v_cndmask_b32_e64 v39, -4, 0x7c, vcc_lo
; %bb.13632:                            ;   in Loop: Header=BB6_11393 Depth=4
	s_or_b32 exec_lo, exec_lo, s14
.LBB6_13633:                            ;   in Loop: Header=BB6_11393 Depth=4
	s_delay_alu instid0(SALU_CYCLE_1)
	s_or_b32 exec_lo, exec_lo, s13
	scratch_load_b64 v[0:1], off, s33 offset:248 ; 8-byte Folded Reload
	s_mov_b32 s14, exec_lo
	s_wait_loadcnt 0x0
	v_mov_b32_e32 v1, 0
	v_and_b32_e32 v3, 0xff, v0
	v_mov_b32_e32 v0, 0
	s_wait_xcnt 0x0
	s_delay_alu instid0(VALU_DEP_2)
	v_cmpx_ne_u16_e32 0, v3
	s_cbranch_execz .LBB6_13643
; %bb.13634:                            ;   in Loop: Header=BB6_11393 Depth=4
	v_bfrev_b32_e32 v1, 1
	s_mov_b32 s15, exec_lo
	v_cmpx_ne_u16_e32 0x80, v3
	s_cbranch_execz .LBB6_13642
; %bb.13635:                            ;   in Loop: Header=BB6_11393 Depth=4
	scratch_load_b64 v[48:49], off, s33 offset:248 ; 8-byte Folded Reload
	s_wait_loadcnt 0x0
	v_mov_b32_e32 v2, v48
	s_delay_alu instid0(VALU_DEP_1) | instskip(SKIP_1) | instid1(VALU_DEP_2)
	v_and_b32_e32 v1, 0x7c, v2
	v_and_b32_e32 v2, 3, v2
	v_cmp_ne_u32_e32 vcc_lo, 0x7c, v1
                                        ; implicit-def: $vgpr1
	s_wait_xcnt 0x0
	s_and_saveexec_b32 s13, vcc_lo
	s_delay_alu instid0(SALU_CYCLE_1)
	s_xor_b32 s13, exec_lo, s13
	s_cbranch_execz .LBB6_13639
; %bb.13636:                            ;   in Loop: Header=BB6_11393 Depth=4
	v_bfe_u32 v1, v3, 2, 5
	s_mov_b32 s75, exec_lo
	s_delay_alu instid0(VALU_DEP_1)
	v_cmpx_eq_u32_e32 0, v1
	s_cbranch_execz .LBB6_13638
; %bb.13637:                            ;   in Loop: Header=BB6_11393 Depth=4
	scratch_load_b64 v[48:49], off, s33 offset:248 th:TH_LOAD_LU ; 8-byte Folded Reload
	v_clz_i32_u32_e32 v1, v2
	s_wait_loadcnt 0x0
	v_mov_b32_e32 v49, v113
	s_delay_alu instid0(VALU_DEP_2) | instskip(NEXT) | instid1(VALU_DEP_1)
	v_min_u32_e32 v1, 32, v1
	v_subrev_nc_u32_e32 v2, 29, v1
	v_mov_b32_e32 v50, v48
	s_delay_alu instid0(VALU_DEP_2)
	v_lshlrev_b64_e32 v[2:3], v2, v[48:49]
	v_sub_nc_u32_e32 v1, 30, v1
	scratch_store_b64 off, v[50:51], s33 offset:248 ; 8-byte Folded Spill
	v_and_b32_e32 v2, 3, v2
.LBB6_13638:                            ;   in Loop: Header=BB6_11393 Depth=4
	s_wait_xcnt 0x0
	s_or_b32 exec_lo, exec_lo, s75
	scratch_load_b64 v[48:49], off, s33 offset:248 th:TH_LOAD_LU ; 8-byte Folded Reload
	s_wait_loadcnt 0x0
	v_lshlrev_b32_e32 v3, 24, v48
                                        ; implicit-def: $vgpr48
	scratch_store_b64 off, v[48:49], s33 offset:248 ; 8-byte Folded Spill
	v_and_b32_e32 v3, 0x80000000, v3
	s_delay_alu instid0(VALU_DEP_1) | instskip(NEXT) | instid1(VALU_DEP_1)
	v_lshl_add_u32 v1, v1, 23, v3
	v_lshl_or_b32 v1, v2, 21, v1
                                        ; implicit-def: $vgpr2
	s_delay_alu instid0(VALU_DEP_1)
	v_add_nc_u32_e32 v1, 0x38000000, v1
.LBB6_13639:                            ;   in Loop: Header=BB6_11393 Depth=4
	s_wait_xcnt 0x0
	s_and_not1_saveexec_b32 s75, s13
	s_cbranch_execz .LBB6_13641
; %bb.13640:                            ;   in Loop: Header=BB6_11393 Depth=4
	v_cmp_eq_u32_e32 vcc_lo, 0, v2
	scratch_load_b64 v[2:3], off, s33 offset:248 th:TH_LOAD_LU ; 8-byte Folded Reload
	s_wait_loadcnt 0x0
	v_bfe_i32 v1, v2, 0, 8
	s_delay_alu instid0(VALU_DEP_1) | instskip(SKIP_1) | instid1(VALU_DEP_1)
	v_cmp_lt_i16_e64 s13, -1, v1
	v_mov_b32_e32 v1, 0x7f800000
	v_cndmask_b32_e64 v1, 0xff800000, v1, s13
	s_delay_alu instid0(VALU_DEP_1)
	v_cndmask_b32_e32 v1, 0x7f800001, v1, vcc_lo
.LBB6_13641:                            ;   in Loop: Header=BB6_11393 Depth=4
	s_wait_xcnt 0x0
	s_or_b32 exec_lo, exec_lo, s75
.LBB6_13642:                            ;   in Loop: Header=BB6_11393 Depth=4
	s_delay_alu instid0(SALU_CYCLE_1)
	s_or_b32 exec_lo, exec_lo, s15
.LBB6_13643:                            ;   in Loop: Header=BB6_11393 Depth=4
	s_delay_alu instid0(SALU_CYCLE_1) | instskip(NEXT) | instid1(SALU_CYCLE_1)
	s_or_b32 exec_lo, exec_lo, s14
	s_mov_b32 s14, exec_lo
	s_wait_dscnt 0x5
	v_cmpx_ne_u16_e32 0, v24
	s_cbranch_execz .LBB6_13653
; %bb.13644:                            ;   in Loop: Header=BB6_11393 Depth=4
	v_bfrev_b32_e32 v0, 1
	s_mov_b32 s15, exec_lo
	v_cmpx_ne_u16_e32 0xff80, v24
	s_cbranch_execz .LBB6_13652
; %bb.13645:                            ;   in Loop: Header=BB6_11393 Depth=4
	v_and_b32_e32 v0, 0x7c, v24
	v_and_b32_e32 v2, 3, v24
	s_delay_alu instid0(VALU_DEP_2) | instskip(SKIP_1) | instid1(SALU_CYCLE_1)
	v_cmp_ne_u32_e32 vcc_lo, 0x7c, v0
                                        ; implicit-def: $vgpr0
	s_and_saveexec_b32 s13, vcc_lo
	s_xor_b32 s13, exec_lo, s13
	s_cbranch_execz .LBB6_13649
; %bb.13646:                            ;   in Loop: Header=BB6_11393 Depth=4
	v_and_b32_e32 v0, 0xff, v24
	s_mov_b32 s75, exec_lo
	s_delay_alu instid0(VALU_DEP_1) | instskip(NEXT) | instid1(VALU_DEP_1)
	v_bfe_u32 v0, v0, 2, 5
	v_cmpx_eq_u32_e32 0, v0
	s_cbranch_execz .LBB6_13648
; %bb.13647:                            ;   in Loop: Header=BB6_11393 Depth=4
	v_clz_i32_u32_e32 v0, v2
	s_delay_alu instid0(VALU_DEP_1) | instskip(SKIP_1) | instid1(VALU_DEP_2)
	v_min_u32_e32 v0, 32, v0
	v_mov_b32_e32 v25, v113
	v_subrev_nc_u32_e32 v2, 29, v0
	v_sub_nc_u32_e32 v0, 30, v0
	s_delay_alu instid0(VALU_DEP_2) | instskip(NEXT) | instid1(VALU_DEP_1)
	v_lshlrev_b64_e32 v[2:3], v2, v[24:25]
	v_and_b32_e32 v2, 3, v2
.LBB6_13648:                            ;   in Loop: Header=BB6_11393 Depth=4
	s_or_b32 exec_lo, exec_lo, s75
	v_bfe_i32 v3, v24, 0, 16
                                        ; implicit-def: $vgpr24
	s_delay_alu instid0(VALU_DEP_1) | instskip(NEXT) | instid1(VALU_DEP_1)
	v_and_b32_e32 v3, 0x80000000, v3
	v_lshl_add_u32 v0, v0, 23, v3
	s_delay_alu instid0(VALU_DEP_1) | instskip(NEXT) | instid1(VALU_DEP_1)
	v_lshl_or_b32 v0, v2, 21, v0
                                        ; implicit-def: $vgpr2
	v_add_nc_u32_e32 v0, 0x38000000, v0
.LBB6_13649:                            ;   in Loop: Header=BB6_11393 Depth=4
	s_and_not1_saveexec_b32 s75, s13
; %bb.13650:                            ;   in Loop: Header=BB6_11393 Depth=4
	v_cmp_lt_i16_e64 s13, -1, v24
	v_mov_b32_e32 v0, 0x7f800000
	v_cmp_eq_u32_e32 vcc_lo, 0, v2
	s_delay_alu instid0(VALU_DEP_2) | instskip(NEXT) | instid1(VALU_DEP_1)
	v_cndmask_b32_e64 v0, 0xff800000, v0, s13
	v_cndmask_b32_e32 v0, 0x7f800001, v0, vcc_lo
; %bb.13651:                            ;   in Loop: Header=BB6_11393 Depth=4
	s_or_b32 exec_lo, exec_lo, s75
.LBB6_13652:                            ;   in Loop: Header=BB6_11393 Depth=4
	s_delay_alu instid0(SALU_CYCLE_1)
	s_or_b32 exec_lo, exec_lo, s15
.LBB6_13653:                            ;   in Loop: Header=BB6_11393 Depth=4
	s_delay_alu instid0(SALU_CYCLE_1) | instskip(NEXT) | instid1(VALU_DEP_1)
	s_or_b32 exec_lo, exec_lo, s14
	v_add_f32_e32 v0, v1, v0
	v_mov_b32_e32 v3, v113
                                        ; implicit-def: $vgpr24
	s_mov_b32 s13, exec_lo
	s_delay_alu instid0(VALU_DEP_2) | instskip(SKIP_1) | instid1(VALU_DEP_2)
	v_and_b32_e32 v2, 0x7f800000, v0
	v_and_b32_e32 v112, 0x7fffff, v0
	v_cmpx_ne_u64_e32 0x7f800000, v[2:3]
	s_xor_b32 s14, exec_lo, s13
	s_cbranch_execz .LBB6_13671
; %bb.13654:                            ;   in Loop: Header=BB6_11393 Depth=4
	v_dual_mov_b32 v3, v113 :: v_dual_lshrrev_b32 v1, 24, v0
	v_and_b32_e32 v2, 0x7fffffff, v0
                                        ; implicit-def: $vgpr24
	s_mov_b32 s13, exec_lo
	s_delay_alu instid0(VALU_DEP_2) | instskip(NEXT) | instid1(VALU_DEP_2)
	v_and_b32_e32 v17, 0x80, v1
	v_cmpx_gt_u64_e32 0x47600001, v[2:3]
	s_xor_b32 s15, exec_lo, s13
	s_cbranch_execz .LBB6_13668
; %bb.13655:                            ;   in Loop: Header=BB6_11393 Depth=4
	v_mov_b32_e32 v24, 0
	s_mov_b32 s75, exec_lo
	v_cmpx_ne_u32_e32 0, v0
	s_cbranch_execz .LBB6_13667
; %bb.13656:                            ;   in Loop: Header=BB6_11393 Depth=4
	v_bfe_u32 v24, v0, 23, 8
	v_or_b32_e32 v1, 0x800000, v112
	s_delay_alu instid0(VALU_DEP_2) | instskip(SKIP_2) | instid1(VALU_DEP_2)
	v_cmp_gt_u32_e64 s13, 0x72, v24
	v_sub_nc_u32_e32 v0, 0x71, v24
	v_cmp_eq_u32_e32 vcc_lo, 0, v24
	v_cndmask_b32_e64 v0, 0, v0, s13
	s_delay_alu instid0(VALU_DEP_1) | instskip(SKIP_1) | instid1(VALU_DEP_2)
	v_cndmask_b32_e64 v25, v0, 0x70, vcc_lo
	v_cndmask_b32_e32 v0, v1, v112, vcc_lo
	v_dual_mov_b32 v1, v113 :: v_dual_add_nc_u32 v2, 21, v25
	v_add_nc_u32_e32 v48, 20, v25
	s_delay_alu instid0(VALU_DEP_2) | instskip(NEXT) | instid1(VALU_DEP_2)
	v_lshlrev_b64_e64 v[2:3], v2, -1
	v_lshlrev_b64_e64 v[48:49], v48, 1
	s_delay_alu instid0(VALU_DEP_2) | instskip(SKIP_1) | instid1(VALU_DEP_4)
	v_bfi_b32 v2, v2, 0, v0
	v_lshrrev_b64 v[0:1], v25, v[0:1]
	v_bfi_b32 v3, v3, 0, 0
	s_delay_alu instid0(VALU_DEP_1) | instskip(NEXT) | instid1(VALU_DEP_3)
	v_cmp_eq_u64_e64 s13, v[2:3], v[48:49]
	v_mov_b64_e32 v[2:3], v[0:1]
	s_and_saveexec_b32 s76, s13
; %bb.13657:                            ;   in Loop: Header=BB6_11393 Depth=4
	v_bfe_u32 v2, v0, 21, 1
	v_mov_b32_e32 v3, v113
	s_delay_alu instid0(VALU_DEP_1) | instskip(NEXT) | instid1(VALU_DEP_1)
	v_add_nc_u64_e32 v[2:3], v[0:1], v[2:3]
	v_add_nc_u64_e32 v[2:3], -1, v[2:3]
; %bb.13658:                            ;   in Loop: Header=BB6_11393 Depth=4
	s_or_b32 exec_lo, exec_lo, s76
	v_add_nc_u32_e32 v1, 0xffffff81, v24
	s_delay_alu instid0(VALU_DEP_2) | instskip(SKIP_2) | instid1(VALU_DEP_3)
	v_and_b32_e32 v2, 0x1fffff, v2
	v_lshrrev_b32_e32 v3, 23, v0
	s_mov_b32 s13, exec_lo
	v_cndmask_b32_e64 v1, v1, 0xffffff82, vcc_lo
	s_delay_alu instid0(VALU_DEP_3) | instskip(NEXT) | instid1(VALU_DEP_2)
	v_add_nc_u32_e32 v112, v2, v0
                                        ; implicit-def: $vgpr2
	v_add3_u32 v24, v25, v1, v3
                                        ; implicit-def: $vgpr0_vgpr1
	s_delay_alu instid0(VALU_DEP_1) | instskip(NEXT) | instid1(VALU_DEP_1)
	v_add_nc_u32_e32 v3, 14, v24
	v_cmpx_ne_u32_e32 0, v3
	s_xor_b32 s13, exec_lo, s13
; %bb.13659:                            ;   in Loop: Header=BB6_11393 Depth=4
	v_cmp_lt_u64_e32 vcc_lo, 0xffffff, v[112:113]
	v_add_nc_u32_e32 v0, 15, v24
	s_delay_alu instid0(VALU_DEP_1) | instskip(SKIP_1) | instid1(VALU_DEP_1)
	v_cndmask_b32_e32 v2, v3, v0, vcc_lo
	v_cndmask_b32_e64 v0, 0, 1, vcc_lo
	v_lshrrev_b64 v[0:1], v0, v[112:113]
; %bb.13660:                            ;   in Loop: Header=BB6_11393 Depth=4
	s_and_not1_saveexec_b32 s13, s13
; %bb.13661:                            ;   in Loop: Header=BB6_11393 Depth=4
	v_mov_b64_e32 v[0:1], v[112:113]
	v_bfe_u32 v2, v112, 23, 1
; %bb.13662:                            ;   in Loop: Header=BB6_11393 Depth=4
	s_or_b32 exec_lo, exec_lo, s13
	s_delay_alu instid0(VALU_DEP_2) | instskip(NEXT) | instid1(VALU_DEP_2)
	v_lshrrev_b64 v[0:1], 21, v[0:1]
	v_cmp_gt_i32_e32 vcc_lo, 32, v2
	v_cmp_ne_u32_e64 s13, 0, v2
                                        ; implicit-def: $vgpr24
	s_delay_alu instid0(VALU_DEP_3) | instskip(NEXT) | instid1(VALU_DEP_1)
	v_dual_cndmask_b32 v1, 0, v1 :: v_dual_cndmask_b32 v0, 3, v0
	v_cmp_ne_u64_e32 vcc_lo, 0, v[0:1]
	s_or_b32 s13, s13, vcc_lo
	s_delay_alu instid0(SALU_CYCLE_1) | instskip(NEXT) | instid1(SALU_CYCLE_1)
	s_and_saveexec_b32 s76, s13
	s_xor_b32 s13, exec_lo, s76
; %bb.13663:                            ;   in Loop: Header=BB6_11393 Depth=4
	v_min_i32_e32 v1, 31, v2
	s_delay_alu instid0(VALU_DEP_1) | instskip(NEXT) | instid1(VALU_DEP_1)
	v_lshl_or_b32 v1, v1, 2, v17
                                        ; implicit-def: $vgpr17
	v_and_or_b32 v24, v0, 3, v1
; %bb.13664:                            ;   in Loop: Header=BB6_11393 Depth=4
	s_and_not1_saveexec_b32 s13, s13
; %bb.13665:                            ;   in Loop: Header=BB6_11393 Depth=4
	v_mov_b32_e32 v24, v17
; %bb.13666:                            ;   in Loop: Header=BB6_11393 Depth=4
	s_or_b32 exec_lo, exec_lo, s13
.LBB6_13667:                            ;   in Loop: Header=BB6_11393 Depth=4
	s_delay_alu instid0(SALU_CYCLE_1)
	s_or_b32 exec_lo, exec_lo, s75
                                        ; implicit-def: $vgpr17
.LBB6_13668:                            ;   in Loop: Header=BB6_11393 Depth=4
	s_and_not1_saveexec_b32 s13, s15
; %bb.13669:                            ;   in Loop: Header=BB6_11393 Depth=4
	v_or_b32_e32 v24, 0x7b, v17
; %bb.13670:                            ;   in Loop: Header=BB6_11393 Depth=4
	s_or_b32 exec_lo, exec_lo, s13
                                        ; implicit-def: $vgpr0
.LBB6_13671:                            ;   in Loop: Header=BB6_11393 Depth=4
	s_and_not1_saveexec_b32 s13, s14
	s_cbranch_execz .LBB6_13677
; %bb.13672:                            ;   in Loop: Header=BB6_11393 Depth=4
	s_mov_b32 s14, exec_lo
                                        ; implicit-def: $vgpr24
	v_cmpx_ne_u64_e32 0, v[112:113]
	s_xor_b32 s14, exec_lo, s14
; %bb.13673:                            ;   in Loop: Header=BB6_11393 Depth=4
	v_lshrrev_b32_e32 v0, 24, v0
	s_delay_alu instid0(VALU_DEP_1)
	v_or_b32_e32 v24, 0x7f, v0
                                        ; implicit-def: $vgpr0
; %bb.13674:                            ;   in Loop: Header=BB6_11393 Depth=4
	s_and_not1_saveexec_b32 s14, s14
; %bb.13675:                            ;   in Loop: Header=BB6_11393 Depth=4
	v_cmp_lt_i32_e32 vcc_lo, -1, v0
	v_cndmask_b32_e64 v24, -4, 0x7c, vcc_lo
; %bb.13676:                            ;   in Loop: Header=BB6_11393 Depth=4
	s_or_b32 exec_lo, exec_lo, s14
.LBB6_13677:                            ;   in Loop: Header=BB6_11393 Depth=4
	s_delay_alu instid0(SALU_CYCLE_1)
	s_or_b32 exec_lo, exec_lo, s13
	scratch_load_b64 v[0:1], off, s33 offset:240 ; 8-byte Folded Reload
	s_mov_b32 s14, exec_lo
	s_wait_loadcnt 0x0
	v_mov_b32_e32 v1, 0
	v_and_b32_e32 v3, 0xff, v0
	v_mov_b32_e32 v0, 0
	s_wait_xcnt 0x0
	s_delay_alu instid0(VALU_DEP_2)
	v_cmpx_ne_u16_e32 0, v3
	s_cbranch_execz .LBB6_13687
; %bb.13678:                            ;   in Loop: Header=BB6_11393 Depth=4
	v_bfrev_b32_e32 v1, 1
	s_mov_b32 s15, exec_lo
	v_cmpx_ne_u16_e32 0x80, v3
	s_cbranch_execz .LBB6_13686
; %bb.13679:                            ;   in Loop: Header=BB6_11393 Depth=4
	scratch_load_b64 v[48:49], off, s33 offset:240 ; 8-byte Folded Reload
	s_wait_loadcnt 0x0
	v_mov_b32_e32 v2, v48
	s_delay_alu instid0(VALU_DEP_1) | instskip(SKIP_1) | instid1(VALU_DEP_2)
	v_and_b32_e32 v1, 0x7c, v2
	v_and_b32_e32 v2, 3, v2
	v_cmp_ne_u32_e32 vcc_lo, 0x7c, v1
                                        ; implicit-def: $vgpr1
	s_wait_xcnt 0x0
	s_and_saveexec_b32 s13, vcc_lo
	s_delay_alu instid0(SALU_CYCLE_1)
	s_xor_b32 s13, exec_lo, s13
	s_cbranch_execz .LBB6_13683
; %bb.13680:                            ;   in Loop: Header=BB6_11393 Depth=4
	v_bfe_u32 v1, v3, 2, 5
	s_mov_b32 s75, exec_lo
	s_delay_alu instid0(VALU_DEP_1)
	v_cmpx_eq_u32_e32 0, v1
	s_cbranch_execz .LBB6_13682
; %bb.13681:                            ;   in Loop: Header=BB6_11393 Depth=4
	scratch_load_b64 v[48:49], off, s33 offset:240 th:TH_LOAD_LU ; 8-byte Folded Reload
	v_clz_i32_u32_e32 v1, v2
	s_wait_loadcnt 0x0
	v_mov_b32_e32 v49, v113
	s_delay_alu instid0(VALU_DEP_2) | instskip(NEXT) | instid1(VALU_DEP_1)
	v_min_u32_e32 v1, 32, v1
	v_subrev_nc_u32_e32 v2, 29, v1
	v_mov_b32_e32 v50, v48
	s_delay_alu instid0(VALU_DEP_2)
	v_lshlrev_b64_e32 v[2:3], v2, v[48:49]
	v_sub_nc_u32_e32 v1, 30, v1
	scratch_store_b64 off, v[50:51], s33 offset:240 ; 8-byte Folded Spill
	v_and_b32_e32 v2, 3, v2
.LBB6_13682:                            ;   in Loop: Header=BB6_11393 Depth=4
	s_wait_xcnt 0x0
	s_or_b32 exec_lo, exec_lo, s75
	scratch_load_b64 v[48:49], off, s33 offset:240 th:TH_LOAD_LU ; 8-byte Folded Reload
	s_wait_loadcnt 0x0
	v_lshlrev_b32_e32 v3, 24, v48
                                        ; implicit-def: $vgpr48
	scratch_store_b64 off, v[48:49], s33 offset:240 ; 8-byte Folded Spill
	v_and_b32_e32 v3, 0x80000000, v3
	s_delay_alu instid0(VALU_DEP_1) | instskip(NEXT) | instid1(VALU_DEP_1)
	v_lshl_add_u32 v1, v1, 23, v3
	v_lshl_or_b32 v1, v2, 21, v1
                                        ; implicit-def: $vgpr2
	s_delay_alu instid0(VALU_DEP_1)
	v_add_nc_u32_e32 v1, 0x38000000, v1
.LBB6_13683:                            ;   in Loop: Header=BB6_11393 Depth=4
	s_wait_xcnt 0x0
	s_and_not1_saveexec_b32 s75, s13
	s_cbranch_execz .LBB6_13685
; %bb.13684:                            ;   in Loop: Header=BB6_11393 Depth=4
	v_cmp_eq_u32_e32 vcc_lo, 0, v2
	scratch_load_b64 v[2:3], off, s33 offset:240 th:TH_LOAD_LU ; 8-byte Folded Reload
	s_wait_loadcnt 0x0
	v_bfe_i32 v1, v2, 0, 8
	s_delay_alu instid0(VALU_DEP_1) | instskip(SKIP_1) | instid1(VALU_DEP_1)
	v_cmp_lt_i16_e64 s13, -1, v1
	v_mov_b32_e32 v1, 0x7f800000
	v_cndmask_b32_e64 v1, 0xff800000, v1, s13
	s_delay_alu instid0(VALU_DEP_1)
	v_cndmask_b32_e32 v1, 0x7f800001, v1, vcc_lo
.LBB6_13685:                            ;   in Loop: Header=BB6_11393 Depth=4
	s_wait_xcnt 0x0
	s_or_b32 exec_lo, exec_lo, s75
.LBB6_13686:                            ;   in Loop: Header=BB6_11393 Depth=4
	s_delay_alu instid0(SALU_CYCLE_1)
	s_or_b32 exec_lo, exec_lo, s15
.LBB6_13687:                            ;   in Loop: Header=BB6_11393 Depth=4
	s_delay_alu instid0(SALU_CYCLE_1) | instskip(NEXT) | instid1(SALU_CYCLE_1)
	s_or_b32 exec_lo, exec_lo, s14
	s_mov_b32 s14, exec_lo
	s_wait_dscnt 0x4
	v_cmpx_ne_u16_e32 0, v110
	s_cbranch_execz .LBB6_13697
; %bb.13688:                            ;   in Loop: Header=BB6_11393 Depth=4
	v_bfrev_b32_e32 v0, 1
	s_mov_b32 s15, exec_lo
	v_cmpx_ne_u16_e32 0xff80, v110
	s_cbranch_execz .LBB6_13696
; %bb.13689:                            ;   in Loop: Header=BB6_11393 Depth=4
	v_and_b32_e32 v0, 0x7c, v110
	v_and_b32_e32 v2, 3, v110
	s_delay_alu instid0(VALU_DEP_2) | instskip(SKIP_1) | instid1(SALU_CYCLE_1)
	v_cmp_ne_u32_e32 vcc_lo, 0x7c, v0
                                        ; implicit-def: $vgpr0
	s_and_saveexec_b32 s13, vcc_lo
	s_xor_b32 s13, exec_lo, s13
	s_cbranch_execz .LBB6_13693
; %bb.13690:                            ;   in Loop: Header=BB6_11393 Depth=4
	v_and_b32_e32 v0, 0xff, v110
	s_mov_b32 s75, exec_lo
	s_delay_alu instid0(VALU_DEP_1) | instskip(NEXT) | instid1(VALU_DEP_1)
	v_bfe_u32 v0, v0, 2, 5
	v_cmpx_eq_u32_e32 0, v0
	s_cbranch_execz .LBB6_13692
; %bb.13691:                            ;   in Loop: Header=BB6_11393 Depth=4
	v_clz_i32_u32_e32 v0, v2
	s_delay_alu instid0(VALU_DEP_1) | instskip(SKIP_1) | instid1(VALU_DEP_2)
	v_min_u32_e32 v0, 32, v0
	v_mov_b32_e32 v111, v113
	v_subrev_nc_u32_e32 v2, 29, v0
	v_sub_nc_u32_e32 v0, 30, v0
	s_delay_alu instid0(VALU_DEP_2) | instskip(NEXT) | instid1(VALU_DEP_1)
	v_lshlrev_b64_e32 v[2:3], v2, v[110:111]
	v_and_b32_e32 v2, 3, v2
.LBB6_13692:                            ;   in Loop: Header=BB6_11393 Depth=4
	s_or_b32 exec_lo, exec_lo, s75
	v_bfe_i32 v3, v110, 0, 16
                                        ; implicit-def: $vgpr110
	s_delay_alu instid0(VALU_DEP_1) | instskip(NEXT) | instid1(VALU_DEP_1)
	v_and_b32_e32 v3, 0x80000000, v3
	v_lshl_add_u32 v0, v0, 23, v3
	s_delay_alu instid0(VALU_DEP_1) | instskip(NEXT) | instid1(VALU_DEP_1)
	v_lshl_or_b32 v0, v2, 21, v0
                                        ; implicit-def: $vgpr2
	v_add_nc_u32_e32 v0, 0x38000000, v0
.LBB6_13693:                            ;   in Loop: Header=BB6_11393 Depth=4
	s_and_not1_saveexec_b32 s75, s13
; %bb.13694:                            ;   in Loop: Header=BB6_11393 Depth=4
	v_cmp_lt_i16_e64 s13, -1, v110
	v_mov_b32_e32 v0, 0x7f800000
	v_cmp_eq_u32_e32 vcc_lo, 0, v2
	s_delay_alu instid0(VALU_DEP_2) | instskip(NEXT) | instid1(VALU_DEP_1)
	v_cndmask_b32_e64 v0, 0xff800000, v0, s13
	v_cndmask_b32_e32 v0, 0x7f800001, v0, vcc_lo
; %bb.13695:                            ;   in Loop: Header=BB6_11393 Depth=4
	s_or_b32 exec_lo, exec_lo, s75
.LBB6_13696:                            ;   in Loop: Header=BB6_11393 Depth=4
	s_delay_alu instid0(SALU_CYCLE_1)
	s_or_b32 exec_lo, exec_lo, s15
.LBB6_13697:                            ;   in Loop: Header=BB6_11393 Depth=4
	s_delay_alu instid0(SALU_CYCLE_1) | instskip(NEXT) | instid1(VALU_DEP_1)
	s_or_b32 exec_lo, exec_lo, s14
	v_add_f32_e32 v0, v1, v0
	v_mov_b32_e32 v3, v113
                                        ; implicit-def: $vgpr25
	s_mov_b32 s13, exec_lo
	s_delay_alu instid0(VALU_DEP_2) | instskip(SKIP_1) | instid1(VALU_DEP_2)
	v_and_b32_e32 v2, 0x7f800000, v0
	v_and_b32_e32 v112, 0x7fffff, v0
	v_cmpx_ne_u64_e32 0x7f800000, v[2:3]
	s_xor_b32 s14, exec_lo, s13
	s_cbranch_execz .LBB6_13715
; %bb.13698:                            ;   in Loop: Header=BB6_11393 Depth=4
	v_dual_mov_b32 v3, v113 :: v_dual_lshrrev_b32 v1, 24, v0
	v_and_b32_e32 v2, 0x7fffffff, v0
                                        ; implicit-def: $vgpr25
	s_mov_b32 s13, exec_lo
	s_delay_alu instid0(VALU_DEP_2) | instskip(NEXT) | instid1(VALU_DEP_2)
	v_and_b32_e32 v17, 0x80, v1
	v_cmpx_gt_u64_e32 0x47600001, v[2:3]
	s_xor_b32 s15, exec_lo, s13
	s_cbranch_execz .LBB6_13712
; %bb.13699:                            ;   in Loop: Header=BB6_11393 Depth=4
	v_mov_b32_e32 v25, 0
	s_mov_b32 s75, exec_lo
	v_cmpx_ne_u32_e32 0, v0
	s_cbranch_execz .LBB6_13711
; %bb.13700:                            ;   in Loop: Header=BB6_11393 Depth=4
	v_bfe_u32 v25, v0, 23, 8
	v_or_b32_e32 v1, 0x800000, v112
	s_delay_alu instid0(VALU_DEP_2) | instskip(SKIP_2) | instid1(VALU_DEP_2)
	v_cmp_gt_u32_e64 s13, 0x72, v25
	v_sub_nc_u32_e32 v0, 0x71, v25
	v_cmp_eq_u32_e32 vcc_lo, 0, v25
	v_cndmask_b32_e64 v0, 0, v0, s13
	s_delay_alu instid0(VALU_DEP_1) | instskip(SKIP_1) | instid1(VALU_DEP_2)
	v_cndmask_b32_e64 v48, v0, 0x70, vcc_lo
	v_cndmask_b32_e32 v0, v1, v112, vcc_lo
	v_dual_mov_b32 v1, v113 :: v_dual_add_nc_u32 v2, 21, v48
	v_add_nc_u32_e32 v49, 20, v48
	s_delay_alu instid0(VALU_DEP_2) | instskip(NEXT) | instid1(VALU_DEP_2)
	v_lshlrev_b64_e64 v[2:3], v2, -1
	v_lshlrev_b64_e64 v[50:51], v49, 1
	s_delay_alu instid0(VALU_DEP_2) | instskip(SKIP_1) | instid1(VALU_DEP_4)
	v_bfi_b32 v2, v2, 0, v0
	v_lshrrev_b64 v[0:1], v48, v[0:1]
	v_bfi_b32 v3, v3, 0, 0
	s_delay_alu instid0(VALU_DEP_1) | instskip(NEXT) | instid1(VALU_DEP_3)
	v_cmp_eq_u64_e64 s13, v[2:3], v[50:51]
	v_mov_b64_e32 v[2:3], v[0:1]
	s_and_saveexec_b32 s76, s13
; %bb.13701:                            ;   in Loop: Header=BB6_11393 Depth=4
	v_bfe_u32 v2, v0, 21, 1
	v_mov_b32_e32 v3, v113
	s_delay_alu instid0(VALU_DEP_1) | instskip(NEXT) | instid1(VALU_DEP_1)
	v_add_nc_u64_e32 v[2:3], v[0:1], v[2:3]
	v_add_nc_u64_e32 v[2:3], -1, v[2:3]
; %bb.13702:                            ;   in Loop: Header=BB6_11393 Depth=4
	s_or_b32 exec_lo, exec_lo, s76
	v_add_nc_u32_e32 v1, 0xffffff81, v25
	s_delay_alu instid0(VALU_DEP_2) | instskip(SKIP_2) | instid1(VALU_DEP_3)
	v_and_b32_e32 v2, 0x1fffff, v2
	v_lshrrev_b32_e32 v3, 23, v0
	s_mov_b32 s13, exec_lo
	v_cndmask_b32_e64 v1, v1, 0xffffff82, vcc_lo
	s_delay_alu instid0(VALU_DEP_3) | instskip(NEXT) | instid1(VALU_DEP_2)
	v_add_nc_u32_e32 v112, v2, v0
                                        ; implicit-def: $vgpr2
	v_add3_u32 v25, v48, v1, v3
                                        ; implicit-def: $vgpr0_vgpr1
	s_delay_alu instid0(VALU_DEP_1) | instskip(NEXT) | instid1(VALU_DEP_1)
	v_add_nc_u32_e32 v3, 14, v25
	v_cmpx_ne_u32_e32 0, v3
	s_xor_b32 s13, exec_lo, s13
; %bb.13703:                            ;   in Loop: Header=BB6_11393 Depth=4
	v_cmp_lt_u64_e32 vcc_lo, 0xffffff, v[112:113]
	v_add_nc_u32_e32 v0, 15, v25
	s_delay_alu instid0(VALU_DEP_1) | instskip(SKIP_1) | instid1(VALU_DEP_1)
	v_cndmask_b32_e32 v2, v3, v0, vcc_lo
	v_cndmask_b32_e64 v0, 0, 1, vcc_lo
	v_lshrrev_b64 v[0:1], v0, v[112:113]
; %bb.13704:                            ;   in Loop: Header=BB6_11393 Depth=4
	s_and_not1_saveexec_b32 s13, s13
; %bb.13705:                            ;   in Loop: Header=BB6_11393 Depth=4
	v_mov_b64_e32 v[0:1], v[112:113]
	v_bfe_u32 v2, v112, 23, 1
; %bb.13706:                            ;   in Loop: Header=BB6_11393 Depth=4
	s_or_b32 exec_lo, exec_lo, s13
	s_delay_alu instid0(VALU_DEP_2) | instskip(NEXT) | instid1(VALU_DEP_2)
	v_lshrrev_b64 v[0:1], 21, v[0:1]
	v_cmp_gt_i32_e32 vcc_lo, 32, v2
	v_cmp_ne_u32_e64 s13, 0, v2
                                        ; implicit-def: $vgpr25
	s_delay_alu instid0(VALU_DEP_3) | instskip(NEXT) | instid1(VALU_DEP_1)
	v_dual_cndmask_b32 v1, 0, v1 :: v_dual_cndmask_b32 v0, 3, v0
	v_cmp_ne_u64_e32 vcc_lo, 0, v[0:1]
	s_or_b32 s13, s13, vcc_lo
	s_delay_alu instid0(SALU_CYCLE_1) | instskip(NEXT) | instid1(SALU_CYCLE_1)
	s_and_saveexec_b32 s76, s13
	s_xor_b32 s13, exec_lo, s76
; %bb.13707:                            ;   in Loop: Header=BB6_11393 Depth=4
	v_min_i32_e32 v1, 31, v2
	s_delay_alu instid0(VALU_DEP_1) | instskip(NEXT) | instid1(VALU_DEP_1)
	v_lshl_or_b32 v1, v1, 2, v17
                                        ; implicit-def: $vgpr17
	v_and_or_b32 v25, v0, 3, v1
; %bb.13708:                            ;   in Loop: Header=BB6_11393 Depth=4
	s_and_not1_saveexec_b32 s13, s13
; %bb.13709:                            ;   in Loop: Header=BB6_11393 Depth=4
	v_mov_b32_e32 v25, v17
; %bb.13710:                            ;   in Loop: Header=BB6_11393 Depth=4
	s_or_b32 exec_lo, exec_lo, s13
.LBB6_13711:                            ;   in Loop: Header=BB6_11393 Depth=4
	s_delay_alu instid0(SALU_CYCLE_1)
	s_or_b32 exec_lo, exec_lo, s75
                                        ; implicit-def: $vgpr17
.LBB6_13712:                            ;   in Loop: Header=BB6_11393 Depth=4
	s_and_not1_saveexec_b32 s13, s15
; %bb.13713:                            ;   in Loop: Header=BB6_11393 Depth=4
	v_or_b32_e32 v25, 0x7b, v17
; %bb.13714:                            ;   in Loop: Header=BB6_11393 Depth=4
	s_or_b32 exec_lo, exec_lo, s13
                                        ; implicit-def: $vgpr0
.LBB6_13715:                            ;   in Loop: Header=BB6_11393 Depth=4
	s_and_not1_saveexec_b32 s13, s14
	s_cbranch_execz .LBB6_13721
; %bb.13716:                            ;   in Loop: Header=BB6_11393 Depth=4
	s_mov_b32 s14, exec_lo
                                        ; implicit-def: $vgpr25
	v_cmpx_ne_u64_e32 0, v[112:113]
	s_xor_b32 s14, exec_lo, s14
; %bb.13717:                            ;   in Loop: Header=BB6_11393 Depth=4
	v_lshrrev_b32_e32 v0, 24, v0
	s_delay_alu instid0(VALU_DEP_1)
	v_or_b32_e32 v25, 0x7f, v0
                                        ; implicit-def: $vgpr0
; %bb.13718:                            ;   in Loop: Header=BB6_11393 Depth=4
	s_and_not1_saveexec_b32 s14, s14
; %bb.13719:                            ;   in Loop: Header=BB6_11393 Depth=4
	v_cmp_lt_i32_e32 vcc_lo, -1, v0
	v_cndmask_b32_e64 v25, -4, 0x7c, vcc_lo
; %bb.13720:                            ;   in Loop: Header=BB6_11393 Depth=4
	s_or_b32 exec_lo, exec_lo, s14
.LBB6_13721:                            ;   in Loop: Header=BB6_11393 Depth=4
	s_delay_alu instid0(SALU_CYCLE_1)
	s_or_b32 exec_lo, exec_lo, s13
	scratch_load_b64 v[0:1], off, s33 offset:232 ; 8-byte Folded Reload
	s_mov_b32 s14, exec_lo
	s_wait_loadcnt 0x0
	v_mov_b32_e32 v1, 0
	v_and_b32_e32 v3, 0xff, v0
	v_mov_b32_e32 v0, 0
	s_wait_xcnt 0x0
	s_delay_alu instid0(VALU_DEP_2)
	v_cmpx_ne_u16_e32 0, v3
	s_cbranch_execz .LBB6_13731
; %bb.13722:                            ;   in Loop: Header=BB6_11393 Depth=4
	v_bfrev_b32_e32 v1, 1
	s_mov_b32 s15, exec_lo
	v_cmpx_ne_u16_e32 0x80, v3
	s_cbranch_execz .LBB6_13730
; %bb.13723:                            ;   in Loop: Header=BB6_11393 Depth=4
	scratch_load_b64 v[48:49], off, s33 offset:232 ; 8-byte Folded Reload
	s_wait_loadcnt 0x0
	v_mov_b32_e32 v2, v48
	s_delay_alu instid0(VALU_DEP_1) | instskip(SKIP_1) | instid1(VALU_DEP_2)
	v_and_b32_e32 v1, 0x7c, v2
	v_and_b32_e32 v2, 3, v2
	v_cmp_ne_u32_e32 vcc_lo, 0x7c, v1
                                        ; implicit-def: $vgpr1
	s_wait_xcnt 0x0
	s_and_saveexec_b32 s13, vcc_lo
	s_delay_alu instid0(SALU_CYCLE_1)
	s_xor_b32 s13, exec_lo, s13
	s_cbranch_execz .LBB6_13727
; %bb.13724:                            ;   in Loop: Header=BB6_11393 Depth=4
	v_bfe_u32 v1, v3, 2, 5
	s_mov_b32 s75, exec_lo
	s_delay_alu instid0(VALU_DEP_1)
	v_cmpx_eq_u32_e32 0, v1
	s_cbranch_execz .LBB6_13726
; %bb.13725:                            ;   in Loop: Header=BB6_11393 Depth=4
	scratch_load_b64 v[48:49], off, s33 offset:232 th:TH_LOAD_LU ; 8-byte Folded Reload
	v_clz_i32_u32_e32 v1, v2
	s_wait_loadcnt 0x0
	v_mov_b32_e32 v49, v113
	s_delay_alu instid0(VALU_DEP_2) | instskip(NEXT) | instid1(VALU_DEP_1)
	v_min_u32_e32 v1, 32, v1
	v_subrev_nc_u32_e32 v2, 29, v1
	v_mov_b32_e32 v50, v48
	s_delay_alu instid0(VALU_DEP_2)
	v_lshlrev_b64_e32 v[2:3], v2, v[48:49]
	v_sub_nc_u32_e32 v1, 30, v1
	scratch_store_b64 off, v[50:51], s33 offset:232 ; 8-byte Folded Spill
	v_and_b32_e32 v2, 3, v2
.LBB6_13726:                            ;   in Loop: Header=BB6_11393 Depth=4
	s_wait_xcnt 0x0
	s_or_b32 exec_lo, exec_lo, s75
	scratch_load_b64 v[48:49], off, s33 offset:232 th:TH_LOAD_LU ; 8-byte Folded Reload
	s_wait_loadcnt 0x0
	v_lshlrev_b32_e32 v3, 24, v48
                                        ; implicit-def: $vgpr48
	scratch_store_b64 off, v[48:49], s33 offset:232 ; 8-byte Folded Spill
	v_and_b32_e32 v3, 0x80000000, v3
	s_delay_alu instid0(VALU_DEP_1) | instskip(NEXT) | instid1(VALU_DEP_1)
	v_lshl_add_u32 v1, v1, 23, v3
	v_lshl_or_b32 v1, v2, 21, v1
                                        ; implicit-def: $vgpr2
	s_delay_alu instid0(VALU_DEP_1)
	v_add_nc_u32_e32 v1, 0x38000000, v1
.LBB6_13727:                            ;   in Loop: Header=BB6_11393 Depth=4
	s_wait_xcnt 0x0
	s_and_not1_saveexec_b32 s75, s13
	s_cbranch_execz .LBB6_13729
; %bb.13728:                            ;   in Loop: Header=BB6_11393 Depth=4
	v_cmp_eq_u32_e32 vcc_lo, 0, v2
	scratch_load_b64 v[2:3], off, s33 offset:232 th:TH_LOAD_LU ; 8-byte Folded Reload
	s_wait_loadcnt 0x0
	v_bfe_i32 v1, v2, 0, 8
	s_delay_alu instid0(VALU_DEP_1) | instskip(SKIP_1) | instid1(VALU_DEP_1)
	v_cmp_lt_i16_e64 s13, -1, v1
	v_mov_b32_e32 v1, 0x7f800000
	v_cndmask_b32_e64 v1, 0xff800000, v1, s13
	s_delay_alu instid0(VALU_DEP_1)
	v_cndmask_b32_e32 v1, 0x7f800001, v1, vcc_lo
.LBB6_13729:                            ;   in Loop: Header=BB6_11393 Depth=4
	s_wait_xcnt 0x0
	s_or_b32 exec_lo, exec_lo, s75
.LBB6_13730:                            ;   in Loop: Header=BB6_11393 Depth=4
	s_delay_alu instid0(SALU_CYCLE_1)
	s_or_b32 exec_lo, exec_lo, s15
.LBB6_13731:                            ;   in Loop: Header=BB6_11393 Depth=4
	s_delay_alu instid0(SALU_CYCLE_1) | instskip(NEXT) | instid1(SALU_CYCLE_1)
	s_or_b32 exec_lo, exec_lo, s14
	s_mov_b32 s14, exec_lo
	s_wait_dscnt 0x3
	v_cmpx_ne_u16_e32 0, v94
	s_cbranch_execz .LBB6_13741
; %bb.13732:                            ;   in Loop: Header=BB6_11393 Depth=4
	v_bfrev_b32_e32 v0, 1
	s_mov_b32 s15, exec_lo
	v_cmpx_ne_u16_e32 0xff80, v94
	s_cbranch_execz .LBB6_13740
; %bb.13733:                            ;   in Loop: Header=BB6_11393 Depth=4
	v_and_b32_e32 v0, 0x7c, v94
	v_and_b32_e32 v2, 3, v94
	s_delay_alu instid0(VALU_DEP_2) | instskip(SKIP_1) | instid1(SALU_CYCLE_1)
	v_cmp_ne_u32_e32 vcc_lo, 0x7c, v0
                                        ; implicit-def: $vgpr0
	s_and_saveexec_b32 s13, vcc_lo
	s_xor_b32 s13, exec_lo, s13
	s_cbranch_execz .LBB6_13737
; %bb.13734:                            ;   in Loop: Header=BB6_11393 Depth=4
	v_and_b32_e32 v0, 0xff, v94
	s_mov_b32 s75, exec_lo
	s_delay_alu instid0(VALU_DEP_1) | instskip(NEXT) | instid1(VALU_DEP_1)
	v_bfe_u32 v0, v0, 2, 5
	v_cmpx_eq_u32_e32 0, v0
	s_cbranch_execz .LBB6_13736
; %bb.13735:                            ;   in Loop: Header=BB6_11393 Depth=4
	v_clz_i32_u32_e32 v0, v2
	s_delay_alu instid0(VALU_DEP_1) | instskip(SKIP_1) | instid1(VALU_DEP_2)
	v_min_u32_e32 v0, 32, v0
	v_mov_b32_e32 v95, v113
	v_subrev_nc_u32_e32 v2, 29, v0
	v_sub_nc_u32_e32 v0, 30, v0
	s_delay_alu instid0(VALU_DEP_2) | instskip(NEXT) | instid1(VALU_DEP_1)
	v_lshlrev_b64_e32 v[2:3], v2, v[94:95]
	v_and_b32_e32 v2, 3, v2
.LBB6_13736:                            ;   in Loop: Header=BB6_11393 Depth=4
	s_or_b32 exec_lo, exec_lo, s75
	v_bfe_i32 v3, v94, 0, 16
                                        ; implicit-def: $vgpr94
	s_delay_alu instid0(VALU_DEP_1) | instskip(NEXT) | instid1(VALU_DEP_1)
	v_and_b32_e32 v3, 0x80000000, v3
	v_lshl_add_u32 v0, v0, 23, v3
	s_delay_alu instid0(VALU_DEP_1) | instskip(NEXT) | instid1(VALU_DEP_1)
	v_lshl_or_b32 v0, v2, 21, v0
                                        ; implicit-def: $vgpr2
	v_add_nc_u32_e32 v0, 0x38000000, v0
.LBB6_13737:                            ;   in Loop: Header=BB6_11393 Depth=4
	s_and_not1_saveexec_b32 s75, s13
; %bb.13738:                            ;   in Loop: Header=BB6_11393 Depth=4
	v_cmp_lt_i16_e64 s13, -1, v94
	v_mov_b32_e32 v0, 0x7f800000
	v_cmp_eq_u32_e32 vcc_lo, 0, v2
	s_delay_alu instid0(VALU_DEP_2) | instskip(NEXT) | instid1(VALU_DEP_1)
	v_cndmask_b32_e64 v0, 0xff800000, v0, s13
	v_cndmask_b32_e32 v0, 0x7f800001, v0, vcc_lo
; %bb.13739:                            ;   in Loop: Header=BB6_11393 Depth=4
	s_or_b32 exec_lo, exec_lo, s75
.LBB6_13740:                            ;   in Loop: Header=BB6_11393 Depth=4
	s_delay_alu instid0(SALU_CYCLE_1)
	s_or_b32 exec_lo, exec_lo, s15
.LBB6_13741:                            ;   in Loop: Header=BB6_11393 Depth=4
	s_delay_alu instid0(SALU_CYCLE_1) | instskip(NEXT) | instid1(VALU_DEP_1)
	s_or_b32 exec_lo, exec_lo, s14
	v_add_f32_e32 v0, v1, v0
	v_mov_b32_e32 v3, v113
                                        ; implicit-def: $vgpr48
	s_mov_b32 s13, exec_lo
	s_delay_alu instid0(VALU_DEP_2) | instskip(SKIP_1) | instid1(VALU_DEP_2)
	v_and_b32_e32 v2, 0x7f800000, v0
	v_and_b32_e32 v112, 0x7fffff, v0
	v_cmpx_ne_u64_e32 0x7f800000, v[2:3]
	s_xor_b32 s14, exec_lo, s13
	s_cbranch_execz .LBB6_13759
; %bb.13742:                            ;   in Loop: Header=BB6_11393 Depth=4
	v_dual_mov_b32 v3, v113 :: v_dual_lshrrev_b32 v1, 24, v0
	v_and_b32_e32 v2, 0x7fffffff, v0
                                        ; implicit-def: $vgpr48
	s_mov_b32 s13, exec_lo
	s_delay_alu instid0(VALU_DEP_2) | instskip(NEXT) | instid1(VALU_DEP_2)
	v_and_b32_e32 v17, 0x80, v1
	v_cmpx_gt_u64_e32 0x47600001, v[2:3]
	s_xor_b32 s15, exec_lo, s13
	s_cbranch_execz .LBB6_13756
; %bb.13743:                            ;   in Loop: Header=BB6_11393 Depth=4
	v_mov_b32_e32 v48, 0
	s_mov_b32 s75, exec_lo
	v_cmpx_ne_u32_e32 0, v0
	s_cbranch_execz .LBB6_13755
; %bb.13744:                            ;   in Loop: Header=BB6_11393 Depth=4
	v_bfe_u32 v48, v0, 23, 8
	v_or_b32_e32 v1, 0x800000, v112
	s_delay_alu instid0(VALU_DEP_2) | instskip(SKIP_2) | instid1(VALU_DEP_2)
	v_cmp_gt_u32_e64 s13, 0x72, v48
	v_sub_nc_u32_e32 v0, 0x71, v48
	v_cmp_eq_u32_e32 vcc_lo, 0, v48
	v_cndmask_b32_e64 v0, 0, v0, s13
	s_delay_alu instid0(VALU_DEP_1) | instskip(SKIP_1) | instid1(VALU_DEP_2)
	v_cndmask_b32_e64 v49, v0, 0x70, vcc_lo
	v_cndmask_b32_e32 v0, v1, v112, vcc_lo
	v_dual_mov_b32 v1, v113 :: v_dual_add_nc_u32 v2, 21, v49
	v_add_nc_u32_e32 v50, 20, v49
	s_delay_alu instid0(VALU_DEP_2) | instskip(NEXT) | instid1(VALU_DEP_2)
	v_lshlrev_b64_e64 v[2:3], v2, -1
	v_lshlrev_b64_e64 v[50:51], v50, 1
	s_delay_alu instid0(VALU_DEP_2) | instskip(SKIP_1) | instid1(VALU_DEP_4)
	v_bfi_b32 v2, v2, 0, v0
	v_lshrrev_b64 v[0:1], v49, v[0:1]
	v_bfi_b32 v3, v3, 0, 0
	s_delay_alu instid0(VALU_DEP_1) | instskip(NEXT) | instid1(VALU_DEP_3)
	v_cmp_eq_u64_e64 s13, v[2:3], v[50:51]
	v_mov_b64_e32 v[2:3], v[0:1]
	s_and_saveexec_b32 s76, s13
; %bb.13745:                            ;   in Loop: Header=BB6_11393 Depth=4
	v_bfe_u32 v2, v0, 21, 1
	v_mov_b32_e32 v3, v113
	s_delay_alu instid0(VALU_DEP_1) | instskip(NEXT) | instid1(VALU_DEP_1)
	v_add_nc_u64_e32 v[2:3], v[0:1], v[2:3]
	v_add_nc_u64_e32 v[2:3], -1, v[2:3]
; %bb.13746:                            ;   in Loop: Header=BB6_11393 Depth=4
	s_or_b32 exec_lo, exec_lo, s76
	v_add_nc_u32_e32 v1, 0xffffff81, v48
	s_delay_alu instid0(VALU_DEP_2) | instskip(SKIP_2) | instid1(VALU_DEP_3)
	v_and_b32_e32 v2, 0x1fffff, v2
	v_lshrrev_b32_e32 v3, 23, v0
	s_mov_b32 s13, exec_lo
	v_cndmask_b32_e64 v1, v1, 0xffffff82, vcc_lo
	s_delay_alu instid0(VALU_DEP_3) | instskip(NEXT) | instid1(VALU_DEP_2)
	v_add_nc_u32_e32 v112, v2, v0
                                        ; implicit-def: $vgpr2
	v_add3_u32 v48, v49, v1, v3
                                        ; implicit-def: $vgpr0_vgpr1
	s_delay_alu instid0(VALU_DEP_1) | instskip(NEXT) | instid1(VALU_DEP_1)
	v_add_nc_u32_e32 v3, 14, v48
	v_cmpx_ne_u32_e32 0, v3
	s_xor_b32 s13, exec_lo, s13
; %bb.13747:                            ;   in Loop: Header=BB6_11393 Depth=4
	v_cmp_lt_u64_e32 vcc_lo, 0xffffff, v[112:113]
	v_add_nc_u32_e32 v0, 15, v48
	s_delay_alu instid0(VALU_DEP_1) | instskip(SKIP_1) | instid1(VALU_DEP_1)
	v_cndmask_b32_e32 v2, v3, v0, vcc_lo
	v_cndmask_b32_e64 v0, 0, 1, vcc_lo
	v_lshrrev_b64 v[0:1], v0, v[112:113]
; %bb.13748:                            ;   in Loop: Header=BB6_11393 Depth=4
	s_and_not1_saveexec_b32 s13, s13
; %bb.13749:                            ;   in Loop: Header=BB6_11393 Depth=4
	v_mov_b64_e32 v[0:1], v[112:113]
	v_bfe_u32 v2, v112, 23, 1
; %bb.13750:                            ;   in Loop: Header=BB6_11393 Depth=4
	s_or_b32 exec_lo, exec_lo, s13
	s_delay_alu instid0(VALU_DEP_2) | instskip(NEXT) | instid1(VALU_DEP_2)
	v_lshrrev_b64 v[0:1], 21, v[0:1]
	v_cmp_gt_i32_e32 vcc_lo, 32, v2
	v_cmp_ne_u32_e64 s13, 0, v2
                                        ; implicit-def: $vgpr48
	s_delay_alu instid0(VALU_DEP_3) | instskip(NEXT) | instid1(VALU_DEP_1)
	v_dual_cndmask_b32 v1, 0, v1 :: v_dual_cndmask_b32 v0, 3, v0
	v_cmp_ne_u64_e32 vcc_lo, 0, v[0:1]
	s_or_b32 s13, s13, vcc_lo
	s_delay_alu instid0(SALU_CYCLE_1) | instskip(NEXT) | instid1(SALU_CYCLE_1)
	s_and_saveexec_b32 s76, s13
	s_xor_b32 s13, exec_lo, s76
; %bb.13751:                            ;   in Loop: Header=BB6_11393 Depth=4
	v_min_i32_e32 v1, 31, v2
	s_delay_alu instid0(VALU_DEP_1) | instskip(NEXT) | instid1(VALU_DEP_1)
	v_lshl_or_b32 v1, v1, 2, v17
                                        ; implicit-def: $vgpr17
	v_and_or_b32 v48, v0, 3, v1
; %bb.13752:                            ;   in Loop: Header=BB6_11393 Depth=4
	s_and_not1_saveexec_b32 s13, s13
; %bb.13753:                            ;   in Loop: Header=BB6_11393 Depth=4
	v_mov_b32_e32 v48, v17
; %bb.13754:                            ;   in Loop: Header=BB6_11393 Depth=4
	s_or_b32 exec_lo, exec_lo, s13
.LBB6_13755:                            ;   in Loop: Header=BB6_11393 Depth=4
	s_delay_alu instid0(SALU_CYCLE_1)
	s_or_b32 exec_lo, exec_lo, s75
                                        ; implicit-def: $vgpr17
.LBB6_13756:                            ;   in Loop: Header=BB6_11393 Depth=4
	s_and_not1_saveexec_b32 s13, s15
; %bb.13757:                            ;   in Loop: Header=BB6_11393 Depth=4
	v_or_b32_e32 v48, 0x7b, v17
; %bb.13758:                            ;   in Loop: Header=BB6_11393 Depth=4
	s_or_b32 exec_lo, exec_lo, s13
                                        ; implicit-def: $vgpr0
.LBB6_13759:                            ;   in Loop: Header=BB6_11393 Depth=4
	s_and_not1_saveexec_b32 s13, s14
	s_cbranch_execz .LBB6_13765
; %bb.13760:                            ;   in Loop: Header=BB6_11393 Depth=4
	s_mov_b32 s14, exec_lo
                                        ; implicit-def: $vgpr48
	v_cmpx_ne_u64_e32 0, v[112:113]
	s_xor_b32 s14, exec_lo, s14
; %bb.13761:                            ;   in Loop: Header=BB6_11393 Depth=4
	v_lshrrev_b32_e32 v0, 24, v0
	s_delay_alu instid0(VALU_DEP_1)
	v_or_b32_e32 v48, 0x7f, v0
                                        ; implicit-def: $vgpr0
; %bb.13762:                            ;   in Loop: Header=BB6_11393 Depth=4
	s_and_not1_saveexec_b32 s14, s14
; %bb.13763:                            ;   in Loop: Header=BB6_11393 Depth=4
	v_cmp_lt_i32_e32 vcc_lo, -1, v0
	v_cndmask_b32_e64 v48, -4, 0x7c, vcc_lo
; %bb.13764:                            ;   in Loop: Header=BB6_11393 Depth=4
	s_or_b32 exec_lo, exec_lo, s14
.LBB6_13765:                            ;   in Loop: Header=BB6_11393 Depth=4
	s_delay_alu instid0(SALU_CYCLE_1)
	s_or_b32 exec_lo, exec_lo, s13
	scratch_load_b64 v[0:1], off, s33 offset:224 ; 8-byte Folded Reload
	s_mov_b32 s14, exec_lo
	s_wait_loadcnt 0x0
	v_mov_b32_e32 v1, 0
	v_and_b32_e32 v3, 0xff, v0
	v_mov_b32_e32 v0, 0
	s_wait_xcnt 0x0
	s_delay_alu instid0(VALU_DEP_2)
	v_cmpx_ne_u16_e32 0, v3
	s_cbranch_execz .LBB6_13775
; %bb.13766:                            ;   in Loop: Header=BB6_11393 Depth=4
	v_bfrev_b32_e32 v1, 1
	s_mov_b32 s15, exec_lo
	v_cmpx_ne_u16_e32 0x80, v3
	s_cbranch_execz .LBB6_13774
; %bb.13767:                            ;   in Loop: Header=BB6_11393 Depth=4
	scratch_load_b64 v[50:51], off, s33 offset:224 ; 8-byte Folded Reload
	s_wait_loadcnt 0x0
	v_mov_b32_e32 v2, v50
	s_delay_alu instid0(VALU_DEP_1) | instskip(SKIP_1) | instid1(VALU_DEP_2)
	v_and_b32_e32 v1, 0x7c, v2
	v_and_b32_e32 v2, 3, v2
	v_cmp_ne_u32_e32 vcc_lo, 0x7c, v1
                                        ; implicit-def: $vgpr1
	s_wait_xcnt 0x0
	s_and_saveexec_b32 s13, vcc_lo
	s_delay_alu instid0(SALU_CYCLE_1)
	s_xor_b32 s13, exec_lo, s13
	s_cbranch_execz .LBB6_13771
; %bb.13768:                            ;   in Loop: Header=BB6_11393 Depth=4
	v_bfe_u32 v1, v3, 2, 5
	s_mov_b32 s75, exec_lo
	s_delay_alu instid0(VALU_DEP_1)
	v_cmpx_eq_u32_e32 0, v1
	s_cbranch_execz .LBB6_13770
; %bb.13769:                            ;   in Loop: Header=BB6_11393 Depth=4
	scratch_load_b64 v[50:51], off, s33 offset:224 th:TH_LOAD_LU ; 8-byte Folded Reload
	v_clz_i32_u32_e32 v1, v2
	s_wait_loadcnt 0x0
	v_mov_b32_e32 v51, v113
	s_delay_alu instid0(VALU_DEP_2) | instskip(NEXT) | instid1(VALU_DEP_1)
	v_min_u32_e32 v1, 32, v1
	v_subrev_nc_u32_e32 v2, 29, v1
	v_mov_b32_e32 v52, v50
	s_delay_alu instid0(VALU_DEP_2)
	v_lshlrev_b64_e32 v[2:3], v2, v[50:51]
	v_sub_nc_u32_e32 v1, 30, v1
	scratch_store_b64 off, v[52:53], s33 offset:224 ; 8-byte Folded Spill
	v_and_b32_e32 v2, 3, v2
.LBB6_13770:                            ;   in Loop: Header=BB6_11393 Depth=4
	s_wait_xcnt 0x0
	s_or_b32 exec_lo, exec_lo, s75
	scratch_load_b64 v[50:51], off, s33 offset:224 th:TH_LOAD_LU ; 8-byte Folded Reload
	s_wait_loadcnt 0x0
	v_lshlrev_b32_e32 v3, 24, v50
                                        ; implicit-def: $vgpr50
	scratch_store_b64 off, v[50:51], s33 offset:224 ; 8-byte Folded Spill
	v_and_b32_e32 v3, 0x80000000, v3
	s_delay_alu instid0(VALU_DEP_1) | instskip(NEXT) | instid1(VALU_DEP_1)
	v_lshl_add_u32 v1, v1, 23, v3
	v_lshl_or_b32 v1, v2, 21, v1
                                        ; implicit-def: $vgpr2
	s_delay_alu instid0(VALU_DEP_1)
	v_add_nc_u32_e32 v1, 0x38000000, v1
.LBB6_13771:                            ;   in Loop: Header=BB6_11393 Depth=4
	s_wait_xcnt 0x0
	s_and_not1_saveexec_b32 s75, s13
	s_cbranch_execz .LBB6_13773
; %bb.13772:                            ;   in Loop: Header=BB6_11393 Depth=4
	v_cmp_eq_u32_e32 vcc_lo, 0, v2
	scratch_load_b64 v[2:3], off, s33 offset:224 th:TH_LOAD_LU ; 8-byte Folded Reload
	s_wait_loadcnt 0x0
	v_bfe_i32 v1, v2, 0, 8
	s_delay_alu instid0(VALU_DEP_1) | instskip(SKIP_1) | instid1(VALU_DEP_1)
	v_cmp_lt_i16_e64 s13, -1, v1
	v_mov_b32_e32 v1, 0x7f800000
	v_cndmask_b32_e64 v1, 0xff800000, v1, s13
	s_delay_alu instid0(VALU_DEP_1)
	v_cndmask_b32_e32 v1, 0x7f800001, v1, vcc_lo
.LBB6_13773:                            ;   in Loop: Header=BB6_11393 Depth=4
	s_wait_xcnt 0x0
	s_or_b32 exec_lo, exec_lo, s75
.LBB6_13774:                            ;   in Loop: Header=BB6_11393 Depth=4
	s_delay_alu instid0(SALU_CYCLE_1)
	s_or_b32 exec_lo, exec_lo, s15
.LBB6_13775:                            ;   in Loop: Header=BB6_11393 Depth=4
	s_delay_alu instid0(SALU_CYCLE_1) | instskip(NEXT) | instid1(SALU_CYCLE_1)
	s_or_b32 exec_lo, exec_lo, s14
	s_mov_b32 s13, exec_lo
	s_wait_dscnt 0x2
	v_cmpx_ne_u16_e32 0, v76
	s_cbranch_execz .LBB6_13785
; %bb.13776:                            ;   in Loop: Header=BB6_11393 Depth=4
	v_bfrev_b32_e32 v0, 1
	s_mov_b32 s14, exec_lo
	v_cmpx_ne_u16_e32 0xff80, v76
	s_cbranch_execz .LBB6_13784
; %bb.13777:                            ;   in Loop: Header=BB6_11393 Depth=4
	v_and_b32_e32 v0, 0x7c, v76
	v_and_b32_e32 v2, 3, v76
	s_delay_alu instid0(VALU_DEP_2) | instskip(SKIP_1) | instid1(SALU_CYCLE_1)
	v_cmp_ne_u32_e32 vcc_lo, 0x7c, v0
                                        ; implicit-def: $vgpr0
	s_and_saveexec_b32 s15, vcc_lo
	s_xor_b32 s15, exec_lo, s15
	s_cbranch_execz .LBB6_13781
; %bb.13778:                            ;   in Loop: Header=BB6_11393 Depth=4
	v_and_b32_e32 v0, 0xff, v76
	s_mov_b32 s75, exec_lo
	s_delay_alu instid0(VALU_DEP_1) | instskip(NEXT) | instid1(VALU_DEP_1)
	v_bfe_u32 v0, v0, 2, 5
	v_cmpx_eq_u32_e32 0, v0
	s_cbranch_execz .LBB6_13780
; %bb.13779:                            ;   in Loop: Header=BB6_11393 Depth=4
	v_clz_i32_u32_e32 v0, v2
	s_delay_alu instid0(VALU_DEP_1) | instskip(SKIP_1) | instid1(VALU_DEP_2)
	v_min_u32_e32 v0, 32, v0
	v_mov_b32_e32 v77, v113
	v_subrev_nc_u32_e32 v2, 29, v0
	v_sub_nc_u32_e32 v0, 30, v0
	s_delay_alu instid0(VALU_DEP_2) | instskip(NEXT) | instid1(VALU_DEP_1)
	v_lshlrev_b64_e32 v[2:3], v2, v[76:77]
	v_and_b32_e32 v2, 3, v2
.LBB6_13780:                            ;   in Loop: Header=BB6_11393 Depth=4
	s_or_b32 exec_lo, exec_lo, s75
	v_bfe_i32 v3, v76, 0, 16
                                        ; implicit-def: $vgpr76
	s_delay_alu instid0(VALU_DEP_1) | instskip(NEXT) | instid1(VALU_DEP_1)
	v_and_b32_e32 v3, 0x80000000, v3
	v_lshl_add_u32 v0, v0, 23, v3
	s_delay_alu instid0(VALU_DEP_1) | instskip(NEXT) | instid1(VALU_DEP_1)
	v_lshl_or_b32 v0, v2, 21, v0
                                        ; implicit-def: $vgpr2
	v_add_nc_u32_e32 v0, 0x38000000, v0
.LBB6_13781:                            ;   in Loop: Header=BB6_11393 Depth=4
	s_and_not1_saveexec_b32 s15, s15
; %bb.13782:                            ;   in Loop: Header=BB6_11393 Depth=4
	v_cmp_lt_i16_e32 vcc_lo, -1, v76
	v_mov_b32_e32 v0, 0x7f800000
	s_delay_alu instid0(VALU_DEP_1) | instskip(SKIP_1) | instid1(VALU_DEP_2)
	v_cndmask_b32_e32 v0, 0xff800000, v0, vcc_lo
	v_cmp_eq_u32_e32 vcc_lo, 0, v2
	v_cndmask_b32_e32 v0, 0x7f800001, v0, vcc_lo
; %bb.13783:                            ;   in Loop: Header=BB6_11393 Depth=4
	s_or_b32 exec_lo, exec_lo, s15
.LBB6_13784:                            ;   in Loop: Header=BB6_11393 Depth=4
	s_delay_alu instid0(SALU_CYCLE_1)
	s_or_b32 exec_lo, exec_lo, s14
.LBB6_13785:                            ;   in Loop: Header=BB6_11393 Depth=4
	s_delay_alu instid0(SALU_CYCLE_1) | instskip(NEXT) | instid1(VALU_DEP_1)
	s_or_b32 exec_lo, exec_lo, s13
	v_add_f32_e32 v0, v1, v0
	v_mov_b32_e32 v3, v113
                                        ; implicit-def: $vgpr49
	s_mov_b32 s13, exec_lo
	s_delay_alu instid0(VALU_DEP_2) | instskip(SKIP_1) | instid1(VALU_DEP_2)
	v_and_b32_e32 v2, 0x7f800000, v0
	v_and_b32_e32 v112, 0x7fffff, v0
	v_cmpx_ne_u64_e32 0x7f800000, v[2:3]
	s_xor_b32 s14, exec_lo, s13
	s_cbranch_execz .LBB6_13803
; %bb.13786:                            ;   in Loop: Header=BB6_11393 Depth=4
	v_dual_mov_b32 v3, v113 :: v_dual_lshrrev_b32 v1, 24, v0
	v_and_b32_e32 v2, 0x7fffffff, v0
                                        ; implicit-def: $vgpr49
	s_mov_b32 s13, exec_lo
	s_delay_alu instid0(VALU_DEP_2) | instskip(NEXT) | instid1(VALU_DEP_2)
	v_and_b32_e32 v17, 0x80, v1
	v_cmpx_gt_u64_e32 0x47600001, v[2:3]
	s_xor_b32 s15, exec_lo, s13
	s_cbranch_execz .LBB6_13800
; %bb.13787:                            ;   in Loop: Header=BB6_11393 Depth=4
	v_mov_b32_e32 v49, 0
	s_mov_b32 s75, exec_lo
	v_cmpx_ne_u32_e32 0, v0
	s_cbranch_execz .LBB6_13799
; %bb.13788:                            ;   in Loop: Header=BB6_11393 Depth=4
	v_bfe_u32 v49, v0, 23, 8
	v_or_b32_e32 v1, 0x800000, v112
	s_delay_alu instid0(VALU_DEP_2) | instskip(SKIP_2) | instid1(VALU_DEP_2)
	v_cmp_gt_u32_e64 s13, 0x72, v49
	v_sub_nc_u32_e32 v0, 0x71, v49
	v_cmp_eq_u32_e32 vcc_lo, 0, v49
	v_cndmask_b32_e64 v0, 0, v0, s13
	s_delay_alu instid0(VALU_DEP_1) | instskip(SKIP_1) | instid1(VALU_DEP_2)
	v_cndmask_b32_e64 v50, v0, 0x70, vcc_lo
	v_cndmask_b32_e32 v0, v1, v112, vcc_lo
	v_dual_mov_b32 v1, v113 :: v_dual_add_nc_u32 v2, 21, v50
	v_add_nc_u32_e32 v51, 20, v50
	s_delay_alu instid0(VALU_DEP_2) | instskip(NEXT) | instid1(VALU_DEP_2)
	v_lshlrev_b64_e64 v[2:3], v2, -1
	v_lshlrev_b64_e64 v[52:53], v51, 1
	s_delay_alu instid0(VALU_DEP_2) | instskip(SKIP_1) | instid1(VALU_DEP_4)
	v_bfi_b32 v2, v2, 0, v0
	v_lshrrev_b64 v[0:1], v50, v[0:1]
	v_bfi_b32 v3, v3, 0, 0
	s_delay_alu instid0(VALU_DEP_1) | instskip(NEXT) | instid1(VALU_DEP_3)
	v_cmp_eq_u64_e64 s13, v[2:3], v[52:53]
	v_mov_b64_e32 v[2:3], v[0:1]
	s_and_saveexec_b32 s76, s13
; %bb.13789:                            ;   in Loop: Header=BB6_11393 Depth=4
	v_bfe_u32 v2, v0, 21, 1
	v_mov_b32_e32 v3, v113
	s_delay_alu instid0(VALU_DEP_1) | instskip(NEXT) | instid1(VALU_DEP_1)
	v_add_nc_u64_e32 v[2:3], v[0:1], v[2:3]
	v_add_nc_u64_e32 v[2:3], -1, v[2:3]
; %bb.13790:                            ;   in Loop: Header=BB6_11393 Depth=4
	s_or_b32 exec_lo, exec_lo, s76
	v_add_nc_u32_e32 v1, 0xffffff81, v49
	s_delay_alu instid0(VALU_DEP_2) | instskip(SKIP_2) | instid1(VALU_DEP_3)
	v_and_b32_e32 v2, 0x1fffff, v2
	v_lshrrev_b32_e32 v3, 23, v0
	s_mov_b32 s13, exec_lo
	v_cndmask_b32_e64 v1, v1, 0xffffff82, vcc_lo
	s_delay_alu instid0(VALU_DEP_3) | instskip(NEXT) | instid1(VALU_DEP_2)
	v_add_nc_u32_e32 v112, v2, v0
                                        ; implicit-def: $vgpr2
	v_add3_u32 v49, v50, v1, v3
                                        ; implicit-def: $vgpr0_vgpr1
	s_delay_alu instid0(VALU_DEP_1) | instskip(NEXT) | instid1(VALU_DEP_1)
	v_add_nc_u32_e32 v3, 14, v49
	v_cmpx_ne_u32_e32 0, v3
	s_xor_b32 s13, exec_lo, s13
; %bb.13791:                            ;   in Loop: Header=BB6_11393 Depth=4
	v_cmp_lt_u64_e32 vcc_lo, 0xffffff, v[112:113]
	v_add_nc_u32_e32 v0, 15, v49
	s_delay_alu instid0(VALU_DEP_1) | instskip(SKIP_1) | instid1(VALU_DEP_1)
	v_cndmask_b32_e32 v2, v3, v0, vcc_lo
	v_cndmask_b32_e64 v0, 0, 1, vcc_lo
	v_lshrrev_b64 v[0:1], v0, v[112:113]
; %bb.13792:                            ;   in Loop: Header=BB6_11393 Depth=4
	s_and_not1_saveexec_b32 s13, s13
; %bb.13793:                            ;   in Loop: Header=BB6_11393 Depth=4
	v_mov_b64_e32 v[0:1], v[112:113]
	v_bfe_u32 v2, v112, 23, 1
; %bb.13794:                            ;   in Loop: Header=BB6_11393 Depth=4
	s_or_b32 exec_lo, exec_lo, s13
	s_delay_alu instid0(VALU_DEP_2) | instskip(NEXT) | instid1(VALU_DEP_2)
	v_lshrrev_b64 v[0:1], 21, v[0:1]
	v_cmp_gt_i32_e32 vcc_lo, 32, v2
	v_cmp_ne_u32_e64 s13, 0, v2
                                        ; implicit-def: $vgpr49
	s_delay_alu instid0(VALU_DEP_3) | instskip(NEXT) | instid1(VALU_DEP_1)
	v_dual_cndmask_b32 v1, 0, v1 :: v_dual_cndmask_b32 v0, 3, v0
	v_cmp_ne_u64_e32 vcc_lo, 0, v[0:1]
	s_or_b32 s13, s13, vcc_lo
	s_delay_alu instid0(SALU_CYCLE_1) | instskip(NEXT) | instid1(SALU_CYCLE_1)
	s_and_saveexec_b32 s76, s13
	s_xor_b32 s13, exec_lo, s76
; %bb.13795:                            ;   in Loop: Header=BB6_11393 Depth=4
	v_min_i32_e32 v1, 31, v2
	s_delay_alu instid0(VALU_DEP_1) | instskip(NEXT) | instid1(VALU_DEP_1)
	v_lshl_or_b32 v1, v1, 2, v17
                                        ; implicit-def: $vgpr17
	v_and_or_b32 v49, v0, 3, v1
; %bb.13796:                            ;   in Loop: Header=BB6_11393 Depth=4
	s_and_not1_saveexec_b32 s13, s13
; %bb.13797:                            ;   in Loop: Header=BB6_11393 Depth=4
	v_mov_b32_e32 v49, v17
; %bb.13798:                            ;   in Loop: Header=BB6_11393 Depth=4
	s_or_b32 exec_lo, exec_lo, s13
.LBB6_13799:                            ;   in Loop: Header=BB6_11393 Depth=4
	s_delay_alu instid0(SALU_CYCLE_1)
	s_or_b32 exec_lo, exec_lo, s75
                                        ; implicit-def: $vgpr17
.LBB6_13800:                            ;   in Loop: Header=BB6_11393 Depth=4
	s_and_not1_saveexec_b32 s13, s15
; %bb.13801:                            ;   in Loop: Header=BB6_11393 Depth=4
	v_or_b32_e32 v49, 0x7b, v17
; %bb.13802:                            ;   in Loop: Header=BB6_11393 Depth=4
	s_or_b32 exec_lo, exec_lo, s13
                                        ; implicit-def: $vgpr0
.LBB6_13803:                            ;   in Loop: Header=BB6_11393 Depth=4
	s_and_not1_saveexec_b32 s13, s14
	s_cbranch_execz .LBB6_13809
; %bb.13804:                            ;   in Loop: Header=BB6_11393 Depth=4
	s_mov_b32 s14, exec_lo
                                        ; implicit-def: $vgpr49
	v_cmpx_ne_u64_e32 0, v[112:113]
	s_xor_b32 s14, exec_lo, s14
; %bb.13805:                            ;   in Loop: Header=BB6_11393 Depth=4
	v_lshrrev_b32_e32 v0, 24, v0
	s_delay_alu instid0(VALU_DEP_1)
	v_or_b32_e32 v49, 0x7f, v0
                                        ; implicit-def: $vgpr0
; %bb.13806:                            ;   in Loop: Header=BB6_11393 Depth=4
	s_and_not1_saveexec_b32 s14, s14
; %bb.13807:                            ;   in Loop: Header=BB6_11393 Depth=4
	v_cmp_lt_i32_e32 vcc_lo, -1, v0
	v_cndmask_b32_e64 v49, -4, 0x7c, vcc_lo
; %bb.13808:                            ;   in Loop: Header=BB6_11393 Depth=4
	s_or_b32 exec_lo, exec_lo, s14
.LBB6_13809:                            ;   in Loop: Header=BB6_11393 Depth=4
	s_delay_alu instid0(SALU_CYCLE_1)
	s_or_b32 exec_lo, exec_lo, s13
	scratch_load_b64 v[0:1], off, s33 offset:216 ; 8-byte Folded Reload
	s_mov_b32 s14, exec_lo
	s_wait_loadcnt 0x0
	v_mov_b32_e32 v1, 0
	v_and_b32_e32 v3, 0xff, v0
	v_mov_b32_e32 v0, 0
	s_wait_xcnt 0x0
	s_delay_alu instid0(VALU_DEP_2)
	v_cmpx_ne_u16_e32 0, v3
	s_cbranch_execz .LBB6_13819
; %bb.13810:                            ;   in Loop: Header=BB6_11393 Depth=4
	v_bfrev_b32_e32 v1, 1
	s_mov_b32 s15, exec_lo
	v_cmpx_ne_u16_e32 0x80, v3
	s_cbranch_execz .LBB6_13818
; %bb.13811:                            ;   in Loop: Header=BB6_11393 Depth=4
	scratch_load_b64 v[50:51], off, s33 offset:216 ; 8-byte Folded Reload
	s_wait_loadcnt 0x0
	v_mov_b32_e32 v2, v50
	s_delay_alu instid0(VALU_DEP_1) | instskip(SKIP_1) | instid1(VALU_DEP_2)
	v_and_b32_e32 v1, 0x7c, v2
	v_and_b32_e32 v2, 3, v2
	v_cmp_ne_u32_e32 vcc_lo, 0x7c, v1
                                        ; implicit-def: $vgpr1
	s_wait_xcnt 0x0
	s_and_saveexec_b32 s13, vcc_lo
	s_delay_alu instid0(SALU_CYCLE_1)
	s_xor_b32 s13, exec_lo, s13
	s_cbranch_execz .LBB6_13815
; %bb.13812:                            ;   in Loop: Header=BB6_11393 Depth=4
	v_bfe_u32 v1, v3, 2, 5
	s_mov_b32 s75, exec_lo
	s_delay_alu instid0(VALU_DEP_1)
	v_cmpx_eq_u32_e32 0, v1
	s_cbranch_execz .LBB6_13814
; %bb.13813:                            ;   in Loop: Header=BB6_11393 Depth=4
	scratch_load_b64 v[50:51], off, s33 offset:216 th:TH_LOAD_LU ; 8-byte Folded Reload
	v_clz_i32_u32_e32 v1, v2
	s_wait_loadcnt 0x0
	v_mov_b32_e32 v51, v113
	s_delay_alu instid0(VALU_DEP_2) | instskip(NEXT) | instid1(VALU_DEP_1)
	v_min_u32_e32 v1, 32, v1
	v_subrev_nc_u32_e32 v2, 29, v1
	v_mov_b32_e32 v52, v50
	s_delay_alu instid0(VALU_DEP_2)
	v_lshlrev_b64_e32 v[2:3], v2, v[50:51]
	v_sub_nc_u32_e32 v1, 30, v1
	scratch_store_b64 off, v[52:53], s33 offset:216 ; 8-byte Folded Spill
	v_and_b32_e32 v2, 3, v2
.LBB6_13814:                            ;   in Loop: Header=BB6_11393 Depth=4
	s_wait_xcnt 0x0
	s_or_b32 exec_lo, exec_lo, s75
	scratch_load_b64 v[50:51], off, s33 offset:216 th:TH_LOAD_LU ; 8-byte Folded Reload
	s_wait_loadcnt 0x0
	v_lshlrev_b32_e32 v3, 24, v50
                                        ; implicit-def: $vgpr50
	scratch_store_b64 off, v[50:51], s33 offset:216 ; 8-byte Folded Spill
	v_and_b32_e32 v3, 0x80000000, v3
	s_delay_alu instid0(VALU_DEP_1) | instskip(NEXT) | instid1(VALU_DEP_1)
	v_lshl_add_u32 v1, v1, 23, v3
	v_lshl_or_b32 v1, v2, 21, v1
                                        ; implicit-def: $vgpr2
	s_delay_alu instid0(VALU_DEP_1)
	v_add_nc_u32_e32 v1, 0x38000000, v1
.LBB6_13815:                            ;   in Loop: Header=BB6_11393 Depth=4
	s_wait_xcnt 0x0
	s_and_not1_saveexec_b32 s75, s13
	s_cbranch_execz .LBB6_13817
; %bb.13816:                            ;   in Loop: Header=BB6_11393 Depth=4
	v_cmp_eq_u32_e32 vcc_lo, 0, v2
	scratch_load_b64 v[2:3], off, s33 offset:216 th:TH_LOAD_LU ; 8-byte Folded Reload
	s_wait_loadcnt 0x0
	v_bfe_i32 v1, v2, 0, 8
	s_delay_alu instid0(VALU_DEP_1) | instskip(SKIP_1) | instid1(VALU_DEP_1)
	v_cmp_lt_i16_e64 s13, -1, v1
	v_mov_b32_e32 v1, 0x7f800000
	v_cndmask_b32_e64 v1, 0xff800000, v1, s13
	s_delay_alu instid0(VALU_DEP_1)
	v_cndmask_b32_e32 v1, 0x7f800001, v1, vcc_lo
.LBB6_13817:                            ;   in Loop: Header=BB6_11393 Depth=4
	s_wait_xcnt 0x0
	s_or_b32 exec_lo, exec_lo, s75
.LBB6_13818:                            ;   in Loop: Header=BB6_11393 Depth=4
	s_delay_alu instid0(SALU_CYCLE_1)
	s_or_b32 exec_lo, exec_lo, s15
.LBB6_13819:                            ;   in Loop: Header=BB6_11393 Depth=4
	s_delay_alu instid0(SALU_CYCLE_1) | instskip(NEXT) | instid1(SALU_CYCLE_1)
	s_or_b32 exec_lo, exec_lo, s14
	s_mov_b32 s13, exec_lo
	s_wait_dscnt 0x1
	v_cmpx_ne_u16_e32 0, v60
	s_cbranch_execz .LBB6_13829
; %bb.13820:                            ;   in Loop: Header=BB6_11393 Depth=4
	v_bfrev_b32_e32 v0, 1
	s_mov_b32 s14, exec_lo
	v_cmpx_ne_u16_e32 0xff80, v60
	s_cbranch_execz .LBB6_13828
; %bb.13821:                            ;   in Loop: Header=BB6_11393 Depth=4
	v_and_b32_e32 v0, 0x7c, v60
	v_and_b32_e32 v2, 3, v60
	s_delay_alu instid0(VALU_DEP_2) | instskip(SKIP_1) | instid1(SALU_CYCLE_1)
	v_cmp_ne_u32_e32 vcc_lo, 0x7c, v0
                                        ; implicit-def: $vgpr0
	s_and_saveexec_b32 s15, vcc_lo
	s_xor_b32 s15, exec_lo, s15
	s_cbranch_execz .LBB6_13825
; %bb.13822:                            ;   in Loop: Header=BB6_11393 Depth=4
	v_and_b32_e32 v0, 0xff, v60
	s_mov_b32 s75, exec_lo
	s_delay_alu instid0(VALU_DEP_1) | instskip(NEXT) | instid1(VALU_DEP_1)
	v_bfe_u32 v0, v0, 2, 5
	v_cmpx_eq_u32_e32 0, v0
	s_cbranch_execz .LBB6_13824
; %bb.13823:                            ;   in Loop: Header=BB6_11393 Depth=4
	v_clz_i32_u32_e32 v0, v2
	s_delay_alu instid0(VALU_DEP_1) | instskip(SKIP_1) | instid1(VALU_DEP_2)
	v_min_u32_e32 v0, 32, v0
	v_mov_b32_e32 v61, v113
	v_subrev_nc_u32_e32 v2, 29, v0
	v_sub_nc_u32_e32 v0, 30, v0
	s_delay_alu instid0(VALU_DEP_2)
	v_lshlrev_b64_e32 v[2:3], v2, v[60:61]
	scratch_load_b32 v61, off, s33 offset:432 ; 4-byte Folded Reload
	v_and_b32_e32 v2, 3, v2
.LBB6_13824:                            ;   in Loop: Header=BB6_11393 Depth=4
	s_wait_xcnt 0x0
	s_or_b32 exec_lo, exec_lo, s75
	v_bfe_i32 v3, v60, 0, 16
                                        ; implicit-def: $vgpr60
	s_delay_alu instid0(VALU_DEP_1) | instskip(NEXT) | instid1(VALU_DEP_1)
	v_and_b32_e32 v3, 0x80000000, v3
	v_lshl_add_u32 v0, v0, 23, v3
	s_delay_alu instid0(VALU_DEP_1) | instskip(NEXT) | instid1(VALU_DEP_1)
	v_lshl_or_b32 v0, v2, 21, v0
                                        ; implicit-def: $vgpr2
	v_add_nc_u32_e32 v0, 0x38000000, v0
.LBB6_13825:                            ;   in Loop: Header=BB6_11393 Depth=4
	s_and_not1_saveexec_b32 s15, s15
; %bb.13826:                            ;   in Loop: Header=BB6_11393 Depth=4
	v_cmp_lt_i16_e32 vcc_lo, -1, v60
	v_mov_b32_e32 v0, 0x7f800000
	s_delay_alu instid0(VALU_DEP_1) | instskip(SKIP_1) | instid1(VALU_DEP_2)
	v_cndmask_b32_e32 v0, 0xff800000, v0, vcc_lo
	v_cmp_eq_u32_e32 vcc_lo, 0, v2
	v_cndmask_b32_e32 v0, 0x7f800001, v0, vcc_lo
; %bb.13827:                            ;   in Loop: Header=BB6_11393 Depth=4
	s_or_b32 exec_lo, exec_lo, s15
.LBB6_13828:                            ;   in Loop: Header=BB6_11393 Depth=4
	s_delay_alu instid0(SALU_CYCLE_1)
	s_or_b32 exec_lo, exec_lo, s14
.LBB6_13829:                            ;   in Loop: Header=BB6_11393 Depth=4
	s_delay_alu instid0(SALU_CYCLE_1) | instskip(NEXT) | instid1(VALU_DEP_1)
	s_or_b32 exec_lo, exec_lo, s13
	v_add_f32_e32 v0, v1, v0
	v_mov_b32_e32 v3, v113
                                        ; implicit-def: $vgpr50
	s_mov_b32 s13, exec_lo
	s_delay_alu instid0(VALU_DEP_2) | instskip(SKIP_1) | instid1(VALU_DEP_2)
	v_and_b32_e32 v2, 0x7f800000, v0
	v_and_b32_e32 v112, 0x7fffff, v0
	v_cmpx_ne_u64_e32 0x7f800000, v[2:3]
	s_xor_b32 s14, exec_lo, s13
	s_cbranch_execz .LBB6_13847
; %bb.13830:                            ;   in Loop: Header=BB6_11393 Depth=4
	v_dual_mov_b32 v3, v113 :: v_dual_lshrrev_b32 v1, 24, v0
	v_and_b32_e32 v2, 0x7fffffff, v0
                                        ; implicit-def: $vgpr50
	s_mov_b32 s13, exec_lo
	s_delay_alu instid0(VALU_DEP_2) | instskip(NEXT) | instid1(VALU_DEP_2)
	v_and_b32_e32 v17, 0x80, v1
	v_cmpx_gt_u64_e32 0x47600001, v[2:3]
	s_xor_b32 s15, exec_lo, s13
	s_cbranch_execz .LBB6_13844
; %bb.13831:                            ;   in Loop: Header=BB6_11393 Depth=4
	v_mov_b32_e32 v50, 0
	s_mov_b32 s75, exec_lo
	v_cmpx_ne_u32_e32 0, v0
	s_cbranch_execz .LBB6_13843
; %bb.13832:                            ;   in Loop: Header=BB6_11393 Depth=4
	v_bfe_u32 v50, v0, 23, 8
	v_or_b32_e32 v1, 0x800000, v112
	s_delay_alu instid0(VALU_DEP_2) | instskip(SKIP_2) | instid1(VALU_DEP_2)
	v_cmp_gt_u32_e64 s13, 0x72, v50
	v_sub_nc_u32_e32 v0, 0x71, v50
	v_cmp_eq_u32_e32 vcc_lo, 0, v50
	v_cndmask_b32_e64 v0, 0, v0, s13
	s_delay_alu instid0(VALU_DEP_1) | instskip(SKIP_1) | instid1(VALU_DEP_2)
	v_cndmask_b32_e64 v51, v0, 0x70, vcc_lo
	v_cndmask_b32_e32 v0, v1, v112, vcc_lo
	v_dual_mov_b32 v1, v113 :: v_dual_add_nc_u32 v2, 21, v51
	v_add_nc_u32_e32 v52, 20, v51
	s_delay_alu instid0(VALU_DEP_2) | instskip(NEXT) | instid1(VALU_DEP_2)
	v_lshlrev_b64_e64 v[2:3], v2, -1
	v_lshlrev_b64_e64 v[52:53], v52, 1
	s_delay_alu instid0(VALU_DEP_2) | instskip(SKIP_1) | instid1(VALU_DEP_4)
	v_bfi_b32 v2, v2, 0, v0
	v_lshrrev_b64 v[0:1], v51, v[0:1]
	v_bfi_b32 v3, v3, 0, 0
	s_delay_alu instid0(VALU_DEP_1) | instskip(NEXT) | instid1(VALU_DEP_3)
	v_cmp_eq_u64_e64 s13, v[2:3], v[52:53]
	v_mov_b64_e32 v[2:3], v[0:1]
	s_and_saveexec_b32 s76, s13
; %bb.13833:                            ;   in Loop: Header=BB6_11393 Depth=4
	v_bfe_u32 v2, v0, 21, 1
	v_mov_b32_e32 v3, v113
	s_delay_alu instid0(VALU_DEP_1) | instskip(NEXT) | instid1(VALU_DEP_1)
	v_add_nc_u64_e32 v[2:3], v[0:1], v[2:3]
	v_add_nc_u64_e32 v[2:3], -1, v[2:3]
; %bb.13834:                            ;   in Loop: Header=BB6_11393 Depth=4
	s_or_b32 exec_lo, exec_lo, s76
	v_add_nc_u32_e32 v1, 0xffffff81, v50
	s_delay_alu instid0(VALU_DEP_2) | instskip(SKIP_2) | instid1(VALU_DEP_3)
	v_and_b32_e32 v2, 0x1fffff, v2
	v_lshrrev_b32_e32 v3, 23, v0
	s_mov_b32 s13, exec_lo
	v_cndmask_b32_e64 v1, v1, 0xffffff82, vcc_lo
	s_delay_alu instid0(VALU_DEP_3) | instskip(NEXT) | instid1(VALU_DEP_2)
	v_add_nc_u32_e32 v112, v2, v0
                                        ; implicit-def: $vgpr2
	v_add3_u32 v50, v51, v1, v3
                                        ; implicit-def: $vgpr0_vgpr1
	s_delay_alu instid0(VALU_DEP_1) | instskip(NEXT) | instid1(VALU_DEP_1)
	v_add_nc_u32_e32 v3, 14, v50
	v_cmpx_ne_u32_e32 0, v3
	s_xor_b32 s13, exec_lo, s13
; %bb.13835:                            ;   in Loop: Header=BB6_11393 Depth=4
	v_cmp_lt_u64_e32 vcc_lo, 0xffffff, v[112:113]
	v_add_nc_u32_e32 v0, 15, v50
	s_delay_alu instid0(VALU_DEP_1) | instskip(SKIP_1) | instid1(VALU_DEP_1)
	v_cndmask_b32_e32 v2, v3, v0, vcc_lo
	v_cndmask_b32_e64 v0, 0, 1, vcc_lo
	v_lshrrev_b64 v[0:1], v0, v[112:113]
; %bb.13836:                            ;   in Loop: Header=BB6_11393 Depth=4
	s_and_not1_saveexec_b32 s13, s13
; %bb.13837:                            ;   in Loop: Header=BB6_11393 Depth=4
	v_mov_b64_e32 v[0:1], v[112:113]
	v_bfe_u32 v2, v112, 23, 1
; %bb.13838:                            ;   in Loop: Header=BB6_11393 Depth=4
	s_or_b32 exec_lo, exec_lo, s13
	s_delay_alu instid0(VALU_DEP_2) | instskip(NEXT) | instid1(VALU_DEP_2)
	v_lshrrev_b64 v[0:1], 21, v[0:1]
	v_cmp_gt_i32_e32 vcc_lo, 32, v2
	v_cmp_ne_u32_e64 s13, 0, v2
                                        ; implicit-def: $vgpr50
	s_delay_alu instid0(VALU_DEP_3) | instskip(NEXT) | instid1(VALU_DEP_1)
	v_dual_cndmask_b32 v1, 0, v1 :: v_dual_cndmask_b32 v0, 3, v0
	v_cmp_ne_u64_e32 vcc_lo, 0, v[0:1]
	s_or_b32 s13, s13, vcc_lo
	s_delay_alu instid0(SALU_CYCLE_1) | instskip(NEXT) | instid1(SALU_CYCLE_1)
	s_and_saveexec_b32 s76, s13
	s_xor_b32 s13, exec_lo, s76
; %bb.13839:                            ;   in Loop: Header=BB6_11393 Depth=4
	v_min_i32_e32 v1, 31, v2
	s_delay_alu instid0(VALU_DEP_1) | instskip(NEXT) | instid1(VALU_DEP_1)
	v_lshl_or_b32 v1, v1, 2, v17
                                        ; implicit-def: $vgpr17
	v_and_or_b32 v50, v0, 3, v1
; %bb.13840:                            ;   in Loop: Header=BB6_11393 Depth=4
	s_and_not1_saveexec_b32 s13, s13
; %bb.13841:                            ;   in Loop: Header=BB6_11393 Depth=4
	v_mov_b32_e32 v50, v17
; %bb.13842:                            ;   in Loop: Header=BB6_11393 Depth=4
	s_or_b32 exec_lo, exec_lo, s13
.LBB6_13843:                            ;   in Loop: Header=BB6_11393 Depth=4
	s_delay_alu instid0(SALU_CYCLE_1)
	s_or_b32 exec_lo, exec_lo, s75
                                        ; implicit-def: $vgpr17
.LBB6_13844:                            ;   in Loop: Header=BB6_11393 Depth=4
	s_and_not1_saveexec_b32 s13, s15
; %bb.13845:                            ;   in Loop: Header=BB6_11393 Depth=4
	v_or_b32_e32 v50, 0x7b, v17
; %bb.13846:                            ;   in Loop: Header=BB6_11393 Depth=4
	s_or_b32 exec_lo, exec_lo, s13
                                        ; implicit-def: $vgpr0
.LBB6_13847:                            ;   in Loop: Header=BB6_11393 Depth=4
	s_and_not1_saveexec_b32 s13, s14
	s_cbranch_execz .LBB6_13853
; %bb.13848:                            ;   in Loop: Header=BB6_11393 Depth=4
	s_mov_b32 s14, exec_lo
                                        ; implicit-def: $vgpr50
	v_cmpx_ne_u64_e32 0, v[112:113]
	s_xor_b32 s14, exec_lo, s14
; %bb.13849:                            ;   in Loop: Header=BB6_11393 Depth=4
	v_lshrrev_b32_e32 v0, 24, v0
	s_delay_alu instid0(VALU_DEP_1)
	v_or_b32_e32 v50, 0x7f, v0
                                        ; implicit-def: $vgpr0
; %bb.13850:                            ;   in Loop: Header=BB6_11393 Depth=4
	s_and_not1_saveexec_b32 s14, s14
; %bb.13851:                            ;   in Loop: Header=BB6_11393 Depth=4
	v_cmp_lt_i32_e32 vcc_lo, -1, v0
	v_cndmask_b32_e64 v50, -4, 0x7c, vcc_lo
; %bb.13852:                            ;   in Loop: Header=BB6_11393 Depth=4
	s_or_b32 exec_lo, exec_lo, s14
.LBB6_13853:                            ;   in Loop: Header=BB6_11393 Depth=4
	s_delay_alu instid0(SALU_CYCLE_1) | instskip(SKIP_3) | instid1(VALU_DEP_2)
	s_or_b32 exec_lo, exec_lo, s13
	v_and_b32_e32 v3, 0xff, v58
	v_dual_mov_b32 v0, 0 :: v_dual_mov_b32 v1, 0
	s_mov_b32 s13, exec_lo
	v_cmpx_ne_u16_e32 0, v3
	s_cbranch_execz .LBB6_13863
; %bb.13854:                            ;   in Loop: Header=BB6_11393 Depth=4
	v_bfrev_b32_e32 v1, 1
	s_mov_b32 s14, exec_lo
	v_cmpx_ne_u16_e32 0x80, v3
	s_cbranch_execz .LBB6_13862
; %bb.13855:                            ;   in Loop: Header=BB6_11393 Depth=4
	v_and_b32_e32 v1, 0x7c, v58
	v_and_b32_e32 v2, 3, v58
	s_delay_alu instid0(VALU_DEP_2) | instskip(SKIP_1) | instid1(SALU_CYCLE_1)
	v_cmp_ne_u32_e32 vcc_lo, 0x7c, v1
                                        ; implicit-def: $vgpr1
	s_and_saveexec_b32 s15, vcc_lo
	s_xor_b32 s15, exec_lo, s15
	s_cbranch_execz .LBB6_13859
; %bb.13856:                            ;   in Loop: Header=BB6_11393 Depth=4
	v_bfe_u32 v1, v3, 2, 5
	s_mov_b32 s75, exec_lo
	s_delay_alu instid0(VALU_DEP_1)
	v_cmpx_eq_u32_e32 0, v1
	s_cbranch_execz .LBB6_13858
; %bb.13857:                            ;   in Loop: Header=BB6_11393 Depth=4
	v_clz_i32_u32_e32 v1, v2
	s_delay_alu instid0(VALU_DEP_1) | instskip(SKIP_1) | instid1(VALU_DEP_2)
	v_min_u32_e32 v1, 32, v1
	v_mov_b32_e32 v59, v113
	v_subrev_nc_u32_e32 v2, 29, v1
	v_sub_nc_u32_e32 v1, 30, v1
	s_delay_alu instid0(VALU_DEP_2) | instskip(NEXT) | instid1(VALU_DEP_1)
	v_lshlrev_b64_e32 v[2:3], v2, v[58:59]
	v_and_b32_e32 v2, 3, v2
.LBB6_13858:                            ;   in Loop: Header=BB6_11393 Depth=4
	s_or_b32 exec_lo, exec_lo, s75
	v_lshlrev_b32_e32 v3, 24, v58
                                        ; implicit-def: $vgpr58
	s_delay_alu instid0(VALU_DEP_1) | instskip(NEXT) | instid1(VALU_DEP_1)
	v_and_b32_e32 v3, 0x80000000, v3
	v_lshl_add_u32 v1, v1, 23, v3
	s_delay_alu instid0(VALU_DEP_1) | instskip(NEXT) | instid1(VALU_DEP_1)
	v_lshl_or_b32 v1, v2, 21, v1
                                        ; implicit-def: $vgpr2
	v_add_nc_u32_e32 v1, 0x38000000, v1
.LBB6_13859:                            ;   in Loop: Header=BB6_11393 Depth=4
	s_and_not1_saveexec_b32 s15, s15
; %bb.13860:                            ;   in Loop: Header=BB6_11393 Depth=4
	v_bfe_i32 v1, v58, 0, 8
	s_delay_alu instid0(VALU_DEP_1) | instskip(SKIP_1) | instid1(VALU_DEP_1)
	v_cmp_lt_i16_e32 vcc_lo, -1, v1
	v_mov_b32_e32 v1, 0x7f800000
	v_cndmask_b32_e32 v1, 0xff800000, v1, vcc_lo
	v_cmp_eq_u32_e32 vcc_lo, 0, v2
	s_delay_alu instid0(VALU_DEP_2)
	v_cndmask_b32_e32 v1, 0x7f800001, v1, vcc_lo
; %bb.13861:                            ;   in Loop: Header=BB6_11393 Depth=4
	s_or_b32 exec_lo, exec_lo, s15
.LBB6_13862:                            ;   in Loop: Header=BB6_11393 Depth=4
	s_delay_alu instid0(SALU_CYCLE_1)
	s_or_b32 exec_lo, exec_lo, s14
.LBB6_13863:                            ;   in Loop: Header=BB6_11393 Depth=4
	s_delay_alu instid0(SALU_CYCLE_1) | instskip(NEXT) | instid1(SALU_CYCLE_1)
	s_or_b32 exec_lo, exec_lo, s13
	s_mov_b32 s13, exec_lo
	s_wait_dscnt 0x0
	v_cmpx_ne_u16_e32 0, v16
	s_cbranch_execz .LBB6_13873
; %bb.13864:                            ;   in Loop: Header=BB6_11393 Depth=4
	v_bfrev_b32_e32 v0, 1
	s_mov_b32 s14, exec_lo
	v_cmpx_ne_u16_e32 0xff80, v16
	s_cbranch_execz .LBB6_13872
; %bb.13865:                            ;   in Loop: Header=BB6_11393 Depth=4
	v_and_b32_e32 v0, 0x7c, v16
	v_and_b32_e32 v2, 3, v16
	s_delay_alu instid0(VALU_DEP_2) | instskip(SKIP_1) | instid1(SALU_CYCLE_1)
	v_cmp_ne_u32_e32 vcc_lo, 0x7c, v0
                                        ; implicit-def: $vgpr0
	s_and_saveexec_b32 s15, vcc_lo
	s_xor_b32 s15, exec_lo, s15
	s_cbranch_execz .LBB6_13869
; %bb.13866:                            ;   in Loop: Header=BB6_11393 Depth=4
	v_and_b32_e32 v0, 0xff, v16
	s_mov_b32 s75, exec_lo
	s_delay_alu instid0(VALU_DEP_1) | instskip(NEXT) | instid1(VALU_DEP_1)
	v_bfe_u32 v0, v0, 2, 5
	v_cmpx_eq_u32_e32 0, v0
	s_cbranch_execz .LBB6_13868
; %bb.13867:                            ;   in Loop: Header=BB6_11393 Depth=4
	v_clz_i32_u32_e32 v0, v2
	s_delay_alu instid0(VALU_DEP_1) | instskip(SKIP_1) | instid1(VALU_DEP_2)
	v_min_u32_e32 v0, 32, v0
	v_mov_b32_e32 v17, v113
	v_subrev_nc_u32_e32 v2, 29, v0
	v_sub_nc_u32_e32 v0, 30, v0
	s_delay_alu instid0(VALU_DEP_2) | instskip(NEXT) | instid1(VALU_DEP_1)
	v_lshlrev_b64_e32 v[2:3], v2, v[16:17]
	v_and_b32_e32 v2, 3, v2
.LBB6_13868:                            ;   in Loop: Header=BB6_11393 Depth=4
	s_or_b32 exec_lo, exec_lo, s75
	v_bfe_i32 v3, v16, 0, 16
                                        ; implicit-def: $vgpr16
	s_delay_alu instid0(VALU_DEP_1) | instskip(NEXT) | instid1(VALU_DEP_1)
	v_and_b32_e32 v3, 0x80000000, v3
	v_lshl_add_u32 v0, v0, 23, v3
	s_delay_alu instid0(VALU_DEP_1) | instskip(NEXT) | instid1(VALU_DEP_1)
	v_lshl_or_b32 v0, v2, 21, v0
                                        ; implicit-def: $vgpr2
	v_add_nc_u32_e32 v0, 0x38000000, v0
.LBB6_13869:                            ;   in Loop: Header=BB6_11393 Depth=4
	s_and_not1_saveexec_b32 s15, s15
; %bb.13870:                            ;   in Loop: Header=BB6_11393 Depth=4
	v_cmp_lt_i16_e32 vcc_lo, -1, v16
	v_mov_b32_e32 v0, 0x7f800000
	s_delay_alu instid0(VALU_DEP_1) | instskip(SKIP_1) | instid1(VALU_DEP_2)
	v_cndmask_b32_e32 v0, 0xff800000, v0, vcc_lo
	v_cmp_eq_u32_e32 vcc_lo, 0, v2
	v_cndmask_b32_e32 v0, 0x7f800001, v0, vcc_lo
; %bb.13871:                            ;   in Loop: Header=BB6_11393 Depth=4
	s_or_b32 exec_lo, exec_lo, s15
.LBB6_13872:                            ;   in Loop: Header=BB6_11393 Depth=4
	s_delay_alu instid0(SALU_CYCLE_1)
	s_or_b32 exec_lo, exec_lo, s14
.LBB6_13873:                            ;   in Loop: Header=BB6_11393 Depth=4
	s_delay_alu instid0(SALU_CYCLE_1) | instskip(NEXT) | instid1(VALU_DEP_1)
	s_or_b32 exec_lo, exec_lo, s13
	v_add_f32_e32 v0, v1, v0
	v_mov_b32_e32 v3, v113
                                        ; implicit-def: $vgpr1
	s_mov_b32 s13, exec_lo
	s_delay_alu instid0(VALU_DEP_2) | instskip(SKIP_1) | instid1(VALU_DEP_2)
	v_and_b32_e32 v2, 0x7f800000, v0
	v_and_b32_e32 v112, 0x7fffff, v0
	v_cmpx_ne_u64_e32 0x7f800000, v[2:3]
	s_xor_b32 s14, exec_lo, s13
	s_cbranch_execz .LBB6_13891
; %bb.13874:                            ;   in Loop: Header=BB6_11393 Depth=4
	v_dual_mov_b32 v3, v113 :: v_dual_lshrrev_b32 v1, 24, v0
	v_and_b32_e32 v2, 0x7fffffff, v0
	s_mov_b32 s13, exec_lo
	s_delay_alu instid0(VALU_DEP_2) | instskip(NEXT) | instid1(VALU_DEP_2)
	v_and_b32_e32 v16, 0x80, v1
                                        ; implicit-def: $vgpr1
	v_cmpx_gt_u64_e32 0x47600001, v[2:3]
	s_xor_b32 s15, exec_lo, s13
	s_cbranch_execz .LBB6_13888
; %bb.13875:                            ;   in Loop: Header=BB6_11393 Depth=4
	v_mov_b32_e32 v1, 0
	s_mov_b32 s75, exec_lo
	v_cmpx_ne_u32_e32 0, v0
	s_cbranch_execz .LBB6_13887
; %bb.13876:                            ;   in Loop: Header=BB6_11393 Depth=4
	v_bfe_u32 v17, v0, 23, 8
	v_or_b32_e32 v1, 0x800000, v112
	s_delay_alu instid0(VALU_DEP_2) | instskip(SKIP_2) | instid1(VALU_DEP_2)
	v_cmp_gt_u32_e64 s13, 0x72, v17
	v_sub_nc_u32_e32 v0, 0x71, v17
	v_cmp_eq_u32_e32 vcc_lo, 0, v17
	v_cndmask_b32_e64 v0, 0, v0, s13
	s_delay_alu instid0(VALU_DEP_1) | instskip(SKIP_1) | instid1(VALU_DEP_2)
	v_cndmask_b32_e64 v51, v0, 0x70, vcc_lo
	v_cndmask_b32_e32 v0, v1, v112, vcc_lo
	v_dual_mov_b32 v1, v113 :: v_dual_add_nc_u32 v2, 21, v51
	v_add_nc_u32_e32 v52, 20, v51
	s_delay_alu instid0(VALU_DEP_2) | instskip(NEXT) | instid1(VALU_DEP_2)
	v_lshlrev_b64_e64 v[2:3], v2, -1
	v_lshlrev_b64_e64 v[52:53], v52, 1
	s_delay_alu instid0(VALU_DEP_2) | instskip(SKIP_1) | instid1(VALU_DEP_4)
	v_bfi_b32 v2, v2, 0, v0
	v_lshrrev_b64 v[0:1], v51, v[0:1]
	v_bfi_b32 v3, v3, 0, 0
	s_delay_alu instid0(VALU_DEP_1) | instskip(NEXT) | instid1(VALU_DEP_3)
	v_cmp_eq_u64_e64 s13, v[2:3], v[52:53]
	v_mov_b64_e32 v[2:3], v[0:1]
	s_and_saveexec_b32 s76, s13
; %bb.13877:                            ;   in Loop: Header=BB6_11393 Depth=4
	v_bfe_u32 v2, v0, 21, 1
	v_mov_b32_e32 v3, v113
	s_delay_alu instid0(VALU_DEP_1) | instskip(NEXT) | instid1(VALU_DEP_1)
	v_add_nc_u64_e32 v[2:3], v[0:1], v[2:3]
	v_add_nc_u64_e32 v[2:3], -1, v[2:3]
; %bb.13878:                            ;   in Loop: Header=BB6_11393 Depth=4
	s_or_b32 exec_lo, exec_lo, s76
	v_add_nc_u32_e32 v1, 0xffffff81, v17
	s_delay_alu instid0(VALU_DEP_2) | instskip(SKIP_2) | instid1(VALU_DEP_3)
	v_and_b32_e32 v2, 0x1fffff, v2
	v_lshrrev_b32_e32 v3, 23, v0
	s_mov_b32 s13, exec_lo
	v_cndmask_b32_e64 v1, v1, 0xffffff82, vcc_lo
	s_delay_alu instid0(VALU_DEP_3) | instskip(NEXT) | instid1(VALU_DEP_2)
	v_add_nc_u32_e32 v112, v2, v0
                                        ; implicit-def: $vgpr2
	v_add3_u32 v17, v51, v1, v3
                                        ; implicit-def: $vgpr0_vgpr1
	s_delay_alu instid0(VALU_DEP_1) | instskip(NEXT) | instid1(VALU_DEP_1)
	v_add_nc_u32_e32 v3, 14, v17
	v_cmpx_ne_u32_e32 0, v3
	s_xor_b32 s13, exec_lo, s13
; %bb.13879:                            ;   in Loop: Header=BB6_11393 Depth=4
	v_cmp_lt_u64_e32 vcc_lo, 0xffffff, v[112:113]
	v_add_nc_u32_e32 v0, 15, v17
	s_delay_alu instid0(VALU_DEP_1) | instskip(SKIP_1) | instid1(VALU_DEP_1)
	v_cndmask_b32_e32 v2, v3, v0, vcc_lo
	v_cndmask_b32_e64 v0, 0, 1, vcc_lo
	v_lshrrev_b64 v[0:1], v0, v[112:113]
; %bb.13880:                            ;   in Loop: Header=BB6_11393 Depth=4
	s_and_not1_saveexec_b32 s13, s13
; %bb.13881:                            ;   in Loop: Header=BB6_11393 Depth=4
	v_mov_b64_e32 v[0:1], v[112:113]
	v_bfe_u32 v2, v112, 23, 1
; %bb.13882:                            ;   in Loop: Header=BB6_11393 Depth=4
	s_or_b32 exec_lo, exec_lo, s13
	s_delay_alu instid0(VALU_DEP_2) | instskip(NEXT) | instid1(VALU_DEP_2)
	v_lshrrev_b64 v[0:1], 21, v[0:1]
	v_cmp_gt_i32_e32 vcc_lo, 32, v2
	v_cmp_ne_u32_e64 s13, 0, v2
	s_delay_alu instid0(VALU_DEP_3) | instskip(NEXT) | instid1(VALU_DEP_1)
	v_dual_cndmask_b32 v1, 0, v1 :: v_dual_cndmask_b32 v0, 3, v0
	v_cmp_ne_u64_e32 vcc_lo, 0, v[0:1]
                                        ; implicit-def: $vgpr1
	s_or_b32 s13, s13, vcc_lo
	s_delay_alu instid0(SALU_CYCLE_1) | instskip(NEXT) | instid1(SALU_CYCLE_1)
	s_and_saveexec_b32 s76, s13
	s_xor_b32 s13, exec_lo, s76
; %bb.13883:                            ;   in Loop: Header=BB6_11393 Depth=4
	v_min_i32_e32 v1, 31, v2
	s_delay_alu instid0(VALU_DEP_1) | instskip(NEXT) | instid1(VALU_DEP_1)
	v_lshl_or_b32 v1, v1, 2, v16
                                        ; implicit-def: $vgpr16
	v_and_or_b32 v1, v0, 3, v1
; %bb.13884:                            ;   in Loop: Header=BB6_11393 Depth=4
	s_and_not1_saveexec_b32 s13, s13
; %bb.13885:                            ;   in Loop: Header=BB6_11393 Depth=4
	v_mov_b32_e32 v1, v16
; %bb.13886:                            ;   in Loop: Header=BB6_11393 Depth=4
	s_or_b32 exec_lo, exec_lo, s13
.LBB6_13887:                            ;   in Loop: Header=BB6_11393 Depth=4
	s_delay_alu instid0(SALU_CYCLE_1)
	s_or_b32 exec_lo, exec_lo, s75
                                        ; implicit-def: $vgpr16
.LBB6_13888:                            ;   in Loop: Header=BB6_11393 Depth=4
	s_and_not1_saveexec_b32 s13, s15
; %bb.13889:                            ;   in Loop: Header=BB6_11393 Depth=4
	v_or_b32_e32 v1, 0x7b, v16
; %bb.13890:                            ;   in Loop: Header=BB6_11393 Depth=4
	s_or_b32 exec_lo, exec_lo, s13
                                        ; implicit-def: $vgpr0
.LBB6_13891:                            ;   in Loop: Header=BB6_11393 Depth=4
	s_and_not1_saveexec_b32 s13, s14
	s_cbranch_execz .LBB6_11392
; %bb.13892:                            ;   in Loop: Header=BB6_11393 Depth=4
	s_mov_b32 s14, exec_lo
                                        ; implicit-def: $vgpr1
	v_cmpx_ne_u64_e32 0, v[112:113]
	s_xor_b32 s14, exec_lo, s14
; %bb.13893:                            ;   in Loop: Header=BB6_11393 Depth=4
	v_lshrrev_b32_e32 v0, 24, v0
	s_delay_alu instid0(VALU_DEP_1)
	v_or_b32_e32 v1, 0x7f, v0
                                        ; implicit-def: $vgpr0
; %bb.13894:                            ;   in Loop: Header=BB6_11393 Depth=4
	s_and_not1_saveexec_b32 s14, s14
	s_cbranch_execz .LBB6_11391
; %bb.13895:                            ;   in Loop: Header=BB6_11393 Depth=4
	v_cmp_lt_i32_e32 vcc_lo, -1, v0
	v_cndmask_b32_e64 v1, -4, 0x7c, vcc_lo
	s_branch .LBB6_11391
.LBB6_13896:                            ;   in Loop: Header=BB6_5746 Depth=3
	s_or_b32 exec_lo, exec_lo, s74
	s_clause 0x4
	scratch_load_b32 v8, off, s33 offset:436
	scratch_load_b32 v3, off, s33 offset:444
	;; [unrolled: 1-line block ×5, first 2 shown]
.LBB6_13897:                            ;   in Loop: Header=BB6_5746 Depth=3
	s_wait_xcnt 0x0
	s_or_b32 exec_lo, exec_lo, s73
	s_wait_loadcnt 0x0
	v_lshlrev_b32_e32 v0, 10, v1
	s_delay_alu instid0(VALU_DEP_1)
	v_cmp_ne_u32_e32 vcc_lo, v3, v0
	s_and_b32 exec_lo, exec_lo, vcc_lo
	s_cbranch_execz .LBB6_13987
; %bb.13898:                            ;   in Loop: Header=BB6_5746 Depth=3
	v_dual_lshlrev_b32 v1, 5, v4 :: v_dual_lshlrev_b32 v2, 5, v126
	s_delay_alu instid0(VALU_DEP_1) | instskip(NEXT) | instid1(VALU_DEP_1)
	v_sub_nc_u32_e32 v1, v5, v1
	v_sub_nc_u32_e32 v1, v1, v2
	s_delay_alu instid0(VALU_DEP_1) | instskip(NEXT) | instid1(VALU_DEP_1)
	v_add_nc_u32_e32 v0, v0, v1
	v_sub_nc_u32_e32 v10, v3, v0
	s_delay_alu instid0(VALU_DEP_1)
	v_cmp_lt_i32_e32 vcc_lo, 0, v10
	s_and_b32 exec_lo, exec_lo, vcc_lo
	s_cbranch_execz .LBB6_13987
; %bb.13899:                            ;   in Loop: Header=BB6_5746 Depth=3
	s_trap 2
	ds_load_b128 v[2:5], v0
	ds_load_b64 v[6:7], v0
	v_add_nc_u32_e32 v8, v0, v8
	s_mov_b32 s73, 0
	s_delay_alu instid0(VALU_DEP_1) | instskip(SKIP_1) | instid1(VALU_DEP_1)
	v_ashrrev_i32_e32 v9, 31, v8
	s_wait_dscnt 0x1
	v_add_nc_u64_e32 v[0:1], v[2:3], v[8:9]
	v_add_nc_u64_e32 v[2:3], v[4:5], v[8:9]
	s_wait_dscnt 0x0
	v_add_nc_u64_e32 v[4:5], v[6:7], v[8:9]
	s_branch .LBB6_13902
.LBB6_13900:                            ;   in Loop: Header=BB6_13902 Depth=4
	s_or_b32 exec_lo, exec_lo, s14
.LBB6_13901:                            ;   in Loop: Header=BB6_13902 Depth=4
	s_delay_alu instid0(SALU_CYCLE_1)
	s_or_b32 exec_lo, exec_lo, s13
	scratch_load_b64 v[8:9], off, s33 offset:288 ; 8-byte Folded Reload
	flat_store_b8 v[4:5], v7 th:TH_STORE_NT
	s_wait_loadcnt 0x0
	v_sub_nc_u32_e32 v10, v10, v8
	v_add_nc_u64_e32 v[0:1], v[0:1], v[8:9]
	v_add_nc_u64_e32 v[2:3], v[2:3], v[8:9]
	s_wait_xcnt 0x0
	v_add_nc_u64_e32 v[4:5], v[4:5], v[8:9]
	v_cmp_gt_i32_e32 vcc_lo, 1, v10
	s_or_b32 s73, vcc_lo, s73
	s_delay_alu instid0(SALU_CYCLE_1)
	s_and_not1_b32 exec_lo, exec_lo, s73
	s_cbranch_execz .LBB6_13987
.LBB6_13902:                            ;   Parent Loop BB6_47 Depth=1
                                        ;     Parent Loop BB6_5743 Depth=2
                                        ;       Parent Loop BB6_5746 Depth=3
                                        ; =>      This Inner Loop Header: Depth=4
	s_trap 2
	ds_load_b64 v[6:7], v0
	s_mov_b32 s13, 0
	s_wait_dscnt 0x0
	v_and_b32_e32 v8, 0xff, v6
	v_readfirstlane_b32 s14, v6
	v_readfirstlane_b32 s15, v7
	s_delay_alu instid0(VALU_DEP_3)
	v_cmp_eq_u32_e32 vcc_lo, 0, v8
	s_cbranch_vccnz .LBB6_13910
; %bb.13903:                            ;   in Loop: Header=BB6_13902 Depth=4
	s_bfe_i32 s75, s14, 0x80000
	s_delay_alu instid0(SALU_CYCLE_1) | instskip(NEXT) | instid1(SALU_CYCLE_1)
	s_and_b32 s13, 0xffff, s75
	s_cmp_eq_u32 s13, 0xff80
	s_brev_b32 s13, 1
	s_cbranch_scc1 .LBB6_13910
; %bb.13904:                            ;   in Loop: Header=BB6_13902 Depth=4
	s_and_b32 s13, s14, 0x7c
	s_and_b32 s74, s14, 3
	s_mov_b32 s76, -1
	s_cmp_lg_u32 s13, 0x7c
	s_sext_i32_i16 s75, s75
                                        ; implicit-def: $sgpr13
	s_cbranch_scc0 .LBB6_13908
; %bb.13905:                            ;   in Loop: Header=BB6_13902 Depth=4
	s_bfe_u32 s13, s14, 0x50002
	s_mov_b32 s76, s74
	s_cmp_lg_u32 s13, 0
	s_cbranch_scc1 .LBB6_13907
; %bb.13906:                            ;   in Loop: Header=BB6_13902 Depth=4
	s_clz_i32_u32 s13, s74
	s_delay_alu instid0(SALU_CYCLE_1) | instskip(NEXT) | instid1(SALU_CYCLE_1)
	s_min_u32 s13, s13, 32
	s_sub_co_i32 s76, s13, 29
	s_sub_co_i32 s13, 30, s13
	s_lshl_b64 s[14:15], s[14:15], s76
	s_delay_alu instid0(SALU_CYCLE_1)
	s_and_b32 s76, s14, 3
.LBB6_13907:                            ;   in Loop: Header=BB6_13902 Depth=4
	s_and_b32 s14, s75, 0x80000000
	s_lshl_b32 s13, s13, 23
	s_lshl_b32 s15, s76, 21
	s_add_co_i32 s13, s13, s14
	s_mov_b32 s76, 0
	s_or_b32 s13, s13, s15
	s_delay_alu instid0(SALU_CYCLE_1)
	s_add_co_i32 s13, s13, 0x38000000
.LBB6_13908:                            ;   in Loop: Header=BB6_13902 Depth=4
	s_and_b32 vcc_lo, exec_lo, s76
	s_cbranch_vccz .LBB6_13910
; %bb.13909:                            ;   in Loop: Header=BB6_13902 Depth=4
	s_cmp_gt_i32 s75, -1
	s_cselect_b32 s13, s47, 0xff800000
	s_cmp_eq_u32 s74, 0
	s_cselect_b32 s13, s13, 0x7f800001
.LBB6_13910:                            ;   in Loop: Header=BB6_13902 Depth=4
	flat_load_i8 v6, v[0:1] th:TH_LOAD_NT
	v_mov_b32_e32 v8, 0
	s_mov_b32 s14, exec_lo
	s_wait_loadcnt_dscnt 0x0
	s_wait_xcnt 0x0
	v_cmpx_ne_u16_e32 0, v6
	s_cbranch_execz .LBB6_13920
; %bb.13911:                            ;   in Loop: Header=BB6_13902 Depth=4
	v_bfrev_b32_e32 v8, 1
	s_mov_b32 s15, exec_lo
	v_cmpx_ne_u16_e32 0xff80, v6
	s_cbranch_execz .LBB6_13919
; %bb.13912:                            ;   in Loop: Header=BB6_13902 Depth=4
	v_and_b32_e32 v8, 0x7c, v6
	v_and_b32_e32 v7, 3, v6
	s_delay_alu instid0(VALU_DEP_2) | instskip(SKIP_1) | instid1(SALU_CYCLE_1)
	v_cmp_ne_u32_e32 vcc_lo, 0x7c, v8
                                        ; implicit-def: $vgpr8
	s_and_saveexec_b32 s74, vcc_lo
	s_xor_b32 s74, exec_lo, s74
	s_cbranch_execz .LBB6_13916
; %bb.13913:                            ;   in Loop: Header=BB6_13902 Depth=4
	v_and_b32_e32 v8, 0xff, v6
	s_mov_b32 s75, exec_lo
	s_delay_alu instid0(VALU_DEP_1) | instskip(NEXT) | instid1(VALU_DEP_1)
	v_bfe_u32 v8, v8, 2, 5
	v_cmpx_eq_u32_e32 0, v8
	s_cbranch_execz .LBB6_13915
; %bb.13914:                            ;   in Loop: Header=BB6_13902 Depth=4
	v_clz_i32_u32_e32 v7, v7
	s_delay_alu instid0(VALU_DEP_1) | instskip(SKIP_1) | instid1(VALU_DEP_2)
	v_min_u32_e32 v8, 32, v7
	v_mov_b32_e32 v7, v113
	v_subrev_nc_u32_e32 v9, 29, v8
	v_sub_nc_u32_e32 v8, 30, v8
	s_delay_alu instid0(VALU_DEP_2) | instskip(NEXT) | instid1(VALU_DEP_1)
	v_lshlrev_b64_e32 v[12:13], v9, v[6:7]
	v_and_b32_e32 v7, 3, v12
.LBB6_13915:                            ;   in Loop: Header=BB6_13902 Depth=4
	s_or_b32 exec_lo, exec_lo, s75
	v_bfe_i32 v6, v6, 0, 16
	s_delay_alu instid0(VALU_DEP_1) | instskip(NEXT) | instid1(VALU_DEP_1)
	v_and_b32_e32 v6, 0x80000000, v6
	v_lshl_add_u32 v6, v8, 23, v6
	s_delay_alu instid0(VALU_DEP_1) | instskip(NEXT) | instid1(VALU_DEP_1)
	v_lshl_or_b32 v6, v7, 21, v6
                                        ; implicit-def: $vgpr7
	v_add_nc_u32_e32 v8, 0x38000000, v6
                                        ; implicit-def: $vgpr6
.LBB6_13916:                            ;   in Loop: Header=BB6_13902 Depth=4
	s_and_not1_saveexec_b32 s74, s74
; %bb.13917:                            ;   in Loop: Header=BB6_13902 Depth=4
	v_cmp_lt_i16_e32 vcc_lo, -1, v6
	v_mov_b32_e32 v6, 0x7f800000
	s_delay_alu instid0(VALU_DEP_1) | instskip(SKIP_1) | instid1(VALU_DEP_2)
	v_cndmask_b32_e32 v6, 0xff800000, v6, vcc_lo
	v_cmp_eq_u32_e32 vcc_lo, 0, v7
	v_cndmask_b32_e32 v8, 0x7f800001, v6, vcc_lo
; %bb.13918:                            ;   in Loop: Header=BB6_13902 Depth=4
	s_or_b32 exec_lo, exec_lo, s74
.LBB6_13919:                            ;   in Loop: Header=BB6_13902 Depth=4
	s_delay_alu instid0(SALU_CYCLE_1)
	s_or_b32 exec_lo, exec_lo, s15
.LBB6_13920:                            ;   in Loop: Header=BB6_13902 Depth=4
	s_delay_alu instid0(SALU_CYCLE_1) | instskip(NEXT) | instid1(VALU_DEP_1)
	s_or_b32 exec_lo, exec_lo, s14
	v_dual_mul_f32 v7, s13, v8 :: v_dual_mov_b32 v9, v113
                                        ; implicit-def: $vgpr6
	s_mov_b32 s13, exec_lo
	s_delay_alu instid0(VALU_DEP_1) | instskip(SKIP_1) | instid1(VALU_DEP_2)
	v_and_b32_e32 v8, 0x7f800000, v7
	v_and_b32_e32 v112, 0x7fffff, v7
	v_cmpx_ne_u64_e32 0x7f800000, v[8:9]
	s_xor_b32 s14, exec_lo, s13
	s_cbranch_execz .LBB6_13938
; %bb.13921:                            ;   in Loop: Header=BB6_13902 Depth=4
	v_dual_mov_b32 v9, v113 :: v_dual_lshrrev_b32 v6, 24, v7
	v_and_b32_e32 v8, 0x7fffffff, v7
	s_mov_b32 s13, exec_lo
	s_delay_alu instid0(VALU_DEP_2) | instskip(NEXT) | instid1(VALU_DEP_2)
	v_and_b32_e32 v11, 0x80, v6
                                        ; implicit-def: $vgpr6
	v_cmpx_gt_u64_e32 0x47600001, v[8:9]
	s_xor_b32 s15, exec_lo, s13
	s_cbranch_execz .LBB6_13935
; %bb.13922:                            ;   in Loop: Header=BB6_13902 Depth=4
	v_mov_b32_e32 v6, 0
	s_mov_b32 s74, exec_lo
	v_cmpx_ne_u32_e32 0, v7
	s_cbranch_execz .LBB6_13934
; %bb.13923:                            ;   in Loop: Header=BB6_13902 Depth=4
	v_bfe_u32 v12, v7, 23, 8
	v_or_b32_e32 v8, 0x800000, v112
	s_mov_b32 s75, exec_lo
	s_delay_alu instid0(VALU_DEP_2) | instskip(SKIP_1) | instid1(VALU_DEP_2)
	v_dual_mov_b32 v9, v113 :: v_dual_sub_nc_u32 v6, 0x71, v12
	v_cmp_gt_u32_e32 vcc_lo, 0x72, v12
	v_cndmask_b32_e32 v6, 0, v6, vcc_lo
	v_cmp_eq_u32_e32 vcc_lo, 0, v12
	s_delay_alu instid0(VALU_DEP_2) | instskip(NEXT) | instid1(VALU_DEP_1)
	v_cndmask_b32_e64 v13, v6, 0x70, vcc_lo
	v_dual_cndmask_b32 v8, v8, v112, vcc_lo :: v_dual_add_nc_u32 v6, 21, v13
	v_add_nc_u32_e32 v14, 20, v13
	s_delay_alu instid0(VALU_DEP_2) | instskip(NEXT) | instid1(VALU_DEP_2)
	v_lshlrev_b64_e64 v[6:7], v6, -1
	v_lshlrev_b64_e64 v[14:15], v14, 1
	s_delay_alu instid0(VALU_DEP_2) | instskip(NEXT) | instid1(VALU_DEP_3)
	v_bfi_b32 v17, v7, 0, 0
	v_bfi_b32 v16, v6, 0, v8
	v_lshrrev_b64 v[6:7], v13, v[8:9]
	s_delay_alu instid0(VALU_DEP_1) | instskip(NEXT) | instid1(VALU_DEP_3)
	v_mov_b64_e32 v[8:9], v[6:7]
	v_cmpx_eq_u64_e64 v[16:17], v[14:15]
; %bb.13924:                            ;   in Loop: Header=BB6_13902 Depth=4
	v_bfe_u32 v8, v6, 21, 1
	v_mov_b32_e32 v9, v113
	s_delay_alu instid0(VALU_DEP_1) | instskip(NEXT) | instid1(VALU_DEP_1)
	v_add_nc_u64_e32 v[8:9], v[6:7], v[8:9]
	v_add_nc_u64_e32 v[8:9], -1, v[8:9]
; %bb.13925:                            ;   in Loop: Header=BB6_13902 Depth=4
	s_or_b32 exec_lo, exec_lo, s75
	v_add_nc_u32_e32 v7, 0xffffff81, v12
	s_delay_alu instid0(VALU_DEP_2) | instskip(SKIP_2) | instid1(VALU_DEP_3)
	v_and_b32_e32 v12, 0x1fffff, v8
	v_lshrrev_b32_e32 v9, 23, v6
	s_mov_b32 s13, exec_lo
	v_cndmask_b32_e64 v7, v7, 0xffffff82, vcc_lo
	s_delay_alu instid0(VALU_DEP_3) | instskip(NEXT) | instid1(VALU_DEP_2)
	v_add_nc_u32_e32 v112, v12, v6
                                        ; implicit-def: $vgpr12
	v_add3_u32 v8, v13, v7, v9
                                        ; implicit-def: $vgpr6_vgpr7
	s_delay_alu instid0(VALU_DEP_1) | instskip(NEXT) | instid1(VALU_DEP_1)
	v_add_nc_u32_e32 v9, 14, v8
	v_cmpx_ne_u32_e32 0, v9
	s_xor_b32 s13, exec_lo, s13
; %bb.13926:                            ;   in Loop: Header=BB6_13902 Depth=4
	v_cmp_lt_u64_e32 vcc_lo, 0xffffff, v[112:113]
	v_add_nc_u32_e32 v6, 15, v8
	s_delay_alu instid0(VALU_DEP_1) | instskip(SKIP_1) | instid1(VALU_DEP_1)
	v_cndmask_b32_e32 v12, v9, v6, vcc_lo
	v_cndmask_b32_e64 v6, 0, 1, vcc_lo
	v_lshrrev_b64 v[6:7], v6, v[112:113]
; %bb.13927:                            ;   in Loop: Header=BB6_13902 Depth=4
	s_and_not1_saveexec_b32 s13, s13
; %bb.13928:                            ;   in Loop: Header=BB6_13902 Depth=4
	v_mov_b64_e32 v[6:7], v[112:113]
	v_bfe_u32 v12, v112, 23, 1
; %bb.13929:                            ;   in Loop: Header=BB6_13902 Depth=4
	s_or_b32 exec_lo, exec_lo, s13
	s_delay_alu instid0(VALU_DEP_2) | instskip(NEXT) | instid1(VALU_DEP_2)
	v_lshrrev_b64 v[6:7], 21, v[6:7]
	v_cmp_gt_i32_e32 vcc_lo, 32, v12
	v_cmp_ne_u32_e64 s13, 0, v12
	s_delay_alu instid0(VALU_DEP_3) | instskip(NEXT) | instid1(VALU_DEP_1)
	v_dual_cndmask_b32 v9, 0, v7 :: v_dual_cndmask_b32 v8, 3, v6
                                        ; implicit-def: $vgpr6
	v_cmp_ne_u64_e32 vcc_lo, 0, v[8:9]
	s_or_b32 s13, s13, vcc_lo
	s_delay_alu instid0(SALU_CYCLE_1) | instskip(NEXT) | instid1(SALU_CYCLE_1)
	s_and_saveexec_b32 s75, s13
	s_xor_b32 s13, exec_lo, s75
; %bb.13930:                            ;   in Loop: Header=BB6_13902 Depth=4
	v_min_i32_e32 v6, 31, v12
	s_delay_alu instid0(VALU_DEP_1) | instskip(NEXT) | instid1(VALU_DEP_1)
	v_lshl_or_b32 v6, v6, 2, v11
                                        ; implicit-def: $vgpr11
	v_and_or_b32 v6, v8, 3, v6
; %bb.13931:                            ;   in Loop: Header=BB6_13902 Depth=4
	s_and_not1_saveexec_b32 s13, s13
; %bb.13932:                            ;   in Loop: Header=BB6_13902 Depth=4
	v_mov_b32_e32 v6, v11
; %bb.13933:                            ;   in Loop: Header=BB6_13902 Depth=4
	s_or_b32 exec_lo, exec_lo, s13
.LBB6_13934:                            ;   in Loop: Header=BB6_13902 Depth=4
	s_delay_alu instid0(SALU_CYCLE_1)
	s_or_b32 exec_lo, exec_lo, s74
                                        ; implicit-def: $vgpr11
.LBB6_13935:                            ;   in Loop: Header=BB6_13902 Depth=4
	s_and_not1_saveexec_b32 s13, s15
; %bb.13936:                            ;   in Loop: Header=BB6_13902 Depth=4
	v_or_b32_e32 v6, 0x7b, v11
; %bb.13937:                            ;   in Loop: Header=BB6_13902 Depth=4
	s_or_b32 exec_lo, exec_lo, s13
                                        ; implicit-def: $vgpr7
.LBB6_13938:                            ;   in Loop: Header=BB6_13902 Depth=4
	s_and_not1_saveexec_b32 s13, s14
	s_cbranch_execz .LBB6_13944
; %bb.13939:                            ;   in Loop: Header=BB6_13902 Depth=4
	s_mov_b32 s14, exec_lo
                                        ; implicit-def: $vgpr6
	v_cmpx_ne_u64_e32 0, v[112:113]
	s_xor_b32 s14, exec_lo, s14
; %bb.13940:                            ;   in Loop: Header=BB6_13902 Depth=4
	v_lshrrev_b32_e32 v6, 24, v7
                                        ; implicit-def: $vgpr7
	s_delay_alu instid0(VALU_DEP_1)
	v_or_b32_e32 v6, 0x7f, v6
; %bb.13941:                            ;   in Loop: Header=BB6_13902 Depth=4
	s_and_not1_saveexec_b32 s14, s14
; %bb.13942:                            ;   in Loop: Header=BB6_13902 Depth=4
	v_cmp_lt_i32_e32 vcc_lo, -1, v7
	v_cndmask_b32_e64 v6, -4, 0x7c, vcc_lo
; %bb.13943:                            ;   in Loop: Header=BB6_13902 Depth=4
	s_or_b32 exec_lo, exec_lo, s14
.LBB6_13944:                            ;   in Loop: Header=BB6_13902 Depth=4
	s_delay_alu instid0(SALU_CYCLE_1)
	s_or_b32 exec_lo, exec_lo, s13
	flat_load_i8 v8, v[2:3] th:TH_LOAD_NT
	v_and_b32_e32 v12, 0xff, v6
	v_dual_mov_b32 v9, 0 :: v_dual_mov_b32 v7, 0
	s_mov_b32 s13, exec_lo
	s_wait_xcnt 0x0
	s_delay_alu instid0(VALU_DEP_2)
	v_cmpx_ne_u16_e32 0, v12
	s_cbranch_execz .LBB6_13954
; %bb.13945:                            ;   in Loop: Header=BB6_13902 Depth=4
	v_bfrev_b32_e32 v7, 1
	s_mov_b32 s14, exec_lo
	v_cmpx_ne_u16_e32 0x80, v12
	s_cbranch_execz .LBB6_13953
; %bb.13946:                            ;   in Loop: Header=BB6_13902 Depth=4
	v_and_b32_e32 v7, 0x7c, v6
	v_and_b32_e32 v11, 3, v6
	s_delay_alu instid0(VALU_DEP_2) | instskip(SKIP_1) | instid1(SALU_CYCLE_1)
	v_cmp_ne_u32_e32 vcc_lo, 0x7c, v7
                                        ; implicit-def: $vgpr7
	s_and_saveexec_b32 s15, vcc_lo
	s_xor_b32 s15, exec_lo, s15
	s_cbranch_execz .LBB6_13950
; %bb.13947:                            ;   in Loop: Header=BB6_13902 Depth=4
	v_bfe_u32 v7, v12, 2, 5
	s_mov_b32 s74, exec_lo
	s_delay_alu instid0(VALU_DEP_1)
	v_cmpx_eq_u32_e32 0, v7
; %bb.13948:                            ;   in Loop: Header=BB6_13902 Depth=4
	v_clz_i32_u32_e32 v7, v11
	s_delay_alu instid0(VALU_DEP_1) | instskip(SKIP_1) | instid1(VALU_DEP_2)
	v_min_u32_e32 v11, 32, v7
	v_mov_b32_e32 v7, v113
	v_subrev_nc_u32_e32 v12, 29, v11
	s_delay_alu instid0(VALU_DEP_1) | instskip(NEXT) | instid1(VALU_DEP_1)
	v_lshlrev_b64_e32 v[12:13], v12, v[6:7]
	v_dual_sub_nc_u32 v7, 30, v11 :: v_dual_bitop2_b32 v11, 3, v12 bitop3:0x40
; %bb.13949:                            ;   in Loop: Header=BB6_13902 Depth=4
	s_or_b32 exec_lo, exec_lo, s74
	v_lshlrev_b32_e32 v6, 24, v6
	s_delay_alu instid0(VALU_DEP_1) | instskip(NEXT) | instid1(VALU_DEP_1)
	v_and_b32_e32 v6, 0x80000000, v6
	v_lshl_add_u32 v6, v7, 23, v6
	s_delay_alu instid0(VALU_DEP_1) | instskip(NEXT) | instid1(VALU_DEP_1)
	v_lshl_or_b32 v6, v11, 21, v6
                                        ; implicit-def: $vgpr11
	v_add_nc_u32_e32 v7, 0x38000000, v6
                                        ; implicit-def: $vgpr6
.LBB6_13950:                            ;   in Loop: Header=BB6_13902 Depth=4
	s_and_not1_saveexec_b32 s15, s15
; %bb.13951:                            ;   in Loop: Header=BB6_13902 Depth=4
	v_bfe_i32 v6, v6, 0, 8
	s_delay_alu instid0(VALU_DEP_1) | instskip(SKIP_1) | instid1(VALU_DEP_1)
	v_cmp_lt_i16_e32 vcc_lo, -1, v6
	v_mov_b32_e32 v6, 0x7f800000
	v_cndmask_b32_e32 v6, 0xff800000, v6, vcc_lo
	v_cmp_eq_u32_e32 vcc_lo, 0, v11
	s_delay_alu instid0(VALU_DEP_2)
	v_cndmask_b32_e32 v7, 0x7f800001, v6, vcc_lo
; %bb.13952:                            ;   in Loop: Header=BB6_13902 Depth=4
	s_or_b32 exec_lo, exec_lo, s15
.LBB6_13953:                            ;   in Loop: Header=BB6_13902 Depth=4
	s_delay_alu instid0(SALU_CYCLE_1)
	s_or_b32 exec_lo, exec_lo, s14
.LBB6_13954:                            ;   in Loop: Header=BB6_13902 Depth=4
	s_delay_alu instid0(SALU_CYCLE_1) | instskip(NEXT) | instid1(SALU_CYCLE_1)
	s_or_b32 exec_lo, exec_lo, s13
	s_mov_b32 s13, exec_lo
	s_wait_loadcnt_dscnt 0x0
	v_cmpx_ne_u16_e32 0, v8
	s_cbranch_execz .LBB6_13964
; %bb.13955:                            ;   in Loop: Header=BB6_13902 Depth=4
	v_bfrev_b32_e32 v9, 1
	s_mov_b32 s14, exec_lo
	v_cmpx_ne_u16_e32 0xff80, v8
	s_cbranch_execz .LBB6_13963
; %bb.13956:                            ;   in Loop: Header=BB6_13902 Depth=4
	v_and_b32_e32 v9, 0x7c, v8
	v_and_b32_e32 v6, 3, v8
	s_delay_alu instid0(VALU_DEP_2) | instskip(SKIP_1) | instid1(SALU_CYCLE_1)
	v_cmp_ne_u32_e32 vcc_lo, 0x7c, v9
                                        ; implicit-def: $vgpr9
	s_and_saveexec_b32 s15, vcc_lo
	s_xor_b32 s15, exec_lo, s15
	s_cbranch_execz .LBB6_13960
; %bb.13957:                            ;   in Loop: Header=BB6_13902 Depth=4
	v_and_b32_e32 v9, 0xff, v8
	s_mov_b32 s74, exec_lo
	s_delay_alu instid0(VALU_DEP_1) | instskip(NEXT) | instid1(VALU_DEP_1)
	v_bfe_u32 v9, v9, 2, 5
	v_cmpx_eq_u32_e32 0, v9
; %bb.13958:                            ;   in Loop: Header=BB6_13902 Depth=4
	v_clz_i32_u32_e32 v6, v6
	v_mov_b32_e32 v9, v113
	s_delay_alu instid0(VALU_DEP_2) | instskip(NEXT) | instid1(VALU_DEP_1)
	v_min_u32_e32 v6, 32, v6
	v_subrev_nc_u32_e32 v11, 29, v6
	s_delay_alu instid0(VALU_DEP_1) | instskip(NEXT) | instid1(VALU_DEP_1)
	v_lshlrev_b64_e32 v[12:13], v11, v[8:9]
	v_dual_sub_nc_u32 v9, 30, v6 :: v_dual_bitop2_b32 v6, 3, v12 bitop3:0x40
; %bb.13959:                            ;   in Loop: Header=BB6_13902 Depth=4
	s_or_b32 exec_lo, exec_lo, s74
	v_bfe_i32 v8, v8, 0, 16
	s_delay_alu instid0(VALU_DEP_1) | instskip(NEXT) | instid1(VALU_DEP_1)
	v_and_b32_e32 v8, 0x80000000, v8
	v_lshl_add_u32 v8, v9, 23, v8
	s_delay_alu instid0(VALU_DEP_1) | instskip(NEXT) | instid1(VALU_DEP_1)
	v_lshl_or_b32 v6, v6, 21, v8
                                        ; implicit-def: $vgpr8
	v_add_nc_u32_e32 v9, 0x38000000, v6
                                        ; implicit-def: $vgpr6
.LBB6_13960:                            ;   in Loop: Header=BB6_13902 Depth=4
	s_and_not1_saveexec_b32 s15, s15
; %bb.13961:                            ;   in Loop: Header=BB6_13902 Depth=4
	v_cmp_lt_i16_e32 vcc_lo, -1, v8
	v_mov_b32_e32 v8, 0x7f800000
	s_delay_alu instid0(VALU_DEP_1) | instskip(SKIP_1) | instid1(VALU_DEP_2)
	v_cndmask_b32_e32 v8, 0xff800000, v8, vcc_lo
	v_cmp_eq_u32_e32 vcc_lo, 0, v6
	v_cndmask_b32_e32 v9, 0x7f800001, v8, vcc_lo
; %bb.13962:                            ;   in Loop: Header=BB6_13902 Depth=4
	s_or_b32 exec_lo, exec_lo, s15
.LBB6_13963:                            ;   in Loop: Header=BB6_13902 Depth=4
	s_delay_alu instid0(SALU_CYCLE_1)
	s_or_b32 exec_lo, exec_lo, s14
.LBB6_13964:                            ;   in Loop: Header=BB6_13902 Depth=4
	s_delay_alu instid0(SALU_CYCLE_1) | instskip(NEXT) | instid1(VALU_DEP_1)
	s_or_b32 exec_lo, exec_lo, s13
	v_dual_add_f32 v6, v7, v9 :: v_dual_mov_b32 v9, v113
                                        ; implicit-def: $vgpr7
	s_mov_b32 s13, exec_lo
	s_delay_alu instid0(VALU_DEP_1) | instskip(SKIP_1) | instid1(VALU_DEP_2)
	v_and_b32_e32 v8, 0x7f800000, v6
	v_and_b32_e32 v112, 0x7fffff, v6
	v_cmpx_ne_u64_e32 0x7f800000, v[8:9]
	s_xor_b32 s14, exec_lo, s13
	s_cbranch_execz .LBB6_13982
; %bb.13965:                            ;   in Loop: Header=BB6_13902 Depth=4
	v_dual_mov_b32 v9, v113 :: v_dual_lshrrev_b32 v7, 24, v6
	v_and_b32_e32 v8, 0x7fffffff, v6
	s_mov_b32 s13, exec_lo
	s_delay_alu instid0(VALU_DEP_2) | instskip(NEXT) | instid1(VALU_DEP_2)
	v_and_b32_e32 v11, 0x80, v7
                                        ; implicit-def: $vgpr7
	v_cmpx_gt_u64_e32 0x47600001, v[8:9]
	s_xor_b32 s15, exec_lo, s13
	s_cbranch_execz .LBB6_13979
; %bb.13966:                            ;   in Loop: Header=BB6_13902 Depth=4
	v_mov_b32_e32 v7, 0
	s_mov_b32 s74, exec_lo
	v_cmpx_ne_u32_e32 0, v6
	s_cbranch_execz .LBB6_13978
; %bb.13967:                            ;   in Loop: Header=BB6_13902 Depth=4
	v_bfe_u32 v12, v6, 23, 8
	v_or_b32_e32 v8, 0x800000, v112
	s_mov_b32 s75, exec_lo
	s_delay_alu instid0(VALU_DEP_2) | instskip(SKIP_1) | instid1(VALU_DEP_2)
	v_dual_mov_b32 v9, v113 :: v_dual_sub_nc_u32 v6, 0x71, v12
	v_cmp_gt_u32_e32 vcc_lo, 0x72, v12
	v_cndmask_b32_e32 v6, 0, v6, vcc_lo
	v_cmp_eq_u32_e32 vcc_lo, 0, v12
	s_delay_alu instid0(VALU_DEP_2) | instskip(NEXT) | instid1(VALU_DEP_1)
	v_cndmask_b32_e64 v13, v6, 0x70, vcc_lo
	v_dual_cndmask_b32 v8, v8, v112, vcc_lo :: v_dual_add_nc_u32 v6, 21, v13
	v_add_nc_u32_e32 v14, 20, v13
	s_delay_alu instid0(VALU_DEP_2) | instskip(NEXT) | instid1(VALU_DEP_2)
	v_lshlrev_b64_e64 v[6:7], v6, -1
	v_lshlrev_b64_e64 v[14:15], v14, 1
	s_delay_alu instid0(VALU_DEP_2) | instskip(NEXT) | instid1(VALU_DEP_3)
	v_bfi_b32 v17, v7, 0, 0
	v_bfi_b32 v16, v6, 0, v8
	v_lshrrev_b64 v[6:7], v13, v[8:9]
	s_delay_alu instid0(VALU_DEP_1) | instskip(NEXT) | instid1(VALU_DEP_3)
	v_mov_b64_e32 v[8:9], v[6:7]
	v_cmpx_eq_u64_e64 v[16:17], v[14:15]
; %bb.13968:                            ;   in Loop: Header=BB6_13902 Depth=4
	v_bfe_u32 v8, v6, 21, 1
	v_mov_b32_e32 v9, v113
	s_delay_alu instid0(VALU_DEP_1) | instskip(NEXT) | instid1(VALU_DEP_1)
	v_add_nc_u64_e32 v[8:9], v[6:7], v[8:9]
	v_add_nc_u64_e32 v[8:9], -1, v[8:9]
; %bb.13969:                            ;   in Loop: Header=BB6_13902 Depth=4
	s_or_b32 exec_lo, exec_lo, s75
	v_add_nc_u32_e32 v7, 0xffffff81, v12
	s_delay_alu instid0(VALU_DEP_2) | instskip(SKIP_2) | instid1(VALU_DEP_3)
	v_and_b32_e32 v8, 0x1fffff, v8
	v_lshrrev_b32_e32 v9, 23, v6
	s_mov_b32 s13, exec_lo
	v_cndmask_b32_e64 v7, v7, 0xffffff82, vcc_lo
	s_delay_alu instid0(VALU_DEP_3) | instskip(NEXT) | instid1(VALU_DEP_2)
	v_add_nc_u32_e32 v112, v8, v6
                                        ; implicit-def: $vgpr8
	v_add3_u32 v9, v13, v7, v9
                                        ; implicit-def: $vgpr6_vgpr7
	s_delay_alu instid0(VALU_DEP_1) | instskip(NEXT) | instid1(VALU_DEP_1)
	v_add_nc_u32_e32 v12, 14, v9
	v_cmpx_ne_u32_e32 0, v12
	s_xor_b32 s13, exec_lo, s13
; %bb.13970:                            ;   in Loop: Header=BB6_13902 Depth=4
	v_cmp_lt_u64_e32 vcc_lo, 0xffffff, v[112:113]
	v_add_nc_u32_e32 v6, 15, v9
	s_delay_alu instid0(VALU_DEP_1) | instskip(SKIP_1) | instid1(VALU_DEP_1)
	v_cndmask_b32_e32 v8, v12, v6, vcc_lo
	v_cndmask_b32_e64 v6, 0, 1, vcc_lo
	v_lshrrev_b64 v[6:7], v6, v[112:113]
; %bb.13971:                            ;   in Loop: Header=BB6_13902 Depth=4
	s_and_not1_saveexec_b32 s13, s13
; %bb.13972:                            ;   in Loop: Header=BB6_13902 Depth=4
	v_mov_b64_e32 v[6:7], v[112:113]
	v_bfe_u32 v8, v112, 23, 1
; %bb.13973:                            ;   in Loop: Header=BB6_13902 Depth=4
	s_or_b32 exec_lo, exec_lo, s13
	s_delay_alu instid0(VALU_DEP_2) | instskip(NEXT) | instid1(VALU_DEP_2)
	v_lshrrev_b64 v[6:7], 21, v[6:7]
	v_cmp_gt_i32_e32 vcc_lo, 32, v8
	v_cmp_ne_u32_e64 s13, 0, v8
	s_delay_alu instid0(VALU_DEP_3) | instskip(NEXT) | instid1(VALU_DEP_1)
	v_dual_cndmask_b32 v7, 0, v7 :: v_dual_cndmask_b32 v6, 3, v6
	v_cmp_ne_u64_e32 vcc_lo, 0, v[6:7]
                                        ; implicit-def: $vgpr7
	s_or_b32 s13, s13, vcc_lo
	s_delay_alu instid0(SALU_CYCLE_1) | instskip(NEXT) | instid1(SALU_CYCLE_1)
	s_and_saveexec_b32 s75, s13
	s_xor_b32 s13, exec_lo, s75
; %bb.13974:                            ;   in Loop: Header=BB6_13902 Depth=4
	v_min_i32_e32 v7, 31, v8
	s_delay_alu instid0(VALU_DEP_1) | instskip(NEXT) | instid1(VALU_DEP_1)
	v_lshl_or_b32 v7, v7, 2, v11
                                        ; implicit-def: $vgpr11
	v_and_or_b32 v7, v6, 3, v7
; %bb.13975:                            ;   in Loop: Header=BB6_13902 Depth=4
	s_and_not1_saveexec_b32 s13, s13
; %bb.13976:                            ;   in Loop: Header=BB6_13902 Depth=4
	v_mov_b32_e32 v7, v11
; %bb.13977:                            ;   in Loop: Header=BB6_13902 Depth=4
	s_or_b32 exec_lo, exec_lo, s13
.LBB6_13978:                            ;   in Loop: Header=BB6_13902 Depth=4
	s_delay_alu instid0(SALU_CYCLE_1)
	s_or_b32 exec_lo, exec_lo, s74
                                        ; implicit-def: $vgpr11
.LBB6_13979:                            ;   in Loop: Header=BB6_13902 Depth=4
	s_and_not1_saveexec_b32 s13, s15
; %bb.13980:                            ;   in Loop: Header=BB6_13902 Depth=4
	v_or_b32_e32 v7, 0x7b, v11
; %bb.13981:                            ;   in Loop: Header=BB6_13902 Depth=4
	s_or_b32 exec_lo, exec_lo, s13
                                        ; implicit-def: $vgpr6
.LBB6_13982:                            ;   in Loop: Header=BB6_13902 Depth=4
	s_and_not1_saveexec_b32 s13, s14
	s_cbranch_execz .LBB6_13901
; %bb.13983:                            ;   in Loop: Header=BB6_13902 Depth=4
	s_mov_b32 s14, exec_lo
                                        ; implicit-def: $vgpr7
	v_cmpx_ne_u64_e32 0, v[112:113]
	s_xor_b32 s14, exec_lo, s14
; %bb.13984:                            ;   in Loop: Header=BB6_13902 Depth=4
	v_lshrrev_b32_e32 v6, 24, v6
	s_delay_alu instid0(VALU_DEP_1)
	v_or_b32_e32 v7, 0x7f, v6
                                        ; implicit-def: $vgpr6
; %bb.13985:                            ;   in Loop: Header=BB6_13902 Depth=4
	s_and_not1_saveexec_b32 s14, s14
	s_cbranch_execz .LBB6_13900
; %bb.13986:                            ;   in Loop: Header=BB6_13902 Depth=4
	v_cmp_lt_i32_e32 vcc_lo, -1, v6
	v_cndmask_b32_e64 v7, -4, 0x7c, vcc_lo
	s_branch .LBB6_13900
.LBB6_13987:                            ;   in Loop: Header=BB6_5746 Depth=3
	s_or_b32 exec_lo, exec_lo, s72
	v_cmp_lt_i32_e64 s13, 0, v63
	s_clause 0x1
	scratch_load_b64 v[10:11], off, s33 offset:344
	scratch_load_b64 v[12:13], off, s33 offset:352
	s_wait_xcnt 0x0
	s_and_saveexec_b32 s14, s2
	s_cbranch_execnz .LBB6_13988
; %bb.31208:                            ;   in Loop: Header=BB6_5746 Depth=3
	s_add_pc_i64 .LBB6_5821-.Lpost_addpc74
.Lpost_addpc74:
.LBB6_13988:                            ;   in Loop: Header=BB6_5746 Depth=3
	s_and_saveexec_b32 s15, s3
	s_delay_alu instid0(SALU_CYCLE_1)
	s_xor_b32 s15, exec_lo, s15
	s_cbranch_execz .LBB6_14003
; %bb.13989:                            ;   in Loop: Header=BB6_5746 Depth=3
	s_and_saveexec_b32 s72, s6
	s_cbranch_execz .LBB6_14002
; %bb.13990:                            ;   in Loop: Header=BB6_5746 Depth=3
	s_mov_b32 s74, exec_lo
	s_mov_b32 s73, exec_lo
	v_mbcnt_lo_u32_b32 v0, s74, 0
	global_wb scope:SCOPE_DEV
	s_wait_storecnt 0x0
	s_wait_loadcnt_dscnt 0x0
	global_inv scope:SCOPE_DEV
	v_cmpx_eq_u32_e32 0, v0
	s_cbranch_execz .LBB6_13992
; %bb.13991:                            ;   in Loop: Header=BB6_5746 Depth=3
	s_bcnt1_i32_b32 s74, s74
	s_delay_alu instid0(SALU_CYCLE_1)
	v_dual_mov_b32 v1, v113 :: v_dual_mov_b32 v0, s74
	s_wait_loadcnt 0x0
	ds_add_u64 v0, v[0:1]
	s_trap 2
.LBB6_13992:                            ;   in Loop: Header=BB6_5746 Depth=3
	s_or_b32 exec_lo, exec_lo, s73
	s_trap 2
	ds_load_b64 v[0:1], v0
	s_wait_dscnt 0x0
	s_clause 0x1
	scratch_load_b64 v[2:3], off, s33 offset:208 th:TH_LOAD_LU
	scratch_load_b64 v[4:5], off, s33 offset:272
	s_mov_b32 s73, exec_lo
	s_wait_loadcnt 0x0
	v_add_nc_u64_e32 v[2:3], v[2:3], v[4:5]
	scratch_store_b64 off, v[2:3], s33 offset:208 ; 8-byte Folded Spill
	s_wait_xcnt 0x0
	v_cmpx_lt_u64_e64 v[0:1], v[2:3]
	s_cbranch_execz .LBB6_14001
; %bb.13993:                            ;   in Loop: Header=BB6_5746 Depth=3
	s_mov_b32 s74, 0
	s_mov_b32 s77, 0
                                        ; implicit-def: $sgpr75
                                        ; implicit-def: $sgpr76
	s_branch .LBB6_13995
.LBB6_13994:                            ;   in Loop: Header=BB6_13995 Depth=4
	s_wait_xcnt 0x0
	s_or_b32 exec_lo, exec_lo, s79
	s_delay_alu instid0(SALU_CYCLE_1) | instskip(NEXT) | instid1(SALU_CYCLE_1)
	s_and_b32 s78, exec_lo, s88
	s_or_b32 s74, s78, s74
	s_and_not1_b32 s75, s75, exec_lo
	s_and_b32 s78, s76, exec_lo
	s_delay_alu instid0(SALU_CYCLE_1)
	s_or_b32 s75, s75, s78
	s_and_not1_b32 exec_lo, exec_lo, s74
	s_cbranch_execz .LBB6_13999
.LBB6_13995:                            ;   Parent Loop BB6_47 Depth=1
                                        ;     Parent Loop BB6_5743 Depth=2
                                        ;       Parent Loop BB6_5746 Depth=3
                                        ; =>      This Inner Loop Header: Depth=4
	s_add_co_i32 s77, s77, 1
	s_delay_alu instid0(SALU_CYCLE_1) | instskip(SKIP_1) | instid1(SALU_CYCLE_1)
	s_cmp_lg_u32 s77, 0x2710
	s_cselect_b32 s78, -1, 0
	s_and_b32 vcc_lo, exec_lo, s78
	s_cbranch_vccz .LBB6_13997
; %bb.13996:                            ;   in Loop: Header=BB6_13995 Depth=4
	s_mov_b32 s88, -1
	s_or_b32 s76, s76, exec_lo
	s_and_saveexec_b32 s79, s78
	s_cbranch_execz .LBB6_13994
	s_branch .LBB6_13998
.LBB6_13997:                            ;   in Loop: Header=BB6_13995 Depth=4
	s_trap 2
	ds_load_b64 v[0:1], v0
	s_and_not1_b32 s78, s78, exec_lo
	s_mov_b32 s77, 0
	s_wait_storecnt_dscnt 0x0
	flat_load_b32 v0, v[0:1] scope:SCOPE_SYS
	s_wait_loadcnt_dscnt 0x0
	global_inv scope:SCOPE_SYS
	v_cmp_eq_u32_e32 vcc_lo, 0, v0
	s_and_b32 s79, vcc_lo, exec_lo
	s_delay_alu instid0(SALU_CYCLE_1)
	s_or_b32 s78, s78, s79
	s_mov_b32 s88, -1
	s_or_b32 s76, s76, exec_lo
	s_wait_xcnt 0x0
	s_and_saveexec_b32 s79, s78
	s_cbranch_execz .LBB6_13994
.LBB6_13998:                            ;   in Loop: Header=BB6_13995 Depth=4
	s_sleep 1
	s_trap 2
	ds_load_b64 v[0:1], v0
	s_wait_dscnt 0x0
	scratch_load_b64 v[2:3], off, s33 offset:208 ; 8-byte Folded Reload
	s_and_not1_b32 s76, s76, exec_lo
	s_wait_loadcnt 0x0
	v_cmp_ge_u64_e32 vcc_lo, v[0:1], v[2:3]
	s_or_not1_b32 s88, vcc_lo, exec_lo
	s_branch .LBB6_13994
.LBB6_13999:                            ;   in Loop: Header=BB6_5746 Depth=3
	s_or_b32 exec_lo, exec_lo, s74
	s_and_saveexec_b32 s74, s75
	s_delay_alu instid0(SALU_CYCLE_1)
	s_xor_b32 s74, exec_lo, s74
	s_cbranch_execz .LBB6_14001
; %bb.14000:                            ;   in Loop: Header=BB6_5746 Depth=3
	v_mov_b32_e32 v0, 1
	ds_store_b32 v0, v0
	s_trap 2
.LBB6_14001:                            ;   in Loop: Header=BB6_5746 Depth=3
	s_or_b32 exec_lo, exec_lo, s73
	;;#ASMSTART
	s_wakeup
	;;#ASMEND
.LBB6_14002:                            ;   in Loop: Header=BB6_5746 Depth=3
	s_or_b32 exec_lo, exec_lo, s72
.LBB6_14003:                            ;   in Loop: Header=BB6_5746 Depth=3
	s_and_not1_saveexec_b32 s15, s15
	s_cbranch_execz .LBB6_14005
; %bb.14004:                            ;   in Loop: Header=BB6_5746 Depth=3
	global_wb scope:SCOPE_DEV
	s_wait_storecnt 0x0
	s_wait_loadcnt_dscnt 0x0
	global_inv scope:SCOPE_DEV
	s_barrier_signal -1
	s_barrier_wait -1
.LBB6_14005:                            ;   in Loop: Header=BB6_5746 Depth=3
	s_or_b32 exec_lo, exec_lo, s15
	s_delay_alu instid0(SALU_CYCLE_1) | instskip(SKIP_1) | instid1(SALU_CYCLE_1)
	s_or_b32 exec_lo, exec_lo, s14
                                        ; implicit-def: $vgpr0
	s_and_saveexec_b32 s14, s12
	s_xor_b32 s14, exec_lo, s14
	s_cbranch_execz .LBB6_14006
; %bb.31210:                            ;   in Loop: Header=BB6_5746 Depth=3
	s_add_pc_i64 .LBB6_5822-.Lpost_addpc75
.Lpost_addpc75:
.LBB6_14006:                            ;   in Loop: Header=BB6_5746 Depth=3
	s_and_not1_saveexec_b32 s13, s14
	s_cbranch_execz .LBB6_14025
.LBB6_14007:                            ;   in Loop: Header=BB6_5746 Depth=3
	s_and_saveexec_b32 s14, s3
	s_delay_alu instid0(SALU_CYCLE_1)
	s_xor_b32 s14, exec_lo, s14
	s_cbranch_execz .LBB6_14022
; %bb.14008:                            ;   in Loop: Header=BB6_5746 Depth=3
	s_and_saveexec_b32 s15, s6
	s_cbranch_execz .LBB6_14021
; %bb.14009:                            ;   in Loop: Header=BB6_5746 Depth=3
	s_mov_b32 s73, exec_lo
	s_mov_b32 s72, exec_lo
	v_mbcnt_lo_u32_b32 v0, s73, 0
	;;#ASMSTART
	s_waitcnt lgkmcnt(0) vmcnt(0)
	;;#ASMEND
	s_delay_alu instid0(VALU_DEP_1)
	v_cmpx_eq_u32_e32 0, v0
	s_cbranch_execz .LBB6_14011
; %bb.14010:                            ;   in Loop: Header=BB6_5746 Depth=3
	s_bcnt1_i32_b32 s73, s73
	s_delay_alu instid0(SALU_CYCLE_1)
	v_dual_mov_b32 v1, v113 :: v_dual_mov_b32 v0, s73
	s_wait_storecnt 0x0
	s_wait_loadcnt_dscnt 0x0
	ds_add_u64 v0, v[0:1]
	s_trap 2
.LBB6_14011:                            ;   in Loop: Header=BB6_5746 Depth=3
	s_or_b32 exec_lo, exec_lo, s72
	s_trap 2
	ds_load_b64 v[0:1], v0
	s_wait_dscnt 0x0
	scratch_load_b64 v[2:3], off, s33 offset:208 th:TH_LOAD_LU ; 8-byte Folded Reload
	s_wait_loadcnt 0x3
	scratch_load_b64 v[4:5], off, s33 offset:272 ; 8-byte Folded Reload
	s_mov_b32 s72, exec_lo
	s_wait_loadcnt 0x0
	v_add_nc_u64_e32 v[2:3], v[2:3], v[4:5]
	scratch_store_b64 off, v[2:3], s33 offset:208 ; 8-byte Folded Spill
	s_wait_xcnt 0x0
	v_cmpx_lt_u64_e64 v[0:1], v[2:3]
	s_cbranch_execz .LBB6_14020
; %bb.14012:                            ;   in Loop: Header=BB6_5746 Depth=3
	s_mov_b32 s73, 0
	s_mov_b32 s76, 0
                                        ; implicit-def: $sgpr74
                                        ; implicit-def: $sgpr75
	s_branch .LBB6_14014
.LBB6_14013:                            ;   in Loop: Header=BB6_14014 Depth=4
	s_wait_xcnt 0x0
	s_or_b32 exec_lo, exec_lo, s78
	s_delay_alu instid0(SALU_CYCLE_1) | instskip(NEXT) | instid1(SALU_CYCLE_1)
	s_and_b32 s77, exec_lo, s79
	s_or_b32 s73, s77, s73
	s_and_not1_b32 s74, s74, exec_lo
	s_and_b32 s77, s75, exec_lo
	s_delay_alu instid0(SALU_CYCLE_1)
	s_or_b32 s74, s74, s77
	s_and_not1_b32 exec_lo, exec_lo, s73
	s_cbranch_execz .LBB6_14018
.LBB6_14014:                            ;   Parent Loop BB6_47 Depth=1
                                        ;     Parent Loop BB6_5743 Depth=2
                                        ;       Parent Loop BB6_5746 Depth=3
                                        ; =>      This Inner Loop Header: Depth=4
	s_add_co_i32 s76, s76, 1
	s_delay_alu instid0(SALU_CYCLE_1) | instskip(SKIP_1) | instid1(SALU_CYCLE_1)
	s_cmp_lg_u32 s76, 0x2710
	s_cselect_b32 s77, -1, 0
	s_and_b32 vcc_lo, exec_lo, s77
	s_cbranch_vccz .LBB6_14016
; %bb.14015:                            ;   in Loop: Header=BB6_14014 Depth=4
	s_mov_b32 s79, -1
	s_or_b32 s75, s75, exec_lo
	s_and_saveexec_b32 s78, s77
	s_cbranch_execz .LBB6_14013
	s_branch .LBB6_14017
.LBB6_14016:                            ;   in Loop: Header=BB6_14014 Depth=4
	s_trap 2
	ds_load_b64 v[0:1], v0
	s_and_not1_b32 s77, s77, exec_lo
	s_mov_b32 s76, 0
	s_wait_storecnt_dscnt 0x0
	flat_load_b32 v0, v[0:1] scope:SCOPE_SYS
	s_wait_loadcnt_dscnt 0x0
	global_inv scope:SCOPE_SYS
	v_cmp_eq_u32_e32 vcc_lo, 0, v0
	s_and_b32 s78, vcc_lo, exec_lo
	s_delay_alu instid0(SALU_CYCLE_1)
	s_or_b32 s77, s77, s78
	s_mov_b32 s79, -1
	s_or_b32 s75, s75, exec_lo
	s_wait_xcnt 0x0
	s_and_saveexec_b32 s78, s77
	s_cbranch_execz .LBB6_14013
.LBB6_14017:                            ;   in Loop: Header=BB6_14014 Depth=4
	s_sleep 1
	s_trap 2
	ds_load_b64 v[0:1], v0
	s_wait_dscnt 0x0
	scratch_load_b64 v[2:3], off, s33 offset:208 ; 8-byte Folded Reload
	s_and_not1_b32 s75, s75, exec_lo
	s_wait_loadcnt 0x0
	v_cmp_ge_u64_e32 vcc_lo, v[0:1], v[2:3]
	s_or_not1_b32 s79, vcc_lo, exec_lo
	s_branch .LBB6_14013
.LBB6_14018:                            ;   in Loop: Header=BB6_5746 Depth=3
	s_or_b32 exec_lo, exec_lo, s73
	s_and_saveexec_b32 s73, s74
	s_delay_alu instid0(SALU_CYCLE_1)
	s_xor_b32 s73, exec_lo, s73
	s_cbranch_execz .LBB6_14020
; %bb.14019:                            ;   in Loop: Header=BB6_5746 Depth=3
	v_mov_b32_e32 v0, 1
	ds_store_b32 v0, v0
	s_trap 2
.LBB6_14020:                            ;   in Loop: Header=BB6_5746 Depth=3
	s_or_b32 exec_lo, exec_lo, s72
	;;#ASMSTART
	s_wakeup
	;;#ASMEND
.LBB6_14021:                            ;   in Loop: Header=BB6_5746 Depth=3
	s_or_b32 exec_lo, exec_lo, s15
.LBB6_14022:                            ;   in Loop: Header=BB6_5746 Depth=3
	s_and_not1_saveexec_b32 s14, s14
	s_cbranch_execz .LBB6_14024
; %bb.14023:                            ;   in Loop: Header=BB6_5746 Depth=3
	;;#ASMSTART
	s_waitcnt lgkmcnt(0) vmcnt(0)
	;;#ASMEND
	s_barrier_signal -1
	s_barrier_wait -1
.LBB6_14024:                            ;   in Loop: Header=BB6_5746 Depth=3
	s_or_b32 exec_lo, exec_lo, s14
	scratch_load_b32 v0, off, s33 offset:204 ; 4-byte Folded Reload
	s_wait_loadcnt 0x0
	v_and_b32_e32 v0, 16, v0
.LBB6_14025:                            ;   in Loop: Header=BB6_5746 Depth=3
	s_wait_xcnt 0x0
	s_or_b32 exec_lo, exec_lo, s13
	s_delay_alu instid0(VALU_DEP_1) | instskip(SKIP_1) | instid1(SALU_CYCLE_1)
	v_cmp_ne_u32_e32 vcc_lo, 0, v0
	s_xor_b32 s13, s4, -1
	s_and_b32 s14, vcc_lo, s13
	s_delay_alu instid0(SALU_CYCLE_1)
	s_and_saveexec_b32 s13, s14
	s_cbranch_execz .LBB6_14027
; %bb.14026:                            ;   in Loop: Header=BB6_5746 Depth=3
	scratch_load_b64 v[0:1], off, s33 offset:328 ; 8-byte Folded Reload
	v_mov_b32_e32 v2, 1
	global_wb scope:SCOPE_SYS
	s_wait_storecnt 0x0
	s_wait_xcnt 0x0
	s_wait_loadcnt_dscnt 0x0
	flat_store_b32 v[0:1], v2 scope:SCOPE_SYS
.LBB6_14027:                            ;   in Loop: Header=BB6_5746 Depth=3
	s_wait_xcnt 0x0
	s_or_b32 exec_lo, exec_lo, s13
	scratch_load_b32 v0, off, s33 offset:204 ; 4-byte Folded Reload
	s_mov_b32 s13, exec_lo
	s_wait_loadcnt 0x0
	v_and_b32_e32 v0, 48, v0
	s_wait_xcnt 0x0
	s_delay_alu instid0(VALU_DEP_1)
	v_cmpx_ne_u32_e32 0, v0
	s_cbranch_execnz .LBB6_14028
; %bb.31212:                            ;   in Loop: Header=BB6_5746 Depth=3
	s_add_pc_i64 .LBB6_5745-.Lpost_addpc76
.Lpost_addpc76:
.LBB6_14028:                            ;   in Loop: Header=BB6_5746 Depth=3
	s_clause 0x1
	scratch_load_b64 v[2:3], off, s33 offset:264 th:TH_LOAD_LU
	scratch_load_b64 v[0:1], off, s33 offset:196
	s_wait_loadcnt 0x1
	v_add_nc_u64_e32 v[2:3], 2, v[2:3]
	scratch_store_b64 off, v[2:3], s33 offset:264 ; 8-byte Folded Spill
	global_wb scope:SCOPE_SYS
	s_wait_storecnt 0x0
	s_wait_xcnt 0x0
	s_wait_loadcnt_dscnt 0x0
	flat_store_b64 v[0:1], v[2:3] scope:SCOPE_SYS
; %bb.31156:                            ;   in Loop: Header=BB6_5746 Depth=3
	s_add_pc_i64 .LBB6_5745-.Lpost_addpc48
.Lpost_addpc48:
.LBB6_14029:                            ;   in Loop: Header=BB6_5743 Depth=2
	s_or_b32 exec_lo, exec_lo, s42
.LBB6_14030:                            ;   in Loop: Header=BB6_5743 Depth=2
	s_delay_alu instid0(SALU_CYCLE_1) | instskip(NEXT) | instid1(SALU_CYCLE_1)
	s_or_b32 exec_lo, exec_lo, s29
	s_mov_b32 s14, exec_lo
	v_cmpx_gt_i32_e32 2, v0
	s_cbranch_execnz .LBB6_14031
; %bb.31214:                            ;   in Loop: Header=BB6_5743 Depth=2
	s_add_pc_i64 .LBB6_5742-.Lpost_addpc77
.Lpost_addpc77:
.LBB6_14031:                            ;   in Loop: Header=BB6_5743 Depth=2
	v_cmp_eq_u32_e64 s29, 0, v0
	s_mov_b32 s15, 0
	s_branch .LBB6_14033
.LBB6_14032:                            ;   in Loop: Header=BB6_14033 Depth=3
	s_wait_xcnt 0x0
	s_or_b32 exec_lo, exec_lo, s13
	v_add_nc_u32_e32 v12, v10, v12
	s_mov_b32 s29, 0
	s_and_not1_b32 exec_lo, exec_lo, s15
	s_cbranch_execnz .LBB6_14033
; %bb.31216:                            ;   in Loop: Header=BB6_5743 Depth=2
	s_add_pc_i64 .LBB6_5741-.Lpost_addpc78
.Lpost_addpc78:
.LBB6_14033:                            ;   Parent Loop BB6_47 Depth=1
                                        ;     Parent Loop BB6_5743 Depth=2
                                        ; =>    This Loop Header: Depth=3
                                        ;         Child Loop BB6_14039 Depth 4
                                        ;         Child Loop BB6_14067 Depth 4
	;; [unrolled: 1-line block ×3, first 2 shown]
	scratch_load_b32 v1, off, s33 offset:204 ; 4-byte Folded Reload
	v_sub_nc_u32_e32 v0, v61, v12
	s_mov_b32 s42, exec_lo
	s_wait_loadcnt 0x0
	v_and_b32_e32 v1, 12, v1
	s_delay_alu instid0(VALU_DEP_2) | instskip(SKIP_1) | instid1(VALU_DEP_2)
	v_min_i32_e32 v10, v10, v0
	s_wait_xcnt 0x0
	v_cmpx_ne_u32_e32 0, v1
	s_cbranch_execz .LBB6_14059
; %bb.14034:                            ;   in Loop: Header=BB6_14033 Depth=3
	scratch_load_b32 v0, off, s33 offset:204 ; 4-byte Folded Reload
	s_mov_b32 s43, exec_lo
	s_wait_loadcnt 0x0
	v_dual_mov_b32 v3, v113 :: v_dual_bitop2_b32 v2, 8, v0 bitop3:0x40
	scratch_load_b64 v[0:1], off, s33 offset:188 ; 8-byte Folded Reload
	s_wait_loadcnt 0x0
	v_add_nc_u64_e32 v[4:5], v[0:1], v[2:3]
	scratch_load_b64 v[0:1], off, s33 offset:264 ; 8-byte Folded Reload
	s_wait_loadcnt 0x0
	v_add_nc_u64_e32 v[0:1], 2, v[0:1]
	s_wait_xcnt 0x0
	s_delay_alu instid0(VALU_DEP_1)
	v_cmpx_lt_u64_e64 v[4:5], v[0:1]
	s_cbranch_execz .LBB6_14046
; %bb.14035:                            ;   in Loop: Header=BB6_14033 Depth=3
	scratch_load_b32 v4, off, s33 offset:204 ; 4-byte Folded Reload
	s_mov_b32 s63, 0
	s_mov_b32 s75, 0
                                        ; implicit-def: $sgpr72
                                        ; implicit-def: $sgpr73
                                        ; implicit-def: $sgpr74
	s_wait_loadcnt 0x0
	v_and_b32_e32 v4, 64, v4
	s_delay_alu instid0(VALU_DEP_1)
	v_cmp_eq_u32_e32 vcc_lo, 0, v4
	s_branch .LBB6_14039
.LBB6_14036:                            ;   in Loop: Header=BB6_14039 Depth=4
	scratch_load_b64 v[6:7], off, s33 offset:188 ; 8-byte Folded Reload
	s_or_b32 s78, s78, exec_lo
	s_wait_loadcnt 0x0
	v_add_nc_u64_e32 v[6:7], v[6:7], v[2:3]
	s_delay_alu instid0(VALU_DEP_1)
	v_cmp_ge_u64_e64 s13, v[6:7], v[0:1]
	s_or_not1_b32 s77, s13, exec_lo
.LBB6_14037:                            ;   in Loop: Header=BB6_14039 Depth=4
	s_wait_xcnt 0x0
	s_or_b32 exec_lo, exec_lo, s88
	s_delay_alu instid0(SALU_CYCLE_1)
	s_and_not1_b32 s13, s74, exec_lo
	s_and_b32 s74, s78, exec_lo
	s_and_not1_b32 s73, s73, exec_lo
	s_and_b32 s77, s77, exec_lo
	s_or_b32 s74, s13, s74
	s_or_b32 s73, s73, s77
.LBB6_14038:                            ;   in Loop: Header=BB6_14039 Depth=4
	s_or_b32 exec_lo, exec_lo, s76
	s_delay_alu instid0(SALU_CYCLE_1) | instskip(NEXT) | instid1(SALU_CYCLE_1)
	s_and_b32 s13, exec_lo, s73
	s_or_b32 s63, s13, s63
	s_and_not1_b32 s13, s72, exec_lo
	s_and_b32 s72, s74, exec_lo
	s_delay_alu instid0(SALU_CYCLE_1)
	s_or_b32 s72, s13, s72
	s_and_not1_b32 exec_lo, exec_lo, s63
	s_cbranch_execz .LBB6_14043
.LBB6_14039:                            ;   Parent Loop BB6_47 Depth=1
                                        ;     Parent Loop BB6_5743 Depth=2
                                        ;       Parent Loop BB6_14033 Depth=3
                                        ; =>      This Inner Loop Header: Depth=4
	s_sleep 1
	scratch_load_b64 v[4:5], off, s33 offset:196 ; 8-byte Folded Reload
	s_or_b32 s74, s74, exec_lo
	s_or_b32 s73, s73, exec_lo
	s_wait_loadcnt 0x0
	flat_load_b64 v[4:5], v[4:5] scope:SCOPE_SYS
	s_wait_loadcnt_dscnt 0x0
	scratch_store_b64 off, v[4:5], s33 offset:188 ; 8-byte Folded Spill
                                        ; implicit-def: $vgpr4
	s_wait_xcnt 0x0
	s_and_saveexec_b32 s76, vcc_lo
	s_cbranch_execz .LBB6_14038
; %bb.14040:                            ;   in Loop: Header=BB6_14039 Depth=4
	s_cmp_lt_i32 s75, 0x270f
	s_mov_b32 s77, -1
	s_cselect_b32 s79, -1, 0
	s_cmp_gt_i32 s75, 0x270e
	s_cbranch_scc0 .LBB6_14042
; %bb.14041:                            ;   in Loop: Header=BB6_14039 Depth=4
	s_trap 2
	ds_load_b64 v[4:5], v0
	s_and_not1_b32 s75, s79, exec_lo
	s_mov_b32 s78, 0
	s_wait_storecnt_dscnt 0x0
	flat_load_b32 v4, v[4:5] scope:SCOPE_SYS
	s_wait_loadcnt_dscnt 0x0
	global_inv scope:SCOPE_SYS
	v_cmp_eq_u32_e64 s13, 0, v4
	s_and_b32 s13, s13, exec_lo
	s_delay_alu instid0(SALU_CYCLE_1)
	s_or_b32 s79, s75, s13
	s_mov_b32 s75, 0
	s_wait_xcnt 0x0
	s_and_saveexec_b32 s88, s79
	s_cbranch_execz .LBB6_14037
	s_branch .LBB6_14036
.LBB6_14042:                            ;   in Loop: Header=BB6_14039 Depth=4
	s_add_co_i32 s75, s75, 1
	s_mov_b32 s78, -1
                                        ; implicit-def: $vgpr4
	s_and_saveexec_b32 s88, s79
	s_cbranch_execz .LBB6_14037
	s_branch .LBB6_14036
.LBB6_14043:                            ;   in Loop: Header=BB6_14033 Depth=3
	s_or_b32 exec_lo, exec_lo, s63
	s_xor_b32 s13, s72, -1
	s_delay_alu instid0(SALU_CYCLE_1) | instskip(NEXT) | instid1(SALU_CYCLE_1)
	s_and_saveexec_b32 s63, s13
	s_xor_b32 s13, exec_lo, s63
	s_cbranch_execz .LBB6_14045
; %bb.14044:                            ;   in Loop: Header=BB6_14033 Depth=3
	scratch_load_b32 v3, off, s33 offset:204 ; 4-byte Folded Reload
	s_wait_loadcnt 0x0
	v_or_b32_e32 v3, 64, v3
	scratch_store_b32 off, v3, s33 offset:204 ; 4-byte Folded Spill
	s_wait_storecnt 0x0
	ds_store_b32 v0, v4
	s_trap 2
.LBB6_14045:                            ;   in Loop: Header=BB6_14033 Depth=3
	s_wait_xcnt 0x0
	s_or_b32 exec_lo, exec_lo, s13
.LBB6_14046:                            ;   in Loop: Header=BB6_14033 Depth=3
	s_delay_alu instid0(SALU_CYCLE_1)
	s_or_b32 exec_lo, exec_lo, s43
	scratch_load_b32 v3, off, s33 offset:204 ; 4-byte Folded Reload
	s_mov_b32 s13, exec_lo
	;;#ASMSTART
	s_wakeup
	;;#ASMEND
                                        ; implicit-def: $vgpr4_vgpr5
	s_wait_loadcnt 0x0
	v_and_b32_e32 v3, 0x108, v3
	s_wait_xcnt 0x0
	s_delay_alu instid0(VALU_DEP_1)
	v_cmpx_ne_u32_e32 0x108, v3
	s_xor_b32 s13, exec_lo, s13
	s_cbranch_execz .LBB6_14048
; %bb.14047:                            ;   in Loop: Header=BB6_14033 Depth=3
	scratch_load_b64 v[4:5], off, s33 offset:264 th:TH_LOAD_LU ; 8-byte Folded Reload
                                        ; implicit-def: $vgpr6_vgpr7
                                        ; kill: killed $vgpr6_vgpr7
	s_wait_loadcnt 0x0
	v_dual_mov_b32 v5, v113 :: v_dual_bitop2_b32 v4, 7, v4 bitop3:0x40
.LBB6_14048:                            ;   in Loop: Header=BB6_14033 Depth=3
	s_wait_xcnt 0x0
	s_and_not1_saveexec_b32 s13, s13
	s_cbranch_execz .LBB6_14050
; %bb.14049:                            ;   in Loop: Header=BB6_14033 Depth=3
	s_clause 0x1
	scratch_load_b64 v[4:5], off, s33 offset:264 th:TH_LOAD_LU
	scratch_load_b128 v[6:9], off, s33 offset:312
	s_wait_loadcnt 0x1
	v_dual_mov_b32 v5, v113 :: v_dual_ashrrev_i32 v11, 31, v10
	v_and_b32_e32 v4, 7, v4
	s_wait_loadcnt 0x0
	s_delay_alu instid0(VALU_DEP_1)
	v_mad_nc_u64_u32 v[6:7], v4, 24, v[6:7]
	flat_store_b64 v[6:7], v[10:11] offset:8
.LBB6_14050:                            ;   in Loop: Header=BB6_14033 Depth=3
	s_wait_xcnt 0x0
	s_or_b32 exec_lo, exec_lo, s13
	scratch_load_b32 v3, off, s33 offset:204 ; 4-byte Folded Reload
	s_mov_b32 s13, -1
	s_mov_b32 s43, exec_lo
                                        ; implicit-def: $vgpr6_vgpr7
	s_wait_loadcnt 0x0
	v_and_b32_e32 v3, 0x100, v3
	s_wait_xcnt 0x0
	s_delay_alu instid0(VALU_DEP_1)
	v_cmpx_ne_u32_e32 0, v3
	s_cbranch_execz .LBB6_14054
; %bb.14051:                            ;   in Loop: Header=BB6_14033 Depth=3
	scratch_load_b128 v[6:9], off, s33 offset:312 ; 16-byte Folded Reload
	s_mov_b32 s63, exec_lo
	s_wait_loadcnt 0x0
	v_mad_nc_u64_u32 v[8:9], v4, 24, v[6:7]
                                        ; implicit-def: $vgpr6_vgpr7
	s_delay_alu instid0(VALU_DEP_1)
	v_mad_u32 v9, v5, 24, v9
	flat_load_b32 v3, v[8:9]
	s_wait_loadcnt_dscnt 0x0
	v_cmp_ne_u32_e32 vcc_lo, 1, v3
	s_wait_xcnt 0x0
	v_cmpx_eq_u32_e32 1, v3
	s_cbranch_execz .LBB6_14053
; %bb.14052:                            ;   in Loop: Header=BB6_14033 Depth=3
	flat_load_b32 v6, v[8:9] offset:4 scope:SCOPE_SYS
	s_wait_loadcnt_dscnt 0x0
	v_ashrrev_i32_e32 v7, 31, v6
.LBB6_14053:                            ;   in Loop: Header=BB6_14033 Depth=3
	s_wait_xcnt 0x0
	s_or_b32 exec_lo, exec_lo, s63
	s_delay_alu instid0(SALU_CYCLE_1)
	s_or_not1_b32 s13, vcc_lo, exec_lo
.LBB6_14054:                            ;   in Loop: Header=BB6_14033 Depth=3
	s_or_b32 exec_lo, exec_lo, s43
	s_and_saveexec_b32 s43, s13
	s_cbranch_execz .LBB6_14056
; %bb.14055:                            ;   in Loop: Header=BB6_14033 Depth=3
	scratch_load_b64 v[6:7], off, s33 offset:360 ; 8-byte Folded Reload
	s_wait_loadcnt 0x0
	v_mul_u64_e32 v[6:7], v[4:5], v[6:7]
.LBB6_14056:                            ;   in Loop: Header=BB6_14033 Depth=3
	s_wait_xcnt 0x0
	s_or_b32 exec_lo, exec_lo, s43
	v_cmp_eq_u32_e32 vcc_lo, 0, v2
	v_mov_b32_e32 v2, 0x90
	s_mov_b32 s13, exec_lo
	s_delay_alu instid0(VALU_DEP_1)
	v_cndmask_b32_e32 v4, 0xc8, v2, vcc_lo
	scratch_load_b32 v2, off, s33 offset:204 ; 4-byte Folded Reload
	v_add_nc_u32_e32 v4, v0, v4
	s_wait_loadcnt 0x0
	v_and_b32_e32 v5, 0x2000, v2
	scratch_load_b64 v[2:3], off, s33 offset:304 ; 8-byte Folded Reload
	s_wait_loadcnt 0x0
	v_add_nc_u64_e32 v[2:3], v[2:3], v[6:7]
	ds_store_b64 v4, v[2:3] offset:584
	s_wait_xcnt 0x0
	v_cmpx_ne_u32_e32 0, v5
	s_cbranch_execz .LBB6_14058
; %bb.14057:                            ;   in Loop: Header=BB6_14033 Depth=3
	ds_load_b64 v[2:3], v0 offset:872
	s_wait_dscnt 0x0
	v_add_nc_u64_e32 v[2:3], 1, v[2:3]
	ds_store_b64 v0, v[2:3] offset:872
.LBB6_14058:                            ;   in Loop: Header=BB6_14033 Depth=3
	s_or_b32 exec_lo, exec_lo, s13
	scratch_store_b64 off, v[0:1], s33 offset:264 ; 8-byte Folded Spill
.LBB6_14059:                            ;   in Loop: Header=BB6_14033 Depth=3
	s_wait_xcnt 0x0
	s_or_b32 exec_lo, exec_lo, s42
	s_xor_b32 s13, s29, -1
	s_delay_alu instid0(SALU_CYCLE_1) | instskip(NEXT) | instid1(SALU_CYCLE_1)
	s_and_b32 s13, exec_lo, s13
	s_or_b32 s15, s13, s15
	s_and_saveexec_b32 s13, s2
	s_cbranch_execz .LBB6_14078
; %bb.14060:                            ;   in Loop: Header=BB6_14033 Depth=3
	s_and_saveexec_b32 s29, s3
	s_delay_alu instid0(SALU_CYCLE_1)
	s_xor_b32 s29, exec_lo, s29
	s_cbranch_execz .LBB6_14075
; %bb.14061:                            ;   in Loop: Header=BB6_14033 Depth=3
	s_and_saveexec_b32 s42, s6
	s_cbranch_execz .LBB6_14074
; %bb.14062:                            ;   in Loop: Header=BB6_14033 Depth=3
	s_mov_b32 s63, exec_lo
	s_mov_b32 s43, exec_lo
	v_mbcnt_lo_u32_b32 v0, s63, 0
	global_wb scope:SCOPE_DEV
	s_wait_storecnt_dscnt 0x0
	global_inv scope:SCOPE_DEV
	v_cmpx_eq_u32_e32 0, v0
	s_cbranch_execz .LBB6_14064
; %bb.14063:                            ;   in Loop: Header=BB6_14033 Depth=3
	s_bcnt1_i32_b32 s63, s63
	s_delay_alu instid0(SALU_CYCLE_1)
	v_dual_mov_b32 v1, v113 :: v_dual_mov_b32 v0, s63
	s_wait_loadcnt 0x0
	ds_add_u64 v0, v[0:1]
	s_trap 2
.LBB6_14064:                            ;   in Loop: Header=BB6_14033 Depth=3
	s_or_b32 exec_lo, exec_lo, s43
	s_trap 2
	ds_load_b64 v[0:1], v0
	s_wait_dscnt 0x0
	s_clause 0x1
	scratch_load_b64 v[2:3], off, s33 offset:208 th:TH_LOAD_LU
	scratch_load_b64 v[4:5], off, s33 offset:272
	s_mov_b32 s43, exec_lo
	s_wait_loadcnt 0x0
	v_add_nc_u64_e32 v[2:3], v[2:3], v[4:5]
	scratch_store_b64 off, v[2:3], s33 offset:208 ; 8-byte Folded Spill
	s_wait_xcnt 0x0
	v_cmpx_lt_u64_e64 v[0:1], v[2:3]
	s_cbranch_execz .LBB6_14073
; %bb.14065:                            ;   in Loop: Header=BB6_14033 Depth=3
	s_mov_b32 s63, 0
	s_mov_b32 s74, 0
                                        ; implicit-def: $sgpr72
                                        ; implicit-def: $sgpr73
	s_branch .LBB6_14067
.LBB6_14066:                            ;   in Loop: Header=BB6_14067 Depth=4
	s_wait_xcnt 0x0
	s_or_b32 exec_lo, exec_lo, s76
	s_delay_alu instid0(SALU_CYCLE_1) | instskip(NEXT) | instid1(SALU_CYCLE_1)
	s_and_b32 s75, exec_lo, s77
	s_or_b32 s63, s75, s63
	s_and_not1_b32 s72, s72, exec_lo
	s_and_b32 s75, s73, exec_lo
	s_delay_alu instid0(SALU_CYCLE_1)
	s_or_b32 s72, s72, s75
	s_and_not1_b32 exec_lo, exec_lo, s63
	s_cbranch_execz .LBB6_14071
.LBB6_14067:                            ;   Parent Loop BB6_47 Depth=1
                                        ;     Parent Loop BB6_5743 Depth=2
                                        ;       Parent Loop BB6_14033 Depth=3
                                        ; =>      This Inner Loop Header: Depth=4
	s_add_co_i32 s74, s74, 1
	s_delay_alu instid0(SALU_CYCLE_1) | instskip(SKIP_1) | instid1(SALU_CYCLE_1)
	s_cmp_lg_u32 s74, 0x2710
	s_cselect_b32 s75, -1, 0
	s_and_b32 vcc_lo, exec_lo, s75
	s_cbranch_vccz .LBB6_14069
; %bb.14068:                            ;   in Loop: Header=BB6_14067 Depth=4
	s_mov_b32 s77, -1
	s_or_b32 s73, s73, exec_lo
	s_and_saveexec_b32 s76, s75
	s_cbranch_execz .LBB6_14066
	s_branch .LBB6_14070
.LBB6_14069:                            ;   in Loop: Header=BB6_14067 Depth=4
	s_trap 2
	ds_load_b64 v[0:1], v0
	s_and_not1_b32 s75, s75, exec_lo
	s_mov_b32 s74, 0
	s_wait_storecnt_dscnt 0x0
	flat_load_b32 v0, v[0:1] scope:SCOPE_SYS
	s_wait_loadcnt_dscnt 0x0
	global_inv scope:SCOPE_SYS
	v_cmp_eq_u32_e32 vcc_lo, 0, v0
	s_and_b32 s76, vcc_lo, exec_lo
	s_delay_alu instid0(SALU_CYCLE_1)
	s_or_b32 s75, s75, s76
	s_mov_b32 s77, -1
	s_or_b32 s73, s73, exec_lo
	s_wait_xcnt 0x0
	s_and_saveexec_b32 s76, s75
	s_cbranch_execz .LBB6_14066
.LBB6_14070:                            ;   in Loop: Header=BB6_14067 Depth=4
	s_sleep 1
	s_trap 2
	ds_load_b64 v[0:1], v0
	s_wait_dscnt 0x0
	scratch_load_b64 v[2:3], off, s33 offset:208 ; 8-byte Folded Reload
	s_and_not1_b32 s73, s73, exec_lo
	s_wait_loadcnt 0x0
	v_cmp_ge_u64_e32 vcc_lo, v[0:1], v[2:3]
	s_or_not1_b32 s77, vcc_lo, exec_lo
	s_branch .LBB6_14066
.LBB6_14071:                            ;   in Loop: Header=BB6_14033 Depth=3
	s_or_b32 exec_lo, exec_lo, s63
	s_and_saveexec_b32 s63, s72
	s_delay_alu instid0(SALU_CYCLE_1)
	s_xor_b32 s63, exec_lo, s63
	s_cbranch_execz .LBB6_14073
; %bb.14072:                            ;   in Loop: Header=BB6_14033 Depth=3
	v_mov_b32_e32 v0, 1
	ds_store_b32 v0, v0
	s_trap 2
.LBB6_14073:                            ;   in Loop: Header=BB6_14033 Depth=3
	s_or_b32 exec_lo, exec_lo, s43
	;;#ASMSTART
	s_wakeup
	;;#ASMEND
.LBB6_14074:                            ;   in Loop: Header=BB6_14033 Depth=3
	s_or_b32 exec_lo, exec_lo, s42
.LBB6_14075:                            ;   in Loop: Header=BB6_14033 Depth=3
	s_and_not1_saveexec_b32 s29, s29
	s_cbranch_execz .LBB6_14077
; %bb.14076:                            ;   in Loop: Header=BB6_14033 Depth=3
	global_wb scope:SCOPE_DEV
	s_wait_storecnt 0x0
	s_wait_loadcnt_dscnt 0x0
	global_inv scope:SCOPE_DEV
	s_barrier_signal -1
	s_barrier_wait -1
.LBB6_14077:                            ;   in Loop: Header=BB6_14033 Depth=3
	s_or_b32 exec_lo, exec_lo, s29
.LBB6_14078:                            ;   in Loop: Header=BB6_14033 Depth=3
	s_delay_alu instid0(SALU_CYCLE_1) | instskip(SKIP_1) | instid1(SALU_CYCLE_1)
	s_or_b32 exec_lo, exec_lo, s13
                                        ; implicit-def: $vgpr0
	s_and_saveexec_b32 s13, s58
	s_xor_b32 s13, exec_lo, s13
	s_cbranch_execz .LBB6_14090
; %bb.14079:                            ;   in Loop: Header=BB6_14033 Depth=3
	s_and_saveexec_b32 s29, s3
	s_delay_alu instid0(SALU_CYCLE_1)
	s_xor_b32 s29, exec_lo, s29
	s_cbranch_execz .LBB6_14095
; %bb.14080:                            ;   in Loop: Header=BB6_14033 Depth=3
	s_and_saveexec_b32 s42, s6
	s_cbranch_execz .LBB6_14094
; %bb.14081:                            ;   in Loop: Header=BB6_14033 Depth=3
	s_mov_b32 s63, exec_lo
	s_mov_b32 s43, exec_lo
	v_mbcnt_lo_u32_b32 v0, s63, 0
	;;#ASMSTART
	s_waitcnt lgkmcnt(0) vmcnt(0)
	;;#ASMEND
	s_delay_alu instid0(VALU_DEP_1)
	v_cmpx_eq_u32_e32 0, v0
	s_cbranch_execz .LBB6_14083
; %bb.14082:                            ;   in Loop: Header=BB6_14033 Depth=3
	s_bcnt1_i32_b32 s63, s63
	s_delay_alu instid0(SALU_CYCLE_1)
	v_dual_mov_b32 v1, v113 :: v_dual_mov_b32 v0, s63
	s_wait_storecnt 0x0
	s_wait_loadcnt_dscnt 0x0
	ds_add_u64 v0, v[0:1]
	s_trap 2
.LBB6_14083:                            ;   in Loop: Header=BB6_14033 Depth=3
	s_or_b32 exec_lo, exec_lo, s43
	s_trap 2
	ds_load_b64 v[0:1], v0
	s_wait_dscnt 0x0
	s_clause 0x1
	scratch_load_b64 v[2:3], off, s33 offset:208 th:TH_LOAD_LU
	scratch_load_b64 v[4:5], off, s33 offset:272
	s_mov_b32 s43, exec_lo
	s_wait_loadcnt 0x0
	v_add_nc_u64_e32 v[2:3], v[2:3], v[4:5]
	scratch_store_b64 off, v[2:3], s33 offset:208 ; 8-byte Folded Spill
	s_wait_xcnt 0x0
	v_cmpx_lt_u64_e64 v[0:1], v[2:3]
	s_cbranch_execz .LBB6_14093
; %bb.14084:                            ;   in Loop: Header=BB6_14033 Depth=3
	s_mov_b32 s63, 0
	s_mov_b32 s74, 0
                                        ; implicit-def: $sgpr72
                                        ; implicit-def: $sgpr73
	s_branch .LBB6_14086
.LBB6_14085:                            ;   in Loop: Header=BB6_14086 Depth=4
	s_wait_xcnt 0x0
	s_or_b32 exec_lo, exec_lo, s76
	s_delay_alu instid0(SALU_CYCLE_1) | instskip(NEXT) | instid1(SALU_CYCLE_1)
	s_and_b32 s75, exec_lo, s77
	s_or_b32 s63, s75, s63
	s_and_not1_b32 s72, s72, exec_lo
	s_and_b32 s75, s73, exec_lo
	s_delay_alu instid0(SALU_CYCLE_1)
	s_or_b32 s72, s72, s75
	s_and_not1_b32 exec_lo, exec_lo, s63
	s_cbranch_execz .LBB6_14091
.LBB6_14086:                            ;   Parent Loop BB6_47 Depth=1
                                        ;     Parent Loop BB6_5743 Depth=2
                                        ;       Parent Loop BB6_14033 Depth=3
                                        ; =>      This Inner Loop Header: Depth=4
	s_add_co_i32 s74, s74, 1
	s_delay_alu instid0(SALU_CYCLE_1) | instskip(SKIP_1) | instid1(SALU_CYCLE_1)
	s_cmp_lg_u32 s74, 0x2710
	s_cselect_b32 s75, -1, 0
	s_and_b32 vcc_lo, exec_lo, s75
	s_cbranch_vccz .LBB6_14088
; %bb.14087:                            ;   in Loop: Header=BB6_14086 Depth=4
	s_mov_b32 s77, -1
	s_or_b32 s73, s73, exec_lo
	s_and_saveexec_b32 s76, s75
	s_cbranch_execz .LBB6_14085
	s_branch .LBB6_14089
.LBB6_14088:                            ;   in Loop: Header=BB6_14086 Depth=4
	s_trap 2
	ds_load_b64 v[0:1], v0
	s_and_not1_b32 s75, s75, exec_lo
	s_mov_b32 s74, 0
	s_wait_storecnt_dscnt 0x0
	flat_load_b32 v0, v[0:1] scope:SCOPE_SYS
	s_wait_loadcnt_dscnt 0x0
	global_inv scope:SCOPE_SYS
	v_cmp_eq_u32_e32 vcc_lo, 0, v0
	s_and_b32 s76, vcc_lo, exec_lo
	s_delay_alu instid0(SALU_CYCLE_1)
	s_or_b32 s75, s75, s76
	s_mov_b32 s77, -1
	s_or_b32 s73, s73, exec_lo
	s_wait_xcnt 0x0
	s_and_saveexec_b32 s76, s75
	s_cbranch_execz .LBB6_14085
.LBB6_14089:                            ;   in Loop: Header=BB6_14086 Depth=4
	s_sleep 1
	s_trap 2
	ds_load_b64 v[0:1], v0
	s_wait_dscnt 0x0
	scratch_load_b64 v[2:3], off, s33 offset:208 ; 8-byte Folded Reload
	s_and_not1_b32 s73, s73, exec_lo
	s_wait_loadcnt 0x0
	v_cmp_ge_u64_e32 vcc_lo, v[0:1], v[2:3]
	s_or_not1_b32 s77, vcc_lo, exec_lo
	s_branch .LBB6_14085
.LBB6_14090:                            ;   in Loop: Header=BB6_14033 Depth=3
	s_and_not1_saveexec_b32 s29, s13
	s_cbranch_execnz .LBB6_14098
	s_branch .LBB6_14101
.LBB6_14091:                            ;   in Loop: Header=BB6_14033 Depth=3
	s_or_b32 exec_lo, exec_lo, s63
	s_and_saveexec_b32 s63, s72
	s_delay_alu instid0(SALU_CYCLE_1)
	s_xor_b32 s63, exec_lo, s63
	s_cbranch_execz .LBB6_14093
; %bb.14092:                            ;   in Loop: Header=BB6_14033 Depth=3
	v_mov_b32_e32 v0, 1
	ds_store_b32 v0, v0
	s_trap 2
.LBB6_14093:                            ;   in Loop: Header=BB6_14033 Depth=3
	s_or_b32 exec_lo, exec_lo, s43
	;;#ASMSTART
	s_wakeup
	;;#ASMEND
.LBB6_14094:                            ;   in Loop: Header=BB6_14033 Depth=3
	s_or_b32 exec_lo, exec_lo, s42
.LBB6_14095:                            ;   in Loop: Header=BB6_14033 Depth=3
	s_and_not1_saveexec_b32 s29, s29
	s_cbranch_execz .LBB6_14097
; %bb.14096:                            ;   in Loop: Header=BB6_14033 Depth=3
	;;#ASMSTART
	s_waitcnt lgkmcnt(0) vmcnt(0)
	;;#ASMEND
	s_barrier_signal -1
	s_barrier_wait -1
.LBB6_14097:                            ;   in Loop: Header=BB6_14033 Depth=3
	s_or_b32 exec_lo, exec_lo, s29
	scratch_load_b32 v0, off, s33 offset:204 ; 4-byte Folded Reload
	s_wait_loadcnt 0x0
	v_and_b32_e32 v0, 16, v0
	s_wait_xcnt 0x0
	s_and_not1_saveexec_b32 s29, s13
	s_cbranch_execz .LBB6_14101
.LBB6_14098:                            ;   in Loop: Header=BB6_14033 Depth=3
	s_trap 2
	scratch_load_b32 v1, off, s33 offset:204 ; 4-byte Folded Reload
	ds_load_b32 v0, v0
	v_cmp_lt_i32_e32 vcc_lo, 0, v10
	s_wait_dscnt 0x0
	v_readfirstlane_b32 s13, v0
	s_cmp_eq_u32 s13, 0
	s_cselect_b32 s42, -1, 0
	s_delay_alu instid0(SALU_CYCLE_1) | instskip(SKIP_2) | instid1(VALU_DEP_1)
	s_and_b32 s42, vcc_lo, s42
	s_wait_loadcnt 0x0
	v_and_b32_e32 v0, 16, v1
	v_cmp_ne_u32_e64 s13, 0, v0
	v_and_b32_e32 v0, 16, v1
	s_and_b32 s42, s13, s42
	s_wait_xcnt 0x0
	s_and_saveexec_b32 s13, s42
	s_cbranch_execz .LBB6_14100
; %bb.14099:                            ;   in Loop: Header=BB6_14033 Depth=3
	v_mov_b32_e32 v0, 1
	global_wb scope:SCOPE_SYS
	s_wait_storecnt 0x0
	global_inv scope:SCOPE_SYS
.LBB6_14100:                            ;   in Loop: Header=BB6_14033 Depth=3
	s_or_b32 exec_lo, exec_lo, s13
.LBB6_14101:                            ;   in Loop: Header=BB6_14033 Depth=3
	s_delay_alu instid0(SALU_CYCLE_1) | instskip(SKIP_2) | instid1(SALU_CYCLE_1)
	s_or_b32 exec_lo, exec_lo, s29
	v_cmp_ne_u32_e32 vcc_lo, 0, v0
	s_xor_b32 s13, s4, -1
	s_and_b32 s29, vcc_lo, s13
	s_delay_alu instid0(SALU_CYCLE_1)
	s_and_saveexec_b32 s13, s29
	s_cbranch_execz .LBB6_14103
; %bb.14102:                            ;   in Loop: Header=BB6_14033 Depth=3
	scratch_load_b64 v[0:1], off, s33 offset:328 ; 8-byte Folded Reload
	v_mov_b32_e32 v2, 1
	global_wb scope:SCOPE_SYS
	s_wait_storecnt 0x0
	s_wait_xcnt 0x0
	s_wait_loadcnt_dscnt 0x0
	flat_store_b32 v[0:1], v2 scope:SCOPE_SYS
.LBB6_14103:                            ;   in Loop: Header=BB6_14033 Depth=3
	s_wait_xcnt 0x0
	s_or_b32 exec_lo, exec_lo, s13
	scratch_load_b32 v0, off, s33 offset:204 ; 4-byte Folded Reload
	s_mov_b32 s13, exec_lo
	s_wait_loadcnt 0x0
	v_and_b32_e32 v0, 48, v0
	s_wait_xcnt 0x0
	s_delay_alu instid0(VALU_DEP_1)
	v_cmpx_ne_u32_e32 0, v0
	s_cbranch_execz .LBB6_14032
; %bb.14104:                            ;   in Loop: Header=BB6_14033 Depth=3
	s_clause 0x1
	scratch_load_b64 v[2:3], off, s33 offset:264 th:TH_LOAD_LU
	scratch_load_b64 v[0:1], off, s33 offset:196
	s_wait_loadcnt 0x1
	v_add_nc_u64_e32 v[2:3], 2, v[2:3]
	scratch_store_b64 off, v[2:3], s33 offset:264 ; 8-byte Folded Spill
	global_wb scope:SCOPE_SYS
	s_wait_storecnt 0x0
	s_wait_xcnt 0x0
	s_wait_loadcnt_dscnt 0x0
	flat_store_b64 v[0:1], v[2:3] scope:SCOPE_SYS
	s_branch .LBB6_14032
.LBB6_14105:                            ;   in Loop: Header=BB6_47 Depth=1
	s_clause 0x1
	scratch_load_b64 v[4:5], off, s33 offset:516
	scratch_load_b64 v[2:3], off, s33 offset:508
	s_wait_loadcnt 0x1
	v_mul_u64_e32 v[0:1], s[16:17], v[4:5]
	s_wait_loadcnt 0x0
	s_delay_alu instid0(VALU_DEP_1) | instskip(NEXT) | instid1(VALU_DEP_1)
	v_sub_nc_u64_e32 v[2:3], v[2:3], v[0:1]
	v_min_i64 v[4:5], v[4:5], v[2:3]
	s_delay_alu instid0(VALU_DEP_1) | instskip(SKIP_1) | instid1(VALU_DEP_2)
	v_max_i32_e32 v61, 0, v4
	v_cmp_lt_i32_e32 vcc_lo, 0, v4
	v_add_nc_u32_e32 v2, 31, v61
	s_and_b32 s13, s60, vcc_lo
	s_delay_alu instid0(VALU_DEP_1) | instskip(NEXT) | instid1(VALU_DEP_1)
	v_lshrrev_b32_e32 v2, 1, v2
	v_and_b32_e32 v3, 0x3ffffff0, v2
	s_delay_alu instid0(VALU_DEP_1)
	v_dual_mov_b32 v2, 0 :: v_dual_max_i32 v4, s56, v3
	scratch_store_b64 off, v[4:5], s33 offset:412 ; 8-byte Folded Spill
	s_wait_xcnt 0x0
	v_mov_b32_e32 v4, 0
	scratch_store_b64 off, v[4:5], s33 offset:352 ; 8-byte Folded Spill
	s_wait_xcnt 0x0
	s_and_saveexec_b32 s18, s13
	s_cbranch_execnz .LBB6_14106
; %bb.31218:                            ;   in Loop: Header=BB6_47 Depth=1
	s_add_pc_i64 .LBB6_30566-.Lpost_addpc79
.Lpost_addpc79:
.LBB6_14106:                            ;   in Loop: Header=BB6_47 Depth=1
	scratch_load_b64 v[2:3], off, s33 offset:404 ; 8-byte Folded Reload
	s_mov_b32 s72, 1
	s_mov_b32 s63, -1
	s_mov_b32 s29, 0
	scratch_store_b32 off, v61, s33 offset:452 ; 4-byte Folded Spill
	s_wait_loadcnt 0x0
	v_add_nc_u64_e32 v[0:1], v[0:1], v[2:3]
	scratch_store_b64 off, v[0:1], s33 offset:456 ; 8-byte Folded Spill
	s_wait_xcnt 0x0
	v_mov_b32_e32 v0, 0
	scratch_store_b64 off, v[0:1], s33 offset:352 ; 8-byte Folded Spill
	s_branch .LBB6_14108
.LBB6_14107:                            ;   in Loop: Header=BB6_14108 Depth=2
	s_wait_xcnt 0x0
	s_or_b32 exec_lo, exec_lo, s13
	s_clause 0x1
	scratch_load_b64 v[0:1], off, s33 offset:412
	scratch_load_b64 v[2:3], off, s33 offset:352 th:TH_LOAD_LU
	s_xor_b32 s13, s63, -1
	s_mov_b32 s63, 0
	s_wait_loadcnt 0x0
	v_add_nc_u32_e32 v2, v0, v2
	s_delay_alu instid0(VALU_DEP_1)
	v_cmp_ge_i32_e32 vcc_lo, v2, v61
	v_dual_mov_b32 v0, v2 :: v_dual_mov_b32 v2, s72
	s_mov_b32 s72, 2
	s_or_b32 s13, s13, vcc_lo
	scratch_store_b64 off, v[0:1], s33 offset:352 ; 8-byte Folded Spill
	s_and_b32 s13, exec_lo, s13
	s_delay_alu instid0(SALU_CYCLE_1)
	s_or_b32 s29, s13, s29
	s_wait_xcnt 0x0
	s_and_not1_b32 exec_lo, exec_lo, s29
	s_cbranch_execnz .LBB6_14108
; %bb.31220:                            ;   in Loop: Header=BB6_47 Depth=1
	s_add_pc_i64 .LBB6_30565-.Lpost_addpc80
.Lpost_addpc80:
.LBB6_14108:                            ;   Parent Loop BB6_47 Depth=1
                                        ; =>  This Loop Header: Depth=2
                                        ;       Child Loop BB6_14116 Depth 3
                                        ;       Child Loop BB6_14144 Depth 3
	;; [unrolled: 1-line block ×5, first 2 shown]
                                        ;         Child Loop BB6_19724 Depth 4
                                        ;       Child Loop BB6_19757 Depth 3
                                        ;       Child Loop BB6_22264 Depth 3
                                        ;         Child Loop BB6_22351 Depth 4
                                        ;       Child Loop BB6_22365 Depth 3
                                        ;       Child Loop BB6_26858 Depth 3
	;; [unrolled: 1-line block ×6, first 2 shown]
	s_wait_xcnt 0x0
	s_and_saveexec_b32 s13, s0
	s_cbranch_execz .LBB6_14110
; %bb.14109:                            ;   in Loop: Header=BB6_14108 Depth=2
	s_trap 2
	ds_load_b64 v[4:5], v0
	ds_load_2addr_b64 v[0:3], v0 offset1:1
	s_clause 0x1
	scratch_load_b64 v[10:11], off, s33 offset:456
	scratch_load_b64 v[8:9], off, s33 offset:352 th:TH_LOAD_LU
	s_wait_dscnt 0x1
	v_cmp_ne_u64_e32 vcc_lo, 0, v[4:5]
	s_wait_loadcnt 0x1
	v_add_nc_u64_e32 v[6:7], v[4:5], v[10:11]
	s_wait_loadcnt 0x0
	v_dual_mov_b32 v4, v8 :: v_dual_ashrrev_i32 v9, 31, v8
	s_wait_dscnt 0x0
	v_add_nc_u64_e32 v[0:1], v[0:1], v[10:11]
	v_add_nc_u64_e32 v[2:3], v[2:3], v[10:11]
	s_delay_alu instid0(VALU_DEP_3)
	v_add_nc_u64_e32 v[6:7], v[6:7], v[8:9]
	scratch_store_b64 off, v[4:5], s33 offset:352 ; 8-byte Folded Spill
	v_add_nc_u64_e32 v[0:1], v[0:1], v[8:9]
	v_add_nc_u64_e32 v[2:3], v[2:3], v[8:9]
	s_wait_xcnt 0x0
	v_dual_cndmask_b32 v5, 0, v7 :: v_dual_cndmask_b32 v4, 0, v6
	ds_store_b64 v0, v[0:1]
	ds_store_b64 v0, v[2:3]
	;; [unrolled: 1-line block ×3, first 2 shown]
.LBB6_14110:                            ;   in Loop: Header=BB6_14108 Depth=2
	s_or_b32 exec_lo, exec_lo, s13
	scratch_load_b64 v[0:1], off, s33 offset:352 ; 8-byte Folded Reload
	s_wait_loadcnt 0x0
	s_clause 0x1
	scratch_load_b32 v1, off, s33 offset:204
	scratch_load_b64 v[2:3], off, s33 offset:412
	s_mov_b32 s14, exec_lo
	s_wait_loadcnt 0x1
	v_dual_sub_nc_u32 v0, v61, v0 :: v_dual_bitop2_b32 v1, 12, v1 bitop3:0x40
	s_wait_loadcnt 0x0
	s_delay_alu instid0(VALU_DEP_1)
	v_min_i32_e32 v2, v2, v0
	scratch_store_b64 off, v[2:3], s33 offset:412 ; 8-byte Folded Spill
	s_wait_xcnt 0x0
	v_cmpx_ne_u32_e32 0, v1
	s_cbranch_execz .LBB6_14136
; %bb.14111:                            ;   in Loop: Header=BB6_14108 Depth=2
	scratch_load_b32 v0, off, s33 offset:204 ; 4-byte Folded Reload
	s_mov_b32 s15, exec_lo
	s_wait_loadcnt 0x0
	v_dual_mov_b32 v3, v113 :: v_dual_bitop2_b32 v2, 8, v0 bitop3:0x40
	scratch_load_b64 v[0:1], off, s33 offset:188 ; 8-byte Folded Reload
	s_wait_loadcnt 0x0
	v_add_nc_u64_e32 v[4:5], v[0:1], v[2:3]
	scratch_load_b64 v[0:1], off, s33 offset:264 ; 8-byte Folded Reload
	s_wait_loadcnt 0x0
	v_add_nc_u64_e32 v[0:1], 2, v[0:1]
	s_wait_xcnt 0x0
	s_delay_alu instid0(VALU_DEP_1)
	v_cmpx_lt_u64_e64 v[4:5], v[0:1]
	s_cbranch_execz .LBB6_14123
; %bb.14112:                            ;   in Loop: Header=BB6_14108 Depth=2
	scratch_load_b32 v4, off, s33 offset:204 ; 4-byte Folded Reload
	s_mov_b32 s42, 0
	s_mov_b32 s75, 0
                                        ; implicit-def: $sgpr43
                                        ; implicit-def: $sgpr73
                                        ; implicit-def: $sgpr74
	s_wait_loadcnt 0x0
	v_and_b32_e32 v4, 64, v4
	s_delay_alu instid0(VALU_DEP_1)
	v_cmp_eq_u32_e32 vcc_lo, 0, v4
	s_branch .LBB6_14116
.LBB6_14113:                            ;   in Loop: Header=BB6_14116 Depth=3
	scratch_load_b64 v[6:7], off, s33 offset:188 ; 8-byte Folded Reload
	s_or_b32 s78, s78, exec_lo
	s_wait_loadcnt 0x0
	v_add_nc_u64_e32 v[6:7], v[6:7], v[2:3]
	s_delay_alu instid0(VALU_DEP_1)
	v_cmp_ge_u64_e64 s13, v[6:7], v[0:1]
	s_or_not1_b32 s77, s13, exec_lo
.LBB6_14114:                            ;   in Loop: Header=BB6_14116 Depth=3
	s_wait_xcnt 0x0
	s_or_b32 exec_lo, exec_lo, s88
	s_delay_alu instid0(SALU_CYCLE_1)
	s_and_not1_b32 s13, s74, exec_lo
	s_and_b32 s74, s78, exec_lo
	s_and_not1_b32 s73, s73, exec_lo
	s_and_b32 s77, s77, exec_lo
	s_or_b32 s74, s13, s74
	s_or_b32 s73, s73, s77
.LBB6_14115:                            ;   in Loop: Header=BB6_14116 Depth=3
	s_or_b32 exec_lo, exec_lo, s76
	s_delay_alu instid0(SALU_CYCLE_1) | instskip(NEXT) | instid1(SALU_CYCLE_1)
	s_and_b32 s13, exec_lo, s73
	s_or_b32 s42, s13, s42
	s_and_not1_b32 s13, s43, exec_lo
	s_and_b32 s43, s74, exec_lo
	s_delay_alu instid0(SALU_CYCLE_1)
	s_or_b32 s43, s13, s43
	s_and_not1_b32 exec_lo, exec_lo, s42
	s_cbranch_execz .LBB6_14120
.LBB6_14116:                            ;   Parent Loop BB6_47 Depth=1
                                        ;     Parent Loop BB6_14108 Depth=2
                                        ; =>    This Inner Loop Header: Depth=3
	s_sleep 1
	scratch_load_b64 v[4:5], off, s33 offset:196 ; 8-byte Folded Reload
	s_or_b32 s74, s74, exec_lo
	s_or_b32 s73, s73, exec_lo
	s_wait_loadcnt 0x0
	flat_load_b64 v[4:5], v[4:5] scope:SCOPE_SYS
	s_wait_loadcnt_dscnt 0x0
	scratch_store_b64 off, v[4:5], s33 offset:188 ; 8-byte Folded Spill
                                        ; implicit-def: $vgpr4
	s_wait_xcnt 0x0
	s_and_saveexec_b32 s76, vcc_lo
	s_cbranch_execz .LBB6_14115
; %bb.14117:                            ;   in Loop: Header=BB6_14116 Depth=3
	s_cmp_lt_i32 s75, 0x270f
	s_mov_b32 s77, -1
	s_cselect_b32 s79, -1, 0
	s_cmp_gt_i32 s75, 0x270e
	s_cbranch_scc0 .LBB6_14119
; %bb.14118:                            ;   in Loop: Header=BB6_14116 Depth=3
	s_trap 2
	ds_load_b64 v[4:5], v0
	s_and_not1_b32 s75, s79, exec_lo
	s_mov_b32 s78, 0
	s_wait_storecnt_dscnt 0x0
	flat_load_b32 v4, v[4:5] scope:SCOPE_SYS
	s_wait_loadcnt_dscnt 0x0
	global_inv scope:SCOPE_SYS
	v_cmp_eq_u32_e64 s13, 0, v4
	s_and_b32 s13, s13, exec_lo
	s_delay_alu instid0(SALU_CYCLE_1)
	s_or_b32 s79, s75, s13
	s_mov_b32 s75, 0
	s_wait_xcnt 0x0
	s_and_saveexec_b32 s88, s79
	s_cbranch_execz .LBB6_14114
	s_branch .LBB6_14113
.LBB6_14119:                            ;   in Loop: Header=BB6_14116 Depth=3
	s_add_co_i32 s75, s75, 1
	s_mov_b32 s78, -1
                                        ; implicit-def: $vgpr4
	s_and_saveexec_b32 s88, s79
	s_cbranch_execz .LBB6_14114
	s_branch .LBB6_14113
.LBB6_14120:                            ;   in Loop: Header=BB6_14108 Depth=2
	s_or_b32 exec_lo, exec_lo, s42
	s_xor_b32 s13, s43, -1
	s_delay_alu instid0(SALU_CYCLE_1) | instskip(NEXT) | instid1(SALU_CYCLE_1)
	s_and_saveexec_b32 s42, s13
	s_xor_b32 s13, exec_lo, s42
	s_cbranch_execz .LBB6_14122
; %bb.14121:                            ;   in Loop: Header=BB6_14108 Depth=2
	scratch_load_b32 v3, off, s33 offset:204 ; 4-byte Folded Reload
	s_wait_loadcnt 0x0
	v_or_b32_e32 v3, 64, v3
	scratch_store_b32 off, v3, s33 offset:204 ; 4-byte Folded Spill
	s_wait_storecnt 0x0
	ds_store_b32 v0, v4
	s_trap 2
.LBB6_14122:                            ;   in Loop: Header=BB6_14108 Depth=2
	s_wait_xcnt 0x0
	s_or_b32 exec_lo, exec_lo, s13
.LBB6_14123:                            ;   in Loop: Header=BB6_14108 Depth=2
	s_delay_alu instid0(SALU_CYCLE_1)
	s_or_b32 exec_lo, exec_lo, s15
	scratch_load_b32 v3, off, s33 offset:204 ; 4-byte Folded Reload
	s_mov_b32 s13, exec_lo
	;;#ASMSTART
	s_wakeup
	;;#ASMEND
                                        ; implicit-def: $vgpr4_vgpr5
	s_wait_loadcnt 0x0
	v_and_b32_e32 v3, 0x108, v3
	s_wait_xcnt 0x0
	s_delay_alu instid0(VALU_DEP_1)
	v_cmpx_ne_u32_e32 0x108, v3
	s_xor_b32 s13, exec_lo, s13
	s_cbranch_execz .LBB6_14125
; %bb.14124:                            ;   in Loop: Header=BB6_14108 Depth=2
	scratch_load_b64 v[4:5], off, s33 offset:264 th:TH_LOAD_LU ; 8-byte Folded Reload
                                        ; implicit-def: $vgpr6_vgpr7
                                        ; kill: killed $vgpr6_vgpr7
	s_wait_loadcnt 0x0
	v_dual_mov_b32 v5, v113 :: v_dual_bitop2_b32 v4, 7, v4 bitop3:0x40
.LBB6_14125:                            ;   in Loop: Header=BB6_14108 Depth=2
	s_wait_xcnt 0x0
	s_and_not1_saveexec_b32 s13, s13
	s_cbranch_execz .LBB6_14127
; %bb.14126:                            ;   in Loop: Header=BB6_14108 Depth=2
	s_clause 0x1
	scratch_load_b64 v[4:5], off, s33 offset:264 th:TH_LOAD_LU
	scratch_load_b128 v[6:9], off, s33 offset:312
	s_wait_loadcnt 0x0
	scratch_load_b64 v[8:9], off, s33 offset:412 th:TH_LOAD_LU ; 8-byte Folded Reload
	v_dual_mov_b32 v5, v113 :: v_dual_bitop2_b32 v4, 7, v4 bitop3:0x40
	s_wait_loadcnt 0x0
	v_mov_b32_e32 v10, v8
	s_delay_alu instid0(VALU_DEP_2) | instskip(NEXT) | instid1(VALU_DEP_2)
	v_mad_nc_u64_u32 v[6:7], v4, 24, v[6:7]
	v_ashrrev_i32_e32 v11, 31, v10
	scratch_store_b64 off, v[8:9], s33 offset:412 ; 8-byte Folded Spill
	flat_store_b64 v[6:7], v[10:11] offset:8
.LBB6_14127:                            ;   in Loop: Header=BB6_14108 Depth=2
	s_wait_xcnt 0x0
	s_or_b32 exec_lo, exec_lo, s13
	scratch_load_b32 v3, off, s33 offset:204 ; 4-byte Folded Reload
	s_mov_b32 s13, -1
	s_mov_b32 s15, exec_lo
                                        ; implicit-def: $vgpr6_vgpr7
	s_wait_loadcnt 0x0
	v_and_b32_e32 v3, 0x100, v3
	s_wait_xcnt 0x0
	s_delay_alu instid0(VALU_DEP_1)
	v_cmpx_ne_u32_e32 0, v3
	s_cbranch_execz .LBB6_14131
; %bb.14128:                            ;   in Loop: Header=BB6_14108 Depth=2
	scratch_load_b128 v[6:9], off, s33 offset:312 ; 16-byte Folded Reload
	s_mov_b32 s42, exec_lo
	s_wait_loadcnt 0x0
	v_mad_nc_u64_u32 v[8:9], v4, 24, v[6:7]
                                        ; implicit-def: $vgpr6_vgpr7
	s_delay_alu instid0(VALU_DEP_1)
	v_mad_u32 v9, v5, 24, v9
	flat_load_b32 v3, v[8:9]
	s_wait_loadcnt_dscnt 0x0
	v_cmp_ne_u32_e32 vcc_lo, 1, v3
	s_wait_xcnt 0x0
	v_cmpx_eq_u32_e32 1, v3
	s_cbranch_execz .LBB6_14130
; %bb.14129:                            ;   in Loop: Header=BB6_14108 Depth=2
	flat_load_b32 v6, v[8:9] offset:4 scope:SCOPE_SYS
	s_wait_loadcnt_dscnt 0x0
	v_ashrrev_i32_e32 v7, 31, v6
.LBB6_14130:                            ;   in Loop: Header=BB6_14108 Depth=2
	s_wait_xcnt 0x0
	s_or_b32 exec_lo, exec_lo, s42
	s_delay_alu instid0(SALU_CYCLE_1)
	s_or_not1_b32 s13, vcc_lo, exec_lo
.LBB6_14131:                            ;   in Loop: Header=BB6_14108 Depth=2
	s_or_b32 exec_lo, exec_lo, s15
	s_and_saveexec_b32 s15, s13
	s_cbranch_execz .LBB6_14133
; %bb.14132:                            ;   in Loop: Header=BB6_14108 Depth=2
	scratch_load_b64 v[6:7], off, s33 offset:360 ; 8-byte Folded Reload
	s_wait_loadcnt 0x0
	v_mul_u64_e32 v[6:7], v[4:5], v[6:7]
.LBB6_14133:                            ;   in Loop: Header=BB6_14108 Depth=2
	s_wait_xcnt 0x0
	s_or_b32 exec_lo, exec_lo, s15
	v_cmp_eq_u32_e32 vcc_lo, 0, v2
	v_mov_b32_e32 v2, 0x90
	s_mov_b32 s13, exec_lo
	s_delay_alu instid0(VALU_DEP_1)
	v_cndmask_b32_e32 v4, 0xd0, v2, vcc_lo
	scratch_load_b32 v2, off, s33 offset:204 ; 4-byte Folded Reload
	v_add_nc_u32_e32 v4, v0, v4
	s_wait_loadcnt 0x0
	v_and_b32_e32 v5, 0x2000, v2
	scratch_load_b64 v[2:3], off, s33 offset:304 ; 8-byte Folded Reload
	s_wait_loadcnt 0x0
	v_add_nc_u64_e32 v[2:3], v[2:3], v[6:7]
	ds_store_b64 v4, v[2:3] offset:584
	s_wait_xcnt 0x0
	v_cmpx_ne_u32_e32 0, v5
	s_cbranch_execz .LBB6_14135
; %bb.14134:                            ;   in Loop: Header=BB6_14108 Depth=2
	ds_load_b64 v[2:3], v0 offset:872
	s_wait_dscnt 0x0
	v_add_nc_u64_e32 v[2:3], 1, v[2:3]
	ds_store_b64 v0, v[2:3] offset:872
.LBB6_14135:                            ;   in Loop: Header=BB6_14108 Depth=2
	s_or_b32 exec_lo, exec_lo, s13
	scratch_store_b64 off, v[0:1], s33 offset:264 ; 8-byte Folded Spill
.LBB6_14136:                            ;   in Loop: Header=BB6_14108 Depth=2
	s_wait_xcnt 0x0
	s_or_b32 exec_lo, exec_lo, s14
	s_and_saveexec_b32 s13, s2
	s_cbranch_execz .LBB6_14155
; %bb.14137:                            ;   in Loop: Header=BB6_14108 Depth=2
	s_and_saveexec_b32 s14, s3
	s_delay_alu instid0(SALU_CYCLE_1)
	s_xor_b32 s14, exec_lo, s14
	s_cbranch_execz .LBB6_14152
; %bb.14138:                            ;   in Loop: Header=BB6_14108 Depth=2
	s_and_saveexec_b32 s15, s6
	s_cbranch_execz .LBB6_14151
; %bb.14139:                            ;   in Loop: Header=BB6_14108 Depth=2
	s_mov_b32 s43, exec_lo
	s_mov_b32 s42, exec_lo
	v_mbcnt_lo_u32_b32 v0, s43, 0
	global_wb scope:SCOPE_DEV
	s_wait_storecnt_dscnt 0x0
	global_inv scope:SCOPE_DEV
	v_cmpx_eq_u32_e32 0, v0
	s_cbranch_execz .LBB6_14141
; %bb.14140:                            ;   in Loop: Header=BB6_14108 Depth=2
	s_bcnt1_i32_b32 s43, s43
	s_delay_alu instid0(SALU_CYCLE_1)
	v_dual_mov_b32 v1, v113 :: v_dual_mov_b32 v0, s43
	s_wait_loadcnt 0x0
	ds_add_u64 v0, v[0:1]
	s_trap 2
.LBB6_14141:                            ;   in Loop: Header=BB6_14108 Depth=2
	s_or_b32 exec_lo, exec_lo, s42
	s_trap 2
	ds_load_b64 v[0:1], v0
	s_wait_dscnt 0x0
	s_clause 0x1
	scratch_load_b64 v[2:3], off, s33 offset:208 th:TH_LOAD_LU
	scratch_load_b64 v[4:5], off, s33 offset:272
	s_mov_b32 s42, exec_lo
	s_wait_loadcnt 0x0
	v_add_nc_u64_e32 v[2:3], v[2:3], v[4:5]
	scratch_store_b64 off, v[2:3], s33 offset:208 ; 8-byte Folded Spill
	s_wait_xcnt 0x0
	v_cmpx_lt_u64_e64 v[0:1], v[2:3]
	s_cbranch_execz .LBB6_14150
; %bb.14142:                            ;   in Loop: Header=BB6_14108 Depth=2
	s_mov_b32 s43, 0
	s_mov_b32 s75, 0
                                        ; implicit-def: $sgpr73
                                        ; implicit-def: $sgpr74
	s_branch .LBB6_14144
.LBB6_14143:                            ;   in Loop: Header=BB6_14144 Depth=3
	s_wait_xcnt 0x0
	s_or_b32 exec_lo, exec_lo, s77
	s_delay_alu instid0(SALU_CYCLE_1) | instskip(NEXT) | instid1(SALU_CYCLE_1)
	s_and_b32 s76, exec_lo, s78
	s_or_b32 s43, s76, s43
	s_and_not1_b32 s73, s73, exec_lo
	s_and_b32 s76, s74, exec_lo
	s_delay_alu instid0(SALU_CYCLE_1)
	s_or_b32 s73, s73, s76
	s_and_not1_b32 exec_lo, exec_lo, s43
	s_cbranch_execz .LBB6_14148
.LBB6_14144:                            ;   Parent Loop BB6_47 Depth=1
                                        ;     Parent Loop BB6_14108 Depth=2
                                        ; =>    This Inner Loop Header: Depth=3
	s_add_co_i32 s75, s75, 1
	s_delay_alu instid0(SALU_CYCLE_1) | instskip(SKIP_1) | instid1(SALU_CYCLE_1)
	s_cmp_lg_u32 s75, 0x2710
	s_cselect_b32 s76, -1, 0
	s_and_b32 vcc_lo, exec_lo, s76
	s_cbranch_vccz .LBB6_14146
; %bb.14145:                            ;   in Loop: Header=BB6_14144 Depth=3
	s_mov_b32 s78, -1
	s_or_b32 s74, s74, exec_lo
	s_and_saveexec_b32 s77, s76
	s_cbranch_execz .LBB6_14143
	s_branch .LBB6_14147
.LBB6_14146:                            ;   in Loop: Header=BB6_14144 Depth=3
	s_trap 2
	ds_load_b64 v[0:1], v0
	s_and_not1_b32 s76, s76, exec_lo
	s_mov_b32 s75, 0
	s_wait_storecnt_dscnt 0x0
	flat_load_b32 v0, v[0:1] scope:SCOPE_SYS
	s_wait_loadcnt_dscnt 0x0
	global_inv scope:SCOPE_SYS
	v_cmp_eq_u32_e32 vcc_lo, 0, v0
	s_and_b32 s77, vcc_lo, exec_lo
	s_delay_alu instid0(SALU_CYCLE_1)
	s_or_b32 s76, s76, s77
	s_mov_b32 s78, -1
	s_or_b32 s74, s74, exec_lo
	s_wait_xcnt 0x0
	s_and_saveexec_b32 s77, s76
	s_cbranch_execz .LBB6_14143
.LBB6_14147:                            ;   in Loop: Header=BB6_14144 Depth=3
	s_sleep 1
	s_trap 2
	ds_load_b64 v[0:1], v0
	s_wait_dscnt 0x0
	scratch_load_b64 v[2:3], off, s33 offset:208 ; 8-byte Folded Reload
	s_and_not1_b32 s74, s74, exec_lo
	s_wait_loadcnt 0x0
	v_cmp_ge_u64_e32 vcc_lo, v[0:1], v[2:3]
	s_or_not1_b32 s78, vcc_lo, exec_lo
	s_branch .LBB6_14143
.LBB6_14148:                            ;   in Loop: Header=BB6_14108 Depth=2
	s_or_b32 exec_lo, exec_lo, s43
	s_and_saveexec_b32 s43, s73
	s_delay_alu instid0(SALU_CYCLE_1)
	s_xor_b32 s43, exec_lo, s43
	s_cbranch_execz .LBB6_14150
; %bb.14149:                            ;   in Loop: Header=BB6_14108 Depth=2
	v_mov_b32_e32 v0, 1
	ds_store_b32 v0, v0
	s_trap 2
.LBB6_14150:                            ;   in Loop: Header=BB6_14108 Depth=2
	s_or_b32 exec_lo, exec_lo, s42
	;;#ASMSTART
	s_wakeup
	;;#ASMEND
.LBB6_14151:                            ;   in Loop: Header=BB6_14108 Depth=2
	s_or_b32 exec_lo, exec_lo, s15
.LBB6_14152:                            ;   in Loop: Header=BB6_14108 Depth=2
	s_and_not1_saveexec_b32 s14, s14
	s_cbranch_execz .LBB6_14154
; %bb.14153:                            ;   in Loop: Header=BB6_14108 Depth=2
	global_wb scope:SCOPE_DEV
	s_wait_storecnt 0x0
	s_wait_loadcnt_dscnt 0x0
	global_inv scope:SCOPE_DEV
	s_barrier_signal -1
	s_barrier_wait -1
.LBB6_14154:                            ;   in Loop: Header=BB6_14108 Depth=2
	s_or_b32 exec_lo, exec_lo, s14
.LBB6_14155:                            ;   in Loop: Header=BB6_14108 Depth=2
	s_delay_alu instid0(SALU_CYCLE_1)
	s_or_b32 exec_lo, exec_lo, s13
	s_trap 2
	scratch_load_b32 v1, off, s33 offset:204 ; 4-byte Folded Reload
	ds_load_b32 v0, v0
	s_xor_b32 s13, s1, -1
	s_wait_loadcnt 0x0
	v_and_b32_e32 v1, 0x4000, v1
	s_delay_alu instid0(VALU_DEP_1)
	v_cmp_ne_u32_e32 vcc_lo, 0, v1
	s_and_b32 s14, s13, vcc_lo
	s_wait_xcnt 0x0
	s_and_saveexec_b32 s13, s14
	s_cbranch_execz .LBB6_14174
; %bb.14156:                            ;   in Loop: Header=BB6_14108 Depth=2
	s_and_saveexec_b32 s14, s3
	s_delay_alu instid0(SALU_CYCLE_1)
	s_xor_b32 s14, exec_lo, s14
	s_cbranch_execz .LBB6_14171
; %bb.14157:                            ;   in Loop: Header=BB6_14108 Depth=2
	s_and_saveexec_b32 s15, s6
	s_cbranch_execz .LBB6_14170
; %bb.14158:                            ;   in Loop: Header=BB6_14108 Depth=2
	s_mov_b32 s43, exec_lo
	s_mov_b32 s42, exec_lo
	v_mbcnt_lo_u32_b32 v1, s43, 0
	global_wb scope:SCOPE_DEV
	s_wait_storecnt_dscnt 0x0
	global_inv scope:SCOPE_DEV
	v_cmpx_eq_u32_e32 0, v1
	s_cbranch_execz .LBB6_14160
; %bb.14159:                            ;   in Loop: Header=BB6_14108 Depth=2
	s_bcnt1_i32_b32 s43, s43
	s_delay_alu instid0(SALU_CYCLE_1)
	v_dual_mov_b32 v3, v113 :: v_dual_mov_b32 v2, s43
	s_wait_loadcnt 0x0
	ds_add_u64 v0, v[2:3]
	s_trap 2
.LBB6_14160:                            ;   in Loop: Header=BB6_14108 Depth=2
	s_or_b32 exec_lo, exec_lo, s42
	s_trap 2
	ds_load_b64 v[2:3], v0
	s_wait_dscnt 0x0
	s_clause 0x1
	scratch_load_b64 v[4:5], off, s33 offset:208 th:TH_LOAD_LU
	scratch_load_b64 v[6:7], off, s33 offset:272
	s_mov_b32 s42, exec_lo
	s_wait_loadcnt 0x0
	v_add_nc_u64_e32 v[4:5], v[4:5], v[6:7]
	scratch_store_b64 off, v[4:5], s33 offset:208 ; 8-byte Folded Spill
	s_wait_xcnt 0x0
	v_cmpx_lt_u64_e64 v[2:3], v[4:5]
	s_cbranch_execz .LBB6_14169
; %bb.14161:                            ;   in Loop: Header=BB6_14108 Depth=2
	s_mov_b32 s43, 0
	s_mov_b32 s75, 0
                                        ; implicit-def: $sgpr73
                                        ; implicit-def: $sgpr74
	s_branch .LBB6_14163
.LBB6_14162:                            ;   in Loop: Header=BB6_14163 Depth=3
	s_wait_xcnt 0x0
	s_or_b32 exec_lo, exec_lo, s77
	s_delay_alu instid0(SALU_CYCLE_1) | instskip(NEXT) | instid1(SALU_CYCLE_1)
	s_and_b32 s76, exec_lo, s78
	s_or_b32 s43, s76, s43
	s_and_not1_b32 s73, s73, exec_lo
	s_and_b32 s76, s74, exec_lo
	s_delay_alu instid0(SALU_CYCLE_1)
	s_or_b32 s73, s73, s76
	s_and_not1_b32 exec_lo, exec_lo, s43
	s_cbranch_execz .LBB6_14167
.LBB6_14163:                            ;   Parent Loop BB6_47 Depth=1
                                        ;     Parent Loop BB6_14108 Depth=2
                                        ; =>    This Inner Loop Header: Depth=3
	s_add_co_i32 s75, s75, 1
	s_delay_alu instid0(SALU_CYCLE_1) | instskip(SKIP_1) | instid1(SALU_CYCLE_1)
	s_cmp_lg_u32 s75, 0x2710
	s_cselect_b32 s76, -1, 0
	s_and_b32 vcc_lo, exec_lo, s76
	s_cbranch_vccz .LBB6_14165
; %bb.14164:                            ;   in Loop: Header=BB6_14163 Depth=3
	s_mov_b32 s78, -1
	s_or_b32 s74, s74, exec_lo
	s_and_saveexec_b32 s77, s76
	s_cbranch_execz .LBB6_14162
	s_branch .LBB6_14166
.LBB6_14165:                            ;   in Loop: Header=BB6_14163 Depth=3
	s_trap 2
	ds_load_b64 v[2:3], v0
	s_and_not1_b32 s76, s76, exec_lo
	s_mov_b32 s75, 0
	s_wait_storecnt_dscnt 0x0
	flat_load_b32 v1, v[2:3] scope:SCOPE_SYS
	s_wait_loadcnt_dscnt 0x0
	global_inv scope:SCOPE_SYS
	v_cmp_eq_u32_e32 vcc_lo, 0, v1
	s_and_b32 s77, vcc_lo, exec_lo
	s_delay_alu instid0(SALU_CYCLE_1)
	s_or_b32 s76, s76, s77
	s_mov_b32 s78, -1
	s_or_b32 s74, s74, exec_lo
	s_wait_xcnt 0x0
	s_and_saveexec_b32 s77, s76
	s_cbranch_execz .LBB6_14162
.LBB6_14166:                            ;   in Loop: Header=BB6_14163 Depth=3
	s_sleep 1
	s_trap 2
	ds_load_b64 v[2:3], v0
	s_wait_dscnt 0x0
	scratch_load_b64 v[4:5], off, s33 offset:208 ; 8-byte Folded Reload
	s_and_not1_b32 s74, s74, exec_lo
	s_wait_loadcnt 0x0
	v_cmp_ge_u64_e32 vcc_lo, v[2:3], v[4:5]
	s_or_not1_b32 s78, vcc_lo, exec_lo
	s_branch .LBB6_14162
.LBB6_14167:                            ;   in Loop: Header=BB6_14108 Depth=2
	s_or_b32 exec_lo, exec_lo, s43
	s_and_saveexec_b32 s43, s73
	s_delay_alu instid0(SALU_CYCLE_1)
	s_xor_b32 s43, exec_lo, s43
	s_cbranch_execz .LBB6_14169
; %bb.14168:                            ;   in Loop: Header=BB6_14108 Depth=2
	v_mov_b32_e32 v1, 1
	ds_store_b32 v0, v1
	s_trap 2
.LBB6_14169:                            ;   in Loop: Header=BB6_14108 Depth=2
	s_or_b32 exec_lo, exec_lo, s42
	;;#ASMSTART
	s_wakeup
	;;#ASMEND
.LBB6_14170:                            ;   in Loop: Header=BB6_14108 Depth=2
	s_or_b32 exec_lo, exec_lo, s15
.LBB6_14171:                            ;   in Loop: Header=BB6_14108 Depth=2
	s_and_not1_saveexec_b32 s14, s14
	s_cbranch_execz .LBB6_14173
; %bb.14172:                            ;   in Loop: Header=BB6_14108 Depth=2
	global_wb scope:SCOPE_DEV
	s_wait_storecnt 0x0
	s_wait_loadcnt_dscnt 0x0
	global_inv scope:SCOPE_DEV
	s_barrier_signal -1
	s_barrier_wait -1
.LBB6_14173:                            ;   in Loop: Header=BB6_14108 Depth=2
	s_or_b32 exec_lo, exec_lo, s14
.LBB6_14174:                            ;   in Loop: Header=BB6_14108 Depth=2
	s_delay_alu instid0(SALU_CYCLE_1)
	s_or_b32 exec_lo, exec_lo, s13
	s_trap 2
	s_wait_dscnt 0x0
	ds_load_b64 v[50:51], v0
	s_wait_dscnt 0x0
	v_cmp_eq_u64_e32 vcc_lo, 0, v[50:51]
	s_cbranch_vccnz .LBB6_14183
; %bb.14175:                            ;   in Loop: Header=BB6_14108 Depth=2
	s_trap 2
	ds_load_b64 v[2:3], v0
	s_wait_dscnt 0x0
	v_cmp_eq_u64_e32 vcc_lo, 0, v[2:3]
	scratch_store_b64 off, v[2:3], s33 offset:436 ; 8-byte Folded Spill
	s_cbranch_vccnz .LBB6_14183
; %bb.14176:                            ;   in Loop: Header=BB6_14108 Depth=2
	s_trap 2
	ds_load_b64 v[60:61], v0
	v_cmp_eq_u32_e64 s13, 0, v0
	scratch_load_b64 v[0:1], off, s33 offset:412 ; 8-byte Folded Reload
	s_wait_dscnt 0x0
	v_cmp_ne_u64_e32 vcc_lo, 0, v[60:61]
	s_and_b32 vcc_lo, exec_lo, vcc_lo
	s_wait_loadcnt 0x0
	v_cndmask_b32_e64 v0, 0, v0, s13
	s_mov_b32 s13, -1
	scratch_store_b32 off, v0, s33 offset:432 ; 4-byte Folded Spill
	s_cbranch_vccnz .LBB6_14177
; %bb.31222:                            ;   in Loop: Header=BB6_14108 Depth=2
	s_add_pc_i64 .LBB6_22354-.Lpost_addpc81
.Lpost_addpc81:
.LBB6_14177:                            ;   in Loop: Header=BB6_14108 Depth=2
	s_wait_xcnt 0x0
	s_and_saveexec_b32 s14, s11
	s_cbranch_execz .LBB6_14179
; %bb.14178:                            ;   in Loop: Header=BB6_14108 Depth=2
	ds_load_b32 v0, v0 offset:720
	s_wait_dscnt 0x0
	v_and_b32_e32 v0, 15, v0
	s_delay_alu instid0(VALU_DEP_1)
	v_cmp_eq_u32_e32 vcc_lo, 0, v0
	s_or_not1_b32 s13, vcc_lo, exec_lo
.LBB6_14179:                            ;   in Loop: Header=BB6_14108 Depth=2
	s_or_b32 exec_lo, exec_lo, s14
	s_and_saveexec_b32 s14, s11
	s_cbranch_execz .LBB6_14181
; %bb.14180:                            ;   in Loop: Header=BB6_14108 Depth=2
	ds_load_b32 v0, v0 offset:784
	s_wait_dscnt 0x0
	v_and_b32_e32 v0, 15, v0
	s_delay_alu instid0(VALU_DEP_1) | instskip(SKIP_3) | instid1(SALU_CYCLE_1)
	v_cmp_eq_u32_e32 vcc_lo, 0, v0
	s_and_b32 s15, s13, vcc_lo
	s_and_not1_b32 s13, s13, exec_lo
	s_and_b32 s15, s15, exec_lo
	s_or_b32 s13, s13, s15
.LBB6_14181:                            ;   in Loop: Header=BB6_14108 Depth=2
	s_or_b32 exec_lo, exec_lo, s14
	s_clause 0x2
	scratch_store_b64 off, v[50:51], s33 offset:444
	scratch_load_b32 v112, off, s33 offset:432
	scratch_load_b32 v4, off, s33 offset:384
	s_xor_b32 s13, s13, -1
	v_mov_b32_e32 v7, 0
	v_cndmask_b32_e64 v0, 0, 1, s13
	s_mov_b32 s13, -1
	s_delay_alu instid0(VALU_DEP_1)
	v_cmp_ne_u32_e32 vcc_lo, 0, v0
	s_cbranch_vccz .LBB6_14188
; %bb.14182:                            ;   in Loop: Header=BB6_14108 Depth=2
	s_wait_xcnt 0x0
	s_and_saveexec_b32 s73, s13
	s_cbranch_execnz .LBB6_31158
; %bb.31224:                            ;   in Loop: Header=BB6_14108 Depth=2
	s_add_pc_i64 .LBB6_22353-.Lpost_addpc82
.Lpost_addpc82:
.LBB6_31158:                            ;   in Loop: Header=BB6_14108 Depth=2
	s_add_pc_i64 .LBB6_19753-.Lpost_addpc49
.Lpost_addpc49:
.LBB6_14183:                            ;   in Loop: Header=BB6_14108 Depth=2
	s_mov_b32 s13, 0
	s_wait_xcnt 0x0
	s_and_saveexec_b32 s14, s2
	s_cbranch_execz .LBB6_14184
; %bb.31226:                            ;   in Loop: Header=BB6_14108 Depth=2
	s_add_pc_i64 .LBB6_30524-.Lpost_addpc83
.Lpost_addpc83:
.LBB6_14184:                            ;   in Loop: Header=BB6_14108 Depth=2
	s_or_b32 exec_lo, exec_lo, s14
                                        ; implicit-def: $vgpr0
	s_and_saveexec_b32 s14, s12
	s_delay_alu instid0(SALU_CYCLE_1)
	s_xor_b32 s14, exec_lo, s14
	s_cbranch_execnz .LBB6_14185
; %bb.31228:                            ;   in Loop: Header=BB6_14108 Depth=2
	s_add_pc_i64 .LBB6_30542-.Lpost_addpc84
.Lpost_addpc84:
.LBB6_14185:                            ;   in Loop: Header=BB6_14108 Depth=2
	scratch_load_b32 v1, off, s33 offset:204 ; 4-byte Folded Reload
	s_wait_loadcnt 0x0
	v_and_b32_e32 v0, 16, v1
	s_delay_alu instid0(VALU_DEP_1)
	v_cmp_ne_u32_e32 vcc_lo, 0, v0
	v_and_b32_e32 v0, 16, v1
	s_and_b32 s15, vcc_lo, s13
	s_wait_xcnt 0x0
	s_and_saveexec_b32 s13, s15
	s_cbranch_execz .LBB6_14187
; %bb.14186:                            ;   in Loop: Header=BB6_14108 Depth=2
	v_mov_b32_e32 v0, 1
	global_wb scope:SCOPE_SYS
	s_wait_storecnt_dscnt 0x0
	global_inv scope:SCOPE_SYS
.LBB6_14187:                            ;   in Loop: Header=BB6_14108 Depth=2
	s_or_b32 exec_lo, exec_lo, s13
	s_and_not1_saveexec_b32 s13, s14
	s_cbranch_execnz .LBB6_31160
; %bb.31230:                            ;   in Loop: Header=BB6_14108 Depth=2
	s_add_pc_i64 .LBB6_30561-.Lpost_addpc85
.Lpost_addpc85:
.LBB6_31160:                            ;   in Loop: Header=BB6_14108 Depth=2
	s_add_pc_i64 .LBB6_30543-.Lpost_addpc50
.Lpost_addpc50:
.LBB6_14188:                            ;   in Loop: Header=BB6_14108 Depth=2
	scratch_load_b32 v1, off, s33 offset:432 ; 4-byte Folded Reload
	s_mov_b32 s14, exec_lo
	s_wait_loadcnt 0x0
	v_ashrrev_i32_e32 v0, 31, v1
	s_delay_alu instid0(VALU_DEP_1) | instskip(NEXT) | instid1(VALU_DEP_1)
	v_lshrrev_b32_e32 v0, 21, v0
	v_add_nc_u32_e32 v0, v1, v0
	s_delay_alu instid0(VALU_DEP_1) | instskip(SKIP_4) | instid1(VALU_DEP_1)
	v_ashrrev_i32_e32 v7, 11, v0
	scratch_load_b32 v0, off, s33 offset:420 ; 4-byte Folded Reload
	s_wait_loadcnt 0x0
	v_sub_nc_u32_e32 v6, v7, v0
	s_wait_xcnt 0x0
	v_cmpx_lt_i32_e32 0, v6
	s_cbranch_execnz .LBB6_14189
; %bb.31232:                            ;   in Loop: Header=BB6_14108 Depth=2
	s_add_pc_i64 .LBB6_18680-.Lpost_addpc86
.Lpost_addpc86:
.LBB6_14189:                            ;   in Loop: Header=BB6_14108 Depth=2
	s_trap 2
	ds_load_b64 v[0:1], v0
	s_clause 0x1
	scratch_load_b64 v[2:3], off, s33 offset:524
	scratch_load_b64 v[4:5], off, s33 offset:444
	s_wait_dscnt 0x0
	v_readfirstlane_b32 s42, v0
	v_readfirstlane_b32 s43, v1
	s_and_b32 s15, s42, 3
	s_bfe_i32 s13, s42, 0x80000
	s_clz_i32_u32 s75, s15
	s_bfe_u32 s73, s42, 0x50002
	s_min_u32 s75, s75, 32
	s_and_b32 s74, s42, 0x7c
	s_sub_co_i32 s78, s75, 29
	s_lshl_b32 s76, s42, 24
	s_sext_i32_i8 s77, s42
	s_lshl_b64 s[42:43], s[42:43], s78
	s_and_b32 s76, s76, 0x80000000
	s_sub_co_i32 s43, 30, s75
	s_and_b32 s42, s42, 3
	s_cmp_gt_i32 s77, -1
	s_cselect_b32 s75, s47, 0xff800000
	s_cmp_eq_u32 s15, 0
	s_cselect_b32 s75, s75, 0x7f800001
	s_cmp_eq_u32 s73, 0
	s_cselect_b32 s43, s43, s73
	s_cselect_b32 s15, s42, s15
	s_lshl_b32 s42, s43, 23
	s_lshl_b32 s15, s15, 21
	s_add_co_i32 s42, s42, s76
	s_delay_alu instid0(SALU_CYCLE_1) | instskip(NEXT) | instid1(SALU_CYCLE_1)
	s_or_b32 s15, s42, s15
	s_add_co_i32 s42, s15, 0x38000000
	s_cmp_eq_u32 s74, 0x7c
	s_mov_b32 s15, 0
	s_cselect_b32 s42, s75, s42
	s_and_b32 s43, s13, 0xff
	s_wait_loadcnt 0x1
	v_add_nc_u64_e32 v[74:75], v[60:61], v[2:3]
	s_wait_loadcnt 0x0
	v_add_nc_u64_e32 v[62:63], v[4:5], v[2:3]
	scratch_load_b64 v[4:5], off, s33 offset:436 ; 8-byte Folded Reload
	v_add_nc_u64_e32 v[76:77], v[0:1], v[2:3]
	s_wait_loadcnt 0x0
	v_add_nc_u64_e32 v[72:73], v[4:5], v[2:3]
	s_branch .LBB6_14192
.LBB6_14190:                            ;   in Loop: Header=BB6_14192 Depth=3
	s_or_b32 exec_lo, exec_lo, s73
.LBB6_14191:                            ;   in Loop: Header=BB6_14192 Depth=3
	s_delay_alu instid0(SALU_CYCLE_1)
	s_or_b32 exec_lo, exec_lo, s13
	v_lshl_or_b32 v0, v80, 8, v65
	v_dual_lshlrev_b32 v1, 16, v83 :: v_dual_lshlrev_b32 v3, 24, v12
	v_lshl_or_b32 v5, v70, 8, v19
	v_dual_lshlrev_b32 v10, 16, v84 :: v_dual_lshlrev_b32 v12, 24, v71
	v_lshl_or_b32 v19, v54, 8, v39
	s_delay_alu instid0(VALU_DEP_4)
	v_or3_b32 v11, v0, v1, v3
	v_lshlrev_b32_e32 v0, 24, v87
	v_lshl_or_b32 v1, v52, 8, v13
	v_dual_lshlrev_b32 v3, 16, v67 :: v_dual_lshlrev_b32 v13, 24, v14
	v_lshlrev_b32_e32 v14, 16, v66
	v_lshl_or_b32 v31, v112, 8, v100
	v_dual_lshlrev_b32 v34, 16, v117 :: v_dual_lshlrev_b32 v16, 24, v16
	v_lshl_or_b32 v23, v115, 8, v23
	v_lshlrev_b32_e32 v38, 16, v118
	v_lshlrev_b32_e32 v39, 24, v42
	v_or3_b32 v10, v5, v10, v0
	v_or3_b32 v12, v1, v3, v12
	v_lshl_or_b32 v0, v86, 8, v17
	v_dual_lshlrev_b32 v1, 16, v101 :: v_dual_lshlrev_b32 v3, 24, v103
	v_or3_b32 v13, v19, v14, v13
	v_or3_b32 v65, v31, v34, v16
	v_or3_b32 v64, v23, v38, v39
	v_dual_lshlrev_b32 v5, 24, v18 :: v_dual_lshlrev_b32 v18, 16, v68
	v_dual_lshlrev_b32 v14, 16, v98 :: v_dual_lshlrev_b32 v19, 24, v20
	v_lshl_or_b32 v16, v96, 8, v82
	v_lshl_or_b32 v17, v55, 8, v50
	;; [unrolled: 1-line block ×3, first 2 shown]
	v_dual_lshlrev_b32 v23, 16, v29 :: v_dual_lshlrev_b32 v26, 16, v114
	v_dual_lshlrev_b32 v24, 24, v33 :: v_dual_lshlrev_b32 v29, 24, v119
	v_lshl_or_b32 v21, v99, 8, v21
	v_or3_b32 v66, v0, v1, v3
	v_dual_lshlrev_b32 v0, 24, v22 :: v_dual_lshlrev_b32 v1, 16, v45
	v_lshl_or_b32 v3, v43, 8, v40
	v_or3_b32 v67, v16, v14, v5
	v_or3_b32 v17, v17, v18, v19
	;; [unrolled: 1-line block ×4, first 2 shown]
	v_lshl_or_b32 v5, v37, 8, v30
	v_dual_lshlrev_b32 v14, 16, v48 :: v_dual_lshlrev_b32 v20, 16, v49
	v_dual_lshlrev_b32 v8, 24, v8 :: v_dual_lshlrev_b32 v21, 24, v53
	v_lshl_or_b32 v15, v35, 8, v15
	v_lshl_or_b32 v9, v27, 8, v9
	v_dual_lshlrev_b32 v22, 16, v32 :: v_dual_lshlrev_b32 v24, 24, v2
	v_lshlrev_b32_e32 v23, 24, v36
	v_lshlrev_b32_e32 v4, 16, v4
	v_lshl_or_b32 v25, v28, 8, v25
	v_or3_b32 v19, v3, v1, v0
	v_or3_b32 v1, v5, v14, v8
	;; [unrolled: 1-line block ×5, first 2 shown]
	s_clause 0x3
	global_store_b128 v[72:73], v[16:19], off th:TH_STORE_NT
	global_store_b128 v[72:73], v[64:67], off offset:512 th:TH_STORE_NT
	global_store_b128 v[72:73], v[10:13], off offset:1024 th:TH_STORE_NT
	;; [unrolled: 1-line block ×3, first 2 shown]
	s_clause 0x1
	global_store_b128 v[74:75], v[16:19], off th:TH_STORE_NT
	global_store_b128 v[74:75], v[64:67], off offset:512 th:TH_STORE_NT
	scratch_load_b64 v[4:5], off, s33 offset:272 ; 8-byte Folded Reload
	s_clause 0x1
	global_store_b128 v[74:75], v[10:13], off offset:1024 th:TH_STORE_NT
	global_store_b128 v[74:75], v[0:3], off offset:1536 th:TH_STORE_NT
	scratch_load_b64 v[0:1], off, s33 offset:296 ; 8-byte Folded Reload
	s_wait_loadcnt 0x1
	v_sub_nc_u32_e32 v6, v6, v4
	s_wait_loadcnt 0x0
	v_add_nc_u64_e32 v[62:63], v[62:63], v[0:1]
	v_add_nc_u64_e32 v[76:77], v[76:77], v[0:1]
	;; [unrolled: 1-line block ×3, first 2 shown]
	v_cmp_gt_i32_e32 vcc_lo, 1, v6
	v_add_nc_u64_e32 v[74:75], v[74:75], v[0:1]
	s_or_b32 s15, vcc_lo, s15
	s_wait_xcnt 0x0
	s_and_not1_b32 exec_lo, exec_lo, s15
	s_cbranch_execz .LBB6_18679
.LBB6_14192:                            ;   Parent Loop BB6_47 Depth=1
                                        ;     Parent Loop BB6_14108 Depth=2
                                        ; =>    This Inner Loop Header: Depth=3
	s_cmp_lt_i32 s43, 0x80
	s_cbranch_scc1 .LBB6_14196
; %bb.14193:                            ;   in Loop: Header=BB6_14192 Depth=3
	s_and_b32 s13, 0xffff, s43
	s_delay_alu instid0(SALU_CYCLE_1)
	s_cmp_eq_u32 s13, 0x80
	s_mov_b32 s13, -1
	s_cbranch_scc0 .LBB6_14195
; %bb.14194:                            ;   in Loop: Header=BB6_14192 Depth=3
	s_mov_b32 s13, 0
.LBB6_14195:                            ;   in Loop: Header=BB6_14192 Depth=3
	s_brev_b32 s73, 1
	s_branch .LBB6_14198
.LBB6_14196:                            ;   in Loop: Header=BB6_14192 Depth=3
	s_mov_b32 s13, 0
	s_brev_b32 s73, 1
	s_cbranch_execz .LBB6_14198
; %bb.14197:                            ;   in Loop: Header=BB6_14192 Depth=3
	s_and_b32 s13, 0xffff, s43
	s_mov_b32 s73, 0
	s_cmp_lg_u32 s13, 0
	s_cselect_b32 s13, -1, 0
.LBB6_14198:                            ;   in Loop: Header=BB6_14192 Depth=3
	s_delay_alu instid0(SALU_CYCLE_1)
	s_and_not1_b32 vcc_lo, exec_lo, s13
	s_cbranch_vccnz .LBB6_14200
; %bb.14199:                            ;   in Loop: Header=BB6_14192 Depth=3
	s_mov_b32 s73, s42
.LBB6_14200:                            ;   in Loop: Header=BB6_14192 Depth=3
	global_load_b128 v[8:11], v[62:63], off th:TH_LOAD_NT
	s_wait_loadcnt 0x0
	v_and_b32_e32 v0, 0xff, v8
	s_delay_alu instid0(VALU_DEP_1)
	v_cmp_ne_u16_e32 vcc_lo, 0, v0
	v_mov_b32_e32 v0, 0
	s_wait_xcnt 0x0
	s_and_saveexec_b32 s13, vcc_lo
	s_cbranch_execz .LBB6_14210
; %bb.14201:                            ;   in Loop: Header=BB6_14192 Depth=3
	v_bfe_i32 v2, v8, 0, 8
	v_bfrev_b32_e32 v0, 1
	s_mov_b32 s74, exec_lo
	s_delay_alu instid0(VALU_DEP_2)
	v_cmpx_ne_u16_e32 0xff80, v2
	s_cbranch_execz .LBB6_14209
; %bb.14202:                            ;   in Loop: Header=BB6_14192 Depth=3
	v_and_b32_e32 v0, 0x7c, v8
	v_and_b32_e32 v1, 3, v8
	s_delay_alu instid0(VALU_DEP_2) | instskip(SKIP_1) | instid1(SALU_CYCLE_1)
	v_cmp_ne_u32_e32 vcc_lo, 0x7c, v0
                                        ; implicit-def: $vgpr0
	s_and_saveexec_b32 s75, vcc_lo
	s_xor_b32 s75, exec_lo, s75
	s_cbranch_execz .LBB6_14206
; %bb.14203:                            ;   in Loop: Header=BB6_14192 Depth=3
	v_bfe_u32 v0, v8, 2, 5
	s_mov_b32 s76, exec_lo
	s_delay_alu instid0(VALU_DEP_1)
	v_cmpx_eq_u32_e32 0, v0
; %bb.14204:                            ;   in Loop: Header=BB6_14192 Depth=3
	v_clz_i32_u32_e32 v0, v1
	s_delay_alu instid0(VALU_DEP_1) | instskip(NEXT) | instid1(VALU_DEP_1)
	v_min_u32_e32 v0, 32, v0
	v_subrev_nc_u32_e32 v1, 29, v0
	s_delay_alu instid0(VALU_DEP_1) | instskip(NEXT) | instid1(VALU_DEP_1)
	v_lshlrev_b64_e32 v[2:3], v1, v[8:9]
	v_dual_sub_nc_u32 v0, 30, v0 :: v_dual_bitop2_b32 v1, 3, v2 bitop3:0x40
; %bb.14205:                            ;   in Loop: Header=BB6_14192 Depth=3
	s_or_b32 exec_lo, exec_lo, s76
	v_lshlrev_b32_e32 v2, 24, v8
	s_delay_alu instid0(VALU_DEP_1) | instskip(NEXT) | instid1(VALU_DEP_1)
	v_and_b32_e32 v2, 0x80000000, v2
	v_lshl_add_u32 v0, v0, 23, v2
                                        ; implicit-def: $vgpr2
	s_delay_alu instid0(VALU_DEP_1) | instskip(NEXT) | instid1(VALU_DEP_1)
	v_lshl_or_b32 v0, v1, 21, v0
                                        ; implicit-def: $vgpr1
	v_add_nc_u32_e32 v0, 0x38000000, v0
.LBB6_14206:                            ;   in Loop: Header=BB6_14192 Depth=3
	s_and_not1_saveexec_b32 s75, s75
; %bb.14207:                            ;   in Loop: Header=BB6_14192 Depth=3
	v_cmp_lt_i16_e32 vcc_lo, -1, v2
	v_mov_b32_e32 v0, 0x7f800000
	s_delay_alu instid0(VALU_DEP_1) | instskip(SKIP_1) | instid1(VALU_DEP_2)
	v_cndmask_b32_e32 v0, 0xff800000, v0, vcc_lo
	v_cmp_eq_u32_e32 vcc_lo, 0, v1
	v_cndmask_b32_e32 v0, 0x7f800001, v0, vcc_lo
; %bb.14208:                            ;   in Loop: Header=BB6_14192 Depth=3
	s_or_b32 exec_lo, exec_lo, s75
.LBB6_14209:                            ;   in Loop: Header=BB6_14192 Depth=3
	s_delay_alu instid0(SALU_CYCLE_1)
	s_or_b32 exec_lo, exec_lo, s74
.LBB6_14210:                            ;   in Loop: Header=BB6_14192 Depth=3
	s_delay_alu instid0(SALU_CYCLE_1) | instskip(NEXT) | instid1(VALU_DEP_1)
	s_or_b32 exec_lo, exec_lo, s13
	v_dual_mul_f32 v2, s73, v0 :: v_dual_mov_b32 v5, v113
	v_mov_b32_e32 v1, v113
                                        ; implicit-def: $vgpr24
	s_mov_b32 s13, exec_lo
	s_delay_alu instid0(VALU_DEP_2) | instskip(SKIP_2) | instid1(VALU_DEP_3)
	v_and_b32_e32 v4, 0x7f800000, v2
	v_and_b32_e32 v0, 0x7fffff, v2
	v_lshrrev_b32_e32 v3, 24, v2
	v_cmpx_ne_u64_e32 0x7f800000, v[4:5]
	s_xor_b32 s74, exec_lo, s13
	s_cbranch_execz .LBB6_14224
; %bb.14211:                            ;   in Loop: Header=BB6_14192 Depth=3
	v_and_b32_e32 v4, 0x7fffffff, v2
	v_mov_b32_e32 v5, v113
                                        ; implicit-def: $vgpr24
	s_delay_alu instid0(VALU_DEP_1) | instskip(SKIP_2) | instid1(SALU_CYCLE_1)
	v_cmp_gt_u64_e32 vcc_lo, 0x47600001, v[4:5]
	v_and_b32_e32 v4, 0x80, v3
	s_and_saveexec_b32 s13, vcc_lo
	s_xor_b32 s75, exec_lo, s13
	s_cbranch_execz .LBB6_14221
; %bb.14212:                            ;   in Loop: Header=BB6_14192 Depth=3
	v_mov_b32_e32 v24, 0
	s_mov_b32 s76, exec_lo
	v_cmpx_ne_u32_e32 0, v2
	s_cbranch_execz .LBB6_14220
; %bb.14213:                            ;   in Loop: Header=BB6_14192 Depth=3
	v_bfe_u32 v5, v2, 23, 8
	v_or_b32_e32 v13, 0x800000, v0
	s_delay_alu instid0(VALU_DEP_2) | instskip(SKIP_1) | instid1(VALU_DEP_2)
	v_sub_nc_u32_e32 v2, 0x71, v5
	v_cmp_gt_u32_e32 vcc_lo, 0x72, v5
	v_cndmask_b32_e32 v2, 0, v2, vcc_lo
	v_cmp_eq_u32_e32 vcc_lo, 0, v5
	s_delay_alu instid0(VALU_DEP_2) | instskip(SKIP_1) | instid1(VALU_DEP_2)
	v_cndmask_b32_e64 v12, v2, 0x70, vcc_lo
	v_cndmask_b32_e32 v0, v13, v0, vcc_lo
	v_dual_add_nc_u32 v2, 21, v12 :: v_dual_add_nc_u32 v14, 20, v12
	s_delay_alu instid0(VALU_DEP_1) | instskip(NEXT) | instid1(VALU_DEP_2)
	v_lshlrev_b64_e64 v[2:3], v2, -1
	v_lshlrev_b64_e64 v[14:15], v14, 1
	s_delay_alu instid0(VALU_DEP_2) | instskip(SKIP_1) | instid1(VALU_DEP_4)
	v_bfi_b32 v2, v2, 0, v0
	v_lshrrev_b64 v[0:1], v12, v[0:1]
	v_bfi_b32 v3, v3, 0, 0
	s_delay_alu instid0(VALU_DEP_1) | instskip(NEXT) | instid1(VALU_DEP_3)
	v_cmp_eq_u64_e64 s13, v[2:3], v[14:15]
	v_mov_b64_e32 v[2:3], v[0:1]
	s_and_saveexec_b32 s77, s13
; %bb.14214:                            ;   in Loop: Header=BB6_14192 Depth=3
	v_bfe_u32 v2, v0, 21, 1
	v_mov_b32_e32 v3, v113
	s_delay_alu instid0(VALU_DEP_1) | instskip(NEXT) | instid1(VALU_DEP_1)
	v_add_nc_u64_e32 v[2:3], v[0:1], v[2:3]
	v_add_nc_u64_e32 v[2:3], -1, v[2:3]
; %bb.14215:                            ;   in Loop: Header=BB6_14192 Depth=3
	s_or_b32 exec_lo, exec_lo, s77
	v_add_nc_u32_e32 v1, 0xffffff81, v5
	v_lshrrev_b32_e32 v3, 23, v0
	s_mov_b32 s13, exec_lo
	s_delay_alu instid0(VALU_DEP_2) | instskip(NEXT) | instid1(VALU_DEP_1)
	v_cndmask_b32_e64 v1, v1, 0xffffff82, vcc_lo
	v_add3_u32 v3, v12, v1, v3
	v_and_b32_e32 v1, 0x1fffff, v2
                                        ; implicit-def: $vgpr2
	s_delay_alu instid0(VALU_DEP_1) | instskip(SKIP_1) | instid1(VALU_DEP_2)
	v_dual_add_nc_u32 v5, 14, v3 :: v_dual_add_nc_u32 v0, v1, v0
	v_mov_b32_e32 v1, v113
	v_cmpx_ne_u32_e32 0, v5
	s_xor_b32 s13, exec_lo, s13
; %bb.14216:                            ;   in Loop: Header=BB6_14192 Depth=3
	s_delay_alu instid0(VALU_DEP_2) | instskip(SKIP_2) | instid1(VALU_DEP_2)
	v_cmp_lt_u64_e32 vcc_lo, 0xffffff, v[0:1]
	v_add_nc_u32_e32 v2, 15, v3
	v_cndmask_b32_e64 v3, 0, 1, vcc_lo
	v_cndmask_b32_e32 v2, v5, v2, vcc_lo
	s_delay_alu instid0(VALU_DEP_2)
	v_lshrrev_b64 v[0:1], v3, v[0:1]
; %bb.14217:                            ;   in Loop: Header=BB6_14192 Depth=3
	s_and_not1_saveexec_b32 s13, s13
; %bb.14218:                            ;   in Loop: Header=BB6_14192 Depth=3
	s_delay_alu instid0(VALU_DEP_1)
	v_bfe_u32 v2, v0, 23, 1
; %bb.14219:                            ;   in Loop: Header=BB6_14192 Depth=3
	s_or_b32 exec_lo, exec_lo, s13
	s_delay_alu instid0(VALU_DEP_2) | instskip(NEXT) | instid1(VALU_DEP_2)
	v_lshrrev_b64 v[0:1], 21, v[0:1]
	v_cmp_gt_i32_e32 vcc_lo, 32, v2
	v_min_i32_e32 v3, 31, v2
	v_cmp_eq_u32_e64 s13, 0, v2
	s_delay_alu instid0(VALU_DEP_2) | instskip(SKIP_1) | instid1(VALU_DEP_2)
	v_dual_cndmask_b32 v1, 0, v1, vcc_lo :: v_dual_lshlrev_b32 v3, 2, v3
	v_cndmask_b32_e32 v0, 3, v0, vcc_lo
	v_and_b32_e32 v3, 0xfc, v3
	s_delay_alu instid0(VALU_DEP_2) | instskip(NEXT) | instid1(VALU_DEP_2)
	v_cmp_eq_u64_e32 vcc_lo, 0, v[0:1]
	v_and_or_b32 v0, v0, 3, v3
	s_and_b32 s13, s13, vcc_lo
	s_delay_alu instid0(VALU_DEP_1) | instid1(SALU_CYCLE_1)
	v_cndmask_b32_e64 v0, v0, 0, s13
	s_delay_alu instid0(VALU_DEP_1)
	v_or_b32_e32 v24, v0, v4
.LBB6_14220:                            ;   in Loop: Header=BB6_14192 Depth=3
	s_or_b32 exec_lo, exec_lo, s76
                                        ; implicit-def: $vgpr4
.LBB6_14221:                            ;   in Loop: Header=BB6_14192 Depth=3
	s_and_not1_saveexec_b32 s13, s75
; %bb.14222:                            ;   in Loop: Header=BB6_14192 Depth=3
	v_or_b32_e32 v24, 0x7b, v4
; %bb.14223:                            ;   in Loop: Header=BB6_14192 Depth=3
	s_or_b32 exec_lo, exec_lo, s13
                                        ; implicit-def: $vgpr2
                                        ; implicit-def: $vgpr0_vgpr1
                                        ; implicit-def: $vgpr3
.LBB6_14224:                            ;   in Loop: Header=BB6_14192 Depth=3
	s_and_not1_saveexec_b32 s13, s74
	s_cbranch_execz .LBB6_14230
; %bb.14225:                            ;   in Loop: Header=BB6_14192 Depth=3
	s_mov_b32 s74, exec_lo
                                        ; implicit-def: $vgpr24
	v_cmpx_ne_u64_e32 0, v[0:1]
	s_xor_b32 s74, exec_lo, s74
; %bb.14226:                            ;   in Loop: Header=BB6_14192 Depth=3
	v_or_b32_e32 v24, 0x7f, v3
                                        ; implicit-def: $vgpr2
; %bb.14227:                            ;   in Loop: Header=BB6_14192 Depth=3
	s_and_not1_saveexec_b32 s74, s74
; %bb.14228:                            ;   in Loop: Header=BB6_14192 Depth=3
	v_cmp_lt_i32_e32 vcc_lo, -1, v2
	v_mov_b32_e32 v0, 0x7c
	s_delay_alu instid0(VALU_DEP_1)
	v_cndmask_b32_e32 v24, 0xfc, v0, vcc_lo
; %bb.14229:                            ;   in Loop: Header=BB6_14192 Depth=3
	s_or_b32 exec_lo, exec_lo, s74
.LBB6_14230:                            ;   in Loop: Header=BB6_14192 Depth=3
	s_delay_alu instid0(SALU_CYCLE_1) | instskip(SKIP_3) | instid1(VALU_DEP_2)
	s_or_b32 exec_lo, exec_lo, s13
	v_lshrrev_b16 v0, 8, v8
	v_mov_b32_e32 v2, 0
	s_mov_b32 s13, exec_lo
	v_cmpx_ne_u16_e32 0, v0
	s_cbranch_execz .LBB6_14240
; %bb.14231:                            ;   in Loop: Header=BB6_14192 Depth=3
	v_bfrev_b32_e32 v2, 1
	s_mov_b32 s74, exec_lo
	v_cmpx_ne_u16_e32 0x80, v0
	s_cbranch_execz .LBB6_14239
; %bb.14232:                            ;   in Loop: Header=BB6_14192 Depth=3
	v_and_b32_e32 v3, 0xffff, v0
	s_delay_alu instid0(VALU_DEP_1) | instskip(SKIP_1) | instid1(VALU_DEP_2)
	v_and_b32_e32 v2, 0x7c, v3
	v_and_b32_e32 v1, 3, v3
	v_cmp_ne_u32_e32 vcc_lo, 0x7c, v2
                                        ; implicit-def: $vgpr2
	s_and_saveexec_b32 s75, vcc_lo
	s_delay_alu instid0(SALU_CYCLE_1)
	s_xor_b32 s75, exec_lo, s75
	s_cbranch_execz .LBB6_14236
; %bb.14233:                            ;   in Loop: Header=BB6_14192 Depth=3
	v_bfe_u32 v2, v3, 2, 5
	s_mov_b32 s76, exec_lo
	s_delay_alu instid0(VALU_DEP_1)
	v_cmpx_eq_u32_e32 0, v2
	s_cbranch_execz .LBB6_14235
; %bb.14234:                            ;   in Loop: Header=BB6_14192 Depth=3
	v_clz_i32_u32_e32 v1, v1
	s_delay_alu instid0(VALU_DEP_1) | instskip(SKIP_1) | instid1(VALU_DEP_2)
	v_min_u32_e32 v2, 32, v1
	v_mov_b32_e32 v1, v113
	v_subrev_nc_u32_e32 v3, 29, v2
	v_sub_nc_u32_e32 v2, 30, v2
	s_delay_alu instid0(VALU_DEP_2) | instskip(NEXT) | instid1(VALU_DEP_1)
	v_lshlrev_b64_e32 v[0:1], v3, v[0:1]
	v_and_b32_e32 v1, 3, v0
.LBB6_14235:                            ;   in Loop: Header=BB6_14192 Depth=3
	s_or_b32 exec_lo, exec_lo, s76
	v_lshlrev_b32_e32 v0, 16, v8
	s_delay_alu instid0(VALU_DEP_1) | instskip(NEXT) | instid1(VALU_DEP_1)
	v_and_b32_e32 v0, 0x80000000, v0
	v_lshl_add_u32 v0, v2, 23, v0
	s_delay_alu instid0(VALU_DEP_1) | instskip(NEXT) | instid1(VALU_DEP_1)
	v_lshl_or_b32 v0, v1, 21, v0
                                        ; implicit-def: $vgpr1
	v_add_nc_u32_e32 v2, 0x38000000, v0
.LBB6_14236:                            ;   in Loop: Header=BB6_14192 Depth=3
	s_and_not1_saveexec_b32 s75, s75
; %bb.14237:                            ;   in Loop: Header=BB6_14192 Depth=3
	v_cmp_lt_i16_e32 vcc_lo, -1, v8
	v_mov_b32_e32 v0, 0x7f800000
	s_delay_alu instid0(VALU_DEP_1) | instskip(SKIP_1) | instid1(VALU_DEP_2)
	v_cndmask_b32_e32 v0, 0xff800000, v0, vcc_lo
	v_cmp_eq_u32_e32 vcc_lo, 0, v1
	v_cndmask_b32_e32 v2, 0x7f800001, v0, vcc_lo
; %bb.14238:                            ;   in Loop: Header=BB6_14192 Depth=3
	s_or_b32 exec_lo, exec_lo, s75
.LBB6_14239:                            ;   in Loop: Header=BB6_14192 Depth=3
	s_delay_alu instid0(SALU_CYCLE_1)
	s_or_b32 exec_lo, exec_lo, s74
.LBB6_14240:                            ;   in Loop: Header=BB6_14192 Depth=3
	s_delay_alu instid0(SALU_CYCLE_1) | instskip(NEXT) | instid1(VALU_DEP_1)
	s_or_b32 exec_lo, exec_lo, s13
	v_dual_mul_f32 v2, s73, v2 :: v_dual_mov_b32 v5, v113
	v_mov_b32_e32 v1, v113
                                        ; implicit-def: $vgpr26
	s_mov_b32 s13, exec_lo
	s_delay_alu instid0(VALU_DEP_2) | instskip(SKIP_2) | instid1(VALU_DEP_3)
	v_and_b32_e32 v4, 0x7f800000, v2
	v_and_b32_e32 v0, 0x7fffff, v2
	v_lshrrev_b32_e32 v3, 24, v2
	v_cmpx_ne_u64_e32 0x7f800000, v[4:5]
	s_xor_b32 s74, exec_lo, s13
	s_cbranch_execz .LBB6_14254
; %bb.14241:                            ;   in Loop: Header=BB6_14192 Depth=3
	v_and_b32_e32 v4, 0x7fffffff, v2
	v_mov_b32_e32 v5, v113
                                        ; implicit-def: $vgpr26
	s_delay_alu instid0(VALU_DEP_1) | instskip(SKIP_2) | instid1(SALU_CYCLE_1)
	v_cmp_gt_u64_e32 vcc_lo, 0x47600001, v[4:5]
	v_and_b32_e32 v4, 0x80, v3
	s_and_saveexec_b32 s13, vcc_lo
	s_xor_b32 s75, exec_lo, s13
	s_cbranch_execz .LBB6_14251
; %bb.14242:                            ;   in Loop: Header=BB6_14192 Depth=3
	v_mov_b32_e32 v26, 0
	s_mov_b32 s76, exec_lo
	v_cmpx_ne_u32_e32 0, v2
	s_cbranch_execz .LBB6_14250
; %bb.14243:                            ;   in Loop: Header=BB6_14192 Depth=3
	v_bfe_u32 v5, v2, 23, 8
	v_or_b32_e32 v13, 0x800000, v0
	s_delay_alu instid0(VALU_DEP_2) | instskip(SKIP_1) | instid1(VALU_DEP_2)
	v_sub_nc_u32_e32 v2, 0x71, v5
	v_cmp_gt_u32_e32 vcc_lo, 0x72, v5
	v_cndmask_b32_e32 v2, 0, v2, vcc_lo
	v_cmp_eq_u32_e32 vcc_lo, 0, v5
	s_delay_alu instid0(VALU_DEP_2) | instskip(SKIP_1) | instid1(VALU_DEP_2)
	v_cndmask_b32_e64 v12, v2, 0x70, vcc_lo
	v_cndmask_b32_e32 v0, v13, v0, vcc_lo
	v_dual_add_nc_u32 v2, 21, v12 :: v_dual_add_nc_u32 v14, 20, v12
	s_delay_alu instid0(VALU_DEP_1) | instskip(NEXT) | instid1(VALU_DEP_2)
	v_lshlrev_b64_e64 v[2:3], v2, -1
	v_lshlrev_b64_e64 v[14:15], v14, 1
	s_delay_alu instid0(VALU_DEP_2) | instskip(SKIP_1) | instid1(VALU_DEP_4)
	v_bfi_b32 v2, v2, 0, v0
	v_lshrrev_b64 v[0:1], v12, v[0:1]
	v_bfi_b32 v3, v3, 0, 0
	s_delay_alu instid0(VALU_DEP_1) | instskip(NEXT) | instid1(VALU_DEP_3)
	v_cmp_eq_u64_e64 s13, v[2:3], v[14:15]
	v_mov_b64_e32 v[2:3], v[0:1]
	s_and_saveexec_b32 s77, s13
; %bb.14244:                            ;   in Loop: Header=BB6_14192 Depth=3
	v_bfe_u32 v2, v0, 21, 1
	v_mov_b32_e32 v3, v113
	s_delay_alu instid0(VALU_DEP_1) | instskip(NEXT) | instid1(VALU_DEP_1)
	v_add_nc_u64_e32 v[2:3], v[0:1], v[2:3]
	v_add_nc_u64_e32 v[2:3], -1, v[2:3]
; %bb.14245:                            ;   in Loop: Header=BB6_14192 Depth=3
	s_or_b32 exec_lo, exec_lo, s77
	v_add_nc_u32_e32 v1, 0xffffff81, v5
	v_lshrrev_b32_e32 v3, 23, v0
	s_mov_b32 s13, exec_lo
	s_delay_alu instid0(VALU_DEP_2) | instskip(NEXT) | instid1(VALU_DEP_1)
	v_cndmask_b32_e64 v1, v1, 0xffffff82, vcc_lo
	v_add3_u32 v3, v12, v1, v3
	v_and_b32_e32 v1, 0x1fffff, v2
                                        ; implicit-def: $vgpr2
	s_delay_alu instid0(VALU_DEP_1) | instskip(SKIP_1) | instid1(VALU_DEP_2)
	v_dual_add_nc_u32 v5, 14, v3 :: v_dual_add_nc_u32 v0, v1, v0
	v_mov_b32_e32 v1, v113
	v_cmpx_ne_u32_e32 0, v5
	s_xor_b32 s13, exec_lo, s13
; %bb.14246:                            ;   in Loop: Header=BB6_14192 Depth=3
	s_delay_alu instid0(VALU_DEP_2) | instskip(SKIP_2) | instid1(VALU_DEP_2)
	v_cmp_lt_u64_e32 vcc_lo, 0xffffff, v[0:1]
	v_add_nc_u32_e32 v2, 15, v3
	v_cndmask_b32_e64 v3, 0, 1, vcc_lo
	v_cndmask_b32_e32 v2, v5, v2, vcc_lo
	s_delay_alu instid0(VALU_DEP_2)
	v_lshrrev_b64 v[0:1], v3, v[0:1]
; %bb.14247:                            ;   in Loop: Header=BB6_14192 Depth=3
	s_and_not1_saveexec_b32 s13, s13
; %bb.14248:                            ;   in Loop: Header=BB6_14192 Depth=3
	s_delay_alu instid0(VALU_DEP_1)
	v_bfe_u32 v2, v0, 23, 1
; %bb.14249:                            ;   in Loop: Header=BB6_14192 Depth=3
	s_or_b32 exec_lo, exec_lo, s13
	s_delay_alu instid0(VALU_DEP_2) | instskip(NEXT) | instid1(VALU_DEP_2)
	v_lshrrev_b64 v[0:1], 21, v[0:1]
	v_cmp_gt_i32_e32 vcc_lo, 32, v2
	v_min_i32_e32 v3, 31, v2
	v_cmp_eq_u32_e64 s13, 0, v2
	s_delay_alu instid0(VALU_DEP_2) | instskip(SKIP_1) | instid1(VALU_DEP_2)
	v_dual_cndmask_b32 v1, 0, v1, vcc_lo :: v_dual_lshlrev_b32 v3, 2, v3
	v_cndmask_b32_e32 v0, 3, v0, vcc_lo
	v_and_b32_e32 v3, 0xfc, v3
	s_delay_alu instid0(VALU_DEP_2) | instskip(NEXT) | instid1(VALU_DEP_2)
	v_cmp_eq_u64_e32 vcc_lo, 0, v[0:1]
	v_and_or_b32 v0, v0, 3, v3
	s_and_b32 s13, s13, vcc_lo
	s_delay_alu instid0(VALU_DEP_1) | instid1(SALU_CYCLE_1)
	v_cndmask_b32_e64 v0, v0, 0, s13
	s_delay_alu instid0(VALU_DEP_1)
	v_or_b32_e32 v26, v0, v4
.LBB6_14250:                            ;   in Loop: Header=BB6_14192 Depth=3
	s_or_b32 exec_lo, exec_lo, s76
                                        ; implicit-def: $vgpr4
.LBB6_14251:                            ;   in Loop: Header=BB6_14192 Depth=3
	s_and_not1_saveexec_b32 s13, s75
; %bb.14252:                            ;   in Loop: Header=BB6_14192 Depth=3
	v_or_b32_e32 v26, 0x7b, v4
; %bb.14253:                            ;   in Loop: Header=BB6_14192 Depth=3
	s_or_b32 exec_lo, exec_lo, s13
                                        ; implicit-def: $vgpr2
                                        ; implicit-def: $vgpr0_vgpr1
                                        ; implicit-def: $vgpr3
.LBB6_14254:                            ;   in Loop: Header=BB6_14192 Depth=3
	s_and_not1_saveexec_b32 s13, s74
	s_cbranch_execz .LBB6_14260
; %bb.14255:                            ;   in Loop: Header=BB6_14192 Depth=3
	s_mov_b32 s74, exec_lo
                                        ; implicit-def: $vgpr26
	v_cmpx_ne_u64_e32 0, v[0:1]
	s_xor_b32 s74, exec_lo, s74
; %bb.14256:                            ;   in Loop: Header=BB6_14192 Depth=3
	v_or_b32_e32 v26, 0x7f, v3
                                        ; implicit-def: $vgpr2
; %bb.14257:                            ;   in Loop: Header=BB6_14192 Depth=3
	s_and_not1_saveexec_b32 s74, s74
; %bb.14258:                            ;   in Loop: Header=BB6_14192 Depth=3
	v_cmp_lt_i32_e32 vcc_lo, -1, v2
	v_mov_b32_e32 v0, 0x7c
	s_delay_alu instid0(VALU_DEP_1)
	v_cndmask_b32_e32 v26, 0xfc, v0, vcc_lo
; %bb.14259:                            ;   in Loop: Header=BB6_14192 Depth=3
	s_or_b32 exec_lo, exec_lo, s74
.LBB6_14260:                            ;   in Loop: Header=BB6_14192 Depth=3
	s_delay_alu instid0(SALU_CYCLE_1) | instskip(SKIP_2) | instid1(VALU_DEP_1)
	s_or_b32 exec_lo, exec_lo, s13
	v_dual_mov_b32 v1, 0 :: v_dual_lshrrev_b32 v0, 16, v8
	s_mov_b32 s13, exec_lo
	v_and_b32_e32 v2, 0xff, v0
	s_delay_alu instid0(VALU_DEP_1)
	v_cmpx_ne_u16_e32 0, v2
	s_cbranch_execz .LBB6_14270
; %bb.14261:                            ;   in Loop: Header=BB6_14192 Depth=3
	v_bfrev_b32_e32 v1, 1
	s_mov_b32 s74, exec_lo
	v_cmpx_ne_u16_e32 0x80, v2
	s_cbranch_execz .LBB6_14269
; %bb.14262:                            ;   in Loop: Header=BB6_14192 Depth=3
	v_and_b32_e32 v1, 0x7c0000, v8
	v_bfe_u32 v2, v8, 16, 2
	s_delay_alu instid0(VALU_DEP_2) | instskip(SKIP_1) | instid1(SALU_CYCLE_1)
	v_cmp_ne_u32_e32 vcc_lo, 0x7c0000, v1
                                        ; implicit-def: $vgpr1
	s_and_saveexec_b32 s75, vcc_lo
	s_xor_b32 s75, exec_lo, s75
	s_cbranch_execz .LBB6_14266
; %bb.14263:                            ;   in Loop: Header=BB6_14192 Depth=3
	v_bfe_u32 v1, v8, 18, 5
	s_mov_b32 s76, exec_lo
	s_delay_alu instid0(VALU_DEP_1)
	v_cmpx_eq_u32_e32 0, v1
; %bb.14264:                            ;   in Loop: Header=BB6_14192 Depth=3
	v_clz_i32_u32_e32 v1, v2
	s_delay_alu instid0(VALU_DEP_1) | instskip(NEXT) | instid1(VALU_DEP_1)
	v_min_u32_e32 v1, 32, v1
	v_subrev_nc_u32_e32 v2, 29, v1
	s_delay_alu instid0(VALU_DEP_1) | instskip(NEXT) | instid1(VALU_DEP_1)
	v_lshlrev_b64_e32 v[2:3], v2, v[0:1]
	v_dual_sub_nc_u32 v1, 30, v1 :: v_dual_bitop2_b32 v2, 3, v2 bitop3:0x40
; %bb.14265:                            ;   in Loop: Header=BB6_14192 Depth=3
	s_or_b32 exec_lo, exec_lo, s76
	v_lshlrev_b32_e32 v0, 24, v0
	s_delay_alu instid0(VALU_DEP_1) | instskip(NEXT) | instid1(VALU_DEP_1)
	v_and_b32_e32 v0, 0x80000000, v0
	v_lshl_add_u32 v0, v1, 23, v0
	s_delay_alu instid0(VALU_DEP_1) | instskip(NEXT) | instid1(VALU_DEP_1)
	v_lshl_or_b32 v0, v2, 21, v0
                                        ; implicit-def: $vgpr2
	v_add_nc_u32_e32 v1, 0x38000000, v0
                                        ; implicit-def: $vgpr0
.LBB6_14266:                            ;   in Loop: Header=BB6_14192 Depth=3
	s_and_not1_saveexec_b32 s75, s75
; %bb.14267:                            ;   in Loop: Header=BB6_14192 Depth=3
	v_bfe_i32 v0, v0, 0, 8
	s_delay_alu instid0(VALU_DEP_1) | instskip(SKIP_1) | instid1(VALU_DEP_1)
	v_cmp_lt_i16_e32 vcc_lo, -1, v0
	v_mov_b32_e32 v0, 0x7f800000
	v_cndmask_b32_e32 v0, 0xff800000, v0, vcc_lo
	v_cmp_eq_u32_e32 vcc_lo, 0, v2
	s_delay_alu instid0(VALU_DEP_2)
	v_cndmask_b32_e32 v1, 0x7f800001, v0, vcc_lo
; %bb.14268:                            ;   in Loop: Header=BB6_14192 Depth=3
	s_or_b32 exec_lo, exec_lo, s75
.LBB6_14269:                            ;   in Loop: Header=BB6_14192 Depth=3
	s_delay_alu instid0(SALU_CYCLE_1)
	s_or_b32 exec_lo, exec_lo, s74
.LBB6_14270:                            ;   in Loop: Header=BB6_14192 Depth=3
	s_delay_alu instid0(SALU_CYCLE_1) | instskip(NEXT) | instid1(VALU_DEP_1)
	s_or_b32 exec_lo, exec_lo, s13
	v_dual_mul_f32 v2, s73, v1 :: v_dual_mov_b32 v5, v113
	v_mov_b32_e32 v1, v113
                                        ; implicit-def: $vgpr29
	s_mov_b32 s13, exec_lo
	s_delay_alu instid0(VALU_DEP_2) | instskip(SKIP_2) | instid1(VALU_DEP_3)
	v_and_b32_e32 v4, 0x7f800000, v2
	v_and_b32_e32 v0, 0x7fffff, v2
	v_lshrrev_b32_e32 v3, 24, v2
	v_cmpx_ne_u64_e32 0x7f800000, v[4:5]
	s_xor_b32 s74, exec_lo, s13
	s_cbranch_execz .LBB6_14284
; %bb.14271:                            ;   in Loop: Header=BB6_14192 Depth=3
	v_and_b32_e32 v4, 0x7fffffff, v2
	v_mov_b32_e32 v5, v113
                                        ; implicit-def: $vgpr29
	s_delay_alu instid0(VALU_DEP_1) | instskip(SKIP_2) | instid1(SALU_CYCLE_1)
	v_cmp_gt_u64_e32 vcc_lo, 0x47600001, v[4:5]
	v_and_b32_e32 v4, 0x80, v3
	s_and_saveexec_b32 s13, vcc_lo
	s_xor_b32 s75, exec_lo, s13
	s_cbranch_execz .LBB6_14281
; %bb.14272:                            ;   in Loop: Header=BB6_14192 Depth=3
	v_mov_b32_e32 v29, 0
	s_mov_b32 s76, exec_lo
	v_cmpx_ne_u32_e32 0, v2
	s_cbranch_execz .LBB6_14280
; %bb.14273:                            ;   in Loop: Header=BB6_14192 Depth=3
	v_bfe_u32 v5, v2, 23, 8
	v_or_b32_e32 v13, 0x800000, v0
	s_delay_alu instid0(VALU_DEP_2) | instskip(SKIP_1) | instid1(VALU_DEP_2)
	v_sub_nc_u32_e32 v2, 0x71, v5
	v_cmp_gt_u32_e32 vcc_lo, 0x72, v5
	v_cndmask_b32_e32 v2, 0, v2, vcc_lo
	v_cmp_eq_u32_e32 vcc_lo, 0, v5
	s_delay_alu instid0(VALU_DEP_2) | instskip(SKIP_1) | instid1(VALU_DEP_2)
	v_cndmask_b32_e64 v12, v2, 0x70, vcc_lo
	v_cndmask_b32_e32 v0, v13, v0, vcc_lo
	v_dual_add_nc_u32 v2, 21, v12 :: v_dual_add_nc_u32 v14, 20, v12
	s_delay_alu instid0(VALU_DEP_1) | instskip(NEXT) | instid1(VALU_DEP_2)
	v_lshlrev_b64_e64 v[2:3], v2, -1
	v_lshlrev_b64_e64 v[14:15], v14, 1
	s_delay_alu instid0(VALU_DEP_2) | instskip(SKIP_1) | instid1(VALU_DEP_4)
	v_bfi_b32 v2, v2, 0, v0
	v_lshrrev_b64 v[0:1], v12, v[0:1]
	v_bfi_b32 v3, v3, 0, 0
	s_delay_alu instid0(VALU_DEP_1) | instskip(NEXT) | instid1(VALU_DEP_3)
	v_cmp_eq_u64_e64 s13, v[2:3], v[14:15]
	v_mov_b64_e32 v[2:3], v[0:1]
	s_and_saveexec_b32 s77, s13
; %bb.14274:                            ;   in Loop: Header=BB6_14192 Depth=3
	v_bfe_u32 v2, v0, 21, 1
	v_mov_b32_e32 v3, v113
	s_delay_alu instid0(VALU_DEP_1) | instskip(NEXT) | instid1(VALU_DEP_1)
	v_add_nc_u64_e32 v[2:3], v[0:1], v[2:3]
	v_add_nc_u64_e32 v[2:3], -1, v[2:3]
; %bb.14275:                            ;   in Loop: Header=BB6_14192 Depth=3
	s_or_b32 exec_lo, exec_lo, s77
	v_add_nc_u32_e32 v1, 0xffffff81, v5
	v_lshrrev_b32_e32 v3, 23, v0
	s_mov_b32 s13, exec_lo
	s_delay_alu instid0(VALU_DEP_2) | instskip(NEXT) | instid1(VALU_DEP_1)
	v_cndmask_b32_e64 v1, v1, 0xffffff82, vcc_lo
	v_add3_u32 v3, v12, v1, v3
	v_and_b32_e32 v1, 0x1fffff, v2
                                        ; implicit-def: $vgpr2
	s_delay_alu instid0(VALU_DEP_1) | instskip(SKIP_1) | instid1(VALU_DEP_2)
	v_dual_add_nc_u32 v5, 14, v3 :: v_dual_add_nc_u32 v0, v1, v0
	v_mov_b32_e32 v1, v113
	v_cmpx_ne_u32_e32 0, v5
	s_xor_b32 s13, exec_lo, s13
; %bb.14276:                            ;   in Loop: Header=BB6_14192 Depth=3
	s_delay_alu instid0(VALU_DEP_2) | instskip(SKIP_2) | instid1(VALU_DEP_2)
	v_cmp_lt_u64_e32 vcc_lo, 0xffffff, v[0:1]
	v_add_nc_u32_e32 v2, 15, v3
	v_cndmask_b32_e64 v3, 0, 1, vcc_lo
	v_cndmask_b32_e32 v2, v5, v2, vcc_lo
	s_delay_alu instid0(VALU_DEP_2)
	v_lshrrev_b64 v[0:1], v3, v[0:1]
; %bb.14277:                            ;   in Loop: Header=BB6_14192 Depth=3
	s_and_not1_saveexec_b32 s13, s13
; %bb.14278:                            ;   in Loop: Header=BB6_14192 Depth=3
	s_delay_alu instid0(VALU_DEP_1)
	v_bfe_u32 v2, v0, 23, 1
; %bb.14279:                            ;   in Loop: Header=BB6_14192 Depth=3
	s_or_b32 exec_lo, exec_lo, s13
	s_delay_alu instid0(VALU_DEP_2) | instskip(NEXT) | instid1(VALU_DEP_2)
	v_lshrrev_b64 v[0:1], 21, v[0:1]
	v_cmp_gt_i32_e32 vcc_lo, 32, v2
	v_min_i32_e32 v3, 31, v2
	v_cmp_eq_u32_e64 s13, 0, v2
	s_delay_alu instid0(VALU_DEP_2) | instskip(SKIP_1) | instid1(VALU_DEP_2)
	v_dual_cndmask_b32 v1, 0, v1, vcc_lo :: v_dual_lshlrev_b32 v3, 2, v3
	v_cndmask_b32_e32 v0, 3, v0, vcc_lo
	v_and_b32_e32 v3, 0xfc, v3
	s_delay_alu instid0(VALU_DEP_2) | instskip(NEXT) | instid1(VALU_DEP_2)
	v_cmp_eq_u64_e32 vcc_lo, 0, v[0:1]
	v_and_or_b32 v0, v0, 3, v3
	s_and_b32 s13, s13, vcc_lo
	s_delay_alu instid0(VALU_DEP_1) | instid1(SALU_CYCLE_1)
	v_cndmask_b32_e64 v0, v0, 0, s13
	s_delay_alu instid0(VALU_DEP_1)
	v_or_b32_e32 v29, v0, v4
.LBB6_14280:                            ;   in Loop: Header=BB6_14192 Depth=3
	s_or_b32 exec_lo, exec_lo, s76
                                        ; implicit-def: $vgpr4
.LBB6_14281:                            ;   in Loop: Header=BB6_14192 Depth=3
	s_and_not1_saveexec_b32 s13, s75
; %bb.14282:                            ;   in Loop: Header=BB6_14192 Depth=3
	v_or_b32_e32 v29, 0x7b, v4
; %bb.14283:                            ;   in Loop: Header=BB6_14192 Depth=3
	s_or_b32 exec_lo, exec_lo, s13
                                        ; implicit-def: $vgpr2
                                        ; implicit-def: $vgpr0_vgpr1
                                        ; implicit-def: $vgpr3
.LBB6_14284:                            ;   in Loop: Header=BB6_14192 Depth=3
	s_and_not1_saveexec_b32 s13, s74
	s_cbranch_execz .LBB6_14290
; %bb.14285:                            ;   in Loop: Header=BB6_14192 Depth=3
	s_mov_b32 s74, exec_lo
                                        ; implicit-def: $vgpr29
	v_cmpx_ne_u64_e32 0, v[0:1]
	s_xor_b32 s74, exec_lo, s74
; %bb.14286:                            ;   in Loop: Header=BB6_14192 Depth=3
	v_or_b32_e32 v29, 0x7f, v3
                                        ; implicit-def: $vgpr2
; %bb.14287:                            ;   in Loop: Header=BB6_14192 Depth=3
	s_and_not1_saveexec_b32 s74, s74
; %bb.14288:                            ;   in Loop: Header=BB6_14192 Depth=3
	v_cmp_lt_i32_e32 vcc_lo, -1, v2
	v_mov_b32_e32 v0, 0x7c
	s_delay_alu instid0(VALU_DEP_1)
	v_cndmask_b32_e32 v29, 0xfc, v0, vcc_lo
; %bb.14289:                            ;   in Loop: Header=BB6_14192 Depth=3
	s_or_b32 exec_lo, exec_lo, s74
.LBB6_14290:                            ;   in Loop: Header=BB6_14192 Depth=3
	s_delay_alu instid0(SALU_CYCLE_1)
	s_or_b32 exec_lo, exec_lo, s13
	v_mov_b32_e32 v1, 0
	s_mov_b32 s13, exec_lo
	v_cmpx_lt_u32_e32 0xffffff, v8
	s_cbranch_execz .LBB6_14300
; %bb.14291:                            ;   in Loop: Header=BB6_14192 Depth=3
	v_lshrrev_b32_e32 v0, 24, v8
	v_bfrev_b32_e32 v1, 1
	s_mov_b32 s74, exec_lo
	s_delay_alu instid0(VALU_DEP_2)
	v_cmpx_ne_u32_e32 0x80, v0
	s_cbranch_execz .LBB6_14299
; %bb.14292:                            ;   in Loop: Header=BB6_14192 Depth=3
	v_and_b32_e32 v1, 0x7c000000, v8
	v_bfe_u32 v2, v8, 24, 2
	s_delay_alu instid0(VALU_DEP_2) | instskip(SKIP_1) | instid1(SALU_CYCLE_1)
	v_cmp_ne_u32_e32 vcc_lo, 0x7c000000, v1
                                        ; implicit-def: $vgpr1
	s_and_saveexec_b32 s75, vcc_lo
	s_xor_b32 s75, exec_lo, s75
	s_cbranch_execz .LBB6_14296
; %bb.14293:                            ;   in Loop: Header=BB6_14192 Depth=3
	v_bfe_u32 v1, v8, 26, 5
	s_mov_b32 s76, exec_lo
	s_delay_alu instid0(VALU_DEP_1)
	v_cmpx_eq_u32_e32 0, v1
; %bb.14294:                            ;   in Loop: Header=BB6_14192 Depth=3
	v_clz_i32_u32_e32 v1, v2
	s_delay_alu instid0(VALU_DEP_1) | instskip(NEXT) | instid1(VALU_DEP_1)
	v_min_u32_e32 v2, 32, v1
	v_subrev_nc_u32_e32 v1, 29, v2
	s_delay_alu instid0(VALU_DEP_1) | instskip(NEXT) | instid1(VALU_DEP_1)
	v_lshlrev_b64_e32 v[0:1], v1, v[0:1]
	v_dual_sub_nc_u32 v1, 30, v2 :: v_dual_bitop2_b32 v2, 3, v0 bitop3:0x40
; %bb.14295:                            ;   in Loop: Header=BB6_14192 Depth=3
	s_or_b32 exec_lo, exec_lo, s76
	v_and_b32_e32 v0, 0x80000000, v8
	s_delay_alu instid0(VALU_DEP_1) | instskip(NEXT) | instid1(VALU_DEP_1)
	v_lshl_add_u32 v0, v1, 23, v0
	v_lshl_or_b32 v0, v2, 21, v0
                                        ; implicit-def: $vgpr2
	s_delay_alu instid0(VALU_DEP_1)
	v_add_nc_u32_e32 v1, 0x38000000, v0
.LBB6_14296:                            ;   in Loop: Header=BB6_14192 Depth=3
	s_and_not1_saveexec_b32 s75, s75
; %bb.14297:                            ;   in Loop: Header=BB6_14192 Depth=3
	v_cmp_lt_i32_e32 vcc_lo, -1, v8
	v_mov_b32_e32 v0, 0x7f800000
	s_delay_alu instid0(VALU_DEP_1) | instskip(SKIP_1) | instid1(VALU_DEP_2)
	v_cndmask_b32_e32 v0, 0xff800000, v0, vcc_lo
	v_cmp_eq_u32_e32 vcc_lo, 0, v2
	v_cndmask_b32_e32 v1, 0x7f800001, v0, vcc_lo
; %bb.14298:                            ;   in Loop: Header=BB6_14192 Depth=3
	s_or_b32 exec_lo, exec_lo, s75
.LBB6_14299:                            ;   in Loop: Header=BB6_14192 Depth=3
	s_delay_alu instid0(SALU_CYCLE_1)
	s_or_b32 exec_lo, exec_lo, s74
.LBB6_14300:                            ;   in Loop: Header=BB6_14192 Depth=3
	s_delay_alu instid0(SALU_CYCLE_1) | instskip(NEXT) | instid1(VALU_DEP_1)
	s_or_b32 exec_lo, exec_lo, s13
	v_dual_mul_f32 v2, s73, v1 :: v_dual_mov_b32 v5, v113
	v_mov_b32_e32 v1, v113
                                        ; implicit-def: $vgpr33
	s_mov_b32 s13, exec_lo
	s_delay_alu instid0(VALU_DEP_2) | instskip(SKIP_2) | instid1(VALU_DEP_3)
	v_and_b32_e32 v4, 0x7f800000, v2
	v_and_b32_e32 v0, 0x7fffff, v2
	v_lshrrev_b32_e32 v3, 24, v2
	v_cmpx_ne_u64_e32 0x7f800000, v[4:5]
	s_xor_b32 s74, exec_lo, s13
	s_cbranch_execz .LBB6_14314
; %bb.14301:                            ;   in Loop: Header=BB6_14192 Depth=3
	v_and_b32_e32 v4, 0x7fffffff, v2
	v_mov_b32_e32 v5, v113
                                        ; implicit-def: $vgpr33
	s_delay_alu instid0(VALU_DEP_1) | instskip(SKIP_2) | instid1(SALU_CYCLE_1)
	v_cmp_gt_u64_e32 vcc_lo, 0x47600001, v[4:5]
	v_and_b32_e32 v4, 0x80, v3
	s_and_saveexec_b32 s13, vcc_lo
	s_xor_b32 s75, exec_lo, s13
	s_cbranch_execz .LBB6_14311
; %bb.14302:                            ;   in Loop: Header=BB6_14192 Depth=3
	v_mov_b32_e32 v33, 0
	s_mov_b32 s76, exec_lo
	v_cmpx_ne_u32_e32 0, v2
	s_cbranch_execz .LBB6_14310
; %bb.14303:                            ;   in Loop: Header=BB6_14192 Depth=3
	v_bfe_u32 v5, v2, 23, 8
	v_or_b32_e32 v13, 0x800000, v0
	s_delay_alu instid0(VALU_DEP_2) | instskip(SKIP_1) | instid1(VALU_DEP_2)
	v_sub_nc_u32_e32 v2, 0x71, v5
	v_cmp_gt_u32_e32 vcc_lo, 0x72, v5
	v_cndmask_b32_e32 v2, 0, v2, vcc_lo
	v_cmp_eq_u32_e32 vcc_lo, 0, v5
	s_delay_alu instid0(VALU_DEP_2) | instskip(SKIP_1) | instid1(VALU_DEP_2)
	v_cndmask_b32_e64 v12, v2, 0x70, vcc_lo
	v_cndmask_b32_e32 v0, v13, v0, vcc_lo
	v_dual_add_nc_u32 v2, 21, v12 :: v_dual_add_nc_u32 v14, 20, v12
	s_delay_alu instid0(VALU_DEP_1) | instskip(NEXT) | instid1(VALU_DEP_2)
	v_lshlrev_b64_e64 v[2:3], v2, -1
	v_lshlrev_b64_e64 v[14:15], v14, 1
	s_delay_alu instid0(VALU_DEP_2) | instskip(SKIP_1) | instid1(VALU_DEP_4)
	v_bfi_b32 v2, v2, 0, v0
	v_lshrrev_b64 v[0:1], v12, v[0:1]
	v_bfi_b32 v3, v3, 0, 0
	s_delay_alu instid0(VALU_DEP_1) | instskip(NEXT) | instid1(VALU_DEP_3)
	v_cmp_eq_u64_e64 s13, v[2:3], v[14:15]
	v_mov_b64_e32 v[2:3], v[0:1]
	s_and_saveexec_b32 s77, s13
; %bb.14304:                            ;   in Loop: Header=BB6_14192 Depth=3
	v_bfe_u32 v2, v0, 21, 1
	v_mov_b32_e32 v3, v113
	s_delay_alu instid0(VALU_DEP_1) | instskip(NEXT) | instid1(VALU_DEP_1)
	v_add_nc_u64_e32 v[2:3], v[0:1], v[2:3]
	v_add_nc_u64_e32 v[2:3], -1, v[2:3]
; %bb.14305:                            ;   in Loop: Header=BB6_14192 Depth=3
	s_or_b32 exec_lo, exec_lo, s77
	v_add_nc_u32_e32 v1, 0xffffff81, v5
	v_lshrrev_b32_e32 v3, 23, v0
	s_mov_b32 s13, exec_lo
	s_delay_alu instid0(VALU_DEP_2) | instskip(NEXT) | instid1(VALU_DEP_1)
	v_cndmask_b32_e64 v1, v1, 0xffffff82, vcc_lo
	v_add3_u32 v3, v12, v1, v3
	v_and_b32_e32 v1, 0x1fffff, v2
                                        ; implicit-def: $vgpr2
	s_delay_alu instid0(VALU_DEP_1) | instskip(SKIP_1) | instid1(VALU_DEP_2)
	v_dual_add_nc_u32 v5, 14, v3 :: v_dual_add_nc_u32 v0, v1, v0
	v_mov_b32_e32 v1, v113
	v_cmpx_ne_u32_e32 0, v5
	s_xor_b32 s13, exec_lo, s13
; %bb.14306:                            ;   in Loop: Header=BB6_14192 Depth=3
	s_delay_alu instid0(VALU_DEP_2) | instskip(SKIP_2) | instid1(VALU_DEP_2)
	v_cmp_lt_u64_e32 vcc_lo, 0xffffff, v[0:1]
	v_add_nc_u32_e32 v2, 15, v3
	v_cndmask_b32_e64 v3, 0, 1, vcc_lo
	v_cndmask_b32_e32 v2, v5, v2, vcc_lo
	s_delay_alu instid0(VALU_DEP_2)
	v_lshrrev_b64 v[0:1], v3, v[0:1]
; %bb.14307:                            ;   in Loop: Header=BB6_14192 Depth=3
	s_and_not1_saveexec_b32 s13, s13
; %bb.14308:                            ;   in Loop: Header=BB6_14192 Depth=3
	s_delay_alu instid0(VALU_DEP_1)
	v_bfe_u32 v2, v0, 23, 1
; %bb.14309:                            ;   in Loop: Header=BB6_14192 Depth=3
	s_or_b32 exec_lo, exec_lo, s13
	s_delay_alu instid0(VALU_DEP_2) | instskip(NEXT) | instid1(VALU_DEP_2)
	v_lshrrev_b64 v[0:1], 21, v[0:1]
	v_cmp_gt_i32_e32 vcc_lo, 32, v2
	v_min_i32_e32 v3, 31, v2
	v_cmp_eq_u32_e64 s13, 0, v2
	s_delay_alu instid0(VALU_DEP_2) | instskip(SKIP_1) | instid1(VALU_DEP_2)
	v_dual_cndmask_b32 v1, 0, v1, vcc_lo :: v_dual_lshlrev_b32 v3, 2, v3
	v_cndmask_b32_e32 v0, 3, v0, vcc_lo
	v_and_b32_e32 v3, 0xfc, v3
	s_delay_alu instid0(VALU_DEP_2) | instskip(NEXT) | instid1(VALU_DEP_2)
	v_cmp_eq_u64_e32 vcc_lo, 0, v[0:1]
	v_and_or_b32 v0, v0, 3, v3
	s_and_b32 s13, s13, vcc_lo
	s_delay_alu instid0(VALU_DEP_1) | instid1(SALU_CYCLE_1)
	v_cndmask_b32_e64 v0, v0, 0, s13
	s_delay_alu instid0(VALU_DEP_1)
	v_or_b32_e32 v33, v0, v4
.LBB6_14310:                            ;   in Loop: Header=BB6_14192 Depth=3
	s_or_b32 exec_lo, exec_lo, s76
                                        ; implicit-def: $vgpr4
.LBB6_14311:                            ;   in Loop: Header=BB6_14192 Depth=3
	s_and_not1_saveexec_b32 s13, s75
; %bb.14312:                            ;   in Loop: Header=BB6_14192 Depth=3
	v_or_b32_e32 v33, 0x7b, v4
; %bb.14313:                            ;   in Loop: Header=BB6_14192 Depth=3
	s_or_b32 exec_lo, exec_lo, s13
                                        ; implicit-def: $vgpr2
                                        ; implicit-def: $vgpr0_vgpr1
                                        ; implicit-def: $vgpr3
.LBB6_14314:                            ;   in Loop: Header=BB6_14192 Depth=3
	s_and_not1_saveexec_b32 s13, s74
	s_cbranch_execz .LBB6_14320
; %bb.14315:                            ;   in Loop: Header=BB6_14192 Depth=3
	s_mov_b32 s74, exec_lo
                                        ; implicit-def: $vgpr33
	v_cmpx_ne_u64_e32 0, v[0:1]
	s_xor_b32 s74, exec_lo, s74
; %bb.14316:                            ;   in Loop: Header=BB6_14192 Depth=3
	v_or_b32_e32 v33, 0x7f, v3
                                        ; implicit-def: $vgpr2
; %bb.14317:                            ;   in Loop: Header=BB6_14192 Depth=3
	s_and_not1_saveexec_b32 s74, s74
; %bb.14318:                            ;   in Loop: Header=BB6_14192 Depth=3
	v_cmp_lt_i32_e32 vcc_lo, -1, v2
	v_mov_b32_e32 v0, 0x7c
	s_delay_alu instid0(VALU_DEP_1)
	v_cndmask_b32_e32 v33, 0xfc, v0, vcc_lo
; %bb.14319:                            ;   in Loop: Header=BB6_14192 Depth=3
	s_or_b32 exec_lo, exec_lo, s74
.LBB6_14320:                            ;   in Loop: Header=BB6_14192 Depth=3
	s_delay_alu instid0(SALU_CYCLE_1) | instskip(SKIP_4) | instid1(VALU_DEP_3)
	s_or_b32 exec_lo, exec_lo, s13
	v_and_b32_e32 v3, 0xff, v9
	v_dual_mov_b32 v0, v9 :: v_dual_mov_b32 v1, v113
	v_mov_b32_e32 v2, 0
	s_mov_b32 s13, exec_lo
	v_cmpx_ne_u16_e32 0, v3
	s_cbranch_execz .LBB6_14330
; %bb.14321:                            ;   in Loop: Header=BB6_14192 Depth=3
	v_bfrev_b32_e32 v2, 1
	s_mov_b32 s74, exec_lo
	v_cmpx_ne_u16_e32 0x80, v3
	s_cbranch_execz .LBB6_14329
; %bb.14322:                            ;   in Loop: Header=BB6_14192 Depth=3
	v_and_b32_e32 v2, 0x7c, v9
	v_and_b32_e32 v3, 3, v9
	s_delay_alu instid0(VALU_DEP_2) | instskip(SKIP_1) | instid1(SALU_CYCLE_1)
	v_cmp_ne_u32_e32 vcc_lo, 0x7c, v2
                                        ; implicit-def: $vgpr2
	s_and_saveexec_b32 s75, vcc_lo
	s_xor_b32 s75, exec_lo, s75
	s_cbranch_execz .LBB6_14326
; %bb.14323:                            ;   in Loop: Header=BB6_14192 Depth=3
	v_bfe_u32 v2, v9, 2, 5
	s_mov_b32 s76, exec_lo
	s_delay_alu instid0(VALU_DEP_1)
	v_cmpx_eq_u32_e32 0, v2
; %bb.14324:                            ;   in Loop: Header=BB6_14192 Depth=3
	v_clz_i32_u32_e32 v2, v3
	s_delay_alu instid0(VALU_DEP_1) | instskip(NEXT) | instid1(VALU_DEP_1)
	v_min_u32_e32 v2, 32, v2
	v_subrev_nc_u32_e32 v3, 29, v2
	s_delay_alu instid0(VALU_DEP_1) | instskip(NEXT) | instid1(VALU_DEP_1)
	v_lshlrev_b64_e32 v[4:5], v3, v[0:1]
	v_dual_sub_nc_u32 v2, 30, v2 :: v_dual_bitop2_b32 v3, 3, v4 bitop3:0x40
; %bb.14325:                            ;   in Loop: Header=BB6_14192 Depth=3
	s_or_b32 exec_lo, exec_lo, s76
	v_lshlrev_b32_e32 v1, 24, v9
	s_delay_alu instid0(VALU_DEP_1) | instskip(NEXT) | instid1(VALU_DEP_1)
	v_and_b32_e32 v1, 0x80000000, v1
	v_lshl_add_u32 v1, v2, 23, v1
	s_delay_alu instid0(VALU_DEP_1) | instskip(NEXT) | instid1(VALU_DEP_1)
	v_lshl_or_b32 v1, v3, 21, v1
                                        ; implicit-def: $vgpr3
	v_add_nc_u32_e32 v2, 0x38000000, v1
.LBB6_14326:                            ;   in Loop: Header=BB6_14192 Depth=3
	s_and_not1_saveexec_b32 s75, s75
; %bb.14327:                            ;   in Loop: Header=BB6_14192 Depth=3
	v_bfe_i32 v1, v9, 0, 8
	s_delay_alu instid0(VALU_DEP_1) | instskip(SKIP_1) | instid1(VALU_DEP_1)
	v_cmp_lt_i16_e32 vcc_lo, -1, v1
	v_mov_b32_e32 v1, 0x7f800000
	v_cndmask_b32_e32 v1, 0xff800000, v1, vcc_lo
	v_cmp_eq_u32_e32 vcc_lo, 0, v3
	s_delay_alu instid0(VALU_DEP_2)
	v_cndmask_b32_e32 v2, 0x7f800001, v1, vcc_lo
; %bb.14328:                            ;   in Loop: Header=BB6_14192 Depth=3
	s_or_b32 exec_lo, exec_lo, s75
.LBB6_14329:                            ;   in Loop: Header=BB6_14192 Depth=3
	s_delay_alu instid0(SALU_CYCLE_1)
	s_or_b32 exec_lo, exec_lo, s74
.LBB6_14330:                            ;   in Loop: Header=BB6_14192 Depth=3
	s_delay_alu instid0(SALU_CYCLE_1) | instskip(NEXT) | instid1(VALU_DEP_1)
	s_or_b32 exec_lo, exec_lo, s13
	v_dual_mul_f32 v4, s73, v2 :: v_dual_mov_b32 v13, v113
	v_mov_b32_e32 v3, v113
                                        ; implicit-def: $vgpr50
	s_mov_b32 s13, exec_lo
	s_delay_alu instid0(VALU_DEP_2) | instskip(SKIP_2) | instid1(VALU_DEP_3)
	v_and_b32_e32 v12, 0x7f800000, v4
	v_and_b32_e32 v2, 0x7fffff, v4
	v_lshrrev_b32_e32 v1, 24, v4
	v_cmpx_ne_u64_e32 0x7f800000, v[12:13]
	s_xor_b32 s74, exec_lo, s13
	s_cbranch_execz .LBB6_14344
; %bb.14331:                            ;   in Loop: Header=BB6_14192 Depth=3
	v_and_b32_e32 v12, 0x7fffffff, v4
	v_mov_b32_e32 v13, v113
	v_and_b32_e32 v1, 0x80, v1
                                        ; implicit-def: $vgpr50
	s_mov_b32 s13, exec_lo
	s_delay_alu instid0(VALU_DEP_2)
	v_cmpx_gt_u64_e32 0x47600001, v[12:13]
	s_xor_b32 s75, exec_lo, s13
	s_cbranch_execz .LBB6_14341
; %bb.14332:                            ;   in Loop: Header=BB6_14192 Depth=3
	v_mov_b32_e32 v50, 0
	s_mov_b32 s76, exec_lo
	v_cmpx_ne_u32_e32 0, v4
	s_cbranch_execz .LBB6_14340
; %bb.14333:                            ;   in Loop: Header=BB6_14192 Depth=3
	v_bfe_u32 v12, v4, 23, 8
	v_or_b32_e32 v14, 0x800000, v2
	s_delay_alu instid0(VALU_DEP_2) | instskip(SKIP_1) | instid1(VALU_DEP_2)
	v_sub_nc_u32_e32 v4, 0x71, v12
	v_cmp_gt_u32_e32 vcc_lo, 0x72, v12
	v_cndmask_b32_e32 v4, 0, v4, vcc_lo
	v_cmp_eq_u32_e32 vcc_lo, 0, v12
	s_delay_alu instid0(VALU_DEP_2) | instskip(NEXT) | instid1(VALU_DEP_1)
	v_cndmask_b32_e64 v13, v4, 0x70, vcc_lo
	v_dual_cndmask_b32 v2, v14, v2, vcc_lo :: v_dual_add_nc_u32 v4, 21, v13
	v_add_nc_u32_e32 v15, 20, v13
	s_delay_alu instid0(VALU_DEP_2) | instskip(NEXT) | instid1(VALU_DEP_2)
	v_lshlrev_b64_e64 v[4:5], v4, -1
	v_lshlrev_b64_e64 v[14:15], v15, 1
	s_delay_alu instid0(VALU_DEP_2) | instskip(SKIP_1) | instid1(VALU_DEP_4)
	v_bfi_b32 v4, v4, 0, v2
	v_lshrrev_b64 v[2:3], v13, v[2:3]
	v_bfi_b32 v5, v5, 0, 0
	s_delay_alu instid0(VALU_DEP_1) | instskip(NEXT) | instid1(VALU_DEP_3)
	v_cmp_eq_u64_e64 s13, v[4:5], v[14:15]
	v_mov_b64_e32 v[4:5], v[2:3]
	s_and_saveexec_b32 s77, s13
; %bb.14334:                            ;   in Loop: Header=BB6_14192 Depth=3
	v_bfe_u32 v4, v2, 21, 1
	v_mov_b32_e32 v5, v113
	s_delay_alu instid0(VALU_DEP_1) | instskip(NEXT) | instid1(VALU_DEP_1)
	v_add_nc_u64_e32 v[4:5], v[2:3], v[4:5]
	v_add_nc_u64_e32 v[4:5], -1, v[4:5]
; %bb.14335:                            ;   in Loop: Header=BB6_14192 Depth=3
	s_or_b32 exec_lo, exec_lo, s77
	v_add_nc_u32_e32 v3, 0xffffff81, v12
	v_lshrrev_b32_e32 v5, 23, v2
	s_mov_b32 s13, exec_lo
	s_delay_alu instid0(VALU_DEP_2) | instskip(NEXT) | instid1(VALU_DEP_1)
	v_cndmask_b32_e64 v3, v3, 0xffffff82, vcc_lo
	v_add3_u32 v5, v13, v3, v5
	v_and_b32_e32 v3, 0x1fffff, v4
                                        ; implicit-def: $vgpr4
	s_delay_alu instid0(VALU_DEP_1) | instskip(SKIP_1) | instid1(VALU_DEP_2)
	v_dual_add_nc_u32 v12, 14, v5 :: v_dual_add_nc_u32 v2, v3, v2
	v_mov_b32_e32 v3, v113
	v_cmpx_ne_u32_e32 0, v12
	s_xor_b32 s13, exec_lo, s13
; %bb.14336:                            ;   in Loop: Header=BB6_14192 Depth=3
	s_delay_alu instid0(VALU_DEP_2) | instskip(SKIP_2) | instid1(VALU_DEP_2)
	v_cmp_lt_u64_e32 vcc_lo, 0xffffff, v[2:3]
	v_add_nc_u32_e32 v4, 15, v5
	v_cndmask_b32_e64 v5, 0, 1, vcc_lo
	v_cndmask_b32_e32 v4, v12, v4, vcc_lo
	s_delay_alu instid0(VALU_DEP_2)
	v_lshrrev_b64 v[2:3], v5, v[2:3]
; %bb.14337:                            ;   in Loop: Header=BB6_14192 Depth=3
	s_and_not1_saveexec_b32 s13, s13
; %bb.14338:                            ;   in Loop: Header=BB6_14192 Depth=3
	s_delay_alu instid0(VALU_DEP_1)
	v_bfe_u32 v4, v2, 23, 1
; %bb.14339:                            ;   in Loop: Header=BB6_14192 Depth=3
	s_or_b32 exec_lo, exec_lo, s13
	s_delay_alu instid0(VALU_DEP_2) | instskip(NEXT) | instid1(VALU_DEP_2)
	v_lshrrev_b64 v[2:3], 21, v[2:3]
	v_cmp_gt_i32_e32 vcc_lo, 32, v4
	v_min_i32_e32 v5, 31, v4
	v_cmp_eq_u32_e64 s13, 0, v4
	s_delay_alu instid0(VALU_DEP_2) | instskip(SKIP_1) | instid1(VALU_DEP_2)
	v_dual_cndmask_b32 v3, 0, v3, vcc_lo :: v_dual_lshlrev_b32 v5, 2, v5
	v_cndmask_b32_e32 v2, 3, v2, vcc_lo
	v_and_b32_e32 v5, 0xfc, v5
	s_delay_alu instid0(VALU_DEP_2) | instskip(NEXT) | instid1(VALU_DEP_2)
	v_cmp_eq_u64_e32 vcc_lo, 0, v[2:3]
	v_and_or_b32 v2, v2, 3, v5
	s_and_b32 s13, s13, vcc_lo
	s_delay_alu instid0(VALU_DEP_1) | instid1(SALU_CYCLE_1)
	v_cndmask_b32_e64 v2, v2, 0, s13
	s_delay_alu instid0(VALU_DEP_1)
	v_or_b32_e32 v50, v2, v1
.LBB6_14340:                            ;   in Loop: Header=BB6_14192 Depth=3
	s_or_b32 exec_lo, exec_lo, s76
                                        ; implicit-def: $vgpr1
.LBB6_14341:                            ;   in Loop: Header=BB6_14192 Depth=3
	s_and_not1_saveexec_b32 s13, s75
; %bb.14342:                            ;   in Loop: Header=BB6_14192 Depth=3
	v_or_b32_e32 v50, 0x7b, v1
; %bb.14343:                            ;   in Loop: Header=BB6_14192 Depth=3
	s_or_b32 exec_lo, exec_lo, s13
                                        ; implicit-def: $vgpr4
                                        ; implicit-def: $vgpr2_vgpr3
                                        ; implicit-def: $vgpr1
.LBB6_14344:                            ;   in Loop: Header=BB6_14192 Depth=3
	s_and_not1_saveexec_b32 s13, s74
	s_cbranch_execz .LBB6_14350
; %bb.14345:                            ;   in Loop: Header=BB6_14192 Depth=3
	s_mov_b32 s74, exec_lo
                                        ; implicit-def: $vgpr50
	v_cmpx_ne_u64_e32 0, v[2:3]
	s_xor_b32 s74, exec_lo, s74
; %bb.14346:                            ;   in Loop: Header=BB6_14192 Depth=3
	v_or_b32_e32 v50, 0x7f, v1
                                        ; implicit-def: $vgpr4
; %bb.14347:                            ;   in Loop: Header=BB6_14192 Depth=3
	s_and_not1_saveexec_b32 s74, s74
; %bb.14348:                            ;   in Loop: Header=BB6_14192 Depth=3
	v_cmp_lt_i32_e32 vcc_lo, -1, v4
	v_mov_b32_e32 v1, 0x7c
	s_delay_alu instid0(VALU_DEP_1)
	v_cndmask_b32_e32 v50, 0xfc, v1, vcc_lo
; %bb.14349:                            ;   in Loop: Header=BB6_14192 Depth=3
	s_or_b32 exec_lo, exec_lo, s74
.LBB6_14350:                            ;   in Loop: Header=BB6_14192 Depth=3
	s_delay_alu instid0(SALU_CYCLE_1) | instskip(SKIP_3) | instid1(VALU_DEP_2)
	s_or_b32 exec_lo, exec_lo, s13
	v_lshrrev_b16 v2, 8, v0
	v_mov_b32_e32 v4, 0
	s_mov_b32 s13, exec_lo
	v_cmpx_ne_u16_e32 0, v2
	s_cbranch_execz .LBB6_14360
; %bb.14351:                            ;   in Loop: Header=BB6_14192 Depth=3
	v_bfrev_b32_e32 v4, 1
	s_mov_b32 s74, exec_lo
	v_cmpx_ne_u16_e32 0x80, v2
	s_cbranch_execz .LBB6_14359
; %bb.14352:                            ;   in Loop: Header=BB6_14192 Depth=3
	v_and_b32_e32 v1, 0xffff, v2
	s_delay_alu instid0(VALU_DEP_1) | instskip(SKIP_1) | instid1(VALU_DEP_2)
	v_and_b32_e32 v4, 0x7c, v1
	v_and_b32_e32 v3, 3, v1
	v_cmp_ne_u32_e32 vcc_lo, 0x7c, v4
                                        ; implicit-def: $vgpr4
	s_and_saveexec_b32 s75, vcc_lo
	s_delay_alu instid0(SALU_CYCLE_1)
	s_xor_b32 s75, exec_lo, s75
	s_cbranch_execz .LBB6_14356
; %bb.14353:                            ;   in Loop: Header=BB6_14192 Depth=3
	v_bfe_u32 v1, v1, 2, 5
	s_mov_b32 s76, exec_lo
	s_delay_alu instid0(VALU_DEP_1)
	v_cmpx_eq_u32_e32 0, v1
	s_cbranch_execz .LBB6_14355
; %bb.14354:                            ;   in Loop: Header=BB6_14192 Depth=3
	v_clz_i32_u32_e32 v1, v3
	s_delay_alu instid0(VALU_DEP_1) | instskip(SKIP_1) | instid1(VALU_DEP_2)
	v_min_u32_e32 v1, 32, v1
	v_mov_b32_e32 v3, v113
	v_subrev_nc_u32_e32 v4, 29, v1
	v_sub_nc_u32_e32 v1, 30, v1
	s_delay_alu instid0(VALU_DEP_2) | instskip(NEXT) | instid1(VALU_DEP_1)
	v_lshlrev_b64_e32 v[2:3], v4, v[2:3]
	v_and_b32_e32 v3, 3, v2
.LBB6_14355:                            ;   in Loop: Header=BB6_14192 Depth=3
	s_or_b32 exec_lo, exec_lo, s76
	v_lshlrev_b32_e32 v0, 16, v0
	s_delay_alu instid0(VALU_DEP_1) | instskip(NEXT) | instid1(VALU_DEP_1)
	v_and_b32_e32 v0, 0x80000000, v0
	v_lshl_add_u32 v0, v1, 23, v0
	s_delay_alu instid0(VALU_DEP_1) | instskip(NEXT) | instid1(VALU_DEP_1)
	v_lshl_or_b32 v0, v3, 21, v0
                                        ; implicit-def: $vgpr3
	v_add_nc_u32_e32 v4, 0x38000000, v0
                                        ; implicit-def: $vgpr0_vgpr1
.LBB6_14356:                            ;   in Loop: Header=BB6_14192 Depth=3
	s_and_not1_saveexec_b32 s75, s75
; %bb.14357:                            ;   in Loop: Header=BB6_14192 Depth=3
	v_cmp_lt_i16_e32 vcc_lo, -1, v0
	v_mov_b32_e32 v0, 0x7f800000
	s_delay_alu instid0(VALU_DEP_1) | instskip(SKIP_1) | instid1(VALU_DEP_2)
	v_cndmask_b32_e32 v0, 0xff800000, v0, vcc_lo
	v_cmp_eq_u32_e32 vcc_lo, 0, v3
	v_cndmask_b32_e32 v4, 0x7f800001, v0, vcc_lo
; %bb.14358:                            ;   in Loop: Header=BB6_14192 Depth=3
	s_or_b32 exec_lo, exec_lo, s75
.LBB6_14359:                            ;   in Loop: Header=BB6_14192 Depth=3
	s_delay_alu instid0(SALU_CYCLE_1)
	s_or_b32 exec_lo, exec_lo, s74
.LBB6_14360:                            ;   in Loop: Header=BB6_14192 Depth=3
	s_delay_alu instid0(SALU_CYCLE_1) | instskip(NEXT) | instid1(VALU_DEP_1)
	s_or_b32 exec_lo, exec_lo, s13
	v_dual_mul_f32 v2, s73, v4 :: v_dual_mov_b32 v5, v113
	v_mov_b32_e32 v1, v113
                                        ; implicit-def: $vgpr55
	s_mov_b32 s13, exec_lo
	s_delay_alu instid0(VALU_DEP_2) | instskip(SKIP_2) | instid1(VALU_DEP_3)
	v_and_b32_e32 v4, 0x7f800000, v2
	v_and_b32_e32 v0, 0x7fffff, v2
	v_lshrrev_b32_e32 v3, 24, v2
	v_cmpx_ne_u64_e32 0x7f800000, v[4:5]
	s_xor_b32 s74, exec_lo, s13
	s_cbranch_execz .LBB6_14374
; %bb.14361:                            ;   in Loop: Header=BB6_14192 Depth=3
	v_and_b32_e32 v4, 0x7fffffff, v2
	v_mov_b32_e32 v5, v113
                                        ; implicit-def: $vgpr55
	s_delay_alu instid0(VALU_DEP_1) | instskip(SKIP_2) | instid1(SALU_CYCLE_1)
	v_cmp_gt_u64_e32 vcc_lo, 0x47600001, v[4:5]
	v_and_b32_e32 v4, 0x80, v3
	s_and_saveexec_b32 s13, vcc_lo
	s_xor_b32 s75, exec_lo, s13
	s_cbranch_execz .LBB6_14371
; %bb.14362:                            ;   in Loop: Header=BB6_14192 Depth=3
	v_mov_b32_e32 v55, 0
	s_mov_b32 s76, exec_lo
	v_cmpx_ne_u32_e32 0, v2
	s_cbranch_execz .LBB6_14370
; %bb.14363:                            ;   in Loop: Header=BB6_14192 Depth=3
	v_bfe_u32 v5, v2, 23, 8
	v_or_b32_e32 v13, 0x800000, v0
	s_delay_alu instid0(VALU_DEP_2) | instskip(SKIP_1) | instid1(VALU_DEP_2)
	v_sub_nc_u32_e32 v2, 0x71, v5
	v_cmp_gt_u32_e32 vcc_lo, 0x72, v5
	v_cndmask_b32_e32 v2, 0, v2, vcc_lo
	v_cmp_eq_u32_e32 vcc_lo, 0, v5
	s_delay_alu instid0(VALU_DEP_2) | instskip(SKIP_1) | instid1(VALU_DEP_2)
	v_cndmask_b32_e64 v12, v2, 0x70, vcc_lo
	v_cndmask_b32_e32 v0, v13, v0, vcc_lo
	v_dual_add_nc_u32 v2, 21, v12 :: v_dual_add_nc_u32 v14, 20, v12
	s_delay_alu instid0(VALU_DEP_1) | instskip(NEXT) | instid1(VALU_DEP_2)
	v_lshlrev_b64_e64 v[2:3], v2, -1
	v_lshlrev_b64_e64 v[14:15], v14, 1
	s_delay_alu instid0(VALU_DEP_2) | instskip(SKIP_1) | instid1(VALU_DEP_4)
	v_bfi_b32 v2, v2, 0, v0
	v_lshrrev_b64 v[0:1], v12, v[0:1]
	v_bfi_b32 v3, v3, 0, 0
	s_delay_alu instid0(VALU_DEP_1) | instskip(NEXT) | instid1(VALU_DEP_3)
	v_cmp_eq_u64_e64 s13, v[2:3], v[14:15]
	v_mov_b64_e32 v[2:3], v[0:1]
	s_and_saveexec_b32 s77, s13
; %bb.14364:                            ;   in Loop: Header=BB6_14192 Depth=3
	v_bfe_u32 v2, v0, 21, 1
	v_mov_b32_e32 v3, v113
	s_delay_alu instid0(VALU_DEP_1) | instskip(NEXT) | instid1(VALU_DEP_1)
	v_add_nc_u64_e32 v[2:3], v[0:1], v[2:3]
	v_add_nc_u64_e32 v[2:3], -1, v[2:3]
; %bb.14365:                            ;   in Loop: Header=BB6_14192 Depth=3
	s_or_b32 exec_lo, exec_lo, s77
	v_add_nc_u32_e32 v1, 0xffffff81, v5
	v_lshrrev_b32_e32 v3, 23, v0
	s_mov_b32 s13, exec_lo
	s_delay_alu instid0(VALU_DEP_2) | instskip(NEXT) | instid1(VALU_DEP_1)
	v_cndmask_b32_e64 v1, v1, 0xffffff82, vcc_lo
	v_add3_u32 v3, v12, v1, v3
	v_and_b32_e32 v1, 0x1fffff, v2
                                        ; implicit-def: $vgpr2
	s_delay_alu instid0(VALU_DEP_1) | instskip(SKIP_1) | instid1(VALU_DEP_2)
	v_dual_add_nc_u32 v5, 14, v3 :: v_dual_add_nc_u32 v0, v1, v0
	v_mov_b32_e32 v1, v113
	v_cmpx_ne_u32_e32 0, v5
	s_xor_b32 s13, exec_lo, s13
; %bb.14366:                            ;   in Loop: Header=BB6_14192 Depth=3
	s_delay_alu instid0(VALU_DEP_2) | instskip(SKIP_2) | instid1(VALU_DEP_2)
	v_cmp_lt_u64_e32 vcc_lo, 0xffffff, v[0:1]
	v_add_nc_u32_e32 v2, 15, v3
	v_cndmask_b32_e64 v3, 0, 1, vcc_lo
	v_cndmask_b32_e32 v2, v5, v2, vcc_lo
	s_delay_alu instid0(VALU_DEP_2)
	v_lshrrev_b64 v[0:1], v3, v[0:1]
; %bb.14367:                            ;   in Loop: Header=BB6_14192 Depth=3
	s_and_not1_saveexec_b32 s13, s13
; %bb.14368:                            ;   in Loop: Header=BB6_14192 Depth=3
	s_delay_alu instid0(VALU_DEP_1)
	v_bfe_u32 v2, v0, 23, 1
; %bb.14369:                            ;   in Loop: Header=BB6_14192 Depth=3
	s_or_b32 exec_lo, exec_lo, s13
	s_delay_alu instid0(VALU_DEP_2) | instskip(NEXT) | instid1(VALU_DEP_2)
	v_lshrrev_b64 v[0:1], 21, v[0:1]
	v_cmp_gt_i32_e32 vcc_lo, 32, v2
	v_min_i32_e32 v3, 31, v2
	v_cmp_eq_u32_e64 s13, 0, v2
	s_delay_alu instid0(VALU_DEP_2) | instskip(SKIP_1) | instid1(VALU_DEP_2)
	v_dual_cndmask_b32 v1, 0, v1, vcc_lo :: v_dual_lshlrev_b32 v3, 2, v3
	v_cndmask_b32_e32 v0, 3, v0, vcc_lo
	v_and_b32_e32 v3, 0xfc, v3
	s_delay_alu instid0(VALU_DEP_2) | instskip(NEXT) | instid1(VALU_DEP_2)
	v_cmp_eq_u64_e32 vcc_lo, 0, v[0:1]
	v_and_or_b32 v0, v0, 3, v3
	s_and_b32 s13, s13, vcc_lo
	s_delay_alu instid0(VALU_DEP_1) | instid1(SALU_CYCLE_1)
	v_cndmask_b32_e64 v0, v0, 0, s13
	s_delay_alu instid0(VALU_DEP_1)
	v_or_b32_e32 v55, v0, v4
.LBB6_14370:                            ;   in Loop: Header=BB6_14192 Depth=3
	s_or_b32 exec_lo, exec_lo, s76
                                        ; implicit-def: $vgpr4
.LBB6_14371:                            ;   in Loop: Header=BB6_14192 Depth=3
	s_and_not1_saveexec_b32 s13, s75
; %bb.14372:                            ;   in Loop: Header=BB6_14192 Depth=3
	v_or_b32_e32 v55, 0x7b, v4
; %bb.14373:                            ;   in Loop: Header=BB6_14192 Depth=3
	s_or_b32 exec_lo, exec_lo, s13
                                        ; implicit-def: $vgpr2
                                        ; implicit-def: $vgpr0_vgpr1
                                        ; implicit-def: $vgpr3
.LBB6_14374:                            ;   in Loop: Header=BB6_14192 Depth=3
	s_and_not1_saveexec_b32 s13, s74
	s_cbranch_execz .LBB6_14380
; %bb.14375:                            ;   in Loop: Header=BB6_14192 Depth=3
	s_mov_b32 s74, exec_lo
                                        ; implicit-def: $vgpr55
	v_cmpx_ne_u64_e32 0, v[0:1]
	s_xor_b32 s74, exec_lo, s74
; %bb.14376:                            ;   in Loop: Header=BB6_14192 Depth=3
	v_or_b32_e32 v55, 0x7f, v3
                                        ; implicit-def: $vgpr2
; %bb.14377:                            ;   in Loop: Header=BB6_14192 Depth=3
	s_and_not1_saveexec_b32 s74, s74
; %bb.14378:                            ;   in Loop: Header=BB6_14192 Depth=3
	v_cmp_lt_i32_e32 vcc_lo, -1, v2
	v_mov_b32_e32 v0, 0x7c
	s_delay_alu instid0(VALU_DEP_1)
	v_cndmask_b32_e32 v55, 0xfc, v0, vcc_lo
; %bb.14379:                            ;   in Loop: Header=BB6_14192 Depth=3
	s_or_b32 exec_lo, exec_lo, s74
.LBB6_14380:                            ;   in Loop: Header=BB6_14192 Depth=3
	s_delay_alu instid0(SALU_CYCLE_1) | instskip(SKIP_2) | instid1(VALU_DEP_1)
	s_or_b32 exec_lo, exec_lo, s13
	v_dual_mov_b32 v1, 0 :: v_dual_lshrrev_b32 v0, 16, v9
	s_mov_b32 s13, exec_lo
	v_and_b32_e32 v2, 0xff, v0
	s_delay_alu instid0(VALU_DEP_1)
	v_cmpx_ne_u16_e32 0, v2
	s_cbranch_execz .LBB6_14390
; %bb.14381:                            ;   in Loop: Header=BB6_14192 Depth=3
	v_bfrev_b32_e32 v1, 1
	s_mov_b32 s74, exec_lo
	v_cmpx_ne_u16_e32 0x80, v2
	s_cbranch_execz .LBB6_14389
; %bb.14382:                            ;   in Loop: Header=BB6_14192 Depth=3
	v_and_b32_e32 v1, 0x7c0000, v9
	v_bfe_u32 v2, v9, 16, 2
	s_delay_alu instid0(VALU_DEP_2) | instskip(SKIP_1) | instid1(SALU_CYCLE_1)
	v_cmp_ne_u32_e32 vcc_lo, 0x7c0000, v1
                                        ; implicit-def: $vgpr1
	s_and_saveexec_b32 s75, vcc_lo
	s_xor_b32 s75, exec_lo, s75
	s_cbranch_execz .LBB6_14386
; %bb.14383:                            ;   in Loop: Header=BB6_14192 Depth=3
	v_bfe_u32 v1, v9, 18, 5
	s_mov_b32 s76, exec_lo
	s_delay_alu instid0(VALU_DEP_1)
	v_cmpx_eq_u32_e32 0, v1
; %bb.14384:                            ;   in Loop: Header=BB6_14192 Depth=3
	v_clz_i32_u32_e32 v1, v2
	s_delay_alu instid0(VALU_DEP_1) | instskip(NEXT) | instid1(VALU_DEP_1)
	v_min_u32_e32 v1, 32, v1
	v_subrev_nc_u32_e32 v2, 29, v1
	s_delay_alu instid0(VALU_DEP_1) | instskip(NEXT) | instid1(VALU_DEP_1)
	v_lshlrev_b64_e32 v[2:3], v2, v[0:1]
	v_dual_sub_nc_u32 v1, 30, v1 :: v_dual_bitop2_b32 v2, 3, v2 bitop3:0x40
; %bb.14385:                            ;   in Loop: Header=BB6_14192 Depth=3
	s_or_b32 exec_lo, exec_lo, s76
	v_lshlrev_b32_e32 v0, 24, v0
	s_delay_alu instid0(VALU_DEP_1) | instskip(NEXT) | instid1(VALU_DEP_1)
	v_and_b32_e32 v0, 0x80000000, v0
	v_lshl_add_u32 v0, v1, 23, v0
	s_delay_alu instid0(VALU_DEP_1) | instskip(NEXT) | instid1(VALU_DEP_1)
	v_lshl_or_b32 v0, v2, 21, v0
                                        ; implicit-def: $vgpr2
	v_add_nc_u32_e32 v1, 0x38000000, v0
                                        ; implicit-def: $vgpr0
.LBB6_14386:                            ;   in Loop: Header=BB6_14192 Depth=3
	s_and_not1_saveexec_b32 s75, s75
; %bb.14387:                            ;   in Loop: Header=BB6_14192 Depth=3
	v_bfe_i32 v0, v0, 0, 8
	s_delay_alu instid0(VALU_DEP_1) | instskip(SKIP_1) | instid1(VALU_DEP_1)
	v_cmp_lt_i16_e32 vcc_lo, -1, v0
	v_mov_b32_e32 v0, 0x7f800000
	v_cndmask_b32_e32 v0, 0xff800000, v0, vcc_lo
	v_cmp_eq_u32_e32 vcc_lo, 0, v2
	s_delay_alu instid0(VALU_DEP_2)
	v_cndmask_b32_e32 v1, 0x7f800001, v0, vcc_lo
; %bb.14388:                            ;   in Loop: Header=BB6_14192 Depth=3
	s_or_b32 exec_lo, exec_lo, s75
.LBB6_14389:                            ;   in Loop: Header=BB6_14192 Depth=3
	s_delay_alu instid0(SALU_CYCLE_1)
	s_or_b32 exec_lo, exec_lo, s74
.LBB6_14390:                            ;   in Loop: Header=BB6_14192 Depth=3
	s_delay_alu instid0(SALU_CYCLE_1) | instskip(NEXT) | instid1(VALU_DEP_1)
	s_or_b32 exec_lo, exec_lo, s13
	v_dual_mul_f32 v2, s73, v1 :: v_dual_mov_b32 v5, v113
	v_mov_b32_e32 v1, v113
                                        ; implicit-def: $vgpr68
	s_mov_b32 s13, exec_lo
	s_delay_alu instid0(VALU_DEP_2) | instskip(SKIP_2) | instid1(VALU_DEP_3)
	v_and_b32_e32 v4, 0x7f800000, v2
	v_and_b32_e32 v0, 0x7fffff, v2
	v_lshrrev_b32_e32 v3, 24, v2
	v_cmpx_ne_u64_e32 0x7f800000, v[4:5]
	s_xor_b32 s74, exec_lo, s13
	s_cbranch_execz .LBB6_14404
; %bb.14391:                            ;   in Loop: Header=BB6_14192 Depth=3
	v_and_b32_e32 v4, 0x7fffffff, v2
	v_mov_b32_e32 v5, v113
                                        ; implicit-def: $vgpr68
	s_delay_alu instid0(VALU_DEP_1) | instskip(SKIP_2) | instid1(SALU_CYCLE_1)
	v_cmp_gt_u64_e32 vcc_lo, 0x47600001, v[4:5]
	v_and_b32_e32 v4, 0x80, v3
	s_and_saveexec_b32 s13, vcc_lo
	s_xor_b32 s75, exec_lo, s13
	s_cbranch_execz .LBB6_14401
; %bb.14392:                            ;   in Loop: Header=BB6_14192 Depth=3
	v_mov_b32_e32 v68, 0
	s_mov_b32 s76, exec_lo
	v_cmpx_ne_u32_e32 0, v2
	s_cbranch_execz .LBB6_14400
; %bb.14393:                            ;   in Loop: Header=BB6_14192 Depth=3
	v_bfe_u32 v5, v2, 23, 8
	v_or_b32_e32 v13, 0x800000, v0
	s_delay_alu instid0(VALU_DEP_2) | instskip(SKIP_1) | instid1(VALU_DEP_2)
	v_sub_nc_u32_e32 v2, 0x71, v5
	v_cmp_gt_u32_e32 vcc_lo, 0x72, v5
	v_cndmask_b32_e32 v2, 0, v2, vcc_lo
	v_cmp_eq_u32_e32 vcc_lo, 0, v5
	s_delay_alu instid0(VALU_DEP_2) | instskip(SKIP_1) | instid1(VALU_DEP_2)
	v_cndmask_b32_e64 v12, v2, 0x70, vcc_lo
	v_cndmask_b32_e32 v0, v13, v0, vcc_lo
	v_dual_add_nc_u32 v2, 21, v12 :: v_dual_add_nc_u32 v14, 20, v12
	s_delay_alu instid0(VALU_DEP_1) | instskip(NEXT) | instid1(VALU_DEP_2)
	v_lshlrev_b64_e64 v[2:3], v2, -1
	v_lshlrev_b64_e64 v[14:15], v14, 1
	s_delay_alu instid0(VALU_DEP_2) | instskip(SKIP_1) | instid1(VALU_DEP_4)
	v_bfi_b32 v2, v2, 0, v0
	v_lshrrev_b64 v[0:1], v12, v[0:1]
	v_bfi_b32 v3, v3, 0, 0
	s_delay_alu instid0(VALU_DEP_1) | instskip(NEXT) | instid1(VALU_DEP_3)
	v_cmp_eq_u64_e64 s13, v[2:3], v[14:15]
	v_mov_b64_e32 v[2:3], v[0:1]
	s_and_saveexec_b32 s77, s13
; %bb.14394:                            ;   in Loop: Header=BB6_14192 Depth=3
	v_bfe_u32 v2, v0, 21, 1
	v_mov_b32_e32 v3, v113
	s_delay_alu instid0(VALU_DEP_1) | instskip(NEXT) | instid1(VALU_DEP_1)
	v_add_nc_u64_e32 v[2:3], v[0:1], v[2:3]
	v_add_nc_u64_e32 v[2:3], -1, v[2:3]
; %bb.14395:                            ;   in Loop: Header=BB6_14192 Depth=3
	s_or_b32 exec_lo, exec_lo, s77
	v_add_nc_u32_e32 v1, 0xffffff81, v5
	v_lshrrev_b32_e32 v3, 23, v0
	s_mov_b32 s13, exec_lo
	s_delay_alu instid0(VALU_DEP_2) | instskip(NEXT) | instid1(VALU_DEP_1)
	v_cndmask_b32_e64 v1, v1, 0xffffff82, vcc_lo
	v_add3_u32 v3, v12, v1, v3
	v_and_b32_e32 v1, 0x1fffff, v2
                                        ; implicit-def: $vgpr2
	s_delay_alu instid0(VALU_DEP_1) | instskip(SKIP_1) | instid1(VALU_DEP_2)
	v_dual_add_nc_u32 v5, 14, v3 :: v_dual_add_nc_u32 v0, v1, v0
	v_mov_b32_e32 v1, v113
	v_cmpx_ne_u32_e32 0, v5
	s_xor_b32 s13, exec_lo, s13
; %bb.14396:                            ;   in Loop: Header=BB6_14192 Depth=3
	s_delay_alu instid0(VALU_DEP_2) | instskip(SKIP_2) | instid1(VALU_DEP_2)
	v_cmp_lt_u64_e32 vcc_lo, 0xffffff, v[0:1]
	v_add_nc_u32_e32 v2, 15, v3
	v_cndmask_b32_e64 v3, 0, 1, vcc_lo
	v_cndmask_b32_e32 v2, v5, v2, vcc_lo
	s_delay_alu instid0(VALU_DEP_2)
	v_lshrrev_b64 v[0:1], v3, v[0:1]
; %bb.14397:                            ;   in Loop: Header=BB6_14192 Depth=3
	s_and_not1_saveexec_b32 s13, s13
; %bb.14398:                            ;   in Loop: Header=BB6_14192 Depth=3
	s_delay_alu instid0(VALU_DEP_1)
	v_bfe_u32 v2, v0, 23, 1
; %bb.14399:                            ;   in Loop: Header=BB6_14192 Depth=3
	s_or_b32 exec_lo, exec_lo, s13
	s_delay_alu instid0(VALU_DEP_2) | instskip(NEXT) | instid1(VALU_DEP_2)
	v_lshrrev_b64 v[0:1], 21, v[0:1]
	v_cmp_gt_i32_e32 vcc_lo, 32, v2
	v_min_i32_e32 v3, 31, v2
	v_cmp_eq_u32_e64 s13, 0, v2
	s_delay_alu instid0(VALU_DEP_2) | instskip(SKIP_1) | instid1(VALU_DEP_2)
	v_dual_cndmask_b32 v1, 0, v1, vcc_lo :: v_dual_lshlrev_b32 v3, 2, v3
	v_cndmask_b32_e32 v0, 3, v0, vcc_lo
	v_and_b32_e32 v3, 0xfc, v3
	s_delay_alu instid0(VALU_DEP_2) | instskip(NEXT) | instid1(VALU_DEP_2)
	v_cmp_eq_u64_e32 vcc_lo, 0, v[0:1]
	v_and_or_b32 v0, v0, 3, v3
	s_and_b32 s13, s13, vcc_lo
	s_delay_alu instid0(VALU_DEP_1) | instid1(SALU_CYCLE_1)
	v_cndmask_b32_e64 v0, v0, 0, s13
	s_delay_alu instid0(VALU_DEP_1)
	v_or_b32_e32 v68, v0, v4
.LBB6_14400:                            ;   in Loop: Header=BB6_14192 Depth=3
	s_or_b32 exec_lo, exec_lo, s76
                                        ; implicit-def: $vgpr4
.LBB6_14401:                            ;   in Loop: Header=BB6_14192 Depth=3
	s_and_not1_saveexec_b32 s13, s75
; %bb.14402:                            ;   in Loop: Header=BB6_14192 Depth=3
	v_or_b32_e32 v68, 0x7b, v4
; %bb.14403:                            ;   in Loop: Header=BB6_14192 Depth=3
	s_or_b32 exec_lo, exec_lo, s13
                                        ; implicit-def: $vgpr2
                                        ; implicit-def: $vgpr0_vgpr1
                                        ; implicit-def: $vgpr3
.LBB6_14404:                            ;   in Loop: Header=BB6_14192 Depth=3
	s_and_not1_saveexec_b32 s13, s74
	s_cbranch_execz .LBB6_14410
; %bb.14405:                            ;   in Loop: Header=BB6_14192 Depth=3
	s_mov_b32 s74, exec_lo
                                        ; implicit-def: $vgpr68
	v_cmpx_ne_u64_e32 0, v[0:1]
	s_xor_b32 s74, exec_lo, s74
; %bb.14406:                            ;   in Loop: Header=BB6_14192 Depth=3
	v_or_b32_e32 v68, 0x7f, v3
                                        ; implicit-def: $vgpr2
; %bb.14407:                            ;   in Loop: Header=BB6_14192 Depth=3
	s_and_not1_saveexec_b32 s74, s74
; %bb.14408:                            ;   in Loop: Header=BB6_14192 Depth=3
	v_cmp_lt_i32_e32 vcc_lo, -1, v2
	v_mov_b32_e32 v0, 0x7c
	s_delay_alu instid0(VALU_DEP_1)
	v_cndmask_b32_e32 v68, 0xfc, v0, vcc_lo
; %bb.14409:                            ;   in Loop: Header=BB6_14192 Depth=3
	s_or_b32 exec_lo, exec_lo, s74
.LBB6_14410:                            ;   in Loop: Header=BB6_14192 Depth=3
	s_delay_alu instid0(SALU_CYCLE_1)
	s_or_b32 exec_lo, exec_lo, s13
	v_mov_b32_e32 v1, 0
	s_mov_b32 s13, exec_lo
	v_cmpx_lt_u64_e64 s[22:23], v[8:9]
	s_cbranch_execz .LBB6_14420
; %bb.14411:                            ;   in Loop: Header=BB6_14192 Depth=3
	v_lshrrev_b32_e32 v0, 24, v9
	v_bfrev_b32_e32 v1, 1
	s_mov_b32 s74, exec_lo
	s_delay_alu instid0(VALU_DEP_2)
	v_cmpx_ne_u32_e32 0x80, v0
	s_cbranch_execz .LBB6_14419
; %bb.14412:                            ;   in Loop: Header=BB6_14192 Depth=3
	v_and_b32_e32 v1, 0x7c000000, v9
	v_bfe_u32 v2, v9, 24, 2
	s_delay_alu instid0(VALU_DEP_2) | instskip(SKIP_1) | instid1(SALU_CYCLE_1)
	v_cmp_ne_u32_e32 vcc_lo, 0x7c000000, v1
                                        ; implicit-def: $vgpr1
	s_and_saveexec_b32 s75, vcc_lo
	s_xor_b32 s75, exec_lo, s75
	s_cbranch_execz .LBB6_14416
; %bb.14413:                            ;   in Loop: Header=BB6_14192 Depth=3
	v_bfe_u32 v1, v9, 26, 5
	s_mov_b32 s76, exec_lo
	s_delay_alu instid0(VALU_DEP_1)
	v_cmpx_eq_u32_e32 0, v1
; %bb.14414:                            ;   in Loop: Header=BB6_14192 Depth=3
	v_clz_i32_u32_e32 v1, v2
	s_delay_alu instid0(VALU_DEP_1) | instskip(NEXT) | instid1(VALU_DEP_1)
	v_min_u32_e32 v2, 32, v1
	v_subrev_nc_u32_e32 v1, 29, v2
	s_delay_alu instid0(VALU_DEP_1) | instskip(NEXT) | instid1(VALU_DEP_1)
	v_lshlrev_b64_e32 v[0:1], v1, v[0:1]
	v_dual_sub_nc_u32 v1, 30, v2 :: v_dual_bitop2_b32 v2, 3, v0 bitop3:0x40
; %bb.14415:                            ;   in Loop: Header=BB6_14192 Depth=3
	s_or_b32 exec_lo, exec_lo, s76
	v_and_b32_e32 v0, 0x80000000, v9
	s_delay_alu instid0(VALU_DEP_1) | instskip(NEXT) | instid1(VALU_DEP_1)
	v_lshl_add_u32 v0, v1, 23, v0
	v_lshl_or_b32 v0, v2, 21, v0
                                        ; implicit-def: $vgpr2
	s_delay_alu instid0(VALU_DEP_1)
	v_add_nc_u32_e32 v1, 0x38000000, v0
.LBB6_14416:                            ;   in Loop: Header=BB6_14192 Depth=3
	s_and_not1_saveexec_b32 s75, s75
; %bb.14417:                            ;   in Loop: Header=BB6_14192 Depth=3
	v_cmp_lt_i64_e32 vcc_lo, -1, v[8:9]
	v_mov_b32_e32 v0, 0x7f800000
	s_delay_alu instid0(VALU_DEP_1) | instskip(SKIP_1) | instid1(VALU_DEP_2)
	v_cndmask_b32_e32 v0, 0xff800000, v0, vcc_lo
	v_cmp_eq_u32_e32 vcc_lo, 0, v2
	v_cndmask_b32_e32 v1, 0x7f800001, v0, vcc_lo
; %bb.14418:                            ;   in Loop: Header=BB6_14192 Depth=3
	s_or_b32 exec_lo, exec_lo, s75
.LBB6_14419:                            ;   in Loop: Header=BB6_14192 Depth=3
	s_delay_alu instid0(SALU_CYCLE_1)
	s_or_b32 exec_lo, exec_lo, s74
.LBB6_14420:                            ;   in Loop: Header=BB6_14192 Depth=3
	s_delay_alu instid0(SALU_CYCLE_1) | instskip(NEXT) | instid1(VALU_DEP_1)
	s_or_b32 exec_lo, exec_lo, s13
	v_dual_mul_f32 v2, s73, v1 :: v_dual_mov_b32 v5, v113
	v_mov_b32_e32 v1, v113
                                        ; implicit-def: $vgpr56
	s_mov_b32 s13, exec_lo
	s_delay_alu instid0(VALU_DEP_2) | instskip(SKIP_2) | instid1(VALU_DEP_3)
	v_and_b32_e32 v4, 0x7f800000, v2
	v_and_b32_e32 v0, 0x7fffff, v2
	v_lshrrev_b32_e32 v3, 24, v2
	v_cmpx_ne_u64_e32 0x7f800000, v[4:5]
	s_xor_b32 s74, exec_lo, s13
	s_cbranch_execz .LBB6_14434
; %bb.14421:                            ;   in Loop: Header=BB6_14192 Depth=3
	v_and_b32_e32 v4, 0x7fffffff, v2
	v_mov_b32_e32 v5, v113
                                        ; implicit-def: $vgpr56
	s_delay_alu instid0(VALU_DEP_1) | instskip(SKIP_2) | instid1(SALU_CYCLE_1)
	v_cmp_gt_u64_e32 vcc_lo, 0x47600001, v[4:5]
	v_and_b32_e32 v4, 0x80, v3
	s_and_saveexec_b32 s13, vcc_lo
	s_xor_b32 s75, exec_lo, s13
	s_cbranch_execz .LBB6_14431
; %bb.14422:                            ;   in Loop: Header=BB6_14192 Depth=3
	v_mov_b32_e32 v56, 0
	s_mov_b32 s76, exec_lo
	v_cmpx_ne_u32_e32 0, v2
	s_cbranch_execz .LBB6_14430
; %bb.14423:                            ;   in Loop: Header=BB6_14192 Depth=3
	v_bfe_u32 v5, v2, 23, 8
	v_or_b32_e32 v9, 0x800000, v0
	s_delay_alu instid0(VALU_DEP_2) | instskip(SKIP_1) | instid1(VALU_DEP_2)
	v_sub_nc_u32_e32 v2, 0x71, v5
	v_cmp_gt_u32_e32 vcc_lo, 0x72, v5
	v_cndmask_b32_e32 v2, 0, v2, vcc_lo
	v_cmp_eq_u32_e32 vcc_lo, 0, v5
	s_delay_alu instid0(VALU_DEP_2) | instskip(SKIP_1) | instid1(VALU_DEP_2)
	v_cndmask_b32_e64 v8, v2, 0x70, vcc_lo
	v_cndmask_b32_e32 v0, v9, v0, vcc_lo
	v_dual_add_nc_u32 v2, 21, v8 :: v_dual_add_nc_u32 v12, 20, v8
	s_delay_alu instid0(VALU_DEP_1) | instskip(NEXT) | instid1(VALU_DEP_2)
	v_lshlrev_b64_e64 v[2:3], v2, -1
	v_lshlrev_b64_e64 v[12:13], v12, 1
	s_delay_alu instid0(VALU_DEP_2) | instskip(SKIP_1) | instid1(VALU_DEP_4)
	v_bfi_b32 v2, v2, 0, v0
	v_lshrrev_b64 v[0:1], v8, v[0:1]
	v_bfi_b32 v3, v3, 0, 0
	s_delay_alu instid0(VALU_DEP_1) | instskip(NEXT) | instid1(VALU_DEP_3)
	v_cmp_eq_u64_e64 s13, v[2:3], v[12:13]
	v_mov_b64_e32 v[2:3], v[0:1]
	s_and_saveexec_b32 s77, s13
; %bb.14424:                            ;   in Loop: Header=BB6_14192 Depth=3
	v_bfe_u32 v2, v0, 21, 1
	v_mov_b32_e32 v3, v113
	s_delay_alu instid0(VALU_DEP_1) | instskip(NEXT) | instid1(VALU_DEP_1)
	v_add_nc_u64_e32 v[2:3], v[0:1], v[2:3]
	v_add_nc_u64_e32 v[2:3], -1, v[2:3]
; %bb.14425:                            ;   in Loop: Header=BB6_14192 Depth=3
	s_or_b32 exec_lo, exec_lo, s77
	v_add_nc_u32_e32 v1, 0xffffff81, v5
	v_lshrrev_b32_e32 v3, 23, v0
	s_mov_b32 s13, exec_lo
	s_delay_alu instid0(VALU_DEP_2) | instskip(NEXT) | instid1(VALU_DEP_1)
	v_cndmask_b32_e64 v1, v1, 0xffffff82, vcc_lo
	v_add3_u32 v3, v8, v1, v3
	v_and_b32_e32 v1, 0x1fffff, v2
                                        ; implicit-def: $vgpr2
	s_delay_alu instid0(VALU_DEP_1) | instskip(SKIP_1) | instid1(VALU_DEP_2)
	v_dual_add_nc_u32 v5, 14, v3 :: v_dual_add_nc_u32 v0, v1, v0
	v_mov_b32_e32 v1, v113
	v_cmpx_ne_u32_e32 0, v5
	s_xor_b32 s13, exec_lo, s13
; %bb.14426:                            ;   in Loop: Header=BB6_14192 Depth=3
	s_delay_alu instid0(VALU_DEP_2) | instskip(SKIP_2) | instid1(VALU_DEP_2)
	v_cmp_lt_u64_e32 vcc_lo, 0xffffff, v[0:1]
	v_add_nc_u32_e32 v2, 15, v3
	v_cndmask_b32_e64 v3, 0, 1, vcc_lo
	v_cndmask_b32_e32 v2, v5, v2, vcc_lo
	s_delay_alu instid0(VALU_DEP_2)
	v_lshrrev_b64 v[0:1], v3, v[0:1]
; %bb.14427:                            ;   in Loop: Header=BB6_14192 Depth=3
	s_and_not1_saveexec_b32 s13, s13
; %bb.14428:                            ;   in Loop: Header=BB6_14192 Depth=3
	s_delay_alu instid0(VALU_DEP_1)
	v_bfe_u32 v2, v0, 23, 1
; %bb.14429:                            ;   in Loop: Header=BB6_14192 Depth=3
	s_or_b32 exec_lo, exec_lo, s13
	s_delay_alu instid0(VALU_DEP_2) | instskip(NEXT) | instid1(VALU_DEP_2)
	v_lshrrev_b64 v[0:1], 21, v[0:1]
	v_cmp_gt_i32_e32 vcc_lo, 32, v2
	v_min_i32_e32 v3, 31, v2
	v_cmp_eq_u32_e64 s13, 0, v2
	s_delay_alu instid0(VALU_DEP_2) | instskip(SKIP_1) | instid1(VALU_DEP_2)
	v_dual_cndmask_b32 v1, 0, v1, vcc_lo :: v_dual_lshlrev_b32 v3, 2, v3
	v_cndmask_b32_e32 v0, 3, v0, vcc_lo
	v_and_b32_e32 v3, 0xfc, v3
	s_delay_alu instid0(VALU_DEP_2) | instskip(NEXT) | instid1(VALU_DEP_2)
	v_cmp_eq_u64_e32 vcc_lo, 0, v[0:1]
	v_and_or_b32 v0, v0, 3, v3
	s_and_b32 s13, s13, vcc_lo
	s_delay_alu instid0(VALU_DEP_1) | instid1(SALU_CYCLE_1)
	v_cndmask_b32_e64 v0, v0, 0, s13
	s_delay_alu instid0(VALU_DEP_1)
	v_or_b32_e32 v56, v0, v4
.LBB6_14430:                            ;   in Loop: Header=BB6_14192 Depth=3
	s_or_b32 exec_lo, exec_lo, s76
                                        ; implicit-def: $vgpr4
.LBB6_14431:                            ;   in Loop: Header=BB6_14192 Depth=3
	s_and_not1_saveexec_b32 s13, s75
; %bb.14432:                            ;   in Loop: Header=BB6_14192 Depth=3
	v_or_b32_e32 v56, 0x7b, v4
; %bb.14433:                            ;   in Loop: Header=BB6_14192 Depth=3
	s_or_b32 exec_lo, exec_lo, s13
                                        ; implicit-def: $vgpr2
                                        ; implicit-def: $vgpr0_vgpr1
                                        ; implicit-def: $vgpr3
.LBB6_14434:                            ;   in Loop: Header=BB6_14192 Depth=3
	s_and_not1_saveexec_b32 s13, s74
	s_cbranch_execz .LBB6_14440
; %bb.14435:                            ;   in Loop: Header=BB6_14192 Depth=3
	s_mov_b32 s74, exec_lo
                                        ; implicit-def: $vgpr56
	v_cmpx_ne_u64_e32 0, v[0:1]
	s_xor_b32 s74, exec_lo, s74
; %bb.14436:                            ;   in Loop: Header=BB6_14192 Depth=3
	v_or_b32_e32 v56, 0x7f, v3
                                        ; implicit-def: $vgpr2
; %bb.14437:                            ;   in Loop: Header=BB6_14192 Depth=3
	s_and_not1_saveexec_b32 s74, s74
; %bb.14438:                            ;   in Loop: Header=BB6_14192 Depth=3
	v_cmp_lt_i32_e32 vcc_lo, -1, v2
	v_mov_b32_e32 v0, 0x7c
	s_delay_alu instid0(VALU_DEP_1)
	v_cndmask_b32_e32 v56, 0xfc, v0, vcc_lo
; %bb.14439:                            ;   in Loop: Header=BB6_14192 Depth=3
	s_or_b32 exec_lo, exec_lo, s74
.LBB6_14440:                            ;   in Loop: Header=BB6_14192 Depth=3
	s_delay_alu instid0(SALU_CYCLE_1) | instskip(SKIP_1) | instid1(VALU_DEP_1)
	s_or_b32 exec_lo, exec_lo, s13
	v_and_b32_e32 v0, 0xff, v10
	v_cmp_ne_u16_e32 vcc_lo, 0, v0
	v_mov_b32_e32 v0, 0
	s_and_saveexec_b32 s13, vcc_lo
	s_cbranch_execz .LBB6_14450
; %bb.14441:                            ;   in Loop: Header=BB6_14192 Depth=3
	v_bfe_i32 v2, v10, 0, 8
	v_bfrev_b32_e32 v0, 1
	s_mov_b32 s74, exec_lo
	s_delay_alu instid0(VALU_DEP_2)
	v_cmpx_ne_u16_e32 0xff80, v2
	s_cbranch_execz .LBB6_14449
; %bb.14442:                            ;   in Loop: Header=BB6_14192 Depth=3
	v_and_b32_e32 v0, 0x7c, v10
	v_and_b32_e32 v1, 3, v10
	s_delay_alu instid0(VALU_DEP_2) | instskip(SKIP_1) | instid1(SALU_CYCLE_1)
	v_cmp_ne_u32_e32 vcc_lo, 0x7c, v0
                                        ; implicit-def: $vgpr0
	s_and_saveexec_b32 s75, vcc_lo
	s_xor_b32 s75, exec_lo, s75
	s_cbranch_execz .LBB6_14446
; %bb.14443:                            ;   in Loop: Header=BB6_14192 Depth=3
	v_bfe_u32 v0, v10, 2, 5
	s_mov_b32 s76, exec_lo
	s_delay_alu instid0(VALU_DEP_1)
	v_cmpx_eq_u32_e32 0, v0
; %bb.14444:                            ;   in Loop: Header=BB6_14192 Depth=3
	v_clz_i32_u32_e32 v0, v1
	s_delay_alu instid0(VALU_DEP_1) | instskip(NEXT) | instid1(VALU_DEP_1)
	v_min_u32_e32 v0, 32, v0
	v_subrev_nc_u32_e32 v1, 29, v0
	s_delay_alu instid0(VALU_DEP_1) | instskip(NEXT) | instid1(VALU_DEP_1)
	v_lshlrev_b64_e32 v[2:3], v1, v[10:11]
	v_dual_sub_nc_u32 v0, 30, v0 :: v_dual_bitop2_b32 v1, 3, v2 bitop3:0x40
; %bb.14445:                            ;   in Loop: Header=BB6_14192 Depth=3
	s_or_b32 exec_lo, exec_lo, s76
	v_lshlrev_b32_e32 v2, 24, v10
	s_delay_alu instid0(VALU_DEP_1) | instskip(NEXT) | instid1(VALU_DEP_1)
	v_and_b32_e32 v2, 0x80000000, v2
	v_lshl_add_u32 v0, v0, 23, v2
                                        ; implicit-def: $vgpr2
	s_delay_alu instid0(VALU_DEP_1) | instskip(NEXT) | instid1(VALU_DEP_1)
	v_lshl_or_b32 v0, v1, 21, v0
                                        ; implicit-def: $vgpr1
	v_add_nc_u32_e32 v0, 0x38000000, v0
.LBB6_14446:                            ;   in Loop: Header=BB6_14192 Depth=3
	s_and_not1_saveexec_b32 s75, s75
; %bb.14447:                            ;   in Loop: Header=BB6_14192 Depth=3
	v_cmp_lt_i16_e32 vcc_lo, -1, v2
	v_mov_b32_e32 v0, 0x7f800000
	s_delay_alu instid0(VALU_DEP_1) | instskip(SKIP_1) | instid1(VALU_DEP_2)
	v_cndmask_b32_e32 v0, 0xff800000, v0, vcc_lo
	v_cmp_eq_u32_e32 vcc_lo, 0, v1
	v_cndmask_b32_e32 v0, 0x7f800001, v0, vcc_lo
; %bb.14448:                            ;   in Loop: Header=BB6_14192 Depth=3
	s_or_b32 exec_lo, exec_lo, s75
.LBB6_14449:                            ;   in Loop: Header=BB6_14192 Depth=3
	s_delay_alu instid0(SALU_CYCLE_1)
	s_or_b32 exec_lo, exec_lo, s74
.LBB6_14450:                            ;   in Loop: Header=BB6_14192 Depth=3
	s_delay_alu instid0(SALU_CYCLE_1) | instskip(NEXT) | instid1(VALU_DEP_1)
	s_or_b32 exec_lo, exec_lo, s13
	v_dual_mul_f32 v2, s73, v0 :: v_dual_mov_b32 v5, v113
	v_mov_b32_e32 v1, v113
                                        ; implicit-def: $vgpr99
	s_mov_b32 s13, exec_lo
	s_delay_alu instid0(VALU_DEP_2) | instskip(SKIP_2) | instid1(VALU_DEP_3)
	v_and_b32_e32 v4, 0x7f800000, v2
	v_and_b32_e32 v0, 0x7fffff, v2
	v_lshrrev_b32_e32 v3, 24, v2
	v_cmpx_ne_u64_e32 0x7f800000, v[4:5]
	s_xor_b32 s74, exec_lo, s13
	s_cbranch_execz .LBB6_14464
; %bb.14451:                            ;   in Loop: Header=BB6_14192 Depth=3
	v_and_b32_e32 v4, 0x7fffffff, v2
	v_mov_b32_e32 v5, v113
                                        ; implicit-def: $vgpr99
	s_delay_alu instid0(VALU_DEP_1) | instskip(SKIP_2) | instid1(SALU_CYCLE_1)
	v_cmp_gt_u64_e32 vcc_lo, 0x47600001, v[4:5]
	v_and_b32_e32 v4, 0x80, v3
	s_and_saveexec_b32 s13, vcc_lo
	s_xor_b32 s75, exec_lo, s13
	s_cbranch_execz .LBB6_14461
; %bb.14452:                            ;   in Loop: Header=BB6_14192 Depth=3
	v_mov_b32_e32 v99, 0
	s_mov_b32 s76, exec_lo
	v_cmpx_ne_u32_e32 0, v2
	s_cbranch_execz .LBB6_14460
; %bb.14453:                            ;   in Loop: Header=BB6_14192 Depth=3
	v_bfe_u32 v5, v2, 23, 8
	v_or_b32_e32 v9, 0x800000, v0
	s_delay_alu instid0(VALU_DEP_2) | instskip(SKIP_1) | instid1(VALU_DEP_2)
	v_sub_nc_u32_e32 v2, 0x71, v5
	v_cmp_gt_u32_e32 vcc_lo, 0x72, v5
	v_cndmask_b32_e32 v2, 0, v2, vcc_lo
	v_cmp_eq_u32_e32 vcc_lo, 0, v5
	s_delay_alu instid0(VALU_DEP_2) | instskip(SKIP_1) | instid1(VALU_DEP_2)
	v_cndmask_b32_e64 v8, v2, 0x70, vcc_lo
	v_cndmask_b32_e32 v0, v9, v0, vcc_lo
	v_dual_add_nc_u32 v2, 21, v8 :: v_dual_add_nc_u32 v12, 20, v8
	s_delay_alu instid0(VALU_DEP_1) | instskip(NEXT) | instid1(VALU_DEP_2)
	v_lshlrev_b64_e64 v[2:3], v2, -1
	v_lshlrev_b64_e64 v[12:13], v12, 1
	s_delay_alu instid0(VALU_DEP_2) | instskip(SKIP_1) | instid1(VALU_DEP_4)
	v_bfi_b32 v2, v2, 0, v0
	v_lshrrev_b64 v[0:1], v8, v[0:1]
	v_bfi_b32 v3, v3, 0, 0
	s_delay_alu instid0(VALU_DEP_1) | instskip(NEXT) | instid1(VALU_DEP_3)
	v_cmp_eq_u64_e64 s13, v[2:3], v[12:13]
	v_mov_b64_e32 v[2:3], v[0:1]
	s_and_saveexec_b32 s77, s13
; %bb.14454:                            ;   in Loop: Header=BB6_14192 Depth=3
	v_bfe_u32 v2, v0, 21, 1
	v_mov_b32_e32 v3, v113
	s_delay_alu instid0(VALU_DEP_1) | instskip(NEXT) | instid1(VALU_DEP_1)
	v_add_nc_u64_e32 v[2:3], v[0:1], v[2:3]
	v_add_nc_u64_e32 v[2:3], -1, v[2:3]
; %bb.14455:                            ;   in Loop: Header=BB6_14192 Depth=3
	s_or_b32 exec_lo, exec_lo, s77
	v_add_nc_u32_e32 v1, 0xffffff81, v5
	v_lshrrev_b32_e32 v3, 23, v0
	s_mov_b32 s13, exec_lo
	s_delay_alu instid0(VALU_DEP_2) | instskip(NEXT) | instid1(VALU_DEP_1)
	v_cndmask_b32_e64 v1, v1, 0xffffff82, vcc_lo
	v_add3_u32 v3, v8, v1, v3
	v_and_b32_e32 v1, 0x1fffff, v2
                                        ; implicit-def: $vgpr2
	s_delay_alu instid0(VALU_DEP_1) | instskip(SKIP_1) | instid1(VALU_DEP_2)
	v_dual_add_nc_u32 v5, 14, v3 :: v_dual_add_nc_u32 v0, v1, v0
	v_mov_b32_e32 v1, v113
	v_cmpx_ne_u32_e32 0, v5
	s_xor_b32 s13, exec_lo, s13
; %bb.14456:                            ;   in Loop: Header=BB6_14192 Depth=3
	s_delay_alu instid0(VALU_DEP_2) | instskip(SKIP_2) | instid1(VALU_DEP_2)
	v_cmp_lt_u64_e32 vcc_lo, 0xffffff, v[0:1]
	v_add_nc_u32_e32 v2, 15, v3
	v_cndmask_b32_e64 v3, 0, 1, vcc_lo
	v_cndmask_b32_e32 v2, v5, v2, vcc_lo
	s_delay_alu instid0(VALU_DEP_2)
	v_lshrrev_b64 v[0:1], v3, v[0:1]
; %bb.14457:                            ;   in Loop: Header=BB6_14192 Depth=3
	s_and_not1_saveexec_b32 s13, s13
; %bb.14458:                            ;   in Loop: Header=BB6_14192 Depth=3
	s_delay_alu instid0(VALU_DEP_1)
	v_bfe_u32 v2, v0, 23, 1
; %bb.14459:                            ;   in Loop: Header=BB6_14192 Depth=3
	s_or_b32 exec_lo, exec_lo, s13
	s_delay_alu instid0(VALU_DEP_2) | instskip(NEXT) | instid1(VALU_DEP_2)
	v_lshrrev_b64 v[0:1], 21, v[0:1]
	v_cmp_gt_i32_e32 vcc_lo, 32, v2
	v_min_i32_e32 v3, 31, v2
	v_cmp_eq_u32_e64 s13, 0, v2
	s_delay_alu instid0(VALU_DEP_2) | instskip(SKIP_1) | instid1(VALU_DEP_2)
	v_dual_cndmask_b32 v1, 0, v1, vcc_lo :: v_dual_lshlrev_b32 v3, 2, v3
	v_cndmask_b32_e32 v0, 3, v0, vcc_lo
	v_and_b32_e32 v3, 0xfc, v3
	s_delay_alu instid0(VALU_DEP_2) | instskip(NEXT) | instid1(VALU_DEP_2)
	v_cmp_eq_u64_e32 vcc_lo, 0, v[0:1]
	v_and_or_b32 v0, v0, 3, v3
	s_and_b32 s13, s13, vcc_lo
	s_delay_alu instid0(VALU_DEP_1) | instid1(SALU_CYCLE_1)
	v_cndmask_b32_e64 v0, v0, 0, s13
	s_delay_alu instid0(VALU_DEP_1)
	v_or_b32_e32 v99, v0, v4
.LBB6_14460:                            ;   in Loop: Header=BB6_14192 Depth=3
	s_or_b32 exec_lo, exec_lo, s76
                                        ; implicit-def: $vgpr4
.LBB6_14461:                            ;   in Loop: Header=BB6_14192 Depth=3
	s_and_not1_saveexec_b32 s13, s75
; %bb.14462:                            ;   in Loop: Header=BB6_14192 Depth=3
	v_or_b32_e32 v99, 0x7b, v4
; %bb.14463:                            ;   in Loop: Header=BB6_14192 Depth=3
	s_or_b32 exec_lo, exec_lo, s13
                                        ; implicit-def: $vgpr2
                                        ; implicit-def: $vgpr0_vgpr1
                                        ; implicit-def: $vgpr3
.LBB6_14464:                            ;   in Loop: Header=BB6_14192 Depth=3
	s_and_not1_saveexec_b32 s13, s74
	s_cbranch_execz .LBB6_14470
; %bb.14465:                            ;   in Loop: Header=BB6_14192 Depth=3
	s_mov_b32 s74, exec_lo
                                        ; implicit-def: $vgpr99
	v_cmpx_ne_u64_e32 0, v[0:1]
	s_xor_b32 s74, exec_lo, s74
; %bb.14466:                            ;   in Loop: Header=BB6_14192 Depth=3
	v_or_b32_e32 v99, 0x7f, v3
                                        ; implicit-def: $vgpr2
; %bb.14467:                            ;   in Loop: Header=BB6_14192 Depth=3
	s_and_not1_saveexec_b32 s74, s74
; %bb.14468:                            ;   in Loop: Header=BB6_14192 Depth=3
	v_cmp_lt_i32_e32 vcc_lo, -1, v2
	v_mov_b32_e32 v0, 0x7c
	s_delay_alu instid0(VALU_DEP_1)
	v_cndmask_b32_e32 v99, 0xfc, v0, vcc_lo
; %bb.14469:                            ;   in Loop: Header=BB6_14192 Depth=3
	s_or_b32 exec_lo, exec_lo, s74
.LBB6_14470:                            ;   in Loop: Header=BB6_14192 Depth=3
	s_delay_alu instid0(SALU_CYCLE_1) | instskip(SKIP_3) | instid1(VALU_DEP_2)
	s_or_b32 exec_lo, exec_lo, s13
	v_lshrrev_b16 v0, 8, v10
	v_mov_b32_e32 v2, 0
	s_mov_b32 s13, exec_lo
	v_cmpx_ne_u16_e32 0, v0
	s_cbranch_execz .LBB6_14480
; %bb.14471:                            ;   in Loop: Header=BB6_14192 Depth=3
	v_bfrev_b32_e32 v2, 1
	s_mov_b32 s74, exec_lo
	v_cmpx_ne_u16_e32 0x80, v0
	s_cbranch_execz .LBB6_14479
; %bb.14472:                            ;   in Loop: Header=BB6_14192 Depth=3
	v_and_b32_e32 v3, 0xffff, v0
	s_delay_alu instid0(VALU_DEP_1) | instskip(SKIP_1) | instid1(VALU_DEP_2)
	v_and_b32_e32 v2, 0x7c, v3
	v_and_b32_e32 v1, 3, v3
	v_cmp_ne_u32_e32 vcc_lo, 0x7c, v2
                                        ; implicit-def: $vgpr2
	s_and_saveexec_b32 s75, vcc_lo
	s_delay_alu instid0(SALU_CYCLE_1)
	s_xor_b32 s75, exec_lo, s75
	s_cbranch_execz .LBB6_14476
; %bb.14473:                            ;   in Loop: Header=BB6_14192 Depth=3
	v_bfe_u32 v2, v3, 2, 5
	s_mov_b32 s76, exec_lo
	s_delay_alu instid0(VALU_DEP_1)
	v_cmpx_eq_u32_e32 0, v2
	s_cbranch_execz .LBB6_14475
; %bb.14474:                            ;   in Loop: Header=BB6_14192 Depth=3
	v_clz_i32_u32_e32 v1, v1
	s_delay_alu instid0(VALU_DEP_1) | instskip(SKIP_1) | instid1(VALU_DEP_2)
	v_min_u32_e32 v2, 32, v1
	v_mov_b32_e32 v1, v113
	v_subrev_nc_u32_e32 v3, 29, v2
	v_sub_nc_u32_e32 v2, 30, v2
	s_delay_alu instid0(VALU_DEP_2) | instskip(NEXT) | instid1(VALU_DEP_1)
	v_lshlrev_b64_e32 v[0:1], v3, v[0:1]
	v_and_b32_e32 v1, 3, v0
.LBB6_14475:                            ;   in Loop: Header=BB6_14192 Depth=3
	s_or_b32 exec_lo, exec_lo, s76
	v_lshlrev_b32_e32 v0, 16, v10
	s_delay_alu instid0(VALU_DEP_1) | instskip(NEXT) | instid1(VALU_DEP_1)
	v_and_b32_e32 v0, 0x80000000, v0
	v_lshl_add_u32 v0, v2, 23, v0
	s_delay_alu instid0(VALU_DEP_1) | instskip(NEXT) | instid1(VALU_DEP_1)
	v_lshl_or_b32 v0, v1, 21, v0
                                        ; implicit-def: $vgpr1
	v_add_nc_u32_e32 v2, 0x38000000, v0
.LBB6_14476:                            ;   in Loop: Header=BB6_14192 Depth=3
	s_and_not1_saveexec_b32 s75, s75
; %bb.14477:                            ;   in Loop: Header=BB6_14192 Depth=3
	v_cmp_lt_i16_e32 vcc_lo, -1, v10
	v_mov_b32_e32 v0, 0x7f800000
	s_delay_alu instid0(VALU_DEP_1) | instskip(SKIP_1) | instid1(VALU_DEP_2)
	v_cndmask_b32_e32 v0, 0xff800000, v0, vcc_lo
	v_cmp_eq_u32_e32 vcc_lo, 0, v1
	v_cndmask_b32_e32 v2, 0x7f800001, v0, vcc_lo
; %bb.14478:                            ;   in Loop: Header=BB6_14192 Depth=3
	s_or_b32 exec_lo, exec_lo, s75
.LBB6_14479:                            ;   in Loop: Header=BB6_14192 Depth=3
	s_delay_alu instid0(SALU_CYCLE_1)
	s_or_b32 exec_lo, exec_lo, s74
.LBB6_14480:                            ;   in Loop: Header=BB6_14192 Depth=3
	s_delay_alu instid0(SALU_CYCLE_1) | instskip(NEXT) | instid1(VALU_DEP_1)
	s_or_b32 exec_lo, exec_lo, s13
	v_dual_mul_f32 v2, s73, v2 :: v_dual_mov_b32 v5, v113
	v_mov_b32_e32 v1, v113
                                        ; implicit-def: $vgpr114
	s_mov_b32 s13, exec_lo
	s_delay_alu instid0(VALU_DEP_2) | instskip(SKIP_2) | instid1(VALU_DEP_3)
	v_and_b32_e32 v4, 0x7f800000, v2
	v_and_b32_e32 v0, 0x7fffff, v2
	v_lshrrev_b32_e32 v3, 24, v2
	v_cmpx_ne_u64_e32 0x7f800000, v[4:5]
	s_xor_b32 s74, exec_lo, s13
	s_cbranch_execz .LBB6_14494
; %bb.14481:                            ;   in Loop: Header=BB6_14192 Depth=3
	v_and_b32_e32 v4, 0x7fffffff, v2
	v_mov_b32_e32 v5, v113
                                        ; implicit-def: $vgpr114
	s_delay_alu instid0(VALU_DEP_1) | instskip(SKIP_2) | instid1(SALU_CYCLE_1)
	v_cmp_gt_u64_e32 vcc_lo, 0x47600001, v[4:5]
	v_and_b32_e32 v4, 0x80, v3
	s_and_saveexec_b32 s13, vcc_lo
	s_xor_b32 s75, exec_lo, s13
	s_cbranch_execz .LBB6_14491
; %bb.14482:                            ;   in Loop: Header=BB6_14192 Depth=3
	v_mov_b32_e32 v114, 0
	s_mov_b32 s76, exec_lo
	v_cmpx_ne_u32_e32 0, v2
	s_cbranch_execz .LBB6_14490
; %bb.14483:                            ;   in Loop: Header=BB6_14192 Depth=3
	v_bfe_u32 v5, v2, 23, 8
	v_or_b32_e32 v9, 0x800000, v0
	s_delay_alu instid0(VALU_DEP_2) | instskip(SKIP_1) | instid1(VALU_DEP_2)
	v_sub_nc_u32_e32 v2, 0x71, v5
	v_cmp_gt_u32_e32 vcc_lo, 0x72, v5
	v_cndmask_b32_e32 v2, 0, v2, vcc_lo
	v_cmp_eq_u32_e32 vcc_lo, 0, v5
	s_delay_alu instid0(VALU_DEP_2) | instskip(SKIP_1) | instid1(VALU_DEP_2)
	v_cndmask_b32_e64 v8, v2, 0x70, vcc_lo
	v_cndmask_b32_e32 v0, v9, v0, vcc_lo
	v_dual_add_nc_u32 v2, 21, v8 :: v_dual_add_nc_u32 v12, 20, v8
	s_delay_alu instid0(VALU_DEP_1) | instskip(NEXT) | instid1(VALU_DEP_2)
	v_lshlrev_b64_e64 v[2:3], v2, -1
	v_lshlrev_b64_e64 v[12:13], v12, 1
	s_delay_alu instid0(VALU_DEP_2) | instskip(SKIP_1) | instid1(VALU_DEP_4)
	v_bfi_b32 v2, v2, 0, v0
	v_lshrrev_b64 v[0:1], v8, v[0:1]
	v_bfi_b32 v3, v3, 0, 0
	s_delay_alu instid0(VALU_DEP_1) | instskip(NEXT) | instid1(VALU_DEP_3)
	v_cmp_eq_u64_e64 s13, v[2:3], v[12:13]
	v_mov_b64_e32 v[2:3], v[0:1]
	s_and_saveexec_b32 s77, s13
; %bb.14484:                            ;   in Loop: Header=BB6_14192 Depth=3
	v_bfe_u32 v2, v0, 21, 1
	v_mov_b32_e32 v3, v113
	s_delay_alu instid0(VALU_DEP_1) | instskip(NEXT) | instid1(VALU_DEP_1)
	v_add_nc_u64_e32 v[2:3], v[0:1], v[2:3]
	v_add_nc_u64_e32 v[2:3], -1, v[2:3]
; %bb.14485:                            ;   in Loop: Header=BB6_14192 Depth=3
	s_or_b32 exec_lo, exec_lo, s77
	v_add_nc_u32_e32 v1, 0xffffff81, v5
	v_lshrrev_b32_e32 v3, 23, v0
	s_mov_b32 s13, exec_lo
	s_delay_alu instid0(VALU_DEP_2) | instskip(NEXT) | instid1(VALU_DEP_1)
	v_cndmask_b32_e64 v1, v1, 0xffffff82, vcc_lo
	v_add3_u32 v3, v8, v1, v3
	v_and_b32_e32 v1, 0x1fffff, v2
                                        ; implicit-def: $vgpr2
	s_delay_alu instid0(VALU_DEP_1) | instskip(SKIP_1) | instid1(VALU_DEP_2)
	v_dual_add_nc_u32 v5, 14, v3 :: v_dual_add_nc_u32 v0, v1, v0
	v_mov_b32_e32 v1, v113
	v_cmpx_ne_u32_e32 0, v5
	s_xor_b32 s13, exec_lo, s13
; %bb.14486:                            ;   in Loop: Header=BB6_14192 Depth=3
	s_delay_alu instid0(VALU_DEP_2) | instskip(SKIP_2) | instid1(VALU_DEP_2)
	v_cmp_lt_u64_e32 vcc_lo, 0xffffff, v[0:1]
	v_add_nc_u32_e32 v2, 15, v3
	v_cndmask_b32_e64 v3, 0, 1, vcc_lo
	v_cndmask_b32_e32 v2, v5, v2, vcc_lo
	s_delay_alu instid0(VALU_DEP_2)
	v_lshrrev_b64 v[0:1], v3, v[0:1]
; %bb.14487:                            ;   in Loop: Header=BB6_14192 Depth=3
	s_and_not1_saveexec_b32 s13, s13
; %bb.14488:                            ;   in Loop: Header=BB6_14192 Depth=3
	s_delay_alu instid0(VALU_DEP_1)
	v_bfe_u32 v2, v0, 23, 1
; %bb.14489:                            ;   in Loop: Header=BB6_14192 Depth=3
	s_or_b32 exec_lo, exec_lo, s13
	s_delay_alu instid0(VALU_DEP_2) | instskip(NEXT) | instid1(VALU_DEP_2)
	v_lshrrev_b64 v[0:1], 21, v[0:1]
	v_cmp_gt_i32_e32 vcc_lo, 32, v2
	v_min_i32_e32 v3, 31, v2
	v_cmp_eq_u32_e64 s13, 0, v2
	s_delay_alu instid0(VALU_DEP_2) | instskip(SKIP_1) | instid1(VALU_DEP_2)
	v_dual_cndmask_b32 v1, 0, v1, vcc_lo :: v_dual_lshlrev_b32 v3, 2, v3
	v_cndmask_b32_e32 v0, 3, v0, vcc_lo
	v_and_b32_e32 v3, 0xfc, v3
	s_delay_alu instid0(VALU_DEP_2) | instskip(NEXT) | instid1(VALU_DEP_2)
	v_cmp_eq_u64_e32 vcc_lo, 0, v[0:1]
	v_and_or_b32 v0, v0, 3, v3
	s_and_b32 s13, s13, vcc_lo
	s_delay_alu instid0(VALU_DEP_1) | instid1(SALU_CYCLE_1)
	v_cndmask_b32_e64 v0, v0, 0, s13
	s_delay_alu instid0(VALU_DEP_1)
	v_or_b32_e32 v114, v0, v4
.LBB6_14490:                            ;   in Loop: Header=BB6_14192 Depth=3
	s_or_b32 exec_lo, exec_lo, s76
                                        ; implicit-def: $vgpr4
.LBB6_14491:                            ;   in Loop: Header=BB6_14192 Depth=3
	s_and_not1_saveexec_b32 s13, s75
; %bb.14492:                            ;   in Loop: Header=BB6_14192 Depth=3
	v_or_b32_e32 v114, 0x7b, v4
; %bb.14493:                            ;   in Loop: Header=BB6_14192 Depth=3
	s_or_b32 exec_lo, exec_lo, s13
                                        ; implicit-def: $vgpr2
                                        ; implicit-def: $vgpr0_vgpr1
                                        ; implicit-def: $vgpr3
.LBB6_14494:                            ;   in Loop: Header=BB6_14192 Depth=3
	s_and_not1_saveexec_b32 s13, s74
	s_cbranch_execz .LBB6_14500
; %bb.14495:                            ;   in Loop: Header=BB6_14192 Depth=3
	s_mov_b32 s74, exec_lo
                                        ; implicit-def: $vgpr114
	v_cmpx_ne_u64_e32 0, v[0:1]
	s_xor_b32 s74, exec_lo, s74
; %bb.14496:                            ;   in Loop: Header=BB6_14192 Depth=3
	v_or_b32_e32 v114, 0x7f, v3
                                        ; implicit-def: $vgpr2
; %bb.14497:                            ;   in Loop: Header=BB6_14192 Depth=3
	s_and_not1_saveexec_b32 s74, s74
; %bb.14498:                            ;   in Loop: Header=BB6_14192 Depth=3
	v_cmp_lt_i32_e32 vcc_lo, -1, v2
	v_mov_b32_e32 v0, 0x7c
	s_delay_alu instid0(VALU_DEP_1)
	v_cndmask_b32_e32 v114, 0xfc, v0, vcc_lo
; %bb.14499:                            ;   in Loop: Header=BB6_14192 Depth=3
	s_or_b32 exec_lo, exec_lo, s74
.LBB6_14500:                            ;   in Loop: Header=BB6_14192 Depth=3
	s_delay_alu instid0(SALU_CYCLE_1) | instskip(SKIP_2) | instid1(VALU_DEP_1)
	s_or_b32 exec_lo, exec_lo, s13
	v_dual_mov_b32 v1, 0 :: v_dual_lshrrev_b32 v0, 16, v10
	s_mov_b32 s13, exec_lo
	v_and_b32_e32 v2, 0xff, v0
	s_delay_alu instid0(VALU_DEP_1)
	v_cmpx_ne_u16_e32 0, v2
	s_cbranch_execz .LBB6_14510
; %bb.14501:                            ;   in Loop: Header=BB6_14192 Depth=3
	v_bfrev_b32_e32 v1, 1
	s_mov_b32 s74, exec_lo
	v_cmpx_ne_u16_e32 0x80, v2
	s_cbranch_execz .LBB6_14509
; %bb.14502:                            ;   in Loop: Header=BB6_14192 Depth=3
	v_and_b32_e32 v1, 0x7c0000, v10
	v_bfe_u32 v2, v10, 16, 2
	s_delay_alu instid0(VALU_DEP_2) | instskip(SKIP_1) | instid1(SALU_CYCLE_1)
	v_cmp_ne_u32_e32 vcc_lo, 0x7c0000, v1
                                        ; implicit-def: $vgpr1
	s_and_saveexec_b32 s75, vcc_lo
	s_xor_b32 s75, exec_lo, s75
	s_cbranch_execz .LBB6_14506
; %bb.14503:                            ;   in Loop: Header=BB6_14192 Depth=3
	v_bfe_u32 v1, v10, 18, 5
	s_mov_b32 s76, exec_lo
	s_delay_alu instid0(VALU_DEP_1)
	v_cmpx_eq_u32_e32 0, v1
; %bb.14504:                            ;   in Loop: Header=BB6_14192 Depth=3
	v_clz_i32_u32_e32 v1, v2
	s_delay_alu instid0(VALU_DEP_1) | instskip(NEXT) | instid1(VALU_DEP_1)
	v_min_u32_e32 v1, 32, v1
	v_subrev_nc_u32_e32 v2, 29, v1
	s_delay_alu instid0(VALU_DEP_1) | instskip(NEXT) | instid1(VALU_DEP_1)
	v_lshlrev_b64_e32 v[2:3], v2, v[0:1]
	v_dual_sub_nc_u32 v1, 30, v1 :: v_dual_bitop2_b32 v2, 3, v2 bitop3:0x40
; %bb.14505:                            ;   in Loop: Header=BB6_14192 Depth=3
	s_or_b32 exec_lo, exec_lo, s76
	v_lshlrev_b32_e32 v0, 24, v0
	s_delay_alu instid0(VALU_DEP_1) | instskip(NEXT) | instid1(VALU_DEP_1)
	v_and_b32_e32 v0, 0x80000000, v0
	v_lshl_add_u32 v0, v1, 23, v0
	s_delay_alu instid0(VALU_DEP_1) | instskip(NEXT) | instid1(VALU_DEP_1)
	v_lshl_or_b32 v0, v2, 21, v0
                                        ; implicit-def: $vgpr2
	v_add_nc_u32_e32 v1, 0x38000000, v0
                                        ; implicit-def: $vgpr0
.LBB6_14506:                            ;   in Loop: Header=BB6_14192 Depth=3
	s_and_not1_saveexec_b32 s75, s75
; %bb.14507:                            ;   in Loop: Header=BB6_14192 Depth=3
	v_bfe_i32 v0, v0, 0, 8
	s_delay_alu instid0(VALU_DEP_1) | instskip(SKIP_1) | instid1(VALU_DEP_1)
	v_cmp_lt_i16_e32 vcc_lo, -1, v0
	v_mov_b32_e32 v0, 0x7f800000
	v_cndmask_b32_e32 v0, 0xff800000, v0, vcc_lo
	v_cmp_eq_u32_e32 vcc_lo, 0, v2
	s_delay_alu instid0(VALU_DEP_2)
	v_cndmask_b32_e32 v1, 0x7f800001, v0, vcc_lo
; %bb.14508:                            ;   in Loop: Header=BB6_14192 Depth=3
	s_or_b32 exec_lo, exec_lo, s75
.LBB6_14509:                            ;   in Loop: Header=BB6_14192 Depth=3
	s_delay_alu instid0(SALU_CYCLE_1)
	s_or_b32 exec_lo, exec_lo, s74
.LBB6_14510:                            ;   in Loop: Header=BB6_14192 Depth=3
	s_delay_alu instid0(SALU_CYCLE_1) | instskip(NEXT) | instid1(VALU_DEP_1)
	s_or_b32 exec_lo, exec_lo, s13
	v_dual_mul_f32 v2, s73, v1 :: v_dual_mov_b32 v5, v113
	v_mov_b32_e32 v1, v113
                                        ; implicit-def: $vgpr119
	s_mov_b32 s13, exec_lo
	s_delay_alu instid0(VALU_DEP_2) | instskip(SKIP_2) | instid1(VALU_DEP_3)
	v_and_b32_e32 v4, 0x7f800000, v2
	v_and_b32_e32 v0, 0x7fffff, v2
	v_lshrrev_b32_e32 v3, 24, v2
	v_cmpx_ne_u64_e32 0x7f800000, v[4:5]
	s_xor_b32 s74, exec_lo, s13
	s_cbranch_execz .LBB6_14524
; %bb.14511:                            ;   in Loop: Header=BB6_14192 Depth=3
	v_and_b32_e32 v4, 0x7fffffff, v2
	v_mov_b32_e32 v5, v113
                                        ; implicit-def: $vgpr119
	s_delay_alu instid0(VALU_DEP_1) | instskip(SKIP_2) | instid1(SALU_CYCLE_1)
	v_cmp_gt_u64_e32 vcc_lo, 0x47600001, v[4:5]
	v_and_b32_e32 v4, 0x80, v3
	s_and_saveexec_b32 s13, vcc_lo
	s_xor_b32 s75, exec_lo, s13
	s_cbranch_execz .LBB6_14521
; %bb.14512:                            ;   in Loop: Header=BB6_14192 Depth=3
	v_mov_b32_e32 v119, 0
	s_mov_b32 s76, exec_lo
	v_cmpx_ne_u32_e32 0, v2
	s_cbranch_execz .LBB6_14520
; %bb.14513:                            ;   in Loop: Header=BB6_14192 Depth=3
	v_bfe_u32 v5, v2, 23, 8
	v_or_b32_e32 v9, 0x800000, v0
	s_delay_alu instid0(VALU_DEP_2) | instskip(SKIP_1) | instid1(VALU_DEP_2)
	v_sub_nc_u32_e32 v2, 0x71, v5
	v_cmp_gt_u32_e32 vcc_lo, 0x72, v5
	v_cndmask_b32_e32 v2, 0, v2, vcc_lo
	v_cmp_eq_u32_e32 vcc_lo, 0, v5
	s_delay_alu instid0(VALU_DEP_2) | instskip(SKIP_1) | instid1(VALU_DEP_2)
	v_cndmask_b32_e64 v8, v2, 0x70, vcc_lo
	v_cndmask_b32_e32 v0, v9, v0, vcc_lo
	v_dual_add_nc_u32 v2, 21, v8 :: v_dual_add_nc_u32 v12, 20, v8
	s_delay_alu instid0(VALU_DEP_1) | instskip(NEXT) | instid1(VALU_DEP_2)
	v_lshlrev_b64_e64 v[2:3], v2, -1
	v_lshlrev_b64_e64 v[12:13], v12, 1
	s_delay_alu instid0(VALU_DEP_2) | instskip(SKIP_1) | instid1(VALU_DEP_4)
	v_bfi_b32 v2, v2, 0, v0
	v_lshrrev_b64 v[0:1], v8, v[0:1]
	v_bfi_b32 v3, v3, 0, 0
	s_delay_alu instid0(VALU_DEP_1) | instskip(NEXT) | instid1(VALU_DEP_3)
	v_cmp_eq_u64_e64 s13, v[2:3], v[12:13]
	v_mov_b64_e32 v[2:3], v[0:1]
	s_and_saveexec_b32 s77, s13
; %bb.14514:                            ;   in Loop: Header=BB6_14192 Depth=3
	v_bfe_u32 v2, v0, 21, 1
	v_mov_b32_e32 v3, v113
	s_delay_alu instid0(VALU_DEP_1) | instskip(NEXT) | instid1(VALU_DEP_1)
	v_add_nc_u64_e32 v[2:3], v[0:1], v[2:3]
	v_add_nc_u64_e32 v[2:3], -1, v[2:3]
; %bb.14515:                            ;   in Loop: Header=BB6_14192 Depth=3
	s_or_b32 exec_lo, exec_lo, s77
	v_add_nc_u32_e32 v1, 0xffffff81, v5
	v_lshrrev_b32_e32 v3, 23, v0
	s_mov_b32 s13, exec_lo
	s_delay_alu instid0(VALU_DEP_2) | instskip(NEXT) | instid1(VALU_DEP_1)
	v_cndmask_b32_e64 v1, v1, 0xffffff82, vcc_lo
	v_add3_u32 v3, v8, v1, v3
	v_and_b32_e32 v1, 0x1fffff, v2
                                        ; implicit-def: $vgpr2
	s_delay_alu instid0(VALU_DEP_1) | instskip(SKIP_1) | instid1(VALU_DEP_2)
	v_dual_add_nc_u32 v5, 14, v3 :: v_dual_add_nc_u32 v0, v1, v0
	v_mov_b32_e32 v1, v113
	v_cmpx_ne_u32_e32 0, v5
	s_xor_b32 s13, exec_lo, s13
; %bb.14516:                            ;   in Loop: Header=BB6_14192 Depth=3
	s_delay_alu instid0(VALU_DEP_2) | instskip(SKIP_2) | instid1(VALU_DEP_2)
	v_cmp_lt_u64_e32 vcc_lo, 0xffffff, v[0:1]
	v_add_nc_u32_e32 v2, 15, v3
	v_cndmask_b32_e64 v3, 0, 1, vcc_lo
	v_cndmask_b32_e32 v2, v5, v2, vcc_lo
	s_delay_alu instid0(VALU_DEP_2)
	v_lshrrev_b64 v[0:1], v3, v[0:1]
; %bb.14517:                            ;   in Loop: Header=BB6_14192 Depth=3
	s_and_not1_saveexec_b32 s13, s13
; %bb.14518:                            ;   in Loop: Header=BB6_14192 Depth=3
	s_delay_alu instid0(VALU_DEP_1)
	v_bfe_u32 v2, v0, 23, 1
; %bb.14519:                            ;   in Loop: Header=BB6_14192 Depth=3
	s_or_b32 exec_lo, exec_lo, s13
	s_delay_alu instid0(VALU_DEP_2) | instskip(NEXT) | instid1(VALU_DEP_2)
	v_lshrrev_b64 v[0:1], 21, v[0:1]
	v_cmp_gt_i32_e32 vcc_lo, 32, v2
	v_min_i32_e32 v3, 31, v2
	v_cmp_eq_u32_e64 s13, 0, v2
	s_delay_alu instid0(VALU_DEP_2) | instskip(SKIP_1) | instid1(VALU_DEP_2)
	v_dual_cndmask_b32 v1, 0, v1, vcc_lo :: v_dual_lshlrev_b32 v3, 2, v3
	v_cndmask_b32_e32 v0, 3, v0, vcc_lo
	v_and_b32_e32 v3, 0xfc, v3
	s_delay_alu instid0(VALU_DEP_2) | instskip(NEXT) | instid1(VALU_DEP_2)
	v_cmp_eq_u64_e32 vcc_lo, 0, v[0:1]
	v_and_or_b32 v0, v0, 3, v3
	s_and_b32 s13, s13, vcc_lo
	s_delay_alu instid0(VALU_DEP_1) | instid1(SALU_CYCLE_1)
	v_cndmask_b32_e64 v0, v0, 0, s13
	s_delay_alu instid0(VALU_DEP_1)
	v_or_b32_e32 v119, v0, v4
.LBB6_14520:                            ;   in Loop: Header=BB6_14192 Depth=3
	s_or_b32 exec_lo, exec_lo, s76
                                        ; implicit-def: $vgpr4
.LBB6_14521:                            ;   in Loop: Header=BB6_14192 Depth=3
	s_and_not1_saveexec_b32 s13, s75
; %bb.14522:                            ;   in Loop: Header=BB6_14192 Depth=3
	v_or_b32_e32 v119, 0x7b, v4
; %bb.14523:                            ;   in Loop: Header=BB6_14192 Depth=3
	s_or_b32 exec_lo, exec_lo, s13
                                        ; implicit-def: $vgpr2
                                        ; implicit-def: $vgpr0_vgpr1
                                        ; implicit-def: $vgpr3
.LBB6_14524:                            ;   in Loop: Header=BB6_14192 Depth=3
	s_and_not1_saveexec_b32 s13, s74
	s_cbranch_execz .LBB6_14530
; %bb.14525:                            ;   in Loop: Header=BB6_14192 Depth=3
	s_mov_b32 s74, exec_lo
                                        ; implicit-def: $vgpr119
	v_cmpx_ne_u64_e32 0, v[0:1]
	s_xor_b32 s74, exec_lo, s74
; %bb.14526:                            ;   in Loop: Header=BB6_14192 Depth=3
	v_or_b32_e32 v119, 0x7f, v3
                                        ; implicit-def: $vgpr2
; %bb.14527:                            ;   in Loop: Header=BB6_14192 Depth=3
	s_and_not1_saveexec_b32 s74, s74
; %bb.14528:                            ;   in Loop: Header=BB6_14192 Depth=3
	v_cmp_lt_i32_e32 vcc_lo, -1, v2
	v_mov_b32_e32 v0, 0x7c
	s_delay_alu instid0(VALU_DEP_1)
	v_cndmask_b32_e32 v119, 0xfc, v0, vcc_lo
; %bb.14529:                            ;   in Loop: Header=BB6_14192 Depth=3
	s_or_b32 exec_lo, exec_lo, s74
.LBB6_14530:                            ;   in Loop: Header=BB6_14192 Depth=3
	s_delay_alu instid0(SALU_CYCLE_1)
	s_or_b32 exec_lo, exec_lo, s13
	v_mov_b32_e32 v1, 0
	s_mov_b32 s13, exec_lo
	v_cmpx_lt_u32_e32 0xffffff, v10
	s_cbranch_execz .LBB6_14540
; %bb.14531:                            ;   in Loop: Header=BB6_14192 Depth=3
	v_lshrrev_b32_e32 v0, 24, v10
	v_bfrev_b32_e32 v1, 1
	s_mov_b32 s74, exec_lo
	s_delay_alu instid0(VALU_DEP_2)
	v_cmpx_ne_u32_e32 0x80, v0
	s_cbranch_execz .LBB6_14539
; %bb.14532:                            ;   in Loop: Header=BB6_14192 Depth=3
	v_and_b32_e32 v1, 0x7c000000, v10
	v_bfe_u32 v2, v10, 24, 2
	s_delay_alu instid0(VALU_DEP_2) | instskip(SKIP_1) | instid1(SALU_CYCLE_1)
	v_cmp_ne_u32_e32 vcc_lo, 0x7c000000, v1
                                        ; implicit-def: $vgpr1
	s_and_saveexec_b32 s75, vcc_lo
	s_xor_b32 s75, exec_lo, s75
	s_cbranch_execz .LBB6_14536
; %bb.14533:                            ;   in Loop: Header=BB6_14192 Depth=3
	v_bfe_u32 v1, v10, 26, 5
	s_mov_b32 s76, exec_lo
	s_delay_alu instid0(VALU_DEP_1)
	v_cmpx_eq_u32_e32 0, v1
; %bb.14534:                            ;   in Loop: Header=BB6_14192 Depth=3
	v_clz_i32_u32_e32 v1, v2
	s_delay_alu instid0(VALU_DEP_1) | instskip(NEXT) | instid1(VALU_DEP_1)
	v_min_u32_e32 v2, 32, v1
	v_subrev_nc_u32_e32 v1, 29, v2
	s_delay_alu instid0(VALU_DEP_1) | instskip(NEXT) | instid1(VALU_DEP_1)
	v_lshlrev_b64_e32 v[0:1], v1, v[0:1]
	v_dual_sub_nc_u32 v1, 30, v2 :: v_dual_bitop2_b32 v2, 3, v0 bitop3:0x40
; %bb.14535:                            ;   in Loop: Header=BB6_14192 Depth=3
	s_or_b32 exec_lo, exec_lo, s76
	v_and_b32_e32 v0, 0x80000000, v10
	s_delay_alu instid0(VALU_DEP_1) | instskip(NEXT) | instid1(VALU_DEP_1)
	v_lshl_add_u32 v0, v1, 23, v0
	v_lshl_or_b32 v0, v2, 21, v0
                                        ; implicit-def: $vgpr2
	s_delay_alu instid0(VALU_DEP_1)
	v_add_nc_u32_e32 v1, 0x38000000, v0
.LBB6_14536:                            ;   in Loop: Header=BB6_14192 Depth=3
	s_and_not1_saveexec_b32 s75, s75
; %bb.14537:                            ;   in Loop: Header=BB6_14192 Depth=3
	v_cmp_lt_i32_e32 vcc_lo, -1, v10
	v_mov_b32_e32 v0, 0x7f800000
	s_delay_alu instid0(VALU_DEP_1) | instskip(SKIP_1) | instid1(VALU_DEP_2)
	v_cndmask_b32_e32 v0, 0xff800000, v0, vcc_lo
	v_cmp_eq_u32_e32 vcc_lo, 0, v2
	v_cndmask_b32_e32 v1, 0x7f800001, v0, vcc_lo
; %bb.14538:                            ;   in Loop: Header=BB6_14192 Depth=3
	s_or_b32 exec_lo, exec_lo, s75
.LBB6_14539:                            ;   in Loop: Header=BB6_14192 Depth=3
	s_delay_alu instid0(SALU_CYCLE_1)
	s_or_b32 exec_lo, exec_lo, s74
.LBB6_14540:                            ;   in Loop: Header=BB6_14192 Depth=3
	s_delay_alu instid0(SALU_CYCLE_1) | instskip(NEXT) | instid1(VALU_DEP_1)
	s_or_b32 exec_lo, exec_lo, s13
	v_dual_mul_f32 v2, s73, v1 :: v_dual_mov_b32 v5, v113
	v_mov_b32_e32 v1, v113
                                        ; implicit-def: $vgpr47
	s_mov_b32 s13, exec_lo
	s_delay_alu instid0(VALU_DEP_2) | instskip(SKIP_2) | instid1(VALU_DEP_3)
	v_and_b32_e32 v4, 0x7f800000, v2
	v_and_b32_e32 v0, 0x7fffff, v2
	v_lshrrev_b32_e32 v3, 24, v2
	v_cmpx_ne_u64_e32 0x7f800000, v[4:5]
	s_xor_b32 s74, exec_lo, s13
	s_cbranch_execz .LBB6_14554
; %bb.14541:                            ;   in Loop: Header=BB6_14192 Depth=3
	v_and_b32_e32 v4, 0x7fffffff, v2
	v_mov_b32_e32 v5, v113
                                        ; implicit-def: $vgpr47
	s_delay_alu instid0(VALU_DEP_1) | instskip(SKIP_2) | instid1(SALU_CYCLE_1)
	v_cmp_gt_u64_e32 vcc_lo, 0x47600001, v[4:5]
	v_and_b32_e32 v4, 0x80, v3
	s_and_saveexec_b32 s13, vcc_lo
	s_xor_b32 s75, exec_lo, s13
	s_cbranch_execz .LBB6_14551
; %bb.14542:                            ;   in Loop: Header=BB6_14192 Depth=3
	v_mov_b32_e32 v47, 0
	s_mov_b32 s76, exec_lo
	v_cmpx_ne_u32_e32 0, v2
	s_cbranch_execz .LBB6_14550
; %bb.14543:                            ;   in Loop: Header=BB6_14192 Depth=3
	v_bfe_u32 v5, v2, 23, 8
	v_or_b32_e32 v9, 0x800000, v0
	s_delay_alu instid0(VALU_DEP_2) | instskip(SKIP_1) | instid1(VALU_DEP_2)
	v_sub_nc_u32_e32 v2, 0x71, v5
	v_cmp_gt_u32_e32 vcc_lo, 0x72, v5
	v_cndmask_b32_e32 v2, 0, v2, vcc_lo
	v_cmp_eq_u32_e32 vcc_lo, 0, v5
	s_delay_alu instid0(VALU_DEP_2) | instskip(SKIP_1) | instid1(VALU_DEP_2)
	v_cndmask_b32_e64 v8, v2, 0x70, vcc_lo
	v_cndmask_b32_e32 v0, v9, v0, vcc_lo
	v_dual_add_nc_u32 v2, 21, v8 :: v_dual_add_nc_u32 v12, 20, v8
	s_delay_alu instid0(VALU_DEP_1) | instskip(NEXT) | instid1(VALU_DEP_2)
	v_lshlrev_b64_e64 v[2:3], v2, -1
	v_lshlrev_b64_e64 v[12:13], v12, 1
	s_delay_alu instid0(VALU_DEP_2) | instskip(SKIP_1) | instid1(VALU_DEP_4)
	v_bfi_b32 v2, v2, 0, v0
	v_lshrrev_b64 v[0:1], v8, v[0:1]
	v_bfi_b32 v3, v3, 0, 0
	s_delay_alu instid0(VALU_DEP_1) | instskip(NEXT) | instid1(VALU_DEP_3)
	v_cmp_eq_u64_e64 s13, v[2:3], v[12:13]
	v_mov_b64_e32 v[2:3], v[0:1]
	s_and_saveexec_b32 s77, s13
; %bb.14544:                            ;   in Loop: Header=BB6_14192 Depth=3
	v_bfe_u32 v2, v0, 21, 1
	v_mov_b32_e32 v3, v113
	s_delay_alu instid0(VALU_DEP_1) | instskip(NEXT) | instid1(VALU_DEP_1)
	v_add_nc_u64_e32 v[2:3], v[0:1], v[2:3]
	v_add_nc_u64_e32 v[2:3], -1, v[2:3]
; %bb.14545:                            ;   in Loop: Header=BB6_14192 Depth=3
	s_or_b32 exec_lo, exec_lo, s77
	v_add_nc_u32_e32 v1, 0xffffff81, v5
	v_lshrrev_b32_e32 v3, 23, v0
	s_mov_b32 s13, exec_lo
	s_delay_alu instid0(VALU_DEP_2) | instskip(NEXT) | instid1(VALU_DEP_1)
	v_cndmask_b32_e64 v1, v1, 0xffffff82, vcc_lo
	v_add3_u32 v3, v8, v1, v3
	v_and_b32_e32 v1, 0x1fffff, v2
                                        ; implicit-def: $vgpr2
	s_delay_alu instid0(VALU_DEP_1) | instskip(SKIP_1) | instid1(VALU_DEP_2)
	v_dual_add_nc_u32 v5, 14, v3 :: v_dual_add_nc_u32 v0, v1, v0
	v_mov_b32_e32 v1, v113
	v_cmpx_ne_u32_e32 0, v5
	s_xor_b32 s13, exec_lo, s13
; %bb.14546:                            ;   in Loop: Header=BB6_14192 Depth=3
	s_delay_alu instid0(VALU_DEP_2) | instskip(SKIP_2) | instid1(VALU_DEP_2)
	v_cmp_lt_u64_e32 vcc_lo, 0xffffff, v[0:1]
	v_add_nc_u32_e32 v2, 15, v3
	v_cndmask_b32_e64 v3, 0, 1, vcc_lo
	v_cndmask_b32_e32 v2, v5, v2, vcc_lo
	s_delay_alu instid0(VALU_DEP_2)
	v_lshrrev_b64 v[0:1], v3, v[0:1]
; %bb.14547:                            ;   in Loop: Header=BB6_14192 Depth=3
	s_and_not1_saveexec_b32 s13, s13
; %bb.14548:                            ;   in Loop: Header=BB6_14192 Depth=3
	s_delay_alu instid0(VALU_DEP_1)
	v_bfe_u32 v2, v0, 23, 1
; %bb.14549:                            ;   in Loop: Header=BB6_14192 Depth=3
	s_or_b32 exec_lo, exec_lo, s13
	s_delay_alu instid0(VALU_DEP_2) | instskip(NEXT) | instid1(VALU_DEP_2)
	v_lshrrev_b64 v[0:1], 21, v[0:1]
	v_cmp_gt_i32_e32 vcc_lo, 32, v2
	v_min_i32_e32 v3, 31, v2
	v_cmp_eq_u32_e64 s13, 0, v2
	s_delay_alu instid0(VALU_DEP_2) | instskip(SKIP_1) | instid1(VALU_DEP_2)
	v_dual_cndmask_b32 v1, 0, v1, vcc_lo :: v_dual_lshlrev_b32 v3, 2, v3
	v_cndmask_b32_e32 v0, 3, v0, vcc_lo
	v_and_b32_e32 v3, 0xfc, v3
	s_delay_alu instid0(VALU_DEP_2) | instskip(NEXT) | instid1(VALU_DEP_2)
	v_cmp_eq_u64_e32 vcc_lo, 0, v[0:1]
	v_and_or_b32 v0, v0, 3, v3
	s_and_b32 s13, s13, vcc_lo
	s_delay_alu instid0(VALU_DEP_1) | instid1(SALU_CYCLE_1)
	v_cndmask_b32_e64 v0, v0, 0, s13
	s_delay_alu instid0(VALU_DEP_1)
	v_or_b32_e32 v47, v0, v4
.LBB6_14550:                            ;   in Loop: Header=BB6_14192 Depth=3
	s_or_b32 exec_lo, exec_lo, s76
                                        ; implicit-def: $vgpr4
.LBB6_14551:                            ;   in Loop: Header=BB6_14192 Depth=3
	s_and_not1_saveexec_b32 s13, s75
; %bb.14552:                            ;   in Loop: Header=BB6_14192 Depth=3
	v_or_b32_e32 v47, 0x7b, v4
; %bb.14553:                            ;   in Loop: Header=BB6_14192 Depth=3
	s_or_b32 exec_lo, exec_lo, s13
                                        ; implicit-def: $vgpr2
                                        ; implicit-def: $vgpr0_vgpr1
                                        ; implicit-def: $vgpr3
.LBB6_14554:                            ;   in Loop: Header=BB6_14192 Depth=3
	s_and_not1_saveexec_b32 s13, s74
	s_cbranch_execz .LBB6_14560
; %bb.14555:                            ;   in Loop: Header=BB6_14192 Depth=3
	s_mov_b32 s74, exec_lo
                                        ; implicit-def: $vgpr47
	v_cmpx_ne_u64_e32 0, v[0:1]
	s_xor_b32 s74, exec_lo, s74
; %bb.14556:                            ;   in Loop: Header=BB6_14192 Depth=3
	v_or_b32_e32 v47, 0x7f, v3
                                        ; implicit-def: $vgpr2
; %bb.14557:                            ;   in Loop: Header=BB6_14192 Depth=3
	s_and_not1_saveexec_b32 s74, s74
; %bb.14558:                            ;   in Loop: Header=BB6_14192 Depth=3
	v_cmp_lt_i32_e32 vcc_lo, -1, v2
	v_mov_b32_e32 v0, 0x7c
	s_delay_alu instid0(VALU_DEP_1)
	v_cndmask_b32_e32 v47, 0xfc, v0, vcc_lo
; %bb.14559:                            ;   in Loop: Header=BB6_14192 Depth=3
	s_or_b32 exec_lo, exec_lo, s74
.LBB6_14560:                            ;   in Loop: Header=BB6_14192 Depth=3
	s_delay_alu instid0(SALU_CYCLE_1) | instskip(SKIP_4) | instid1(VALU_DEP_3)
	s_or_b32 exec_lo, exec_lo, s13
	v_and_b32_e32 v3, 0xff, v11
	v_dual_mov_b32 v0, v11 :: v_dual_mov_b32 v1, v113
	v_mov_b32_e32 v2, 0
	s_mov_b32 s13, exec_lo
	v_cmpx_ne_u16_e32 0, v3
	s_cbranch_execz .LBB6_14570
; %bb.14561:                            ;   in Loop: Header=BB6_14192 Depth=3
	v_bfrev_b32_e32 v2, 1
	s_mov_b32 s74, exec_lo
	v_cmpx_ne_u16_e32 0x80, v3
	s_cbranch_execz .LBB6_14569
; %bb.14562:                            ;   in Loop: Header=BB6_14192 Depth=3
	v_and_b32_e32 v2, 0x7c, v11
	v_and_b32_e32 v3, 3, v11
	s_delay_alu instid0(VALU_DEP_2) | instskip(SKIP_1) | instid1(SALU_CYCLE_1)
	v_cmp_ne_u32_e32 vcc_lo, 0x7c, v2
                                        ; implicit-def: $vgpr2
	s_and_saveexec_b32 s75, vcc_lo
	s_xor_b32 s75, exec_lo, s75
	s_cbranch_execz .LBB6_14566
; %bb.14563:                            ;   in Loop: Header=BB6_14192 Depth=3
	v_bfe_u32 v2, v11, 2, 5
	s_mov_b32 s76, exec_lo
	s_delay_alu instid0(VALU_DEP_1)
	v_cmpx_eq_u32_e32 0, v2
; %bb.14564:                            ;   in Loop: Header=BB6_14192 Depth=3
	v_clz_i32_u32_e32 v2, v3
	s_delay_alu instid0(VALU_DEP_1) | instskip(NEXT) | instid1(VALU_DEP_1)
	v_min_u32_e32 v2, 32, v2
	v_subrev_nc_u32_e32 v3, 29, v2
	s_delay_alu instid0(VALU_DEP_1) | instskip(NEXT) | instid1(VALU_DEP_1)
	v_lshlrev_b64_e32 v[4:5], v3, v[0:1]
	v_dual_sub_nc_u32 v2, 30, v2 :: v_dual_bitop2_b32 v3, 3, v4 bitop3:0x40
; %bb.14565:                            ;   in Loop: Header=BB6_14192 Depth=3
	s_or_b32 exec_lo, exec_lo, s76
	v_lshlrev_b32_e32 v1, 24, v11
	s_delay_alu instid0(VALU_DEP_1) | instskip(NEXT) | instid1(VALU_DEP_1)
	v_and_b32_e32 v1, 0x80000000, v1
	v_lshl_add_u32 v1, v2, 23, v1
	s_delay_alu instid0(VALU_DEP_1) | instskip(NEXT) | instid1(VALU_DEP_1)
	v_lshl_or_b32 v1, v3, 21, v1
                                        ; implicit-def: $vgpr3
	v_add_nc_u32_e32 v2, 0x38000000, v1
.LBB6_14566:                            ;   in Loop: Header=BB6_14192 Depth=3
	s_and_not1_saveexec_b32 s75, s75
; %bb.14567:                            ;   in Loop: Header=BB6_14192 Depth=3
	v_bfe_i32 v1, v11, 0, 8
	s_delay_alu instid0(VALU_DEP_1) | instskip(SKIP_1) | instid1(VALU_DEP_1)
	v_cmp_lt_i16_e32 vcc_lo, -1, v1
	v_mov_b32_e32 v1, 0x7f800000
	v_cndmask_b32_e32 v1, 0xff800000, v1, vcc_lo
	v_cmp_eq_u32_e32 vcc_lo, 0, v3
	s_delay_alu instid0(VALU_DEP_2)
	v_cndmask_b32_e32 v2, 0x7f800001, v1, vcc_lo
; %bb.14568:                            ;   in Loop: Header=BB6_14192 Depth=3
	s_or_b32 exec_lo, exec_lo, s75
.LBB6_14569:                            ;   in Loop: Header=BB6_14192 Depth=3
	s_delay_alu instid0(SALU_CYCLE_1)
	s_or_b32 exec_lo, exec_lo, s74
.LBB6_14570:                            ;   in Loop: Header=BB6_14192 Depth=3
	s_delay_alu instid0(SALU_CYCLE_1) | instskip(NEXT) | instid1(VALU_DEP_1)
	s_or_b32 exec_lo, exec_lo, s13
	v_dual_mul_f32 v4, s73, v2 :: v_dual_mov_b32 v9, v113
	v_mov_b32_e32 v3, v113
                                        ; implicit-def: $vgpr40
	s_mov_b32 s13, exec_lo
	s_delay_alu instid0(VALU_DEP_2) | instskip(SKIP_2) | instid1(VALU_DEP_3)
	v_and_b32_e32 v8, 0x7f800000, v4
	v_and_b32_e32 v2, 0x7fffff, v4
	v_lshrrev_b32_e32 v1, 24, v4
	v_cmpx_ne_u64_e32 0x7f800000, v[8:9]
	s_xor_b32 s74, exec_lo, s13
	s_cbranch_execz .LBB6_14584
; %bb.14571:                            ;   in Loop: Header=BB6_14192 Depth=3
	v_and_b32_e32 v8, 0x7fffffff, v4
	v_mov_b32_e32 v9, v113
	v_and_b32_e32 v1, 0x80, v1
                                        ; implicit-def: $vgpr40
	s_mov_b32 s13, exec_lo
	s_delay_alu instid0(VALU_DEP_2)
	v_cmpx_gt_u64_e32 0x47600001, v[8:9]
	s_xor_b32 s75, exec_lo, s13
	s_cbranch_execz .LBB6_14581
; %bb.14572:                            ;   in Loop: Header=BB6_14192 Depth=3
	v_mov_b32_e32 v40, 0
	s_mov_b32 s76, exec_lo
	v_cmpx_ne_u32_e32 0, v4
	s_cbranch_execz .LBB6_14580
; %bb.14573:                            ;   in Loop: Header=BB6_14192 Depth=3
	v_bfe_u32 v8, v4, 23, 8
	v_or_b32_e32 v12, 0x800000, v2
	s_delay_alu instid0(VALU_DEP_2) | instskip(SKIP_1) | instid1(VALU_DEP_2)
	v_sub_nc_u32_e32 v4, 0x71, v8
	v_cmp_gt_u32_e32 vcc_lo, 0x72, v8
	v_cndmask_b32_e32 v4, 0, v4, vcc_lo
	v_cmp_eq_u32_e32 vcc_lo, 0, v8
	s_delay_alu instid0(VALU_DEP_2) | instskip(NEXT) | instid1(VALU_DEP_1)
	v_cndmask_b32_e64 v9, v4, 0x70, vcc_lo
	v_dual_cndmask_b32 v2, v12, v2, vcc_lo :: v_dual_add_nc_u32 v4, 21, v9
	v_add_nc_u32_e32 v13, 20, v9
	s_delay_alu instid0(VALU_DEP_2) | instskip(NEXT) | instid1(VALU_DEP_2)
	v_lshlrev_b64_e64 v[4:5], v4, -1
	v_lshlrev_b64_e64 v[12:13], v13, 1
	s_delay_alu instid0(VALU_DEP_2) | instskip(SKIP_1) | instid1(VALU_DEP_4)
	v_bfi_b32 v4, v4, 0, v2
	v_lshrrev_b64 v[2:3], v9, v[2:3]
	v_bfi_b32 v5, v5, 0, 0
	s_delay_alu instid0(VALU_DEP_1) | instskip(NEXT) | instid1(VALU_DEP_3)
	v_cmp_eq_u64_e64 s13, v[4:5], v[12:13]
	v_mov_b64_e32 v[4:5], v[2:3]
	s_and_saveexec_b32 s77, s13
; %bb.14574:                            ;   in Loop: Header=BB6_14192 Depth=3
	v_bfe_u32 v4, v2, 21, 1
	v_mov_b32_e32 v5, v113
	s_delay_alu instid0(VALU_DEP_1) | instskip(NEXT) | instid1(VALU_DEP_1)
	v_add_nc_u64_e32 v[4:5], v[2:3], v[4:5]
	v_add_nc_u64_e32 v[4:5], -1, v[4:5]
; %bb.14575:                            ;   in Loop: Header=BB6_14192 Depth=3
	s_or_b32 exec_lo, exec_lo, s77
	v_add_nc_u32_e32 v3, 0xffffff81, v8
	v_lshrrev_b32_e32 v5, 23, v2
	s_mov_b32 s13, exec_lo
	s_delay_alu instid0(VALU_DEP_2) | instskip(NEXT) | instid1(VALU_DEP_1)
	v_cndmask_b32_e64 v3, v3, 0xffffff82, vcc_lo
	v_add3_u32 v5, v9, v3, v5
	v_and_b32_e32 v3, 0x1fffff, v4
                                        ; implicit-def: $vgpr4
	s_delay_alu instid0(VALU_DEP_1) | instskip(SKIP_1) | instid1(VALU_DEP_2)
	v_dual_add_nc_u32 v8, 14, v5 :: v_dual_add_nc_u32 v2, v3, v2
	v_mov_b32_e32 v3, v113
	v_cmpx_ne_u32_e32 0, v8
	s_xor_b32 s13, exec_lo, s13
; %bb.14576:                            ;   in Loop: Header=BB6_14192 Depth=3
	s_delay_alu instid0(VALU_DEP_2) | instskip(SKIP_2) | instid1(VALU_DEP_2)
	v_cmp_lt_u64_e32 vcc_lo, 0xffffff, v[2:3]
	v_add_nc_u32_e32 v4, 15, v5
	v_cndmask_b32_e64 v5, 0, 1, vcc_lo
	v_cndmask_b32_e32 v4, v8, v4, vcc_lo
	s_delay_alu instid0(VALU_DEP_2)
	v_lshrrev_b64 v[2:3], v5, v[2:3]
; %bb.14577:                            ;   in Loop: Header=BB6_14192 Depth=3
	s_and_not1_saveexec_b32 s13, s13
; %bb.14578:                            ;   in Loop: Header=BB6_14192 Depth=3
	s_delay_alu instid0(VALU_DEP_1)
	v_bfe_u32 v4, v2, 23, 1
; %bb.14579:                            ;   in Loop: Header=BB6_14192 Depth=3
	s_or_b32 exec_lo, exec_lo, s13
	s_delay_alu instid0(VALU_DEP_2) | instskip(NEXT) | instid1(VALU_DEP_2)
	v_lshrrev_b64 v[2:3], 21, v[2:3]
	v_cmp_gt_i32_e32 vcc_lo, 32, v4
	v_min_i32_e32 v5, 31, v4
	v_cmp_eq_u32_e64 s13, 0, v4
	s_delay_alu instid0(VALU_DEP_2) | instskip(SKIP_1) | instid1(VALU_DEP_2)
	v_dual_cndmask_b32 v3, 0, v3, vcc_lo :: v_dual_lshlrev_b32 v5, 2, v5
	v_cndmask_b32_e32 v2, 3, v2, vcc_lo
	v_and_b32_e32 v5, 0xfc, v5
	s_delay_alu instid0(VALU_DEP_2) | instskip(NEXT) | instid1(VALU_DEP_2)
	v_cmp_eq_u64_e32 vcc_lo, 0, v[2:3]
	v_and_or_b32 v2, v2, 3, v5
	s_and_b32 s13, s13, vcc_lo
	s_delay_alu instid0(VALU_DEP_1) | instid1(SALU_CYCLE_1)
	v_cndmask_b32_e64 v2, v2, 0, s13
	s_delay_alu instid0(VALU_DEP_1)
	v_or_b32_e32 v40, v2, v1
.LBB6_14580:                            ;   in Loop: Header=BB6_14192 Depth=3
	s_or_b32 exec_lo, exec_lo, s76
                                        ; implicit-def: $vgpr1
.LBB6_14581:                            ;   in Loop: Header=BB6_14192 Depth=3
	s_and_not1_saveexec_b32 s13, s75
; %bb.14582:                            ;   in Loop: Header=BB6_14192 Depth=3
	v_or_b32_e32 v40, 0x7b, v1
; %bb.14583:                            ;   in Loop: Header=BB6_14192 Depth=3
	s_or_b32 exec_lo, exec_lo, s13
                                        ; implicit-def: $vgpr4
                                        ; implicit-def: $vgpr2_vgpr3
                                        ; implicit-def: $vgpr1
.LBB6_14584:                            ;   in Loop: Header=BB6_14192 Depth=3
	s_and_not1_saveexec_b32 s13, s74
	s_cbranch_execz .LBB6_14590
; %bb.14585:                            ;   in Loop: Header=BB6_14192 Depth=3
	s_mov_b32 s74, exec_lo
                                        ; implicit-def: $vgpr40
	v_cmpx_ne_u64_e32 0, v[2:3]
	s_xor_b32 s74, exec_lo, s74
; %bb.14586:                            ;   in Loop: Header=BB6_14192 Depth=3
	v_or_b32_e32 v40, 0x7f, v1
                                        ; implicit-def: $vgpr4
; %bb.14587:                            ;   in Loop: Header=BB6_14192 Depth=3
	s_and_not1_saveexec_b32 s74, s74
; %bb.14588:                            ;   in Loop: Header=BB6_14192 Depth=3
	v_cmp_lt_i32_e32 vcc_lo, -1, v4
	v_mov_b32_e32 v1, 0x7c
	s_delay_alu instid0(VALU_DEP_1)
	v_cndmask_b32_e32 v40, 0xfc, v1, vcc_lo
; %bb.14589:                            ;   in Loop: Header=BB6_14192 Depth=3
	s_or_b32 exec_lo, exec_lo, s74
.LBB6_14590:                            ;   in Loop: Header=BB6_14192 Depth=3
	s_delay_alu instid0(SALU_CYCLE_1) | instskip(SKIP_3) | instid1(VALU_DEP_2)
	s_or_b32 exec_lo, exec_lo, s13
	v_lshrrev_b16 v2, 8, v0
	v_mov_b32_e32 v4, 0
	s_mov_b32 s13, exec_lo
	v_cmpx_ne_u16_e32 0, v2
	s_cbranch_execz .LBB6_14600
; %bb.14591:                            ;   in Loop: Header=BB6_14192 Depth=3
	v_bfrev_b32_e32 v4, 1
	s_mov_b32 s74, exec_lo
	v_cmpx_ne_u16_e32 0x80, v2
	s_cbranch_execz .LBB6_14599
; %bb.14592:                            ;   in Loop: Header=BB6_14192 Depth=3
	v_and_b32_e32 v1, 0xffff, v2
	s_delay_alu instid0(VALU_DEP_1) | instskip(SKIP_1) | instid1(VALU_DEP_2)
	v_and_b32_e32 v4, 0x7c, v1
	v_and_b32_e32 v3, 3, v1
	v_cmp_ne_u32_e32 vcc_lo, 0x7c, v4
                                        ; implicit-def: $vgpr4
	s_and_saveexec_b32 s75, vcc_lo
	s_delay_alu instid0(SALU_CYCLE_1)
	s_xor_b32 s75, exec_lo, s75
	s_cbranch_execz .LBB6_14596
; %bb.14593:                            ;   in Loop: Header=BB6_14192 Depth=3
	v_bfe_u32 v1, v1, 2, 5
	s_mov_b32 s76, exec_lo
	s_delay_alu instid0(VALU_DEP_1)
	v_cmpx_eq_u32_e32 0, v1
	s_cbranch_execz .LBB6_14595
; %bb.14594:                            ;   in Loop: Header=BB6_14192 Depth=3
	v_clz_i32_u32_e32 v1, v3
	s_delay_alu instid0(VALU_DEP_1) | instskip(SKIP_1) | instid1(VALU_DEP_2)
	v_min_u32_e32 v1, 32, v1
	v_mov_b32_e32 v3, v113
	v_subrev_nc_u32_e32 v4, 29, v1
	v_sub_nc_u32_e32 v1, 30, v1
	s_delay_alu instid0(VALU_DEP_2) | instskip(NEXT) | instid1(VALU_DEP_1)
	v_lshlrev_b64_e32 v[2:3], v4, v[2:3]
	v_and_b32_e32 v3, 3, v2
.LBB6_14595:                            ;   in Loop: Header=BB6_14192 Depth=3
	s_or_b32 exec_lo, exec_lo, s76
	v_lshlrev_b32_e32 v0, 16, v0
	s_delay_alu instid0(VALU_DEP_1) | instskip(NEXT) | instid1(VALU_DEP_1)
	v_and_b32_e32 v0, 0x80000000, v0
	v_lshl_add_u32 v0, v1, 23, v0
	s_delay_alu instid0(VALU_DEP_1) | instskip(NEXT) | instid1(VALU_DEP_1)
	v_lshl_or_b32 v0, v3, 21, v0
                                        ; implicit-def: $vgpr3
	v_add_nc_u32_e32 v4, 0x38000000, v0
                                        ; implicit-def: $vgpr0_vgpr1
.LBB6_14596:                            ;   in Loop: Header=BB6_14192 Depth=3
	s_and_not1_saveexec_b32 s75, s75
; %bb.14597:                            ;   in Loop: Header=BB6_14192 Depth=3
	v_cmp_lt_i16_e32 vcc_lo, -1, v0
	v_mov_b32_e32 v0, 0x7f800000
	s_delay_alu instid0(VALU_DEP_1) | instskip(SKIP_1) | instid1(VALU_DEP_2)
	v_cndmask_b32_e32 v0, 0xff800000, v0, vcc_lo
	v_cmp_eq_u32_e32 vcc_lo, 0, v3
	v_cndmask_b32_e32 v4, 0x7f800001, v0, vcc_lo
; %bb.14598:                            ;   in Loop: Header=BB6_14192 Depth=3
	s_or_b32 exec_lo, exec_lo, s75
.LBB6_14599:                            ;   in Loop: Header=BB6_14192 Depth=3
	s_delay_alu instid0(SALU_CYCLE_1)
	s_or_b32 exec_lo, exec_lo, s74
.LBB6_14600:                            ;   in Loop: Header=BB6_14192 Depth=3
	s_delay_alu instid0(SALU_CYCLE_1) | instskip(NEXT) | instid1(VALU_DEP_1)
	s_or_b32 exec_lo, exec_lo, s13
	v_dual_mul_f32 v2, s73, v4 :: v_dual_mov_b32 v5, v113
	v_mov_b32_e32 v1, v113
                                        ; implicit-def: $vgpr43
	s_mov_b32 s13, exec_lo
	s_delay_alu instid0(VALU_DEP_2) | instskip(SKIP_2) | instid1(VALU_DEP_3)
	v_and_b32_e32 v4, 0x7f800000, v2
	v_and_b32_e32 v0, 0x7fffff, v2
	v_lshrrev_b32_e32 v3, 24, v2
	v_cmpx_ne_u64_e32 0x7f800000, v[4:5]
	s_xor_b32 s74, exec_lo, s13
	s_cbranch_execz .LBB6_14614
; %bb.14601:                            ;   in Loop: Header=BB6_14192 Depth=3
	v_and_b32_e32 v4, 0x7fffffff, v2
	v_mov_b32_e32 v5, v113
                                        ; implicit-def: $vgpr43
	s_delay_alu instid0(VALU_DEP_1) | instskip(SKIP_2) | instid1(SALU_CYCLE_1)
	v_cmp_gt_u64_e32 vcc_lo, 0x47600001, v[4:5]
	v_and_b32_e32 v4, 0x80, v3
	s_and_saveexec_b32 s13, vcc_lo
	s_xor_b32 s75, exec_lo, s13
	s_cbranch_execz .LBB6_14611
; %bb.14602:                            ;   in Loop: Header=BB6_14192 Depth=3
	v_mov_b32_e32 v43, 0
	s_mov_b32 s76, exec_lo
	v_cmpx_ne_u32_e32 0, v2
	s_cbranch_execz .LBB6_14610
; %bb.14603:                            ;   in Loop: Header=BB6_14192 Depth=3
	v_bfe_u32 v5, v2, 23, 8
	v_or_b32_e32 v9, 0x800000, v0
	s_delay_alu instid0(VALU_DEP_2) | instskip(SKIP_1) | instid1(VALU_DEP_2)
	v_sub_nc_u32_e32 v2, 0x71, v5
	v_cmp_gt_u32_e32 vcc_lo, 0x72, v5
	v_cndmask_b32_e32 v2, 0, v2, vcc_lo
	v_cmp_eq_u32_e32 vcc_lo, 0, v5
	s_delay_alu instid0(VALU_DEP_2) | instskip(SKIP_1) | instid1(VALU_DEP_2)
	v_cndmask_b32_e64 v8, v2, 0x70, vcc_lo
	v_cndmask_b32_e32 v0, v9, v0, vcc_lo
	v_dual_add_nc_u32 v2, 21, v8 :: v_dual_add_nc_u32 v12, 20, v8
	s_delay_alu instid0(VALU_DEP_1) | instskip(NEXT) | instid1(VALU_DEP_2)
	v_lshlrev_b64_e64 v[2:3], v2, -1
	v_lshlrev_b64_e64 v[12:13], v12, 1
	s_delay_alu instid0(VALU_DEP_2) | instskip(SKIP_1) | instid1(VALU_DEP_4)
	v_bfi_b32 v2, v2, 0, v0
	v_lshrrev_b64 v[0:1], v8, v[0:1]
	v_bfi_b32 v3, v3, 0, 0
	s_delay_alu instid0(VALU_DEP_1) | instskip(NEXT) | instid1(VALU_DEP_3)
	v_cmp_eq_u64_e64 s13, v[2:3], v[12:13]
	v_mov_b64_e32 v[2:3], v[0:1]
	s_and_saveexec_b32 s77, s13
; %bb.14604:                            ;   in Loop: Header=BB6_14192 Depth=3
	v_bfe_u32 v2, v0, 21, 1
	v_mov_b32_e32 v3, v113
	s_delay_alu instid0(VALU_DEP_1) | instskip(NEXT) | instid1(VALU_DEP_1)
	v_add_nc_u64_e32 v[2:3], v[0:1], v[2:3]
	v_add_nc_u64_e32 v[2:3], -1, v[2:3]
; %bb.14605:                            ;   in Loop: Header=BB6_14192 Depth=3
	s_or_b32 exec_lo, exec_lo, s77
	v_add_nc_u32_e32 v1, 0xffffff81, v5
	v_lshrrev_b32_e32 v3, 23, v0
	s_mov_b32 s13, exec_lo
	s_delay_alu instid0(VALU_DEP_2) | instskip(NEXT) | instid1(VALU_DEP_1)
	v_cndmask_b32_e64 v1, v1, 0xffffff82, vcc_lo
	v_add3_u32 v3, v8, v1, v3
	v_and_b32_e32 v1, 0x1fffff, v2
                                        ; implicit-def: $vgpr2
	s_delay_alu instid0(VALU_DEP_1) | instskip(SKIP_1) | instid1(VALU_DEP_2)
	v_dual_add_nc_u32 v5, 14, v3 :: v_dual_add_nc_u32 v0, v1, v0
	v_mov_b32_e32 v1, v113
	v_cmpx_ne_u32_e32 0, v5
	s_xor_b32 s13, exec_lo, s13
; %bb.14606:                            ;   in Loop: Header=BB6_14192 Depth=3
	s_delay_alu instid0(VALU_DEP_2) | instskip(SKIP_2) | instid1(VALU_DEP_2)
	v_cmp_lt_u64_e32 vcc_lo, 0xffffff, v[0:1]
	v_add_nc_u32_e32 v2, 15, v3
	v_cndmask_b32_e64 v3, 0, 1, vcc_lo
	v_cndmask_b32_e32 v2, v5, v2, vcc_lo
	s_delay_alu instid0(VALU_DEP_2)
	v_lshrrev_b64 v[0:1], v3, v[0:1]
; %bb.14607:                            ;   in Loop: Header=BB6_14192 Depth=3
	s_and_not1_saveexec_b32 s13, s13
; %bb.14608:                            ;   in Loop: Header=BB6_14192 Depth=3
	s_delay_alu instid0(VALU_DEP_1)
	v_bfe_u32 v2, v0, 23, 1
; %bb.14609:                            ;   in Loop: Header=BB6_14192 Depth=3
	s_or_b32 exec_lo, exec_lo, s13
	s_delay_alu instid0(VALU_DEP_2) | instskip(NEXT) | instid1(VALU_DEP_2)
	v_lshrrev_b64 v[0:1], 21, v[0:1]
	v_cmp_gt_i32_e32 vcc_lo, 32, v2
	v_min_i32_e32 v3, 31, v2
	v_cmp_eq_u32_e64 s13, 0, v2
	s_delay_alu instid0(VALU_DEP_2) | instskip(SKIP_1) | instid1(VALU_DEP_2)
	v_dual_cndmask_b32 v1, 0, v1, vcc_lo :: v_dual_lshlrev_b32 v3, 2, v3
	v_cndmask_b32_e32 v0, 3, v0, vcc_lo
	v_and_b32_e32 v3, 0xfc, v3
	s_delay_alu instid0(VALU_DEP_2) | instskip(NEXT) | instid1(VALU_DEP_2)
	v_cmp_eq_u64_e32 vcc_lo, 0, v[0:1]
	v_and_or_b32 v0, v0, 3, v3
	s_and_b32 s13, s13, vcc_lo
	s_delay_alu instid0(VALU_DEP_1) | instid1(SALU_CYCLE_1)
	v_cndmask_b32_e64 v0, v0, 0, s13
	s_delay_alu instid0(VALU_DEP_1)
	v_or_b32_e32 v43, v0, v4
.LBB6_14610:                            ;   in Loop: Header=BB6_14192 Depth=3
	s_or_b32 exec_lo, exec_lo, s76
                                        ; implicit-def: $vgpr4
.LBB6_14611:                            ;   in Loop: Header=BB6_14192 Depth=3
	s_and_not1_saveexec_b32 s13, s75
; %bb.14612:                            ;   in Loop: Header=BB6_14192 Depth=3
	v_or_b32_e32 v43, 0x7b, v4
; %bb.14613:                            ;   in Loop: Header=BB6_14192 Depth=3
	s_or_b32 exec_lo, exec_lo, s13
                                        ; implicit-def: $vgpr2
                                        ; implicit-def: $vgpr0_vgpr1
                                        ; implicit-def: $vgpr3
.LBB6_14614:                            ;   in Loop: Header=BB6_14192 Depth=3
	s_and_not1_saveexec_b32 s13, s74
	s_cbranch_execz .LBB6_14620
; %bb.14615:                            ;   in Loop: Header=BB6_14192 Depth=3
	s_mov_b32 s74, exec_lo
                                        ; implicit-def: $vgpr43
	v_cmpx_ne_u64_e32 0, v[0:1]
	s_xor_b32 s74, exec_lo, s74
; %bb.14616:                            ;   in Loop: Header=BB6_14192 Depth=3
	v_or_b32_e32 v43, 0x7f, v3
                                        ; implicit-def: $vgpr2
; %bb.14617:                            ;   in Loop: Header=BB6_14192 Depth=3
	s_and_not1_saveexec_b32 s74, s74
; %bb.14618:                            ;   in Loop: Header=BB6_14192 Depth=3
	v_cmp_lt_i32_e32 vcc_lo, -1, v2
	v_mov_b32_e32 v0, 0x7c
	s_delay_alu instid0(VALU_DEP_1)
	v_cndmask_b32_e32 v43, 0xfc, v0, vcc_lo
; %bb.14619:                            ;   in Loop: Header=BB6_14192 Depth=3
	s_or_b32 exec_lo, exec_lo, s74
.LBB6_14620:                            ;   in Loop: Header=BB6_14192 Depth=3
	s_delay_alu instid0(SALU_CYCLE_1) | instskip(SKIP_2) | instid1(VALU_DEP_1)
	s_or_b32 exec_lo, exec_lo, s13
	v_dual_mov_b32 v1, 0 :: v_dual_lshrrev_b32 v0, 16, v11
	s_mov_b32 s13, exec_lo
	v_and_b32_e32 v2, 0xff, v0
	s_delay_alu instid0(VALU_DEP_1)
	v_cmpx_ne_u16_e32 0, v2
	s_cbranch_execz .LBB6_14630
; %bb.14621:                            ;   in Loop: Header=BB6_14192 Depth=3
	v_bfrev_b32_e32 v1, 1
	s_mov_b32 s74, exec_lo
	v_cmpx_ne_u16_e32 0x80, v2
	s_cbranch_execz .LBB6_14629
; %bb.14622:                            ;   in Loop: Header=BB6_14192 Depth=3
	v_and_b32_e32 v1, 0x7c0000, v11
	v_bfe_u32 v2, v11, 16, 2
	s_delay_alu instid0(VALU_DEP_2) | instskip(SKIP_1) | instid1(SALU_CYCLE_1)
	v_cmp_ne_u32_e32 vcc_lo, 0x7c0000, v1
                                        ; implicit-def: $vgpr1
	s_and_saveexec_b32 s75, vcc_lo
	s_xor_b32 s75, exec_lo, s75
	s_cbranch_execz .LBB6_14626
; %bb.14623:                            ;   in Loop: Header=BB6_14192 Depth=3
	v_bfe_u32 v1, v11, 18, 5
	s_mov_b32 s76, exec_lo
	s_delay_alu instid0(VALU_DEP_1)
	v_cmpx_eq_u32_e32 0, v1
; %bb.14624:                            ;   in Loop: Header=BB6_14192 Depth=3
	v_clz_i32_u32_e32 v1, v2
	s_delay_alu instid0(VALU_DEP_1) | instskip(NEXT) | instid1(VALU_DEP_1)
	v_min_u32_e32 v1, 32, v1
	v_subrev_nc_u32_e32 v2, 29, v1
	s_delay_alu instid0(VALU_DEP_1) | instskip(NEXT) | instid1(VALU_DEP_1)
	v_lshlrev_b64_e32 v[2:3], v2, v[0:1]
	v_dual_sub_nc_u32 v1, 30, v1 :: v_dual_bitop2_b32 v2, 3, v2 bitop3:0x40
; %bb.14625:                            ;   in Loop: Header=BB6_14192 Depth=3
	s_or_b32 exec_lo, exec_lo, s76
	v_lshlrev_b32_e32 v0, 24, v0
	s_delay_alu instid0(VALU_DEP_1) | instskip(NEXT) | instid1(VALU_DEP_1)
	v_and_b32_e32 v0, 0x80000000, v0
	v_lshl_add_u32 v0, v1, 23, v0
	s_delay_alu instid0(VALU_DEP_1) | instskip(NEXT) | instid1(VALU_DEP_1)
	v_lshl_or_b32 v0, v2, 21, v0
                                        ; implicit-def: $vgpr2
	v_add_nc_u32_e32 v1, 0x38000000, v0
                                        ; implicit-def: $vgpr0
.LBB6_14626:                            ;   in Loop: Header=BB6_14192 Depth=3
	s_and_not1_saveexec_b32 s75, s75
; %bb.14627:                            ;   in Loop: Header=BB6_14192 Depth=3
	v_bfe_i32 v0, v0, 0, 8
	s_delay_alu instid0(VALU_DEP_1) | instskip(SKIP_1) | instid1(VALU_DEP_1)
	v_cmp_lt_i16_e32 vcc_lo, -1, v0
	v_mov_b32_e32 v0, 0x7f800000
	v_cndmask_b32_e32 v0, 0xff800000, v0, vcc_lo
	v_cmp_eq_u32_e32 vcc_lo, 0, v2
	s_delay_alu instid0(VALU_DEP_2)
	v_cndmask_b32_e32 v1, 0x7f800001, v0, vcc_lo
; %bb.14628:                            ;   in Loop: Header=BB6_14192 Depth=3
	s_or_b32 exec_lo, exec_lo, s75
.LBB6_14629:                            ;   in Loop: Header=BB6_14192 Depth=3
	s_delay_alu instid0(SALU_CYCLE_1)
	s_or_b32 exec_lo, exec_lo, s74
.LBB6_14630:                            ;   in Loop: Header=BB6_14192 Depth=3
	s_delay_alu instid0(SALU_CYCLE_1) | instskip(NEXT) | instid1(VALU_DEP_1)
	s_or_b32 exec_lo, exec_lo, s13
	v_dual_mul_f32 v2, s73, v1 :: v_dual_mov_b32 v5, v113
	v_mov_b32_e32 v1, v113
                                        ; implicit-def: $vgpr45
	s_mov_b32 s13, exec_lo
	s_delay_alu instid0(VALU_DEP_2) | instskip(SKIP_2) | instid1(VALU_DEP_3)
	v_and_b32_e32 v4, 0x7f800000, v2
	v_and_b32_e32 v0, 0x7fffff, v2
	v_lshrrev_b32_e32 v3, 24, v2
	v_cmpx_ne_u64_e32 0x7f800000, v[4:5]
	s_xor_b32 s74, exec_lo, s13
	s_cbranch_execz .LBB6_14644
; %bb.14631:                            ;   in Loop: Header=BB6_14192 Depth=3
	v_and_b32_e32 v4, 0x7fffffff, v2
	v_mov_b32_e32 v5, v113
                                        ; implicit-def: $vgpr45
	s_delay_alu instid0(VALU_DEP_1) | instskip(SKIP_2) | instid1(SALU_CYCLE_1)
	v_cmp_gt_u64_e32 vcc_lo, 0x47600001, v[4:5]
	v_and_b32_e32 v4, 0x80, v3
	s_and_saveexec_b32 s13, vcc_lo
	s_xor_b32 s75, exec_lo, s13
	s_cbranch_execz .LBB6_14641
; %bb.14632:                            ;   in Loop: Header=BB6_14192 Depth=3
	v_mov_b32_e32 v45, 0
	s_mov_b32 s76, exec_lo
	v_cmpx_ne_u32_e32 0, v2
	s_cbranch_execz .LBB6_14640
; %bb.14633:                            ;   in Loop: Header=BB6_14192 Depth=3
	v_bfe_u32 v5, v2, 23, 8
	v_or_b32_e32 v9, 0x800000, v0
	s_delay_alu instid0(VALU_DEP_2) | instskip(SKIP_1) | instid1(VALU_DEP_2)
	v_sub_nc_u32_e32 v2, 0x71, v5
	v_cmp_gt_u32_e32 vcc_lo, 0x72, v5
	v_cndmask_b32_e32 v2, 0, v2, vcc_lo
	v_cmp_eq_u32_e32 vcc_lo, 0, v5
	s_delay_alu instid0(VALU_DEP_2) | instskip(SKIP_1) | instid1(VALU_DEP_2)
	v_cndmask_b32_e64 v8, v2, 0x70, vcc_lo
	v_cndmask_b32_e32 v0, v9, v0, vcc_lo
	v_dual_add_nc_u32 v2, 21, v8 :: v_dual_add_nc_u32 v12, 20, v8
	s_delay_alu instid0(VALU_DEP_1) | instskip(NEXT) | instid1(VALU_DEP_2)
	v_lshlrev_b64_e64 v[2:3], v2, -1
	v_lshlrev_b64_e64 v[12:13], v12, 1
	s_delay_alu instid0(VALU_DEP_2) | instskip(SKIP_1) | instid1(VALU_DEP_4)
	v_bfi_b32 v2, v2, 0, v0
	v_lshrrev_b64 v[0:1], v8, v[0:1]
	v_bfi_b32 v3, v3, 0, 0
	s_delay_alu instid0(VALU_DEP_1) | instskip(NEXT) | instid1(VALU_DEP_3)
	v_cmp_eq_u64_e64 s13, v[2:3], v[12:13]
	v_mov_b64_e32 v[2:3], v[0:1]
	s_and_saveexec_b32 s77, s13
; %bb.14634:                            ;   in Loop: Header=BB6_14192 Depth=3
	v_bfe_u32 v2, v0, 21, 1
	v_mov_b32_e32 v3, v113
	s_delay_alu instid0(VALU_DEP_1) | instskip(NEXT) | instid1(VALU_DEP_1)
	v_add_nc_u64_e32 v[2:3], v[0:1], v[2:3]
	v_add_nc_u64_e32 v[2:3], -1, v[2:3]
; %bb.14635:                            ;   in Loop: Header=BB6_14192 Depth=3
	s_or_b32 exec_lo, exec_lo, s77
	v_add_nc_u32_e32 v1, 0xffffff81, v5
	v_lshrrev_b32_e32 v3, 23, v0
	s_mov_b32 s13, exec_lo
	s_delay_alu instid0(VALU_DEP_2) | instskip(NEXT) | instid1(VALU_DEP_1)
	v_cndmask_b32_e64 v1, v1, 0xffffff82, vcc_lo
	v_add3_u32 v3, v8, v1, v3
	v_and_b32_e32 v1, 0x1fffff, v2
                                        ; implicit-def: $vgpr2
	s_delay_alu instid0(VALU_DEP_1) | instskip(SKIP_1) | instid1(VALU_DEP_2)
	v_dual_add_nc_u32 v5, 14, v3 :: v_dual_add_nc_u32 v0, v1, v0
	v_mov_b32_e32 v1, v113
	v_cmpx_ne_u32_e32 0, v5
	s_xor_b32 s13, exec_lo, s13
; %bb.14636:                            ;   in Loop: Header=BB6_14192 Depth=3
	s_delay_alu instid0(VALU_DEP_2) | instskip(SKIP_2) | instid1(VALU_DEP_2)
	v_cmp_lt_u64_e32 vcc_lo, 0xffffff, v[0:1]
	v_add_nc_u32_e32 v2, 15, v3
	v_cndmask_b32_e64 v3, 0, 1, vcc_lo
	v_cndmask_b32_e32 v2, v5, v2, vcc_lo
	s_delay_alu instid0(VALU_DEP_2)
	v_lshrrev_b64 v[0:1], v3, v[0:1]
; %bb.14637:                            ;   in Loop: Header=BB6_14192 Depth=3
	s_and_not1_saveexec_b32 s13, s13
; %bb.14638:                            ;   in Loop: Header=BB6_14192 Depth=3
	s_delay_alu instid0(VALU_DEP_1)
	v_bfe_u32 v2, v0, 23, 1
; %bb.14639:                            ;   in Loop: Header=BB6_14192 Depth=3
	s_or_b32 exec_lo, exec_lo, s13
	s_delay_alu instid0(VALU_DEP_2) | instskip(NEXT) | instid1(VALU_DEP_2)
	v_lshrrev_b64 v[0:1], 21, v[0:1]
	v_cmp_gt_i32_e32 vcc_lo, 32, v2
	v_min_i32_e32 v3, 31, v2
	v_cmp_eq_u32_e64 s13, 0, v2
	s_delay_alu instid0(VALU_DEP_2) | instskip(SKIP_1) | instid1(VALU_DEP_2)
	v_dual_cndmask_b32 v1, 0, v1, vcc_lo :: v_dual_lshlrev_b32 v3, 2, v3
	v_cndmask_b32_e32 v0, 3, v0, vcc_lo
	v_and_b32_e32 v3, 0xfc, v3
	s_delay_alu instid0(VALU_DEP_2) | instskip(NEXT) | instid1(VALU_DEP_2)
	v_cmp_eq_u64_e32 vcc_lo, 0, v[0:1]
	v_and_or_b32 v0, v0, 3, v3
	s_and_b32 s13, s13, vcc_lo
	s_delay_alu instid0(VALU_DEP_1) | instid1(SALU_CYCLE_1)
	v_cndmask_b32_e64 v0, v0, 0, s13
	s_delay_alu instid0(VALU_DEP_1)
	v_or_b32_e32 v45, v0, v4
.LBB6_14640:                            ;   in Loop: Header=BB6_14192 Depth=3
	s_or_b32 exec_lo, exec_lo, s76
                                        ; implicit-def: $vgpr4
.LBB6_14641:                            ;   in Loop: Header=BB6_14192 Depth=3
	s_and_not1_saveexec_b32 s13, s75
; %bb.14642:                            ;   in Loop: Header=BB6_14192 Depth=3
	v_or_b32_e32 v45, 0x7b, v4
; %bb.14643:                            ;   in Loop: Header=BB6_14192 Depth=3
	s_or_b32 exec_lo, exec_lo, s13
                                        ; implicit-def: $vgpr2
                                        ; implicit-def: $vgpr0_vgpr1
                                        ; implicit-def: $vgpr3
.LBB6_14644:                            ;   in Loop: Header=BB6_14192 Depth=3
	s_and_not1_saveexec_b32 s13, s74
	s_cbranch_execz .LBB6_14650
; %bb.14645:                            ;   in Loop: Header=BB6_14192 Depth=3
	s_mov_b32 s74, exec_lo
                                        ; implicit-def: $vgpr45
	v_cmpx_ne_u64_e32 0, v[0:1]
	s_xor_b32 s74, exec_lo, s74
; %bb.14646:                            ;   in Loop: Header=BB6_14192 Depth=3
	v_or_b32_e32 v45, 0x7f, v3
                                        ; implicit-def: $vgpr2
; %bb.14647:                            ;   in Loop: Header=BB6_14192 Depth=3
	s_and_not1_saveexec_b32 s74, s74
; %bb.14648:                            ;   in Loop: Header=BB6_14192 Depth=3
	v_cmp_lt_i32_e32 vcc_lo, -1, v2
	v_mov_b32_e32 v0, 0x7c
	s_delay_alu instid0(VALU_DEP_1)
	v_cndmask_b32_e32 v45, 0xfc, v0, vcc_lo
; %bb.14649:                            ;   in Loop: Header=BB6_14192 Depth=3
	s_or_b32 exec_lo, exec_lo, s74
.LBB6_14650:                            ;   in Loop: Header=BB6_14192 Depth=3
	s_delay_alu instid0(SALU_CYCLE_1)
	s_or_b32 exec_lo, exec_lo, s13
	v_mov_b32_e32 v1, 0
	s_mov_b32 s13, exec_lo
	v_cmpx_lt_u64_e64 s[22:23], v[10:11]
	s_cbranch_execz .LBB6_14660
; %bb.14651:                            ;   in Loop: Header=BB6_14192 Depth=3
	v_lshrrev_b32_e32 v0, 24, v11
	v_bfrev_b32_e32 v1, 1
	s_mov_b32 s74, exec_lo
	s_delay_alu instid0(VALU_DEP_2)
	v_cmpx_ne_u32_e32 0x80, v0
	s_cbranch_execz .LBB6_14659
; %bb.14652:                            ;   in Loop: Header=BB6_14192 Depth=3
	v_and_b32_e32 v1, 0x7c000000, v11
	v_bfe_u32 v2, v11, 24, 2
	s_delay_alu instid0(VALU_DEP_2) | instskip(SKIP_1) | instid1(SALU_CYCLE_1)
	v_cmp_ne_u32_e32 vcc_lo, 0x7c000000, v1
                                        ; implicit-def: $vgpr1
	s_and_saveexec_b32 s75, vcc_lo
	s_xor_b32 s75, exec_lo, s75
	s_cbranch_execz .LBB6_14656
; %bb.14653:                            ;   in Loop: Header=BB6_14192 Depth=3
	v_bfe_u32 v1, v11, 26, 5
	s_mov_b32 s76, exec_lo
	s_delay_alu instid0(VALU_DEP_1)
	v_cmpx_eq_u32_e32 0, v1
; %bb.14654:                            ;   in Loop: Header=BB6_14192 Depth=3
	v_clz_i32_u32_e32 v1, v2
	s_delay_alu instid0(VALU_DEP_1) | instskip(NEXT) | instid1(VALU_DEP_1)
	v_min_u32_e32 v2, 32, v1
	v_subrev_nc_u32_e32 v1, 29, v2
	s_delay_alu instid0(VALU_DEP_1) | instskip(NEXT) | instid1(VALU_DEP_1)
	v_lshlrev_b64_e32 v[0:1], v1, v[0:1]
	v_dual_sub_nc_u32 v1, 30, v2 :: v_dual_bitop2_b32 v2, 3, v0 bitop3:0x40
; %bb.14655:                            ;   in Loop: Header=BB6_14192 Depth=3
	s_or_b32 exec_lo, exec_lo, s76
	v_and_b32_e32 v0, 0x80000000, v11
                                        ; implicit-def: $vgpr10_vgpr11
	s_delay_alu instid0(VALU_DEP_1) | instskip(NEXT) | instid1(VALU_DEP_1)
	v_lshl_add_u32 v0, v1, 23, v0
	v_lshl_or_b32 v0, v2, 21, v0
                                        ; implicit-def: $vgpr2
	s_delay_alu instid0(VALU_DEP_1)
	v_add_nc_u32_e32 v1, 0x38000000, v0
.LBB6_14656:                            ;   in Loop: Header=BB6_14192 Depth=3
	s_and_not1_saveexec_b32 s75, s75
; %bb.14657:                            ;   in Loop: Header=BB6_14192 Depth=3
	v_cmp_lt_i64_e32 vcc_lo, -1, v[10:11]
	v_mov_b32_e32 v0, 0x7f800000
	s_delay_alu instid0(VALU_DEP_1) | instskip(SKIP_1) | instid1(VALU_DEP_2)
	v_cndmask_b32_e32 v0, 0xff800000, v0, vcc_lo
	v_cmp_eq_u32_e32 vcc_lo, 0, v2
	v_cndmask_b32_e32 v1, 0x7f800001, v0, vcc_lo
; %bb.14658:                            ;   in Loop: Header=BB6_14192 Depth=3
	s_or_b32 exec_lo, exec_lo, s75
.LBB6_14659:                            ;   in Loop: Header=BB6_14192 Depth=3
	s_delay_alu instid0(SALU_CYCLE_1)
	s_or_b32 exec_lo, exec_lo, s74
.LBB6_14660:                            ;   in Loop: Header=BB6_14192 Depth=3
	s_delay_alu instid0(SALU_CYCLE_1) | instskip(NEXT) | instid1(VALU_DEP_1)
	s_or_b32 exec_lo, exec_lo, s13
	v_dual_mul_f32 v2, s73, v1 :: v_dual_mov_b32 v5, v113
	v_mov_b32_e32 v1, v113
                                        ; implicit-def: $vgpr46
	s_mov_b32 s13, exec_lo
	s_delay_alu instid0(VALU_DEP_2) | instskip(SKIP_2) | instid1(VALU_DEP_3)
	v_and_b32_e32 v4, 0x7f800000, v2
	v_and_b32_e32 v0, 0x7fffff, v2
	v_lshrrev_b32_e32 v3, 24, v2
	v_cmpx_ne_u64_e32 0x7f800000, v[4:5]
	s_xor_b32 s74, exec_lo, s13
	s_cbranch_execz .LBB6_14674
; %bb.14661:                            ;   in Loop: Header=BB6_14192 Depth=3
	v_and_b32_e32 v4, 0x7fffffff, v2
	v_mov_b32_e32 v5, v113
                                        ; implicit-def: $vgpr46
	s_delay_alu instid0(VALU_DEP_1) | instskip(SKIP_2) | instid1(SALU_CYCLE_1)
	v_cmp_gt_u64_e32 vcc_lo, 0x47600001, v[4:5]
	v_and_b32_e32 v4, 0x80, v3
	s_and_saveexec_b32 s13, vcc_lo
	s_xor_b32 s75, exec_lo, s13
	s_cbranch_execz .LBB6_14671
; %bb.14662:                            ;   in Loop: Header=BB6_14192 Depth=3
	v_mov_b32_e32 v46, 0
	s_mov_b32 s76, exec_lo
	v_cmpx_ne_u32_e32 0, v2
	s_cbranch_execz .LBB6_14670
; %bb.14663:                            ;   in Loop: Header=BB6_14192 Depth=3
	v_bfe_u32 v5, v2, 23, 8
	v_or_b32_e32 v9, 0x800000, v0
	s_delay_alu instid0(VALU_DEP_2) | instskip(SKIP_1) | instid1(VALU_DEP_2)
	v_sub_nc_u32_e32 v2, 0x71, v5
	v_cmp_gt_u32_e32 vcc_lo, 0x72, v5
	v_cndmask_b32_e32 v2, 0, v2, vcc_lo
	v_cmp_eq_u32_e32 vcc_lo, 0, v5
	s_delay_alu instid0(VALU_DEP_2) | instskip(SKIP_1) | instid1(VALU_DEP_2)
	v_cndmask_b32_e64 v8, v2, 0x70, vcc_lo
	v_cndmask_b32_e32 v0, v9, v0, vcc_lo
	v_dual_add_nc_u32 v2, 21, v8 :: v_dual_add_nc_u32 v10, 20, v8
	s_delay_alu instid0(VALU_DEP_1) | instskip(NEXT) | instid1(VALU_DEP_2)
	v_lshlrev_b64_e64 v[2:3], v2, -1
	v_lshlrev_b64_e64 v[10:11], v10, 1
	s_delay_alu instid0(VALU_DEP_2) | instskip(SKIP_1) | instid1(VALU_DEP_4)
	v_bfi_b32 v2, v2, 0, v0
	v_lshrrev_b64 v[0:1], v8, v[0:1]
	v_bfi_b32 v3, v3, 0, 0
	s_delay_alu instid0(VALU_DEP_1) | instskip(NEXT) | instid1(VALU_DEP_3)
	v_cmp_eq_u64_e64 s13, v[2:3], v[10:11]
	v_mov_b64_e32 v[2:3], v[0:1]
	s_and_saveexec_b32 s77, s13
; %bb.14664:                            ;   in Loop: Header=BB6_14192 Depth=3
	v_bfe_u32 v2, v0, 21, 1
	v_mov_b32_e32 v3, v113
	s_delay_alu instid0(VALU_DEP_1) | instskip(NEXT) | instid1(VALU_DEP_1)
	v_add_nc_u64_e32 v[2:3], v[0:1], v[2:3]
	v_add_nc_u64_e32 v[2:3], -1, v[2:3]
; %bb.14665:                            ;   in Loop: Header=BB6_14192 Depth=3
	s_or_b32 exec_lo, exec_lo, s77
	v_add_nc_u32_e32 v1, 0xffffff81, v5
	v_lshrrev_b32_e32 v3, 23, v0
	s_mov_b32 s13, exec_lo
	s_delay_alu instid0(VALU_DEP_2) | instskip(NEXT) | instid1(VALU_DEP_1)
	v_cndmask_b32_e64 v1, v1, 0xffffff82, vcc_lo
	v_add3_u32 v3, v8, v1, v3
	v_and_b32_e32 v1, 0x1fffff, v2
                                        ; implicit-def: $vgpr2
	s_delay_alu instid0(VALU_DEP_1) | instskip(SKIP_1) | instid1(VALU_DEP_2)
	v_dual_add_nc_u32 v5, 14, v3 :: v_dual_add_nc_u32 v0, v1, v0
	v_mov_b32_e32 v1, v113
	v_cmpx_ne_u32_e32 0, v5
	s_xor_b32 s13, exec_lo, s13
; %bb.14666:                            ;   in Loop: Header=BB6_14192 Depth=3
	s_delay_alu instid0(VALU_DEP_2) | instskip(SKIP_2) | instid1(VALU_DEP_2)
	v_cmp_lt_u64_e32 vcc_lo, 0xffffff, v[0:1]
	v_add_nc_u32_e32 v2, 15, v3
	v_cndmask_b32_e64 v3, 0, 1, vcc_lo
	v_cndmask_b32_e32 v2, v5, v2, vcc_lo
	s_delay_alu instid0(VALU_DEP_2)
	v_lshrrev_b64 v[0:1], v3, v[0:1]
; %bb.14667:                            ;   in Loop: Header=BB6_14192 Depth=3
	s_and_not1_saveexec_b32 s13, s13
; %bb.14668:                            ;   in Loop: Header=BB6_14192 Depth=3
	s_delay_alu instid0(VALU_DEP_1)
	v_bfe_u32 v2, v0, 23, 1
; %bb.14669:                            ;   in Loop: Header=BB6_14192 Depth=3
	s_or_b32 exec_lo, exec_lo, s13
	s_delay_alu instid0(VALU_DEP_2) | instskip(NEXT) | instid1(VALU_DEP_2)
	v_lshrrev_b64 v[0:1], 21, v[0:1]
	v_cmp_gt_i32_e32 vcc_lo, 32, v2
	v_min_i32_e32 v3, 31, v2
	v_cmp_eq_u32_e64 s13, 0, v2
	s_delay_alu instid0(VALU_DEP_2) | instskip(SKIP_1) | instid1(VALU_DEP_2)
	v_dual_cndmask_b32 v1, 0, v1, vcc_lo :: v_dual_lshlrev_b32 v3, 2, v3
	v_cndmask_b32_e32 v0, 3, v0, vcc_lo
	v_and_b32_e32 v3, 0xfc, v3
	s_delay_alu instid0(VALU_DEP_2) | instskip(NEXT) | instid1(VALU_DEP_2)
	v_cmp_eq_u64_e32 vcc_lo, 0, v[0:1]
	v_and_or_b32 v0, v0, 3, v3
	s_and_b32 s13, s13, vcc_lo
	s_delay_alu instid0(VALU_DEP_1) | instid1(SALU_CYCLE_1)
	v_cndmask_b32_e64 v0, v0, 0, s13
	s_delay_alu instid0(VALU_DEP_1)
	v_or_b32_e32 v46, v0, v4
.LBB6_14670:                            ;   in Loop: Header=BB6_14192 Depth=3
	s_or_b32 exec_lo, exec_lo, s76
                                        ; implicit-def: $vgpr4
.LBB6_14671:                            ;   in Loop: Header=BB6_14192 Depth=3
	s_and_not1_saveexec_b32 s13, s75
; %bb.14672:                            ;   in Loop: Header=BB6_14192 Depth=3
	v_or_b32_e32 v46, 0x7b, v4
; %bb.14673:                            ;   in Loop: Header=BB6_14192 Depth=3
	s_or_b32 exec_lo, exec_lo, s13
                                        ; implicit-def: $vgpr2
                                        ; implicit-def: $vgpr0_vgpr1
                                        ; implicit-def: $vgpr3
.LBB6_14674:                            ;   in Loop: Header=BB6_14192 Depth=3
	s_and_not1_saveexec_b32 s13, s74
	s_cbranch_execz .LBB6_14680
; %bb.14675:                            ;   in Loop: Header=BB6_14192 Depth=3
	s_mov_b32 s74, exec_lo
                                        ; implicit-def: $vgpr46
	v_cmpx_ne_u64_e32 0, v[0:1]
	s_xor_b32 s74, exec_lo, s74
; %bb.14676:                            ;   in Loop: Header=BB6_14192 Depth=3
	v_or_b32_e32 v46, 0x7f, v3
                                        ; implicit-def: $vgpr2
; %bb.14677:                            ;   in Loop: Header=BB6_14192 Depth=3
	s_and_not1_saveexec_b32 s74, s74
; %bb.14678:                            ;   in Loop: Header=BB6_14192 Depth=3
	v_cmp_lt_i32_e32 vcc_lo, -1, v2
	v_mov_b32_e32 v0, 0x7c
	s_delay_alu instid0(VALU_DEP_1)
	v_cndmask_b32_e32 v46, 0xfc, v0, vcc_lo
; %bb.14679:                            ;   in Loop: Header=BB6_14192 Depth=3
	s_or_b32 exec_lo, exec_lo, s74
.LBB6_14680:                            ;   in Loop: Header=BB6_14192 Depth=3
	s_delay_alu instid0(SALU_CYCLE_1) | instskip(SKIP_3) | instid1(VALU_DEP_1)
	s_or_b32 exec_lo, exec_lo, s13
	global_load_b128 v[8:11], v[62:63], off offset:512 th:TH_LOAD_NT
	s_wait_loadcnt 0x0
	v_and_b32_e32 v0, 0xff, v8
	v_cmp_ne_u16_e32 vcc_lo, 0, v0
	v_mov_b32_e32 v0, 0
	s_wait_xcnt 0x0
	s_and_saveexec_b32 s13, vcc_lo
	s_cbranch_execz .LBB6_14690
; %bb.14681:                            ;   in Loop: Header=BB6_14192 Depth=3
	v_bfe_i32 v2, v8, 0, 8
	v_bfrev_b32_e32 v0, 1
	s_mov_b32 s74, exec_lo
	s_delay_alu instid0(VALU_DEP_2)
	v_cmpx_ne_u16_e32 0xff80, v2
	s_cbranch_execz .LBB6_14689
; %bb.14682:                            ;   in Loop: Header=BB6_14192 Depth=3
	v_and_b32_e32 v0, 0x7c, v8
	v_and_b32_e32 v1, 3, v8
	s_delay_alu instid0(VALU_DEP_2) | instskip(SKIP_1) | instid1(SALU_CYCLE_1)
	v_cmp_ne_u32_e32 vcc_lo, 0x7c, v0
                                        ; implicit-def: $vgpr0
	s_and_saveexec_b32 s75, vcc_lo
	s_xor_b32 s75, exec_lo, s75
	s_cbranch_execz .LBB6_14686
; %bb.14683:                            ;   in Loop: Header=BB6_14192 Depth=3
	v_bfe_u32 v0, v8, 2, 5
	s_mov_b32 s76, exec_lo
	s_delay_alu instid0(VALU_DEP_1)
	v_cmpx_eq_u32_e32 0, v0
; %bb.14684:                            ;   in Loop: Header=BB6_14192 Depth=3
	v_clz_i32_u32_e32 v0, v1
	s_delay_alu instid0(VALU_DEP_1) | instskip(NEXT) | instid1(VALU_DEP_1)
	v_min_u32_e32 v0, 32, v0
	v_subrev_nc_u32_e32 v1, 29, v0
	s_delay_alu instid0(VALU_DEP_1) | instskip(NEXT) | instid1(VALU_DEP_1)
	v_lshlrev_b64_e32 v[2:3], v1, v[8:9]
	v_dual_sub_nc_u32 v0, 30, v0 :: v_dual_bitop2_b32 v1, 3, v2 bitop3:0x40
; %bb.14685:                            ;   in Loop: Header=BB6_14192 Depth=3
	s_or_b32 exec_lo, exec_lo, s76
	v_lshlrev_b32_e32 v2, 24, v8
	s_delay_alu instid0(VALU_DEP_1) | instskip(NEXT) | instid1(VALU_DEP_1)
	v_and_b32_e32 v2, 0x80000000, v2
	v_lshl_add_u32 v0, v0, 23, v2
                                        ; implicit-def: $vgpr2
	s_delay_alu instid0(VALU_DEP_1) | instskip(NEXT) | instid1(VALU_DEP_1)
	v_lshl_or_b32 v0, v1, 21, v0
                                        ; implicit-def: $vgpr1
	v_add_nc_u32_e32 v0, 0x38000000, v0
.LBB6_14686:                            ;   in Loop: Header=BB6_14192 Depth=3
	s_and_not1_saveexec_b32 s75, s75
; %bb.14687:                            ;   in Loop: Header=BB6_14192 Depth=3
	v_cmp_lt_i16_e32 vcc_lo, -1, v2
	v_mov_b32_e32 v0, 0x7f800000
	s_delay_alu instid0(VALU_DEP_1) | instskip(SKIP_1) | instid1(VALU_DEP_2)
	v_cndmask_b32_e32 v0, 0xff800000, v0, vcc_lo
	v_cmp_eq_u32_e32 vcc_lo, 0, v1
	v_cndmask_b32_e32 v0, 0x7f800001, v0, vcc_lo
; %bb.14688:                            ;   in Loop: Header=BB6_14192 Depth=3
	s_or_b32 exec_lo, exec_lo, s75
.LBB6_14689:                            ;   in Loop: Header=BB6_14192 Depth=3
	s_delay_alu instid0(SALU_CYCLE_1)
	s_or_b32 exec_lo, exec_lo, s74
.LBB6_14690:                            ;   in Loop: Header=BB6_14192 Depth=3
	s_delay_alu instid0(SALU_CYCLE_1) | instskip(NEXT) | instid1(VALU_DEP_1)
	s_or_b32 exec_lo, exec_lo, s13
	v_dual_mul_f32 v2, s73, v0 :: v_dual_mov_b32 v5, v113
	v_mov_b32_e32 v1, v113
                                        ; implicit-def: $vgpr115
	s_mov_b32 s13, exec_lo
	s_delay_alu instid0(VALU_DEP_2) | instskip(SKIP_2) | instid1(VALU_DEP_3)
	v_and_b32_e32 v4, 0x7f800000, v2
	v_and_b32_e32 v0, 0x7fffff, v2
	v_lshrrev_b32_e32 v3, 24, v2
	v_cmpx_ne_u64_e32 0x7f800000, v[4:5]
	s_xor_b32 s74, exec_lo, s13
	s_cbranch_execz .LBB6_14704
; %bb.14691:                            ;   in Loop: Header=BB6_14192 Depth=3
	v_and_b32_e32 v4, 0x7fffffff, v2
	v_mov_b32_e32 v5, v113
                                        ; implicit-def: $vgpr115
	s_delay_alu instid0(VALU_DEP_1) | instskip(SKIP_2) | instid1(SALU_CYCLE_1)
	v_cmp_gt_u64_e32 vcc_lo, 0x47600001, v[4:5]
	v_and_b32_e32 v4, 0x80, v3
	s_and_saveexec_b32 s13, vcc_lo
	s_xor_b32 s75, exec_lo, s13
	s_cbranch_execz .LBB6_14701
; %bb.14692:                            ;   in Loop: Header=BB6_14192 Depth=3
	v_mov_b32_e32 v115, 0
	s_mov_b32 s76, exec_lo
	v_cmpx_ne_u32_e32 0, v2
	s_cbranch_execz .LBB6_14700
; %bb.14693:                            ;   in Loop: Header=BB6_14192 Depth=3
	v_bfe_u32 v5, v2, 23, 8
	v_or_b32_e32 v13, 0x800000, v0
	s_delay_alu instid0(VALU_DEP_2) | instskip(SKIP_1) | instid1(VALU_DEP_2)
	v_sub_nc_u32_e32 v2, 0x71, v5
	v_cmp_gt_u32_e32 vcc_lo, 0x72, v5
	v_cndmask_b32_e32 v2, 0, v2, vcc_lo
	v_cmp_eq_u32_e32 vcc_lo, 0, v5
	s_delay_alu instid0(VALU_DEP_2) | instskip(SKIP_1) | instid1(VALU_DEP_2)
	v_cndmask_b32_e64 v12, v2, 0x70, vcc_lo
	v_cndmask_b32_e32 v0, v13, v0, vcc_lo
	v_dual_add_nc_u32 v2, 21, v12 :: v_dual_add_nc_u32 v14, 20, v12
	s_delay_alu instid0(VALU_DEP_1) | instskip(NEXT) | instid1(VALU_DEP_2)
	v_lshlrev_b64_e64 v[2:3], v2, -1
	v_lshlrev_b64_e64 v[14:15], v14, 1
	s_delay_alu instid0(VALU_DEP_2) | instskip(SKIP_1) | instid1(VALU_DEP_4)
	v_bfi_b32 v2, v2, 0, v0
	v_lshrrev_b64 v[0:1], v12, v[0:1]
	v_bfi_b32 v3, v3, 0, 0
	s_delay_alu instid0(VALU_DEP_1) | instskip(NEXT) | instid1(VALU_DEP_3)
	v_cmp_eq_u64_e64 s13, v[2:3], v[14:15]
	v_mov_b64_e32 v[2:3], v[0:1]
	s_and_saveexec_b32 s77, s13
; %bb.14694:                            ;   in Loop: Header=BB6_14192 Depth=3
	v_bfe_u32 v2, v0, 21, 1
	v_mov_b32_e32 v3, v113
	s_delay_alu instid0(VALU_DEP_1) | instskip(NEXT) | instid1(VALU_DEP_1)
	v_add_nc_u64_e32 v[2:3], v[0:1], v[2:3]
	v_add_nc_u64_e32 v[2:3], -1, v[2:3]
; %bb.14695:                            ;   in Loop: Header=BB6_14192 Depth=3
	s_or_b32 exec_lo, exec_lo, s77
	v_add_nc_u32_e32 v1, 0xffffff81, v5
	v_lshrrev_b32_e32 v3, 23, v0
	s_mov_b32 s13, exec_lo
	s_delay_alu instid0(VALU_DEP_2) | instskip(NEXT) | instid1(VALU_DEP_1)
	v_cndmask_b32_e64 v1, v1, 0xffffff82, vcc_lo
	v_add3_u32 v3, v12, v1, v3
	v_and_b32_e32 v1, 0x1fffff, v2
                                        ; implicit-def: $vgpr2
	s_delay_alu instid0(VALU_DEP_1) | instskip(SKIP_1) | instid1(VALU_DEP_2)
	v_dual_add_nc_u32 v5, 14, v3 :: v_dual_add_nc_u32 v0, v1, v0
	v_mov_b32_e32 v1, v113
	v_cmpx_ne_u32_e32 0, v5
	s_xor_b32 s13, exec_lo, s13
; %bb.14696:                            ;   in Loop: Header=BB6_14192 Depth=3
	s_delay_alu instid0(VALU_DEP_2) | instskip(SKIP_2) | instid1(VALU_DEP_2)
	v_cmp_lt_u64_e32 vcc_lo, 0xffffff, v[0:1]
	v_add_nc_u32_e32 v2, 15, v3
	v_cndmask_b32_e64 v3, 0, 1, vcc_lo
	v_cndmask_b32_e32 v2, v5, v2, vcc_lo
	s_delay_alu instid0(VALU_DEP_2)
	v_lshrrev_b64 v[0:1], v3, v[0:1]
; %bb.14697:                            ;   in Loop: Header=BB6_14192 Depth=3
	s_and_not1_saveexec_b32 s13, s13
; %bb.14698:                            ;   in Loop: Header=BB6_14192 Depth=3
	s_delay_alu instid0(VALU_DEP_1)
	v_bfe_u32 v2, v0, 23, 1
; %bb.14699:                            ;   in Loop: Header=BB6_14192 Depth=3
	s_or_b32 exec_lo, exec_lo, s13
	s_delay_alu instid0(VALU_DEP_2) | instskip(NEXT) | instid1(VALU_DEP_2)
	v_lshrrev_b64 v[0:1], 21, v[0:1]
	v_cmp_gt_i32_e32 vcc_lo, 32, v2
	v_min_i32_e32 v3, 31, v2
	v_cmp_eq_u32_e64 s13, 0, v2
	s_delay_alu instid0(VALU_DEP_2) | instskip(SKIP_1) | instid1(VALU_DEP_2)
	v_dual_cndmask_b32 v1, 0, v1, vcc_lo :: v_dual_lshlrev_b32 v3, 2, v3
	v_cndmask_b32_e32 v0, 3, v0, vcc_lo
	v_and_b32_e32 v3, 0xfc, v3
	s_delay_alu instid0(VALU_DEP_2) | instskip(NEXT) | instid1(VALU_DEP_2)
	v_cmp_eq_u64_e32 vcc_lo, 0, v[0:1]
	v_and_or_b32 v0, v0, 3, v3
	s_and_b32 s13, s13, vcc_lo
	s_delay_alu instid0(VALU_DEP_1) | instid1(SALU_CYCLE_1)
	v_cndmask_b32_e64 v0, v0, 0, s13
	s_delay_alu instid0(VALU_DEP_1)
	v_or_b32_e32 v115, v0, v4
.LBB6_14700:                            ;   in Loop: Header=BB6_14192 Depth=3
	s_or_b32 exec_lo, exec_lo, s76
                                        ; implicit-def: $vgpr4
.LBB6_14701:                            ;   in Loop: Header=BB6_14192 Depth=3
	s_and_not1_saveexec_b32 s13, s75
; %bb.14702:                            ;   in Loop: Header=BB6_14192 Depth=3
	v_or_b32_e32 v115, 0x7b, v4
; %bb.14703:                            ;   in Loop: Header=BB6_14192 Depth=3
	s_or_b32 exec_lo, exec_lo, s13
                                        ; implicit-def: $vgpr2
                                        ; implicit-def: $vgpr0_vgpr1
                                        ; implicit-def: $vgpr3
.LBB6_14704:                            ;   in Loop: Header=BB6_14192 Depth=3
	s_and_not1_saveexec_b32 s13, s74
	s_cbranch_execz .LBB6_14710
; %bb.14705:                            ;   in Loop: Header=BB6_14192 Depth=3
	s_mov_b32 s74, exec_lo
                                        ; implicit-def: $vgpr115
	v_cmpx_ne_u64_e32 0, v[0:1]
	s_xor_b32 s74, exec_lo, s74
; %bb.14706:                            ;   in Loop: Header=BB6_14192 Depth=3
	v_or_b32_e32 v115, 0x7f, v3
                                        ; implicit-def: $vgpr2
; %bb.14707:                            ;   in Loop: Header=BB6_14192 Depth=3
	s_and_not1_saveexec_b32 s74, s74
; %bb.14708:                            ;   in Loop: Header=BB6_14192 Depth=3
	v_cmp_lt_i32_e32 vcc_lo, -1, v2
	v_mov_b32_e32 v0, 0x7c
	s_delay_alu instid0(VALU_DEP_1)
	v_cndmask_b32_e32 v115, 0xfc, v0, vcc_lo
; %bb.14709:                            ;   in Loop: Header=BB6_14192 Depth=3
	s_or_b32 exec_lo, exec_lo, s74
.LBB6_14710:                            ;   in Loop: Header=BB6_14192 Depth=3
	s_delay_alu instid0(SALU_CYCLE_1) | instskip(SKIP_3) | instid1(VALU_DEP_2)
	s_or_b32 exec_lo, exec_lo, s13
	v_lshrrev_b16 v0, 8, v8
	v_mov_b32_e32 v2, 0
	s_mov_b32 s13, exec_lo
	v_cmpx_ne_u16_e32 0, v0
	s_cbranch_execz .LBB6_14720
; %bb.14711:                            ;   in Loop: Header=BB6_14192 Depth=3
	v_bfrev_b32_e32 v2, 1
	s_mov_b32 s74, exec_lo
	v_cmpx_ne_u16_e32 0x80, v0
	s_cbranch_execz .LBB6_14719
; %bb.14712:                            ;   in Loop: Header=BB6_14192 Depth=3
	v_and_b32_e32 v3, 0xffff, v0
	s_delay_alu instid0(VALU_DEP_1) | instskip(SKIP_1) | instid1(VALU_DEP_2)
	v_and_b32_e32 v2, 0x7c, v3
	v_and_b32_e32 v1, 3, v3
	v_cmp_ne_u32_e32 vcc_lo, 0x7c, v2
                                        ; implicit-def: $vgpr2
	s_and_saveexec_b32 s75, vcc_lo
	s_delay_alu instid0(SALU_CYCLE_1)
	s_xor_b32 s75, exec_lo, s75
	s_cbranch_execz .LBB6_14716
; %bb.14713:                            ;   in Loop: Header=BB6_14192 Depth=3
	v_bfe_u32 v2, v3, 2, 5
	s_mov_b32 s76, exec_lo
	s_delay_alu instid0(VALU_DEP_1)
	v_cmpx_eq_u32_e32 0, v2
	s_cbranch_execz .LBB6_14715
; %bb.14714:                            ;   in Loop: Header=BB6_14192 Depth=3
	v_clz_i32_u32_e32 v1, v1
	s_delay_alu instid0(VALU_DEP_1) | instskip(SKIP_1) | instid1(VALU_DEP_2)
	v_min_u32_e32 v2, 32, v1
	v_mov_b32_e32 v1, v113
	v_subrev_nc_u32_e32 v3, 29, v2
	v_sub_nc_u32_e32 v2, 30, v2
	s_delay_alu instid0(VALU_DEP_2) | instskip(NEXT) | instid1(VALU_DEP_1)
	v_lshlrev_b64_e32 v[0:1], v3, v[0:1]
	v_and_b32_e32 v1, 3, v0
.LBB6_14715:                            ;   in Loop: Header=BB6_14192 Depth=3
	s_or_b32 exec_lo, exec_lo, s76
	v_lshlrev_b32_e32 v0, 16, v8
	s_delay_alu instid0(VALU_DEP_1) | instskip(NEXT) | instid1(VALU_DEP_1)
	v_and_b32_e32 v0, 0x80000000, v0
	v_lshl_add_u32 v0, v2, 23, v0
	s_delay_alu instid0(VALU_DEP_1) | instskip(NEXT) | instid1(VALU_DEP_1)
	v_lshl_or_b32 v0, v1, 21, v0
                                        ; implicit-def: $vgpr1
	v_add_nc_u32_e32 v2, 0x38000000, v0
.LBB6_14716:                            ;   in Loop: Header=BB6_14192 Depth=3
	s_and_not1_saveexec_b32 s75, s75
; %bb.14717:                            ;   in Loop: Header=BB6_14192 Depth=3
	v_cmp_lt_i16_e32 vcc_lo, -1, v8
	v_mov_b32_e32 v0, 0x7f800000
	s_delay_alu instid0(VALU_DEP_1) | instskip(SKIP_1) | instid1(VALU_DEP_2)
	v_cndmask_b32_e32 v0, 0xff800000, v0, vcc_lo
	v_cmp_eq_u32_e32 vcc_lo, 0, v1
	v_cndmask_b32_e32 v2, 0x7f800001, v0, vcc_lo
; %bb.14718:                            ;   in Loop: Header=BB6_14192 Depth=3
	s_or_b32 exec_lo, exec_lo, s75
.LBB6_14719:                            ;   in Loop: Header=BB6_14192 Depth=3
	s_delay_alu instid0(SALU_CYCLE_1)
	s_or_b32 exec_lo, exec_lo, s74
.LBB6_14720:                            ;   in Loop: Header=BB6_14192 Depth=3
	s_delay_alu instid0(SALU_CYCLE_1) | instskip(NEXT) | instid1(VALU_DEP_1)
	s_or_b32 exec_lo, exec_lo, s13
	v_dual_mul_f32 v2, s73, v2 :: v_dual_mov_b32 v5, v113
	v_mov_b32_e32 v1, v113
                                        ; implicit-def: $vgpr118
	s_mov_b32 s13, exec_lo
	s_delay_alu instid0(VALU_DEP_2) | instskip(SKIP_2) | instid1(VALU_DEP_3)
	v_and_b32_e32 v4, 0x7f800000, v2
	v_and_b32_e32 v0, 0x7fffff, v2
	v_lshrrev_b32_e32 v3, 24, v2
	v_cmpx_ne_u64_e32 0x7f800000, v[4:5]
	s_xor_b32 s74, exec_lo, s13
	s_cbranch_execz .LBB6_14734
; %bb.14721:                            ;   in Loop: Header=BB6_14192 Depth=3
	v_and_b32_e32 v4, 0x7fffffff, v2
	v_mov_b32_e32 v5, v113
                                        ; implicit-def: $vgpr118
	s_delay_alu instid0(VALU_DEP_1) | instskip(SKIP_2) | instid1(SALU_CYCLE_1)
	v_cmp_gt_u64_e32 vcc_lo, 0x47600001, v[4:5]
	v_and_b32_e32 v4, 0x80, v3
	s_and_saveexec_b32 s13, vcc_lo
	s_xor_b32 s75, exec_lo, s13
	s_cbranch_execz .LBB6_14731
; %bb.14722:                            ;   in Loop: Header=BB6_14192 Depth=3
	v_mov_b32_e32 v118, 0
	s_mov_b32 s76, exec_lo
	v_cmpx_ne_u32_e32 0, v2
	s_cbranch_execz .LBB6_14730
; %bb.14723:                            ;   in Loop: Header=BB6_14192 Depth=3
	v_bfe_u32 v5, v2, 23, 8
	v_or_b32_e32 v13, 0x800000, v0
	s_delay_alu instid0(VALU_DEP_2) | instskip(SKIP_1) | instid1(VALU_DEP_2)
	v_sub_nc_u32_e32 v2, 0x71, v5
	v_cmp_gt_u32_e32 vcc_lo, 0x72, v5
	v_cndmask_b32_e32 v2, 0, v2, vcc_lo
	v_cmp_eq_u32_e32 vcc_lo, 0, v5
	s_delay_alu instid0(VALU_DEP_2) | instskip(SKIP_1) | instid1(VALU_DEP_2)
	v_cndmask_b32_e64 v12, v2, 0x70, vcc_lo
	v_cndmask_b32_e32 v0, v13, v0, vcc_lo
	v_dual_add_nc_u32 v2, 21, v12 :: v_dual_add_nc_u32 v14, 20, v12
	s_delay_alu instid0(VALU_DEP_1) | instskip(NEXT) | instid1(VALU_DEP_2)
	v_lshlrev_b64_e64 v[2:3], v2, -1
	v_lshlrev_b64_e64 v[14:15], v14, 1
	s_delay_alu instid0(VALU_DEP_2) | instskip(SKIP_1) | instid1(VALU_DEP_4)
	v_bfi_b32 v2, v2, 0, v0
	v_lshrrev_b64 v[0:1], v12, v[0:1]
	v_bfi_b32 v3, v3, 0, 0
	s_delay_alu instid0(VALU_DEP_1) | instskip(NEXT) | instid1(VALU_DEP_3)
	v_cmp_eq_u64_e64 s13, v[2:3], v[14:15]
	v_mov_b64_e32 v[2:3], v[0:1]
	s_and_saveexec_b32 s77, s13
; %bb.14724:                            ;   in Loop: Header=BB6_14192 Depth=3
	v_bfe_u32 v2, v0, 21, 1
	v_mov_b32_e32 v3, v113
	s_delay_alu instid0(VALU_DEP_1) | instskip(NEXT) | instid1(VALU_DEP_1)
	v_add_nc_u64_e32 v[2:3], v[0:1], v[2:3]
	v_add_nc_u64_e32 v[2:3], -1, v[2:3]
; %bb.14725:                            ;   in Loop: Header=BB6_14192 Depth=3
	s_or_b32 exec_lo, exec_lo, s77
	v_add_nc_u32_e32 v1, 0xffffff81, v5
	v_lshrrev_b32_e32 v3, 23, v0
	s_mov_b32 s13, exec_lo
	s_delay_alu instid0(VALU_DEP_2) | instskip(NEXT) | instid1(VALU_DEP_1)
	v_cndmask_b32_e64 v1, v1, 0xffffff82, vcc_lo
	v_add3_u32 v3, v12, v1, v3
	v_and_b32_e32 v1, 0x1fffff, v2
                                        ; implicit-def: $vgpr2
	s_delay_alu instid0(VALU_DEP_1) | instskip(SKIP_1) | instid1(VALU_DEP_2)
	v_dual_add_nc_u32 v5, 14, v3 :: v_dual_add_nc_u32 v0, v1, v0
	v_mov_b32_e32 v1, v113
	v_cmpx_ne_u32_e32 0, v5
	s_xor_b32 s13, exec_lo, s13
; %bb.14726:                            ;   in Loop: Header=BB6_14192 Depth=3
	s_delay_alu instid0(VALU_DEP_2) | instskip(SKIP_2) | instid1(VALU_DEP_2)
	v_cmp_lt_u64_e32 vcc_lo, 0xffffff, v[0:1]
	v_add_nc_u32_e32 v2, 15, v3
	v_cndmask_b32_e64 v3, 0, 1, vcc_lo
	v_cndmask_b32_e32 v2, v5, v2, vcc_lo
	s_delay_alu instid0(VALU_DEP_2)
	v_lshrrev_b64 v[0:1], v3, v[0:1]
; %bb.14727:                            ;   in Loop: Header=BB6_14192 Depth=3
	s_and_not1_saveexec_b32 s13, s13
; %bb.14728:                            ;   in Loop: Header=BB6_14192 Depth=3
	s_delay_alu instid0(VALU_DEP_1)
	v_bfe_u32 v2, v0, 23, 1
; %bb.14729:                            ;   in Loop: Header=BB6_14192 Depth=3
	s_or_b32 exec_lo, exec_lo, s13
	s_delay_alu instid0(VALU_DEP_2) | instskip(NEXT) | instid1(VALU_DEP_2)
	v_lshrrev_b64 v[0:1], 21, v[0:1]
	v_cmp_gt_i32_e32 vcc_lo, 32, v2
	v_min_i32_e32 v3, 31, v2
	v_cmp_eq_u32_e64 s13, 0, v2
	s_delay_alu instid0(VALU_DEP_2) | instskip(SKIP_1) | instid1(VALU_DEP_2)
	v_dual_cndmask_b32 v1, 0, v1, vcc_lo :: v_dual_lshlrev_b32 v3, 2, v3
	v_cndmask_b32_e32 v0, 3, v0, vcc_lo
	v_and_b32_e32 v3, 0xfc, v3
	s_delay_alu instid0(VALU_DEP_2) | instskip(NEXT) | instid1(VALU_DEP_2)
	v_cmp_eq_u64_e32 vcc_lo, 0, v[0:1]
	v_and_or_b32 v0, v0, 3, v3
	s_and_b32 s13, s13, vcc_lo
	s_delay_alu instid0(VALU_DEP_1) | instid1(SALU_CYCLE_1)
	v_cndmask_b32_e64 v0, v0, 0, s13
	s_delay_alu instid0(VALU_DEP_1)
	v_or_b32_e32 v118, v0, v4
.LBB6_14730:                            ;   in Loop: Header=BB6_14192 Depth=3
	s_or_b32 exec_lo, exec_lo, s76
                                        ; implicit-def: $vgpr4
.LBB6_14731:                            ;   in Loop: Header=BB6_14192 Depth=3
	s_and_not1_saveexec_b32 s13, s75
; %bb.14732:                            ;   in Loop: Header=BB6_14192 Depth=3
	v_or_b32_e32 v118, 0x7b, v4
; %bb.14733:                            ;   in Loop: Header=BB6_14192 Depth=3
	s_or_b32 exec_lo, exec_lo, s13
                                        ; implicit-def: $vgpr2
                                        ; implicit-def: $vgpr0_vgpr1
                                        ; implicit-def: $vgpr3
.LBB6_14734:                            ;   in Loop: Header=BB6_14192 Depth=3
	s_and_not1_saveexec_b32 s13, s74
	s_cbranch_execz .LBB6_14740
; %bb.14735:                            ;   in Loop: Header=BB6_14192 Depth=3
	s_mov_b32 s74, exec_lo
                                        ; implicit-def: $vgpr118
	v_cmpx_ne_u64_e32 0, v[0:1]
	s_xor_b32 s74, exec_lo, s74
; %bb.14736:                            ;   in Loop: Header=BB6_14192 Depth=3
	v_or_b32_e32 v118, 0x7f, v3
                                        ; implicit-def: $vgpr2
; %bb.14737:                            ;   in Loop: Header=BB6_14192 Depth=3
	s_and_not1_saveexec_b32 s74, s74
; %bb.14738:                            ;   in Loop: Header=BB6_14192 Depth=3
	v_cmp_lt_i32_e32 vcc_lo, -1, v2
	v_mov_b32_e32 v0, 0x7c
	s_delay_alu instid0(VALU_DEP_1)
	v_cndmask_b32_e32 v118, 0xfc, v0, vcc_lo
; %bb.14739:                            ;   in Loop: Header=BB6_14192 Depth=3
	s_or_b32 exec_lo, exec_lo, s74
.LBB6_14740:                            ;   in Loop: Header=BB6_14192 Depth=3
	s_delay_alu instid0(SALU_CYCLE_1) | instskip(SKIP_2) | instid1(VALU_DEP_1)
	s_or_b32 exec_lo, exec_lo, s13
	v_dual_lshrrev_b32 v0, 16, v8 :: v_dual_mov_b32 v2, 0
	s_mov_b32 s13, exec_lo
	v_and_b32_e32 v1, 0xff, v0
	s_delay_alu instid0(VALU_DEP_1)
	v_cmpx_ne_u16_e32 0, v1
	s_cbranch_execz .LBB6_14750
; %bb.14741:                            ;   in Loop: Header=BB6_14192 Depth=3
	v_bfrev_b32_e32 v2, 1
	s_mov_b32 s74, exec_lo
	v_cmpx_ne_u16_e32 0x80, v1
	s_cbranch_execz .LBB6_14749
; %bb.14742:                            ;   in Loop: Header=BB6_14192 Depth=3
	v_and_b32_e32 v2, 0x7c0000, v8
	v_bfe_u32 v1, v8, 16, 2
	s_delay_alu instid0(VALU_DEP_2) | instskip(SKIP_1) | instid1(SALU_CYCLE_1)
	v_cmp_ne_u32_e32 vcc_lo, 0x7c0000, v2
                                        ; implicit-def: $vgpr2
	s_and_saveexec_b32 s75, vcc_lo
	s_xor_b32 s75, exec_lo, s75
	s_cbranch_execz .LBB6_14746
; %bb.14743:                            ;   in Loop: Header=BB6_14192 Depth=3
	v_bfe_u32 v2, v8, 18, 5
	s_mov_b32 s76, exec_lo
	s_delay_alu instid0(VALU_DEP_1)
	v_cmpx_eq_u32_e32 0, v2
; %bb.14744:                            ;   in Loop: Header=BB6_14192 Depth=3
	v_clz_i32_u32_e32 v1, v1
	s_delay_alu instid0(VALU_DEP_1) | instskip(NEXT) | instid1(VALU_DEP_1)
	v_min_u32_e32 v1, 32, v1
	v_subrev_nc_u32_e32 v2, 29, v1
	s_delay_alu instid0(VALU_DEP_1) | instskip(NEXT) | instid1(VALU_DEP_1)
	v_lshlrev_b64_e32 v[4:5], v2, v[0:1]
	v_dual_sub_nc_u32 v2, 30, v1 :: v_dual_bitop2_b32 v1, 3, v4 bitop3:0x40
; %bb.14745:                            ;   in Loop: Header=BB6_14192 Depth=3
	s_or_b32 exec_lo, exec_lo, s76
	v_lshlrev_b32_e32 v0, 24, v0
	s_delay_alu instid0(VALU_DEP_1) | instskip(NEXT) | instid1(VALU_DEP_1)
	v_and_b32_e32 v0, 0x80000000, v0
	v_lshl_add_u32 v0, v2, 23, v0
	s_delay_alu instid0(VALU_DEP_1) | instskip(NEXT) | instid1(VALU_DEP_1)
	v_lshl_or_b32 v0, v1, 21, v0
                                        ; implicit-def: $vgpr1
	v_add_nc_u32_e32 v2, 0x38000000, v0
                                        ; implicit-def: $vgpr0
.LBB6_14746:                            ;   in Loop: Header=BB6_14192 Depth=3
	s_and_not1_saveexec_b32 s75, s75
; %bb.14747:                            ;   in Loop: Header=BB6_14192 Depth=3
	v_bfe_i32 v0, v0, 0, 8
	s_delay_alu instid0(VALU_DEP_1) | instskip(SKIP_1) | instid1(VALU_DEP_1)
	v_cmp_lt_i16_e32 vcc_lo, -1, v0
	v_mov_b32_e32 v0, 0x7f800000
	v_cndmask_b32_e32 v0, 0xff800000, v0, vcc_lo
	v_cmp_eq_u32_e32 vcc_lo, 0, v1
	s_delay_alu instid0(VALU_DEP_2)
	v_cndmask_b32_e32 v2, 0x7f800001, v0, vcc_lo
; %bb.14748:                            ;   in Loop: Header=BB6_14192 Depth=3
	s_or_b32 exec_lo, exec_lo, s75
.LBB6_14749:                            ;   in Loop: Header=BB6_14192 Depth=3
	s_delay_alu instid0(SALU_CYCLE_1)
	s_or_b32 exec_lo, exec_lo, s74
.LBB6_14750:                            ;   in Loop: Header=BB6_14192 Depth=3
	s_delay_alu instid0(SALU_CYCLE_1) | instskip(NEXT) | instid1(VALU_DEP_1)
	s_or_b32 exec_lo, exec_lo, s13
	v_dual_mul_f32 v2, s73, v2 :: v_dual_mov_b32 v5, v113
	v_mov_b32_e32 v1, v113
                                        ; implicit-def: $vgpr42
	s_mov_b32 s13, exec_lo
	s_delay_alu instid0(VALU_DEP_2) | instskip(SKIP_2) | instid1(VALU_DEP_3)
	v_and_b32_e32 v4, 0x7f800000, v2
	v_and_b32_e32 v0, 0x7fffff, v2
	v_lshrrev_b32_e32 v3, 24, v2
	v_cmpx_ne_u64_e32 0x7f800000, v[4:5]
	s_xor_b32 s74, exec_lo, s13
	s_cbranch_execz .LBB6_14764
; %bb.14751:                            ;   in Loop: Header=BB6_14192 Depth=3
	v_and_b32_e32 v4, 0x7fffffff, v2
	v_mov_b32_e32 v5, v113
                                        ; implicit-def: $vgpr42
	s_delay_alu instid0(VALU_DEP_1) | instskip(SKIP_2) | instid1(SALU_CYCLE_1)
	v_cmp_gt_u64_e32 vcc_lo, 0x47600001, v[4:5]
	v_and_b32_e32 v4, 0x80, v3
	s_and_saveexec_b32 s13, vcc_lo
	s_xor_b32 s75, exec_lo, s13
	s_cbranch_execz .LBB6_14761
; %bb.14752:                            ;   in Loop: Header=BB6_14192 Depth=3
	v_mov_b32_e32 v42, 0
	s_mov_b32 s76, exec_lo
	v_cmpx_ne_u32_e32 0, v2
	s_cbranch_execz .LBB6_14760
; %bb.14753:                            ;   in Loop: Header=BB6_14192 Depth=3
	v_bfe_u32 v5, v2, 23, 8
	v_or_b32_e32 v3, 0x800000, v0
	s_delay_alu instid0(VALU_DEP_2) | instskip(SKIP_2) | instid1(VALU_DEP_2)
	v_cmp_gt_u32_e64 s13, 0x72, v5
	v_sub_nc_u32_e32 v2, 0x71, v5
	v_cmp_eq_u32_e32 vcc_lo, 0, v5
	v_dual_cndmask_b32 v2, 0, v2, s13 :: v_dual_cndmask_b32 v0, v3, v0, vcc_lo
	s_delay_alu instid0(VALU_DEP_1) | instskip(NEXT) | instid1(VALU_DEP_1)
	v_cndmask_b32_e64 v12, v2, 0x70, vcc_lo
	v_dual_add_nc_u32 v2, 21, v12 :: v_dual_add_nc_u32 v13, 20, v12
	s_delay_alu instid0(VALU_DEP_1) | instskip(NEXT) | instid1(VALU_DEP_2)
	v_lshlrev_b64_e64 v[2:3], v2, -1
	v_lshlrev_b64_e64 v[14:15], v13, 1
	s_delay_alu instid0(VALU_DEP_2) | instskip(SKIP_1) | instid1(VALU_DEP_4)
	v_bfi_b32 v2, v2, 0, v0
	v_lshrrev_b64 v[0:1], v12, v[0:1]
	v_bfi_b32 v3, v3, 0, 0
	s_delay_alu instid0(VALU_DEP_1) | instskip(NEXT) | instid1(VALU_DEP_3)
	v_cmp_eq_u64_e64 s13, v[2:3], v[14:15]
	v_mov_b64_e32 v[2:3], v[0:1]
	s_and_saveexec_b32 s77, s13
; %bb.14754:                            ;   in Loop: Header=BB6_14192 Depth=3
	v_bfe_u32 v2, v0, 21, 1
	v_mov_b32_e32 v3, v113
	s_delay_alu instid0(VALU_DEP_1) | instskip(NEXT) | instid1(VALU_DEP_1)
	v_add_nc_u64_e32 v[2:3], v[0:1], v[2:3]
	v_add_nc_u64_e32 v[2:3], -1, v[2:3]
; %bb.14755:                            ;   in Loop: Header=BB6_14192 Depth=3
	s_or_b32 exec_lo, exec_lo, s77
	v_add_nc_u32_e32 v1, 0xffffff81, v5
	v_lshrrev_b32_e32 v3, 23, v0
	s_mov_b32 s13, exec_lo
	s_delay_alu instid0(VALU_DEP_2) | instskip(NEXT) | instid1(VALU_DEP_1)
	v_cndmask_b32_e64 v1, v1, 0xffffff82, vcc_lo
	v_add3_u32 v3, v12, v1, v3
	v_and_b32_e32 v1, 0x1fffff, v2
                                        ; implicit-def: $vgpr2
	s_delay_alu instid0(VALU_DEP_1) | instskip(SKIP_1) | instid1(VALU_DEP_2)
	v_dual_add_nc_u32 v5, 14, v3 :: v_dual_add_nc_u32 v0, v1, v0
	v_mov_b32_e32 v1, v113
	v_cmpx_ne_u32_e32 0, v5
	s_xor_b32 s13, exec_lo, s13
; %bb.14756:                            ;   in Loop: Header=BB6_14192 Depth=3
	s_delay_alu instid0(VALU_DEP_2) | instskip(SKIP_2) | instid1(VALU_DEP_2)
	v_cmp_lt_u64_e32 vcc_lo, 0xffffff, v[0:1]
	v_add_nc_u32_e32 v2, 15, v3
	v_cndmask_b32_e64 v3, 0, 1, vcc_lo
	v_cndmask_b32_e32 v2, v5, v2, vcc_lo
	s_delay_alu instid0(VALU_DEP_2)
	v_lshrrev_b64 v[0:1], v3, v[0:1]
; %bb.14757:                            ;   in Loop: Header=BB6_14192 Depth=3
	s_and_not1_saveexec_b32 s13, s13
; %bb.14758:                            ;   in Loop: Header=BB6_14192 Depth=3
	s_delay_alu instid0(VALU_DEP_1)
	v_bfe_u32 v2, v0, 23, 1
; %bb.14759:                            ;   in Loop: Header=BB6_14192 Depth=3
	s_or_b32 exec_lo, exec_lo, s13
	s_delay_alu instid0(VALU_DEP_2) | instskip(NEXT) | instid1(VALU_DEP_2)
	v_lshrrev_b64 v[0:1], 21, v[0:1]
	v_cmp_gt_i32_e32 vcc_lo, 32, v2
	v_min_i32_e32 v3, 31, v2
	v_cmp_eq_u32_e64 s13, 0, v2
	s_delay_alu instid0(VALU_DEP_2) | instskip(SKIP_1) | instid1(VALU_DEP_2)
	v_dual_cndmask_b32 v1, 0, v1, vcc_lo :: v_dual_lshlrev_b32 v3, 2, v3
	v_cndmask_b32_e32 v0, 3, v0, vcc_lo
	v_and_b32_e32 v3, 0xfc, v3
	s_delay_alu instid0(VALU_DEP_2) | instskip(NEXT) | instid1(VALU_DEP_2)
	v_cmp_eq_u64_e32 vcc_lo, 0, v[0:1]
	v_and_or_b32 v0, v0, 3, v3
	s_and_b32 s13, s13, vcc_lo
	s_delay_alu instid0(VALU_DEP_1) | instid1(SALU_CYCLE_1)
	v_cndmask_b32_e64 v0, v0, 0, s13
	s_delay_alu instid0(VALU_DEP_1)
	v_or_b32_e32 v42, v0, v4
.LBB6_14760:                            ;   in Loop: Header=BB6_14192 Depth=3
	s_or_b32 exec_lo, exec_lo, s76
                                        ; implicit-def: $vgpr4
.LBB6_14761:                            ;   in Loop: Header=BB6_14192 Depth=3
	s_and_not1_saveexec_b32 s13, s75
; %bb.14762:                            ;   in Loop: Header=BB6_14192 Depth=3
	v_or_b32_e32 v42, 0x7b, v4
; %bb.14763:                            ;   in Loop: Header=BB6_14192 Depth=3
	s_or_b32 exec_lo, exec_lo, s13
                                        ; implicit-def: $vgpr2
                                        ; implicit-def: $vgpr0_vgpr1
                                        ; implicit-def: $vgpr3
.LBB6_14764:                            ;   in Loop: Header=BB6_14192 Depth=3
	s_and_not1_saveexec_b32 s13, s74
	s_cbranch_execz .LBB6_14770
; %bb.14765:                            ;   in Loop: Header=BB6_14192 Depth=3
	s_mov_b32 s74, exec_lo
                                        ; implicit-def: $vgpr42
	v_cmpx_ne_u64_e32 0, v[0:1]
	s_xor_b32 s74, exec_lo, s74
; %bb.14766:                            ;   in Loop: Header=BB6_14192 Depth=3
	v_or_b32_e32 v42, 0x7f, v3
                                        ; implicit-def: $vgpr2
; %bb.14767:                            ;   in Loop: Header=BB6_14192 Depth=3
	s_and_not1_saveexec_b32 s74, s74
; %bb.14768:                            ;   in Loop: Header=BB6_14192 Depth=3
	v_cmp_lt_i32_e32 vcc_lo, -1, v2
	v_mov_b32_e32 v0, 0x7c
	s_delay_alu instid0(VALU_DEP_1)
	v_cndmask_b32_e32 v42, 0xfc, v0, vcc_lo
; %bb.14769:                            ;   in Loop: Header=BB6_14192 Depth=3
	s_or_b32 exec_lo, exec_lo, s74
.LBB6_14770:                            ;   in Loop: Header=BB6_14192 Depth=3
	s_delay_alu instid0(SALU_CYCLE_1)
	s_or_b32 exec_lo, exec_lo, s13
	v_mov_b32_e32 v1, 0
	s_mov_b32 s13, exec_lo
	v_cmpx_lt_u32_e32 0xffffff, v8
	s_cbranch_execz .LBB6_14780
; %bb.14771:                            ;   in Loop: Header=BB6_14192 Depth=3
	v_lshrrev_b32_e32 v0, 24, v8
	v_bfrev_b32_e32 v1, 1
	s_mov_b32 s74, exec_lo
	s_delay_alu instid0(VALU_DEP_2)
	v_cmpx_ne_u32_e32 0x80, v0
	s_cbranch_execz .LBB6_14779
; %bb.14772:                            ;   in Loop: Header=BB6_14192 Depth=3
	v_and_b32_e32 v1, 0x7c000000, v8
	v_bfe_u32 v2, v8, 24, 2
	s_delay_alu instid0(VALU_DEP_2) | instskip(SKIP_1) | instid1(SALU_CYCLE_1)
	v_cmp_ne_u32_e32 vcc_lo, 0x7c000000, v1
                                        ; implicit-def: $vgpr1
	s_and_saveexec_b32 s75, vcc_lo
	s_xor_b32 s75, exec_lo, s75
	s_cbranch_execz .LBB6_14776
; %bb.14773:                            ;   in Loop: Header=BB6_14192 Depth=3
	v_bfe_u32 v1, v8, 26, 5
	s_mov_b32 s76, exec_lo
	s_delay_alu instid0(VALU_DEP_1)
	v_cmpx_eq_u32_e32 0, v1
; %bb.14774:                            ;   in Loop: Header=BB6_14192 Depth=3
	v_clz_i32_u32_e32 v1, v2
	s_delay_alu instid0(VALU_DEP_1) | instskip(NEXT) | instid1(VALU_DEP_1)
	v_min_u32_e32 v2, 32, v1
	v_subrev_nc_u32_e32 v1, 29, v2
	s_delay_alu instid0(VALU_DEP_1) | instskip(NEXT) | instid1(VALU_DEP_1)
	v_lshlrev_b64_e32 v[0:1], v1, v[0:1]
	v_dual_sub_nc_u32 v1, 30, v2 :: v_dual_bitop2_b32 v2, 3, v0 bitop3:0x40
; %bb.14775:                            ;   in Loop: Header=BB6_14192 Depth=3
	s_or_b32 exec_lo, exec_lo, s76
	v_and_b32_e32 v0, 0x80000000, v8
	s_delay_alu instid0(VALU_DEP_1) | instskip(NEXT) | instid1(VALU_DEP_1)
	v_lshl_add_u32 v0, v1, 23, v0
	v_lshl_or_b32 v0, v2, 21, v0
                                        ; implicit-def: $vgpr2
	s_delay_alu instid0(VALU_DEP_1)
	v_add_nc_u32_e32 v1, 0x38000000, v0
.LBB6_14776:                            ;   in Loop: Header=BB6_14192 Depth=3
	s_and_not1_saveexec_b32 s75, s75
; %bb.14777:                            ;   in Loop: Header=BB6_14192 Depth=3
	v_cmp_lt_i32_e32 vcc_lo, -1, v8
	v_mov_b32_e32 v0, 0x7f800000
	s_delay_alu instid0(VALU_DEP_1) | instskip(SKIP_1) | instid1(VALU_DEP_2)
	v_cndmask_b32_e32 v0, 0xff800000, v0, vcc_lo
	v_cmp_eq_u32_e32 vcc_lo, 0, v2
	v_cndmask_b32_e32 v1, 0x7f800001, v0, vcc_lo
; %bb.14778:                            ;   in Loop: Header=BB6_14192 Depth=3
	s_or_b32 exec_lo, exec_lo, s75
.LBB6_14779:                            ;   in Loop: Header=BB6_14192 Depth=3
	s_delay_alu instid0(SALU_CYCLE_1)
	s_or_b32 exec_lo, exec_lo, s74
.LBB6_14780:                            ;   in Loop: Header=BB6_14192 Depth=3
	s_delay_alu instid0(SALU_CYCLE_1) | instskip(NEXT) | instid1(VALU_DEP_1)
	s_or_b32 exec_lo, exec_lo, s13
	v_dual_mul_f32 v2, s73, v1 :: v_dual_mov_b32 v5, v113
	v_mov_b32_e32 v1, v113
                                        ; implicit-def: $vgpr44
	s_mov_b32 s13, exec_lo
	s_delay_alu instid0(VALU_DEP_2) | instskip(SKIP_2) | instid1(VALU_DEP_3)
	v_and_b32_e32 v4, 0x7f800000, v2
	v_and_b32_e32 v0, 0x7fffff, v2
	v_lshrrev_b32_e32 v3, 24, v2
	v_cmpx_ne_u64_e32 0x7f800000, v[4:5]
	s_xor_b32 s74, exec_lo, s13
	s_cbranch_execz .LBB6_14794
; %bb.14781:                            ;   in Loop: Header=BB6_14192 Depth=3
	v_and_b32_e32 v4, 0x7fffffff, v2
	v_mov_b32_e32 v5, v113
                                        ; implicit-def: $vgpr44
	s_delay_alu instid0(VALU_DEP_1) | instskip(SKIP_2) | instid1(SALU_CYCLE_1)
	v_cmp_gt_u64_e32 vcc_lo, 0x47600001, v[4:5]
	v_and_b32_e32 v4, 0x80, v3
	s_and_saveexec_b32 s13, vcc_lo
	s_xor_b32 s75, exec_lo, s13
	s_cbranch_execz .LBB6_14791
; %bb.14782:                            ;   in Loop: Header=BB6_14192 Depth=3
	v_mov_b32_e32 v44, 0
	s_mov_b32 s76, exec_lo
	v_cmpx_ne_u32_e32 0, v2
	s_cbranch_execz .LBB6_14790
; %bb.14783:                            ;   in Loop: Header=BB6_14192 Depth=3
	v_bfe_u32 v5, v2, 23, 8
	v_or_b32_e32 v3, 0x800000, v0
	s_delay_alu instid0(VALU_DEP_2) | instskip(SKIP_2) | instid1(VALU_DEP_2)
	v_cmp_gt_u32_e64 s13, 0x72, v5
	v_sub_nc_u32_e32 v2, 0x71, v5
	v_cmp_eq_u32_e32 vcc_lo, 0, v5
	v_dual_cndmask_b32 v2, 0, v2, s13 :: v_dual_cndmask_b32 v0, v3, v0, vcc_lo
	s_delay_alu instid0(VALU_DEP_1) | instskip(NEXT) | instid1(VALU_DEP_1)
	v_cndmask_b32_e64 v12, v2, 0x70, vcc_lo
	v_dual_add_nc_u32 v2, 21, v12 :: v_dual_add_nc_u32 v13, 20, v12
	s_delay_alu instid0(VALU_DEP_1) | instskip(NEXT) | instid1(VALU_DEP_2)
	v_lshlrev_b64_e64 v[2:3], v2, -1
	v_lshlrev_b64_e64 v[14:15], v13, 1
	s_delay_alu instid0(VALU_DEP_2) | instskip(SKIP_1) | instid1(VALU_DEP_4)
	v_bfi_b32 v2, v2, 0, v0
	v_lshrrev_b64 v[0:1], v12, v[0:1]
	v_bfi_b32 v3, v3, 0, 0
	s_delay_alu instid0(VALU_DEP_1) | instskip(NEXT) | instid1(VALU_DEP_3)
	v_cmp_eq_u64_e64 s13, v[2:3], v[14:15]
	v_mov_b64_e32 v[2:3], v[0:1]
	s_and_saveexec_b32 s77, s13
; %bb.14784:                            ;   in Loop: Header=BB6_14192 Depth=3
	v_bfe_u32 v2, v0, 21, 1
	v_mov_b32_e32 v3, v113
	s_delay_alu instid0(VALU_DEP_1) | instskip(NEXT) | instid1(VALU_DEP_1)
	v_add_nc_u64_e32 v[2:3], v[0:1], v[2:3]
	v_add_nc_u64_e32 v[2:3], -1, v[2:3]
; %bb.14785:                            ;   in Loop: Header=BB6_14192 Depth=3
	s_or_b32 exec_lo, exec_lo, s77
	v_add_nc_u32_e32 v1, 0xffffff81, v5
	v_lshrrev_b32_e32 v3, 23, v0
	s_mov_b32 s13, exec_lo
	s_delay_alu instid0(VALU_DEP_2) | instskip(NEXT) | instid1(VALU_DEP_1)
	v_cndmask_b32_e64 v1, v1, 0xffffff82, vcc_lo
	v_add3_u32 v3, v12, v1, v3
	v_and_b32_e32 v1, 0x1fffff, v2
                                        ; implicit-def: $vgpr2
	s_delay_alu instid0(VALU_DEP_1) | instskip(SKIP_1) | instid1(VALU_DEP_2)
	v_dual_add_nc_u32 v5, 14, v3 :: v_dual_add_nc_u32 v0, v1, v0
	v_mov_b32_e32 v1, v113
	v_cmpx_ne_u32_e32 0, v5
	s_xor_b32 s13, exec_lo, s13
; %bb.14786:                            ;   in Loop: Header=BB6_14192 Depth=3
	s_delay_alu instid0(VALU_DEP_2) | instskip(SKIP_2) | instid1(VALU_DEP_2)
	v_cmp_lt_u64_e32 vcc_lo, 0xffffff, v[0:1]
	v_add_nc_u32_e32 v2, 15, v3
	v_cndmask_b32_e64 v3, 0, 1, vcc_lo
	v_cndmask_b32_e32 v2, v5, v2, vcc_lo
	s_delay_alu instid0(VALU_DEP_2)
	v_lshrrev_b64 v[0:1], v3, v[0:1]
; %bb.14787:                            ;   in Loop: Header=BB6_14192 Depth=3
	s_and_not1_saveexec_b32 s13, s13
; %bb.14788:                            ;   in Loop: Header=BB6_14192 Depth=3
	s_delay_alu instid0(VALU_DEP_1)
	v_bfe_u32 v2, v0, 23, 1
; %bb.14789:                            ;   in Loop: Header=BB6_14192 Depth=3
	s_or_b32 exec_lo, exec_lo, s13
	s_delay_alu instid0(VALU_DEP_2) | instskip(NEXT) | instid1(VALU_DEP_2)
	v_lshrrev_b64 v[0:1], 21, v[0:1]
	v_cmp_gt_i32_e32 vcc_lo, 32, v2
	v_min_i32_e32 v3, 31, v2
	v_cmp_eq_u32_e64 s13, 0, v2
	s_delay_alu instid0(VALU_DEP_2) | instskip(SKIP_1) | instid1(VALU_DEP_2)
	v_dual_cndmask_b32 v1, 0, v1, vcc_lo :: v_dual_lshlrev_b32 v3, 2, v3
	v_cndmask_b32_e32 v0, 3, v0, vcc_lo
	v_and_b32_e32 v3, 0xfc, v3
	s_delay_alu instid0(VALU_DEP_2) | instskip(NEXT) | instid1(VALU_DEP_2)
	v_cmp_eq_u64_e32 vcc_lo, 0, v[0:1]
	v_and_or_b32 v0, v0, 3, v3
	s_and_b32 s13, s13, vcc_lo
	s_delay_alu instid0(VALU_DEP_1) | instid1(SALU_CYCLE_1)
	v_cndmask_b32_e64 v0, v0, 0, s13
	s_delay_alu instid0(VALU_DEP_1)
	v_or_b32_e32 v44, v0, v4
.LBB6_14790:                            ;   in Loop: Header=BB6_14192 Depth=3
	s_or_b32 exec_lo, exec_lo, s76
                                        ; implicit-def: $vgpr4
.LBB6_14791:                            ;   in Loop: Header=BB6_14192 Depth=3
	s_and_not1_saveexec_b32 s13, s75
; %bb.14792:                            ;   in Loop: Header=BB6_14192 Depth=3
	v_or_b32_e32 v44, 0x7b, v4
; %bb.14793:                            ;   in Loop: Header=BB6_14192 Depth=3
	s_or_b32 exec_lo, exec_lo, s13
                                        ; implicit-def: $vgpr2
                                        ; implicit-def: $vgpr0_vgpr1
                                        ; implicit-def: $vgpr3
.LBB6_14794:                            ;   in Loop: Header=BB6_14192 Depth=3
	s_and_not1_saveexec_b32 s13, s74
	s_cbranch_execz .LBB6_14800
; %bb.14795:                            ;   in Loop: Header=BB6_14192 Depth=3
	s_mov_b32 s74, exec_lo
                                        ; implicit-def: $vgpr44
	v_cmpx_ne_u64_e32 0, v[0:1]
	s_xor_b32 s74, exec_lo, s74
; %bb.14796:                            ;   in Loop: Header=BB6_14192 Depth=3
	v_or_b32_e32 v44, 0x7f, v3
                                        ; implicit-def: $vgpr2
; %bb.14797:                            ;   in Loop: Header=BB6_14192 Depth=3
	s_and_not1_saveexec_b32 s74, s74
; %bb.14798:                            ;   in Loop: Header=BB6_14192 Depth=3
	v_cmp_lt_i32_e32 vcc_lo, -1, v2
	v_mov_b32_e32 v0, 0x7c
	s_delay_alu instid0(VALU_DEP_1)
	v_cndmask_b32_e32 v44, 0xfc, v0, vcc_lo
; %bb.14799:                            ;   in Loop: Header=BB6_14192 Depth=3
	s_or_b32 exec_lo, exec_lo, s74
.LBB6_14800:                            ;   in Loop: Header=BB6_14192 Depth=3
	s_delay_alu instid0(SALU_CYCLE_1) | instskip(SKIP_4) | instid1(VALU_DEP_3)
	s_or_b32 exec_lo, exec_lo, s13
	v_and_b32_e32 v2, 0xff, v9
	v_dual_mov_b32 v0, v9 :: v_dual_mov_b32 v1, v113
	v_mov_b32_e32 v3, 0
	s_mov_b32 s13, exec_lo
	v_cmpx_ne_u16_e32 0, v2
	s_cbranch_execz .LBB6_14810
; %bb.14801:                            ;   in Loop: Header=BB6_14192 Depth=3
	v_bfrev_b32_e32 v3, 1
	s_mov_b32 s74, exec_lo
	v_cmpx_ne_u16_e32 0x80, v2
	s_cbranch_execz .LBB6_14809
; %bb.14802:                            ;   in Loop: Header=BB6_14192 Depth=3
	v_and_b32_e32 v3, 0x7c, v9
	v_and_b32_e32 v2, 3, v9
	s_delay_alu instid0(VALU_DEP_2) | instskip(SKIP_1) | instid1(SALU_CYCLE_1)
	v_cmp_ne_u32_e32 vcc_lo, 0x7c, v3
                                        ; implicit-def: $vgpr3
	s_and_saveexec_b32 s75, vcc_lo
	s_xor_b32 s75, exec_lo, s75
	s_cbranch_execz .LBB6_14806
; %bb.14803:                            ;   in Loop: Header=BB6_14192 Depth=3
	v_bfe_u32 v3, v9, 2, 5
	s_mov_b32 s76, exec_lo
	s_delay_alu instid0(VALU_DEP_1)
	v_cmpx_eq_u32_e32 0, v3
; %bb.14804:                            ;   in Loop: Header=BB6_14192 Depth=3
	v_clz_i32_u32_e32 v2, v2
	s_delay_alu instid0(VALU_DEP_1) | instskip(NEXT) | instid1(VALU_DEP_1)
	v_min_u32_e32 v4, 32, v2
	v_subrev_nc_u32_e32 v2, 29, v4
	s_delay_alu instid0(VALU_DEP_1) | instskip(NEXT) | instid1(VALU_DEP_1)
	v_lshlrev_b64_e32 v[2:3], v2, v[0:1]
	v_dual_sub_nc_u32 v3, 30, v4 :: v_dual_bitop2_b32 v2, 3, v2 bitop3:0x40
; %bb.14805:                            ;   in Loop: Header=BB6_14192 Depth=3
	s_or_b32 exec_lo, exec_lo, s76
	v_lshlrev_b32_e32 v1, 24, v9
	s_delay_alu instid0(VALU_DEP_1) | instskip(NEXT) | instid1(VALU_DEP_1)
	v_and_b32_e32 v1, 0x80000000, v1
	v_lshl_add_u32 v1, v3, 23, v1
	s_delay_alu instid0(VALU_DEP_1) | instskip(NEXT) | instid1(VALU_DEP_1)
	v_lshl_or_b32 v1, v2, 21, v1
                                        ; implicit-def: $vgpr2
	v_add_nc_u32_e32 v3, 0x38000000, v1
.LBB6_14806:                            ;   in Loop: Header=BB6_14192 Depth=3
	s_and_not1_saveexec_b32 s75, s75
; %bb.14807:                            ;   in Loop: Header=BB6_14192 Depth=3
	v_bfe_i32 v1, v9, 0, 8
	s_delay_alu instid0(VALU_DEP_1) | instskip(SKIP_1) | instid1(VALU_DEP_1)
	v_cmp_lt_i16_e32 vcc_lo, -1, v1
	v_mov_b32_e32 v1, 0x7f800000
	v_cndmask_b32_e32 v1, 0xff800000, v1, vcc_lo
	v_cmp_eq_u32_e32 vcc_lo, 0, v2
	s_delay_alu instid0(VALU_DEP_2)
	v_cndmask_b32_e32 v3, 0x7f800001, v1, vcc_lo
; %bb.14808:                            ;   in Loop: Header=BB6_14192 Depth=3
	s_or_b32 exec_lo, exec_lo, s75
.LBB6_14809:                            ;   in Loop: Header=BB6_14192 Depth=3
	s_delay_alu instid0(SALU_CYCLE_1)
	s_or_b32 exec_lo, exec_lo, s74
.LBB6_14810:                            ;   in Loop: Header=BB6_14192 Depth=3
	s_delay_alu instid0(SALU_CYCLE_1) | instskip(NEXT) | instid1(VALU_DEP_1)
	s_or_b32 exec_lo, exec_lo, s13
	v_dual_mul_f32 v4, s73, v3 :: v_dual_mov_b32 v13, v113
	v_mov_b32_e32 v3, v113
                                        ; implicit-def: $vgpr100
	s_mov_b32 s13, exec_lo
	s_delay_alu instid0(VALU_DEP_2) | instskip(SKIP_2) | instid1(VALU_DEP_3)
	v_and_b32_e32 v12, 0x7f800000, v4
	v_and_b32_e32 v2, 0x7fffff, v4
	v_lshrrev_b32_e32 v1, 24, v4
	v_cmpx_ne_u64_e32 0x7f800000, v[12:13]
	s_xor_b32 s74, exec_lo, s13
	s_cbranch_execz .LBB6_14824
; %bb.14811:                            ;   in Loop: Header=BB6_14192 Depth=3
	v_and_b32_e32 v12, 0x7fffffff, v4
	v_mov_b32_e32 v13, v113
	v_and_b32_e32 v1, 0x80, v1
                                        ; implicit-def: $vgpr100
	s_mov_b32 s13, exec_lo
	s_delay_alu instid0(VALU_DEP_2)
	v_cmpx_gt_u64_e32 0x47600001, v[12:13]
	s_xor_b32 s75, exec_lo, s13
	s_cbranch_execz .LBB6_14821
; %bb.14812:                            ;   in Loop: Header=BB6_14192 Depth=3
	v_mov_b32_e32 v100, 0
	s_mov_b32 s76, exec_lo
	v_cmpx_ne_u32_e32 0, v4
	s_cbranch_execz .LBB6_14820
; %bb.14813:                            ;   in Loop: Header=BB6_14192 Depth=3
	v_bfe_u32 v12, v4, 23, 8
	v_or_b32_e32 v5, 0x800000, v2
	s_delay_alu instid0(VALU_DEP_2) | instskip(SKIP_2) | instid1(VALU_DEP_2)
	v_cmp_gt_u32_e64 s13, 0x72, v12
	v_sub_nc_u32_e32 v4, 0x71, v12
	v_cmp_eq_u32_e32 vcc_lo, 0, v12
	v_dual_cndmask_b32 v4, 0, v4, s13 :: v_dual_cndmask_b32 v2, v5, v2, vcc_lo
	s_delay_alu instid0(VALU_DEP_1) | instskip(NEXT) | instid1(VALU_DEP_1)
	v_cndmask_b32_e64 v13, v4, 0x70, vcc_lo
	v_dual_add_nc_u32 v4, 21, v13 :: v_dual_add_nc_u32 v14, 20, v13
	s_delay_alu instid0(VALU_DEP_1) | instskip(NEXT) | instid1(VALU_DEP_2)
	v_lshlrev_b64_e64 v[4:5], v4, -1
	v_lshlrev_b64_e64 v[14:15], v14, 1
	s_delay_alu instid0(VALU_DEP_2) | instskip(SKIP_1) | instid1(VALU_DEP_4)
	v_bfi_b32 v4, v4, 0, v2
	v_lshrrev_b64 v[2:3], v13, v[2:3]
	v_bfi_b32 v5, v5, 0, 0
	s_delay_alu instid0(VALU_DEP_1) | instskip(NEXT) | instid1(VALU_DEP_3)
	v_cmp_eq_u64_e64 s13, v[4:5], v[14:15]
	v_mov_b64_e32 v[4:5], v[2:3]
	s_and_saveexec_b32 s77, s13
; %bb.14814:                            ;   in Loop: Header=BB6_14192 Depth=3
	v_bfe_u32 v4, v2, 21, 1
	v_mov_b32_e32 v5, v113
	s_delay_alu instid0(VALU_DEP_1) | instskip(NEXT) | instid1(VALU_DEP_1)
	v_add_nc_u64_e32 v[4:5], v[2:3], v[4:5]
	v_add_nc_u64_e32 v[4:5], -1, v[4:5]
; %bb.14815:                            ;   in Loop: Header=BB6_14192 Depth=3
	s_or_b32 exec_lo, exec_lo, s77
	v_add_nc_u32_e32 v3, 0xffffff81, v12
	v_lshrrev_b32_e32 v5, 23, v2
	s_mov_b32 s13, exec_lo
	s_delay_alu instid0(VALU_DEP_2) | instskip(NEXT) | instid1(VALU_DEP_1)
	v_cndmask_b32_e64 v3, v3, 0xffffff82, vcc_lo
	v_add3_u32 v5, v13, v3, v5
	v_and_b32_e32 v3, 0x1fffff, v4
                                        ; implicit-def: $vgpr4
	s_delay_alu instid0(VALU_DEP_1) | instskip(SKIP_1) | instid1(VALU_DEP_2)
	v_dual_add_nc_u32 v12, 14, v5 :: v_dual_add_nc_u32 v2, v3, v2
	v_mov_b32_e32 v3, v113
	v_cmpx_ne_u32_e32 0, v12
	s_xor_b32 s13, exec_lo, s13
; %bb.14816:                            ;   in Loop: Header=BB6_14192 Depth=3
	s_delay_alu instid0(VALU_DEP_2) | instskip(SKIP_2) | instid1(VALU_DEP_2)
	v_cmp_lt_u64_e32 vcc_lo, 0xffffff, v[2:3]
	v_add_nc_u32_e32 v4, 15, v5
	v_cndmask_b32_e64 v5, 0, 1, vcc_lo
	v_cndmask_b32_e32 v4, v12, v4, vcc_lo
	s_delay_alu instid0(VALU_DEP_2)
	v_lshrrev_b64 v[2:3], v5, v[2:3]
; %bb.14817:                            ;   in Loop: Header=BB6_14192 Depth=3
	s_and_not1_saveexec_b32 s13, s13
; %bb.14818:                            ;   in Loop: Header=BB6_14192 Depth=3
	s_delay_alu instid0(VALU_DEP_1)
	v_bfe_u32 v4, v2, 23, 1
; %bb.14819:                            ;   in Loop: Header=BB6_14192 Depth=3
	s_or_b32 exec_lo, exec_lo, s13
	s_delay_alu instid0(VALU_DEP_2) | instskip(NEXT) | instid1(VALU_DEP_2)
	v_lshrrev_b64 v[2:3], 21, v[2:3]
	v_cmp_gt_i32_e32 vcc_lo, 32, v4
	v_min_i32_e32 v5, 31, v4
	v_cmp_eq_u32_e64 s13, 0, v4
	s_delay_alu instid0(VALU_DEP_2) | instskip(SKIP_1) | instid1(VALU_DEP_2)
	v_dual_cndmask_b32 v3, 0, v3, vcc_lo :: v_dual_lshlrev_b32 v5, 2, v5
	v_cndmask_b32_e32 v2, 3, v2, vcc_lo
	v_and_b32_e32 v5, 0xfc, v5
	s_delay_alu instid0(VALU_DEP_2) | instskip(NEXT) | instid1(VALU_DEP_2)
	v_cmp_eq_u64_e32 vcc_lo, 0, v[2:3]
	v_and_or_b32 v2, v2, 3, v5
	s_and_b32 s13, s13, vcc_lo
	s_delay_alu instid0(VALU_DEP_1) | instid1(SALU_CYCLE_1)
	v_cndmask_b32_e64 v2, v2, 0, s13
	s_delay_alu instid0(VALU_DEP_1)
	v_or_b32_e32 v100, v2, v1
.LBB6_14820:                            ;   in Loop: Header=BB6_14192 Depth=3
	s_or_b32 exec_lo, exec_lo, s76
                                        ; implicit-def: $vgpr1
.LBB6_14821:                            ;   in Loop: Header=BB6_14192 Depth=3
	s_and_not1_saveexec_b32 s13, s75
; %bb.14822:                            ;   in Loop: Header=BB6_14192 Depth=3
	v_or_b32_e32 v100, 0x7b, v1
; %bb.14823:                            ;   in Loop: Header=BB6_14192 Depth=3
	s_or_b32 exec_lo, exec_lo, s13
                                        ; implicit-def: $vgpr4
                                        ; implicit-def: $vgpr2_vgpr3
                                        ; implicit-def: $vgpr1
.LBB6_14824:                            ;   in Loop: Header=BB6_14192 Depth=3
	s_and_not1_saveexec_b32 s13, s74
	s_cbranch_execz .LBB6_14830
; %bb.14825:                            ;   in Loop: Header=BB6_14192 Depth=3
	s_mov_b32 s74, exec_lo
                                        ; implicit-def: $vgpr100
	v_cmpx_ne_u64_e32 0, v[2:3]
	s_xor_b32 s74, exec_lo, s74
; %bb.14826:                            ;   in Loop: Header=BB6_14192 Depth=3
	v_or_b32_e32 v100, 0x7f, v1
                                        ; implicit-def: $vgpr4
; %bb.14827:                            ;   in Loop: Header=BB6_14192 Depth=3
	s_and_not1_saveexec_b32 s74, s74
; %bb.14828:                            ;   in Loop: Header=BB6_14192 Depth=3
	v_cmp_lt_i32_e32 vcc_lo, -1, v4
	v_mov_b32_e32 v1, 0x7c
	s_delay_alu instid0(VALU_DEP_1)
	v_cndmask_b32_e32 v100, 0xfc, v1, vcc_lo
; %bb.14829:                            ;   in Loop: Header=BB6_14192 Depth=3
	s_or_b32 exec_lo, exec_lo, s74
.LBB6_14830:                            ;   in Loop: Header=BB6_14192 Depth=3
	s_delay_alu instid0(SALU_CYCLE_1) | instskip(SKIP_3) | instid1(VALU_DEP_2)
	s_or_b32 exec_lo, exec_lo, s13
	v_lshrrev_b16 v2, 8, v0
	v_mov_b32_e32 v4, 0
	s_mov_b32 s13, exec_lo
	v_cmpx_ne_u16_e32 0, v2
	s_cbranch_execz .LBB6_14840
; %bb.14831:                            ;   in Loop: Header=BB6_14192 Depth=3
	v_bfrev_b32_e32 v4, 1
	s_mov_b32 s74, exec_lo
	v_cmpx_ne_u16_e32 0x80, v2
	s_cbranch_execz .LBB6_14839
; %bb.14832:                            ;   in Loop: Header=BB6_14192 Depth=3
	v_and_b32_e32 v1, 0xffff, v2
	s_delay_alu instid0(VALU_DEP_1) | instskip(SKIP_1) | instid1(VALU_DEP_2)
	v_and_b32_e32 v4, 0x7c, v1
	v_and_b32_e32 v3, 3, v1
	v_cmp_ne_u32_e32 vcc_lo, 0x7c, v4
                                        ; implicit-def: $vgpr4
	s_and_saveexec_b32 s75, vcc_lo
	s_delay_alu instid0(SALU_CYCLE_1)
	s_xor_b32 s75, exec_lo, s75
	s_cbranch_execz .LBB6_14836
; %bb.14833:                            ;   in Loop: Header=BB6_14192 Depth=3
	v_bfe_u32 v1, v1, 2, 5
	s_mov_b32 s76, exec_lo
	s_delay_alu instid0(VALU_DEP_1)
	v_cmpx_eq_u32_e32 0, v1
	s_cbranch_execz .LBB6_14835
; %bb.14834:                            ;   in Loop: Header=BB6_14192 Depth=3
	v_clz_i32_u32_e32 v1, v3
	s_delay_alu instid0(VALU_DEP_1) | instskip(SKIP_1) | instid1(VALU_DEP_2)
	v_min_u32_e32 v1, 32, v1
	v_mov_b32_e32 v3, v113
	v_subrev_nc_u32_e32 v4, 29, v1
	v_sub_nc_u32_e32 v1, 30, v1
	s_delay_alu instid0(VALU_DEP_2) | instskip(NEXT) | instid1(VALU_DEP_1)
	v_lshlrev_b64_e32 v[2:3], v4, v[2:3]
	v_and_b32_e32 v3, 3, v2
.LBB6_14835:                            ;   in Loop: Header=BB6_14192 Depth=3
	s_or_b32 exec_lo, exec_lo, s76
	v_lshlrev_b32_e32 v0, 16, v0
	s_delay_alu instid0(VALU_DEP_1) | instskip(NEXT) | instid1(VALU_DEP_1)
	v_and_b32_e32 v0, 0x80000000, v0
	v_lshl_add_u32 v0, v1, 23, v0
	s_delay_alu instid0(VALU_DEP_1) | instskip(NEXT) | instid1(VALU_DEP_1)
	v_lshl_or_b32 v0, v3, 21, v0
                                        ; implicit-def: $vgpr3
	v_add_nc_u32_e32 v4, 0x38000000, v0
                                        ; implicit-def: $vgpr0_vgpr1
.LBB6_14836:                            ;   in Loop: Header=BB6_14192 Depth=3
	s_and_not1_saveexec_b32 s75, s75
; %bb.14837:                            ;   in Loop: Header=BB6_14192 Depth=3
	v_cmp_lt_i16_e32 vcc_lo, -1, v0
	v_mov_b32_e32 v0, 0x7f800000
	s_delay_alu instid0(VALU_DEP_1) | instskip(SKIP_1) | instid1(VALU_DEP_2)
	v_cndmask_b32_e32 v0, 0xff800000, v0, vcc_lo
	v_cmp_eq_u32_e32 vcc_lo, 0, v3
	v_cndmask_b32_e32 v4, 0x7f800001, v0, vcc_lo
; %bb.14838:                            ;   in Loop: Header=BB6_14192 Depth=3
	s_or_b32 exec_lo, exec_lo, s75
.LBB6_14839:                            ;   in Loop: Header=BB6_14192 Depth=3
	s_delay_alu instid0(SALU_CYCLE_1)
	s_or_b32 exec_lo, exec_lo, s74
.LBB6_14840:                            ;   in Loop: Header=BB6_14192 Depth=3
	s_delay_alu instid0(SALU_CYCLE_1) | instskip(NEXT) | instid1(VALU_DEP_1)
	s_or_b32 exec_lo, exec_lo, s13
	v_dual_mul_f32 v2, s73, v4 :: v_dual_mov_b32 v5, v113
	v_mov_b32_e32 v1, v113
                                        ; implicit-def: $vgpr112
	s_mov_b32 s13, exec_lo
	s_delay_alu instid0(VALU_DEP_2) | instskip(SKIP_2) | instid1(VALU_DEP_3)
	v_and_b32_e32 v4, 0x7f800000, v2
	v_and_b32_e32 v0, 0x7fffff, v2
	v_lshrrev_b32_e32 v3, 24, v2
	v_cmpx_ne_u64_e32 0x7f800000, v[4:5]
	s_xor_b32 s74, exec_lo, s13
	s_cbranch_execz .LBB6_14854
; %bb.14841:                            ;   in Loop: Header=BB6_14192 Depth=3
	v_and_b32_e32 v4, 0x7fffffff, v2
	v_mov_b32_e32 v5, v113
                                        ; implicit-def: $vgpr112
	s_delay_alu instid0(VALU_DEP_1) | instskip(SKIP_2) | instid1(SALU_CYCLE_1)
	v_cmp_gt_u64_e32 vcc_lo, 0x47600001, v[4:5]
	v_and_b32_e32 v4, 0x80, v3
	s_and_saveexec_b32 s13, vcc_lo
	s_xor_b32 s75, exec_lo, s13
	s_cbranch_execz .LBB6_14851
; %bb.14842:                            ;   in Loop: Header=BB6_14192 Depth=3
	v_mov_b32_e32 v112, 0
	s_mov_b32 s76, exec_lo
	v_cmpx_ne_u32_e32 0, v2
	s_cbranch_execz .LBB6_14850
; %bb.14843:                            ;   in Loop: Header=BB6_14192 Depth=3
	v_bfe_u32 v5, v2, 23, 8
	v_or_b32_e32 v3, 0x800000, v0
	s_delay_alu instid0(VALU_DEP_2) | instskip(SKIP_2) | instid1(VALU_DEP_2)
	v_cmp_gt_u32_e64 s13, 0x72, v5
	v_sub_nc_u32_e32 v2, 0x71, v5
	v_cmp_eq_u32_e32 vcc_lo, 0, v5
	v_dual_cndmask_b32 v2, 0, v2, s13 :: v_dual_cndmask_b32 v0, v3, v0, vcc_lo
	s_delay_alu instid0(VALU_DEP_1) | instskip(NEXT) | instid1(VALU_DEP_1)
	v_cndmask_b32_e64 v12, v2, 0x70, vcc_lo
	v_dual_add_nc_u32 v2, 21, v12 :: v_dual_add_nc_u32 v13, 20, v12
	s_delay_alu instid0(VALU_DEP_1) | instskip(NEXT) | instid1(VALU_DEP_2)
	v_lshlrev_b64_e64 v[2:3], v2, -1
	v_lshlrev_b64_e64 v[14:15], v13, 1
	s_delay_alu instid0(VALU_DEP_2) | instskip(SKIP_1) | instid1(VALU_DEP_4)
	v_bfi_b32 v2, v2, 0, v0
	v_lshrrev_b64 v[0:1], v12, v[0:1]
	v_bfi_b32 v3, v3, 0, 0
	s_delay_alu instid0(VALU_DEP_1) | instskip(NEXT) | instid1(VALU_DEP_3)
	v_cmp_eq_u64_e64 s13, v[2:3], v[14:15]
	v_mov_b64_e32 v[2:3], v[0:1]
	s_and_saveexec_b32 s77, s13
; %bb.14844:                            ;   in Loop: Header=BB6_14192 Depth=3
	v_bfe_u32 v2, v0, 21, 1
	v_mov_b32_e32 v3, v113
	s_delay_alu instid0(VALU_DEP_1) | instskip(NEXT) | instid1(VALU_DEP_1)
	v_add_nc_u64_e32 v[2:3], v[0:1], v[2:3]
	v_add_nc_u64_e32 v[2:3], -1, v[2:3]
; %bb.14845:                            ;   in Loop: Header=BB6_14192 Depth=3
	s_or_b32 exec_lo, exec_lo, s77
	v_add_nc_u32_e32 v1, 0xffffff81, v5
	v_lshrrev_b32_e32 v3, 23, v0
	s_mov_b32 s13, exec_lo
	s_delay_alu instid0(VALU_DEP_2) | instskip(NEXT) | instid1(VALU_DEP_1)
	v_cndmask_b32_e64 v1, v1, 0xffffff82, vcc_lo
	v_add3_u32 v3, v12, v1, v3
	v_and_b32_e32 v1, 0x1fffff, v2
                                        ; implicit-def: $vgpr2
	s_delay_alu instid0(VALU_DEP_1) | instskip(SKIP_1) | instid1(VALU_DEP_2)
	v_dual_add_nc_u32 v5, 14, v3 :: v_dual_add_nc_u32 v0, v1, v0
	v_mov_b32_e32 v1, v113
	v_cmpx_ne_u32_e32 0, v5
	s_xor_b32 s13, exec_lo, s13
; %bb.14846:                            ;   in Loop: Header=BB6_14192 Depth=3
	s_delay_alu instid0(VALU_DEP_2) | instskip(SKIP_2) | instid1(VALU_DEP_2)
	v_cmp_lt_u64_e32 vcc_lo, 0xffffff, v[0:1]
	v_add_nc_u32_e32 v2, 15, v3
	v_cndmask_b32_e64 v3, 0, 1, vcc_lo
	v_cndmask_b32_e32 v2, v5, v2, vcc_lo
	s_delay_alu instid0(VALU_DEP_2)
	v_lshrrev_b64 v[0:1], v3, v[0:1]
; %bb.14847:                            ;   in Loop: Header=BB6_14192 Depth=3
	s_and_not1_saveexec_b32 s13, s13
; %bb.14848:                            ;   in Loop: Header=BB6_14192 Depth=3
	s_delay_alu instid0(VALU_DEP_1)
	v_bfe_u32 v2, v0, 23, 1
; %bb.14849:                            ;   in Loop: Header=BB6_14192 Depth=3
	s_or_b32 exec_lo, exec_lo, s13
	s_delay_alu instid0(VALU_DEP_2) | instskip(NEXT) | instid1(VALU_DEP_2)
	v_lshrrev_b64 v[0:1], 21, v[0:1]
	v_cmp_gt_i32_e32 vcc_lo, 32, v2
	v_min_i32_e32 v3, 31, v2
	v_cmp_eq_u32_e64 s13, 0, v2
	s_delay_alu instid0(VALU_DEP_2) | instskip(SKIP_1) | instid1(VALU_DEP_2)
	v_dual_cndmask_b32 v1, 0, v1, vcc_lo :: v_dual_lshlrev_b32 v3, 2, v3
	v_cndmask_b32_e32 v0, 3, v0, vcc_lo
	v_and_b32_e32 v3, 0xfc, v3
	s_delay_alu instid0(VALU_DEP_2) | instskip(NEXT) | instid1(VALU_DEP_2)
	v_cmp_eq_u64_e32 vcc_lo, 0, v[0:1]
	v_and_or_b32 v0, v0, 3, v3
	s_and_b32 s13, s13, vcc_lo
	s_delay_alu instid0(VALU_DEP_1) | instid1(SALU_CYCLE_1)
	v_cndmask_b32_e64 v0, v0, 0, s13
	s_delay_alu instid0(VALU_DEP_1)
	v_or_b32_e32 v112, v0, v4
.LBB6_14850:                            ;   in Loop: Header=BB6_14192 Depth=3
	s_or_b32 exec_lo, exec_lo, s76
                                        ; implicit-def: $vgpr4
.LBB6_14851:                            ;   in Loop: Header=BB6_14192 Depth=3
	s_and_not1_saveexec_b32 s13, s75
; %bb.14852:                            ;   in Loop: Header=BB6_14192 Depth=3
	v_or_b32_e32 v112, 0x7b, v4
; %bb.14853:                            ;   in Loop: Header=BB6_14192 Depth=3
	s_or_b32 exec_lo, exec_lo, s13
                                        ; implicit-def: $vgpr2
                                        ; implicit-def: $vgpr0_vgpr1
                                        ; implicit-def: $vgpr3
.LBB6_14854:                            ;   in Loop: Header=BB6_14192 Depth=3
	s_and_not1_saveexec_b32 s13, s74
	s_cbranch_execz .LBB6_14860
; %bb.14855:                            ;   in Loop: Header=BB6_14192 Depth=3
	s_mov_b32 s74, exec_lo
                                        ; implicit-def: $vgpr112
	v_cmpx_ne_u64_e32 0, v[0:1]
	s_xor_b32 s74, exec_lo, s74
; %bb.14856:                            ;   in Loop: Header=BB6_14192 Depth=3
	v_or_b32_e32 v112, 0x7f, v3
                                        ; implicit-def: $vgpr2
; %bb.14857:                            ;   in Loop: Header=BB6_14192 Depth=3
	s_and_not1_saveexec_b32 s74, s74
; %bb.14858:                            ;   in Loop: Header=BB6_14192 Depth=3
	v_cmp_lt_i32_e32 vcc_lo, -1, v2
	v_mov_b32_e32 v0, 0x7c
	s_delay_alu instid0(VALU_DEP_1)
	v_cndmask_b32_e32 v112, 0xfc, v0, vcc_lo
; %bb.14859:                            ;   in Loop: Header=BB6_14192 Depth=3
	s_or_b32 exec_lo, exec_lo, s74
.LBB6_14860:                            ;   in Loop: Header=BB6_14192 Depth=3
	s_delay_alu instid0(SALU_CYCLE_1) | instskip(SKIP_2) | instid1(VALU_DEP_1)
	s_or_b32 exec_lo, exec_lo, s13
	v_dual_lshrrev_b32 v0, 16, v9 :: v_dual_mov_b32 v2, 0
	s_mov_b32 s13, exec_lo
	v_and_b32_e32 v1, 0xff, v0
	s_delay_alu instid0(VALU_DEP_1)
	v_cmpx_ne_u16_e32 0, v1
	s_cbranch_execz .LBB6_14870
; %bb.14861:                            ;   in Loop: Header=BB6_14192 Depth=3
	v_bfrev_b32_e32 v2, 1
	s_mov_b32 s74, exec_lo
	v_cmpx_ne_u16_e32 0x80, v1
	s_cbranch_execz .LBB6_14869
; %bb.14862:                            ;   in Loop: Header=BB6_14192 Depth=3
	v_and_b32_e32 v2, 0x7c0000, v9
	v_bfe_u32 v1, v9, 16, 2
	s_delay_alu instid0(VALU_DEP_2) | instskip(SKIP_1) | instid1(SALU_CYCLE_1)
	v_cmp_ne_u32_e32 vcc_lo, 0x7c0000, v2
                                        ; implicit-def: $vgpr2
	s_and_saveexec_b32 s75, vcc_lo
	s_xor_b32 s75, exec_lo, s75
	s_cbranch_execz .LBB6_14866
; %bb.14863:                            ;   in Loop: Header=BB6_14192 Depth=3
	v_bfe_u32 v2, v9, 18, 5
	s_mov_b32 s76, exec_lo
	s_delay_alu instid0(VALU_DEP_1)
	v_cmpx_eq_u32_e32 0, v2
; %bb.14864:                            ;   in Loop: Header=BB6_14192 Depth=3
	v_clz_i32_u32_e32 v1, v1
	s_delay_alu instid0(VALU_DEP_1) | instskip(NEXT) | instid1(VALU_DEP_1)
	v_min_u32_e32 v1, 32, v1
	v_subrev_nc_u32_e32 v2, 29, v1
	s_delay_alu instid0(VALU_DEP_1) | instskip(NEXT) | instid1(VALU_DEP_1)
	v_lshlrev_b64_e32 v[4:5], v2, v[0:1]
	v_dual_sub_nc_u32 v2, 30, v1 :: v_dual_bitop2_b32 v1, 3, v4 bitop3:0x40
; %bb.14865:                            ;   in Loop: Header=BB6_14192 Depth=3
	s_or_b32 exec_lo, exec_lo, s76
	v_lshlrev_b32_e32 v0, 24, v0
	s_delay_alu instid0(VALU_DEP_1) | instskip(NEXT) | instid1(VALU_DEP_1)
	v_and_b32_e32 v0, 0x80000000, v0
	v_lshl_add_u32 v0, v2, 23, v0
	s_delay_alu instid0(VALU_DEP_1) | instskip(NEXT) | instid1(VALU_DEP_1)
	v_lshl_or_b32 v0, v1, 21, v0
                                        ; implicit-def: $vgpr1
	v_add_nc_u32_e32 v2, 0x38000000, v0
                                        ; implicit-def: $vgpr0
.LBB6_14866:                            ;   in Loop: Header=BB6_14192 Depth=3
	s_and_not1_saveexec_b32 s75, s75
; %bb.14867:                            ;   in Loop: Header=BB6_14192 Depth=3
	v_bfe_i32 v0, v0, 0, 8
	s_delay_alu instid0(VALU_DEP_1) | instskip(SKIP_1) | instid1(VALU_DEP_1)
	v_cmp_lt_i16_e32 vcc_lo, -1, v0
	v_mov_b32_e32 v0, 0x7f800000
	v_cndmask_b32_e32 v0, 0xff800000, v0, vcc_lo
	v_cmp_eq_u32_e32 vcc_lo, 0, v1
	s_delay_alu instid0(VALU_DEP_2)
	v_cndmask_b32_e32 v2, 0x7f800001, v0, vcc_lo
; %bb.14868:                            ;   in Loop: Header=BB6_14192 Depth=3
	s_or_b32 exec_lo, exec_lo, s75
.LBB6_14869:                            ;   in Loop: Header=BB6_14192 Depth=3
	s_delay_alu instid0(SALU_CYCLE_1)
	s_or_b32 exec_lo, exec_lo, s74
.LBB6_14870:                            ;   in Loop: Header=BB6_14192 Depth=3
	s_delay_alu instid0(SALU_CYCLE_1) | instskip(NEXT) | instid1(VALU_DEP_1)
	s_or_b32 exec_lo, exec_lo, s13
	v_dual_mul_f32 v2, s73, v2 :: v_dual_mov_b32 v5, v113
	v_mov_b32_e32 v1, v113
                                        ; implicit-def: $vgpr117
	s_mov_b32 s13, exec_lo
	s_delay_alu instid0(VALU_DEP_2) | instskip(SKIP_2) | instid1(VALU_DEP_3)
	v_and_b32_e32 v4, 0x7f800000, v2
	v_and_b32_e32 v0, 0x7fffff, v2
	v_lshrrev_b32_e32 v3, 24, v2
	v_cmpx_ne_u64_e32 0x7f800000, v[4:5]
	s_xor_b32 s74, exec_lo, s13
	s_cbranch_execz .LBB6_14884
; %bb.14871:                            ;   in Loop: Header=BB6_14192 Depth=3
	v_and_b32_e32 v4, 0x7fffffff, v2
	v_mov_b32_e32 v5, v113
                                        ; implicit-def: $vgpr117
	s_delay_alu instid0(VALU_DEP_1) | instskip(SKIP_2) | instid1(SALU_CYCLE_1)
	v_cmp_gt_u64_e32 vcc_lo, 0x47600001, v[4:5]
	v_and_b32_e32 v4, 0x80, v3
	s_and_saveexec_b32 s13, vcc_lo
	s_xor_b32 s75, exec_lo, s13
	s_cbranch_execz .LBB6_14881
; %bb.14872:                            ;   in Loop: Header=BB6_14192 Depth=3
	v_mov_b32_e32 v117, 0
	s_mov_b32 s76, exec_lo
	v_cmpx_ne_u32_e32 0, v2
	s_cbranch_execz .LBB6_14880
; %bb.14873:                            ;   in Loop: Header=BB6_14192 Depth=3
	v_bfe_u32 v5, v2, 23, 8
	v_or_b32_e32 v3, 0x800000, v0
	s_delay_alu instid0(VALU_DEP_2) | instskip(SKIP_2) | instid1(VALU_DEP_2)
	v_cmp_gt_u32_e64 s13, 0x72, v5
	v_sub_nc_u32_e32 v2, 0x71, v5
	v_cmp_eq_u32_e32 vcc_lo, 0, v5
	v_dual_cndmask_b32 v2, 0, v2, s13 :: v_dual_cndmask_b32 v0, v3, v0, vcc_lo
	s_delay_alu instid0(VALU_DEP_1) | instskip(NEXT) | instid1(VALU_DEP_1)
	v_cndmask_b32_e64 v12, v2, 0x70, vcc_lo
	v_dual_add_nc_u32 v2, 21, v12 :: v_dual_add_nc_u32 v13, 20, v12
	s_delay_alu instid0(VALU_DEP_1) | instskip(NEXT) | instid1(VALU_DEP_2)
	v_lshlrev_b64_e64 v[2:3], v2, -1
	v_lshlrev_b64_e64 v[14:15], v13, 1
	s_delay_alu instid0(VALU_DEP_2) | instskip(SKIP_1) | instid1(VALU_DEP_4)
	v_bfi_b32 v2, v2, 0, v0
	v_lshrrev_b64 v[0:1], v12, v[0:1]
	v_bfi_b32 v3, v3, 0, 0
	s_delay_alu instid0(VALU_DEP_1) | instskip(NEXT) | instid1(VALU_DEP_3)
	v_cmp_eq_u64_e64 s13, v[2:3], v[14:15]
	v_mov_b64_e32 v[2:3], v[0:1]
	s_and_saveexec_b32 s77, s13
; %bb.14874:                            ;   in Loop: Header=BB6_14192 Depth=3
	v_bfe_u32 v2, v0, 21, 1
	v_mov_b32_e32 v3, v113
	s_delay_alu instid0(VALU_DEP_1) | instskip(NEXT) | instid1(VALU_DEP_1)
	v_add_nc_u64_e32 v[2:3], v[0:1], v[2:3]
	v_add_nc_u64_e32 v[2:3], -1, v[2:3]
; %bb.14875:                            ;   in Loop: Header=BB6_14192 Depth=3
	s_or_b32 exec_lo, exec_lo, s77
	v_add_nc_u32_e32 v1, 0xffffff81, v5
	v_lshrrev_b32_e32 v3, 23, v0
	s_mov_b32 s13, exec_lo
	s_delay_alu instid0(VALU_DEP_2) | instskip(NEXT) | instid1(VALU_DEP_1)
	v_cndmask_b32_e64 v1, v1, 0xffffff82, vcc_lo
	v_add3_u32 v3, v12, v1, v3
	v_and_b32_e32 v1, 0x1fffff, v2
                                        ; implicit-def: $vgpr2
	s_delay_alu instid0(VALU_DEP_1) | instskip(SKIP_1) | instid1(VALU_DEP_2)
	v_dual_add_nc_u32 v5, 14, v3 :: v_dual_add_nc_u32 v0, v1, v0
	v_mov_b32_e32 v1, v113
	v_cmpx_ne_u32_e32 0, v5
	s_xor_b32 s13, exec_lo, s13
; %bb.14876:                            ;   in Loop: Header=BB6_14192 Depth=3
	s_delay_alu instid0(VALU_DEP_2) | instskip(SKIP_2) | instid1(VALU_DEP_2)
	v_cmp_lt_u64_e32 vcc_lo, 0xffffff, v[0:1]
	v_add_nc_u32_e32 v2, 15, v3
	v_cndmask_b32_e64 v3, 0, 1, vcc_lo
	v_cndmask_b32_e32 v2, v5, v2, vcc_lo
	s_delay_alu instid0(VALU_DEP_2)
	v_lshrrev_b64 v[0:1], v3, v[0:1]
; %bb.14877:                            ;   in Loop: Header=BB6_14192 Depth=3
	s_and_not1_saveexec_b32 s13, s13
; %bb.14878:                            ;   in Loop: Header=BB6_14192 Depth=3
	s_delay_alu instid0(VALU_DEP_1)
	v_bfe_u32 v2, v0, 23, 1
; %bb.14879:                            ;   in Loop: Header=BB6_14192 Depth=3
	s_or_b32 exec_lo, exec_lo, s13
	s_delay_alu instid0(VALU_DEP_2) | instskip(NEXT) | instid1(VALU_DEP_2)
	v_lshrrev_b64 v[0:1], 21, v[0:1]
	v_cmp_gt_i32_e32 vcc_lo, 32, v2
	v_min_i32_e32 v3, 31, v2
	v_cmp_eq_u32_e64 s13, 0, v2
	s_delay_alu instid0(VALU_DEP_2) | instskip(SKIP_1) | instid1(VALU_DEP_2)
	v_dual_cndmask_b32 v1, 0, v1, vcc_lo :: v_dual_lshlrev_b32 v3, 2, v3
	v_cndmask_b32_e32 v0, 3, v0, vcc_lo
	v_and_b32_e32 v3, 0xfc, v3
	s_delay_alu instid0(VALU_DEP_2) | instskip(NEXT) | instid1(VALU_DEP_2)
	v_cmp_eq_u64_e32 vcc_lo, 0, v[0:1]
	v_and_or_b32 v0, v0, 3, v3
	s_and_b32 s13, s13, vcc_lo
	s_delay_alu instid0(VALU_DEP_1) | instid1(SALU_CYCLE_1)
	v_cndmask_b32_e64 v0, v0, 0, s13
	s_delay_alu instid0(VALU_DEP_1)
	v_or_b32_e32 v117, v0, v4
.LBB6_14880:                            ;   in Loop: Header=BB6_14192 Depth=3
	s_or_b32 exec_lo, exec_lo, s76
                                        ; implicit-def: $vgpr4
.LBB6_14881:                            ;   in Loop: Header=BB6_14192 Depth=3
	s_and_not1_saveexec_b32 s13, s75
; %bb.14882:                            ;   in Loop: Header=BB6_14192 Depth=3
	v_or_b32_e32 v117, 0x7b, v4
; %bb.14883:                            ;   in Loop: Header=BB6_14192 Depth=3
	s_or_b32 exec_lo, exec_lo, s13
                                        ; implicit-def: $vgpr2
                                        ; implicit-def: $vgpr0_vgpr1
                                        ; implicit-def: $vgpr3
.LBB6_14884:                            ;   in Loop: Header=BB6_14192 Depth=3
	s_and_not1_saveexec_b32 s13, s74
	s_cbranch_execz .LBB6_14890
; %bb.14885:                            ;   in Loop: Header=BB6_14192 Depth=3
	s_mov_b32 s74, exec_lo
                                        ; implicit-def: $vgpr117
	v_cmpx_ne_u64_e32 0, v[0:1]
	s_xor_b32 s74, exec_lo, s74
; %bb.14886:                            ;   in Loop: Header=BB6_14192 Depth=3
	v_or_b32_e32 v117, 0x7f, v3
                                        ; implicit-def: $vgpr2
; %bb.14887:                            ;   in Loop: Header=BB6_14192 Depth=3
	s_and_not1_saveexec_b32 s74, s74
; %bb.14888:                            ;   in Loop: Header=BB6_14192 Depth=3
	v_cmp_lt_i32_e32 vcc_lo, -1, v2
	v_mov_b32_e32 v0, 0x7c
	s_delay_alu instid0(VALU_DEP_1)
	v_cndmask_b32_e32 v117, 0xfc, v0, vcc_lo
; %bb.14889:                            ;   in Loop: Header=BB6_14192 Depth=3
	s_or_b32 exec_lo, exec_lo, s74
.LBB6_14890:                            ;   in Loop: Header=BB6_14192 Depth=3
	s_delay_alu instid0(SALU_CYCLE_1)
	s_or_b32 exec_lo, exec_lo, s13
	v_mov_b32_e32 v1, 0
	s_mov_b32 s13, exec_lo
	v_cmpx_lt_u64_e64 s[22:23], v[8:9]
	s_cbranch_execz .LBB6_14900
; %bb.14891:                            ;   in Loop: Header=BB6_14192 Depth=3
	v_lshrrev_b32_e32 v0, 24, v9
	v_bfrev_b32_e32 v1, 1
	s_mov_b32 s74, exec_lo
	s_delay_alu instid0(VALU_DEP_2)
	v_cmpx_ne_u32_e32 0x80, v0
	s_cbranch_execz .LBB6_14899
; %bb.14892:                            ;   in Loop: Header=BB6_14192 Depth=3
	v_and_b32_e32 v1, 0x7c000000, v9
	v_bfe_u32 v2, v9, 24, 2
	s_delay_alu instid0(VALU_DEP_2) | instskip(SKIP_1) | instid1(SALU_CYCLE_1)
	v_cmp_ne_u32_e32 vcc_lo, 0x7c000000, v1
                                        ; implicit-def: $vgpr1
	s_and_saveexec_b32 s75, vcc_lo
	s_xor_b32 s75, exec_lo, s75
	s_cbranch_execz .LBB6_14896
; %bb.14893:                            ;   in Loop: Header=BB6_14192 Depth=3
	v_bfe_u32 v1, v9, 26, 5
	s_mov_b32 s76, exec_lo
	s_delay_alu instid0(VALU_DEP_1)
	v_cmpx_eq_u32_e32 0, v1
; %bb.14894:                            ;   in Loop: Header=BB6_14192 Depth=3
	v_clz_i32_u32_e32 v1, v2
	s_delay_alu instid0(VALU_DEP_1) | instskip(NEXT) | instid1(VALU_DEP_1)
	v_min_u32_e32 v2, 32, v1
	v_subrev_nc_u32_e32 v1, 29, v2
	s_delay_alu instid0(VALU_DEP_1) | instskip(NEXT) | instid1(VALU_DEP_1)
	v_lshlrev_b64_e32 v[0:1], v1, v[0:1]
	v_dual_sub_nc_u32 v1, 30, v2 :: v_dual_bitop2_b32 v2, 3, v0 bitop3:0x40
; %bb.14895:                            ;   in Loop: Header=BB6_14192 Depth=3
	s_or_b32 exec_lo, exec_lo, s76
	v_and_b32_e32 v0, 0x80000000, v9
	s_delay_alu instid0(VALU_DEP_1) | instskip(NEXT) | instid1(VALU_DEP_1)
	v_lshl_add_u32 v0, v1, 23, v0
	v_lshl_or_b32 v0, v2, 21, v0
                                        ; implicit-def: $vgpr2
	s_delay_alu instid0(VALU_DEP_1)
	v_add_nc_u32_e32 v1, 0x38000000, v0
.LBB6_14896:                            ;   in Loop: Header=BB6_14192 Depth=3
	s_and_not1_saveexec_b32 s75, s75
; %bb.14897:                            ;   in Loop: Header=BB6_14192 Depth=3
	v_cmp_lt_i64_e32 vcc_lo, -1, v[8:9]
	v_mov_b32_e32 v0, 0x7f800000
	s_delay_alu instid0(VALU_DEP_1) | instskip(SKIP_1) | instid1(VALU_DEP_2)
	v_cndmask_b32_e32 v0, 0xff800000, v0, vcc_lo
	v_cmp_eq_u32_e32 vcc_lo, 0, v2
	v_cndmask_b32_e32 v1, 0x7f800001, v0, vcc_lo
; %bb.14898:                            ;   in Loop: Header=BB6_14192 Depth=3
	s_or_b32 exec_lo, exec_lo, s75
.LBB6_14899:                            ;   in Loop: Header=BB6_14192 Depth=3
	s_delay_alu instid0(SALU_CYCLE_1)
	s_or_b32 exec_lo, exec_lo, s74
.LBB6_14900:                            ;   in Loop: Header=BB6_14192 Depth=3
	s_delay_alu instid0(SALU_CYCLE_1) | instskip(NEXT) | instid1(VALU_DEP_1)
	s_or_b32 exec_lo, exec_lo, s13
	v_dual_mul_f32 v2, s73, v1 :: v_dual_mov_b32 v5, v113
	v_mov_b32_e32 v1, v113
                                        ; implicit-def: $vgpr41
	s_mov_b32 s13, exec_lo
	s_delay_alu instid0(VALU_DEP_2) | instskip(SKIP_2) | instid1(VALU_DEP_3)
	v_and_b32_e32 v4, 0x7f800000, v2
	v_and_b32_e32 v0, 0x7fffff, v2
	v_lshrrev_b32_e32 v3, 24, v2
	v_cmpx_ne_u64_e32 0x7f800000, v[4:5]
	s_xor_b32 s74, exec_lo, s13
	s_cbranch_execz .LBB6_14914
; %bb.14901:                            ;   in Loop: Header=BB6_14192 Depth=3
	v_and_b32_e32 v4, 0x7fffffff, v2
	v_mov_b32_e32 v5, v113
                                        ; implicit-def: $vgpr41
	s_delay_alu instid0(VALU_DEP_1) | instskip(SKIP_2) | instid1(SALU_CYCLE_1)
	v_cmp_gt_u64_e32 vcc_lo, 0x47600001, v[4:5]
	v_and_b32_e32 v4, 0x80, v3
	s_and_saveexec_b32 s13, vcc_lo
	s_xor_b32 s75, exec_lo, s13
	s_cbranch_execz .LBB6_14911
; %bb.14902:                            ;   in Loop: Header=BB6_14192 Depth=3
	v_mov_b32_e32 v41, 0
	s_mov_b32 s76, exec_lo
	v_cmpx_ne_u32_e32 0, v2
	s_cbranch_execz .LBB6_14910
; %bb.14903:                            ;   in Loop: Header=BB6_14192 Depth=3
	v_bfe_u32 v5, v2, 23, 8
	v_or_b32_e32 v3, 0x800000, v0
	s_delay_alu instid0(VALU_DEP_2) | instskip(SKIP_2) | instid1(VALU_DEP_2)
	v_cmp_gt_u32_e64 s13, 0x72, v5
	v_sub_nc_u32_e32 v2, 0x71, v5
	v_cmp_eq_u32_e32 vcc_lo, 0, v5
	v_dual_cndmask_b32 v2, 0, v2, s13 :: v_dual_cndmask_b32 v0, v3, v0, vcc_lo
	s_delay_alu instid0(VALU_DEP_1) | instskip(NEXT) | instid1(VALU_DEP_1)
	v_cndmask_b32_e64 v8, v2, 0x70, vcc_lo
	v_dual_add_nc_u32 v2, 21, v8 :: v_dual_add_nc_u32 v9, 20, v8
	s_delay_alu instid0(VALU_DEP_1) | instskip(NEXT) | instid1(VALU_DEP_2)
	v_lshlrev_b64_e64 v[2:3], v2, -1
	v_lshlrev_b64_e64 v[12:13], v9, 1
	s_delay_alu instid0(VALU_DEP_2) | instskip(SKIP_1) | instid1(VALU_DEP_4)
	v_bfi_b32 v2, v2, 0, v0
	v_lshrrev_b64 v[0:1], v8, v[0:1]
	v_bfi_b32 v3, v3, 0, 0
	s_delay_alu instid0(VALU_DEP_1) | instskip(NEXT) | instid1(VALU_DEP_3)
	v_cmp_eq_u64_e64 s13, v[2:3], v[12:13]
	v_mov_b64_e32 v[2:3], v[0:1]
	s_and_saveexec_b32 s77, s13
; %bb.14904:                            ;   in Loop: Header=BB6_14192 Depth=3
	v_bfe_u32 v2, v0, 21, 1
	v_mov_b32_e32 v3, v113
	s_delay_alu instid0(VALU_DEP_1) | instskip(NEXT) | instid1(VALU_DEP_1)
	v_add_nc_u64_e32 v[2:3], v[0:1], v[2:3]
	v_add_nc_u64_e32 v[2:3], -1, v[2:3]
; %bb.14905:                            ;   in Loop: Header=BB6_14192 Depth=3
	s_or_b32 exec_lo, exec_lo, s77
	v_add_nc_u32_e32 v1, 0xffffff81, v5
	v_lshrrev_b32_e32 v3, 23, v0
	s_mov_b32 s13, exec_lo
	s_delay_alu instid0(VALU_DEP_2) | instskip(NEXT) | instid1(VALU_DEP_1)
	v_cndmask_b32_e64 v1, v1, 0xffffff82, vcc_lo
	v_add3_u32 v3, v8, v1, v3
	v_and_b32_e32 v1, 0x1fffff, v2
                                        ; implicit-def: $vgpr2
	s_delay_alu instid0(VALU_DEP_1) | instskip(SKIP_1) | instid1(VALU_DEP_2)
	v_dual_add_nc_u32 v5, 14, v3 :: v_dual_add_nc_u32 v0, v1, v0
	v_mov_b32_e32 v1, v113
	v_cmpx_ne_u32_e32 0, v5
	s_xor_b32 s13, exec_lo, s13
; %bb.14906:                            ;   in Loop: Header=BB6_14192 Depth=3
	s_delay_alu instid0(VALU_DEP_2) | instskip(SKIP_2) | instid1(VALU_DEP_2)
	v_cmp_lt_u64_e32 vcc_lo, 0xffffff, v[0:1]
	v_add_nc_u32_e32 v2, 15, v3
	v_cndmask_b32_e64 v3, 0, 1, vcc_lo
	v_cndmask_b32_e32 v2, v5, v2, vcc_lo
	s_delay_alu instid0(VALU_DEP_2)
	v_lshrrev_b64 v[0:1], v3, v[0:1]
; %bb.14907:                            ;   in Loop: Header=BB6_14192 Depth=3
	s_and_not1_saveexec_b32 s13, s13
; %bb.14908:                            ;   in Loop: Header=BB6_14192 Depth=3
	s_delay_alu instid0(VALU_DEP_1)
	v_bfe_u32 v2, v0, 23, 1
; %bb.14909:                            ;   in Loop: Header=BB6_14192 Depth=3
	s_or_b32 exec_lo, exec_lo, s13
	s_delay_alu instid0(VALU_DEP_2) | instskip(NEXT) | instid1(VALU_DEP_2)
	v_lshrrev_b64 v[0:1], 21, v[0:1]
	v_cmp_gt_i32_e32 vcc_lo, 32, v2
	v_min_i32_e32 v3, 31, v2
	v_cmp_eq_u32_e64 s13, 0, v2
	s_delay_alu instid0(VALU_DEP_2) | instskip(SKIP_1) | instid1(VALU_DEP_2)
	v_dual_cndmask_b32 v1, 0, v1, vcc_lo :: v_dual_lshlrev_b32 v3, 2, v3
	v_cndmask_b32_e32 v0, 3, v0, vcc_lo
	v_and_b32_e32 v3, 0xfc, v3
	s_delay_alu instid0(VALU_DEP_2) | instskip(NEXT) | instid1(VALU_DEP_2)
	v_cmp_eq_u64_e32 vcc_lo, 0, v[0:1]
	v_and_or_b32 v0, v0, 3, v3
	s_and_b32 s13, s13, vcc_lo
	s_delay_alu instid0(VALU_DEP_1) | instid1(SALU_CYCLE_1)
	v_cndmask_b32_e64 v0, v0, 0, s13
	s_delay_alu instid0(VALU_DEP_1)
	v_or_b32_e32 v41, v0, v4
.LBB6_14910:                            ;   in Loop: Header=BB6_14192 Depth=3
	s_or_b32 exec_lo, exec_lo, s76
                                        ; implicit-def: $vgpr4
.LBB6_14911:                            ;   in Loop: Header=BB6_14192 Depth=3
	s_and_not1_saveexec_b32 s13, s75
; %bb.14912:                            ;   in Loop: Header=BB6_14192 Depth=3
	v_or_b32_e32 v41, 0x7b, v4
; %bb.14913:                            ;   in Loop: Header=BB6_14192 Depth=3
	s_or_b32 exec_lo, exec_lo, s13
                                        ; implicit-def: $vgpr2
                                        ; implicit-def: $vgpr0_vgpr1
                                        ; implicit-def: $vgpr3
.LBB6_14914:                            ;   in Loop: Header=BB6_14192 Depth=3
	s_and_not1_saveexec_b32 s13, s74
	s_cbranch_execz .LBB6_14920
; %bb.14915:                            ;   in Loop: Header=BB6_14192 Depth=3
	s_mov_b32 s74, exec_lo
                                        ; implicit-def: $vgpr41
	v_cmpx_ne_u64_e32 0, v[0:1]
	s_xor_b32 s74, exec_lo, s74
; %bb.14916:                            ;   in Loop: Header=BB6_14192 Depth=3
	v_or_b32_e32 v41, 0x7f, v3
                                        ; implicit-def: $vgpr2
; %bb.14917:                            ;   in Loop: Header=BB6_14192 Depth=3
	s_and_not1_saveexec_b32 s74, s74
; %bb.14918:                            ;   in Loop: Header=BB6_14192 Depth=3
	v_cmp_lt_i32_e32 vcc_lo, -1, v2
	v_mov_b32_e32 v0, 0x7c
	s_delay_alu instid0(VALU_DEP_1)
	v_cndmask_b32_e32 v41, 0xfc, v0, vcc_lo
; %bb.14919:                            ;   in Loop: Header=BB6_14192 Depth=3
	s_or_b32 exec_lo, exec_lo, s74
.LBB6_14920:                            ;   in Loop: Header=BB6_14192 Depth=3
	s_delay_alu instid0(SALU_CYCLE_1) | instskip(SKIP_1) | instid1(VALU_DEP_1)
	s_or_b32 exec_lo, exec_lo, s13
	v_and_b32_e32 v0, 0xff, v10
	v_cmp_ne_u16_e32 vcc_lo, 0, v0
	v_mov_b32_e32 v0, 0
	s_and_saveexec_b32 s13, vcc_lo
	s_cbranch_execz .LBB6_14930
; %bb.14921:                            ;   in Loop: Header=BB6_14192 Depth=3
	v_bfe_i32 v2, v10, 0, 8
	v_bfrev_b32_e32 v0, 1
	s_mov_b32 s74, exec_lo
	s_delay_alu instid0(VALU_DEP_2)
	v_cmpx_ne_u16_e32 0xff80, v2
	s_cbranch_execz .LBB6_14929
; %bb.14922:                            ;   in Loop: Header=BB6_14192 Depth=3
	v_and_b32_e32 v0, 0x7c, v10
	v_and_b32_e32 v1, 3, v10
	s_delay_alu instid0(VALU_DEP_2) | instskip(SKIP_1) | instid1(SALU_CYCLE_1)
	v_cmp_ne_u32_e32 vcc_lo, 0x7c, v0
                                        ; implicit-def: $vgpr0
	s_and_saveexec_b32 s75, vcc_lo
	s_xor_b32 s75, exec_lo, s75
	s_cbranch_execz .LBB6_14926
; %bb.14923:                            ;   in Loop: Header=BB6_14192 Depth=3
	v_bfe_u32 v0, v10, 2, 5
	s_mov_b32 s76, exec_lo
	s_delay_alu instid0(VALU_DEP_1)
	v_cmpx_eq_u32_e32 0, v0
; %bb.14924:                            ;   in Loop: Header=BB6_14192 Depth=3
	v_clz_i32_u32_e32 v0, v1
	s_delay_alu instid0(VALU_DEP_1) | instskip(NEXT) | instid1(VALU_DEP_1)
	v_min_u32_e32 v0, 32, v0
	v_subrev_nc_u32_e32 v1, 29, v0
	s_delay_alu instid0(VALU_DEP_1) | instskip(NEXT) | instid1(VALU_DEP_1)
	v_lshlrev_b64_e32 v[2:3], v1, v[10:11]
	v_dual_sub_nc_u32 v0, 30, v0 :: v_dual_bitop2_b32 v1, 3, v2 bitop3:0x40
; %bb.14925:                            ;   in Loop: Header=BB6_14192 Depth=3
	s_or_b32 exec_lo, exec_lo, s76
	v_lshlrev_b32_e32 v2, 24, v10
	s_delay_alu instid0(VALU_DEP_1) | instskip(NEXT) | instid1(VALU_DEP_1)
	v_and_b32_e32 v2, 0x80000000, v2
	v_lshl_add_u32 v0, v0, 23, v2
                                        ; implicit-def: $vgpr2
	s_delay_alu instid0(VALU_DEP_1) | instskip(NEXT) | instid1(VALU_DEP_1)
	v_lshl_or_b32 v0, v1, 21, v0
                                        ; implicit-def: $vgpr1
	v_add_nc_u32_e32 v0, 0x38000000, v0
.LBB6_14926:                            ;   in Loop: Header=BB6_14192 Depth=3
	s_and_not1_saveexec_b32 s75, s75
; %bb.14927:                            ;   in Loop: Header=BB6_14192 Depth=3
	v_cmp_lt_i16_e32 vcc_lo, -1, v2
	v_mov_b32_e32 v0, 0x7f800000
	s_delay_alu instid0(VALU_DEP_1) | instskip(SKIP_1) | instid1(VALU_DEP_2)
	v_cndmask_b32_e32 v0, 0xff800000, v0, vcc_lo
	v_cmp_eq_u32_e32 vcc_lo, 0, v1
	v_cndmask_b32_e32 v0, 0x7f800001, v0, vcc_lo
; %bb.14928:                            ;   in Loop: Header=BB6_14192 Depth=3
	s_or_b32 exec_lo, exec_lo, s75
.LBB6_14929:                            ;   in Loop: Header=BB6_14192 Depth=3
	s_delay_alu instid0(SALU_CYCLE_1)
	s_or_b32 exec_lo, exec_lo, s74
.LBB6_14930:                            ;   in Loop: Header=BB6_14192 Depth=3
	s_delay_alu instid0(SALU_CYCLE_1) | instskip(NEXT) | instid1(VALU_DEP_1)
	s_or_b32 exec_lo, exec_lo, s13
	v_dual_mul_f32 v2, s73, v0 :: v_dual_mov_b32 v5, v113
	v_mov_b32_e32 v1, v113
                                        ; implicit-def: $vgpr86
	s_mov_b32 s13, exec_lo
	s_delay_alu instid0(VALU_DEP_2) | instskip(SKIP_2) | instid1(VALU_DEP_3)
	v_and_b32_e32 v4, 0x7f800000, v2
	v_and_b32_e32 v0, 0x7fffff, v2
	v_lshrrev_b32_e32 v3, 24, v2
	v_cmpx_ne_u64_e32 0x7f800000, v[4:5]
	s_xor_b32 s74, exec_lo, s13
	s_cbranch_execz .LBB6_14944
; %bb.14931:                            ;   in Loop: Header=BB6_14192 Depth=3
	v_and_b32_e32 v4, 0x7fffffff, v2
	v_mov_b32_e32 v5, v113
                                        ; implicit-def: $vgpr86
	s_delay_alu instid0(VALU_DEP_1) | instskip(SKIP_2) | instid1(SALU_CYCLE_1)
	v_cmp_gt_u64_e32 vcc_lo, 0x47600001, v[4:5]
	v_and_b32_e32 v4, 0x80, v3
	s_and_saveexec_b32 s13, vcc_lo
	s_xor_b32 s75, exec_lo, s13
	s_cbranch_execz .LBB6_14941
; %bb.14932:                            ;   in Loop: Header=BB6_14192 Depth=3
	v_mov_b32_e32 v86, 0
	s_mov_b32 s76, exec_lo
	v_cmpx_ne_u32_e32 0, v2
	s_cbranch_execz .LBB6_14940
; %bb.14933:                            ;   in Loop: Header=BB6_14192 Depth=3
	v_bfe_u32 v5, v2, 23, 8
	v_or_b32_e32 v3, 0x800000, v0
	s_delay_alu instid0(VALU_DEP_2) | instskip(SKIP_2) | instid1(VALU_DEP_2)
	v_cmp_gt_u32_e64 s13, 0x72, v5
	v_sub_nc_u32_e32 v2, 0x71, v5
	v_cmp_eq_u32_e32 vcc_lo, 0, v5
	v_dual_cndmask_b32 v2, 0, v2, s13 :: v_dual_cndmask_b32 v0, v3, v0, vcc_lo
	s_delay_alu instid0(VALU_DEP_1) | instskip(NEXT) | instid1(VALU_DEP_1)
	v_cndmask_b32_e64 v8, v2, 0x70, vcc_lo
	v_dual_add_nc_u32 v2, 21, v8 :: v_dual_add_nc_u32 v9, 20, v8
	s_delay_alu instid0(VALU_DEP_1) | instskip(NEXT) | instid1(VALU_DEP_2)
	v_lshlrev_b64_e64 v[2:3], v2, -1
	v_lshlrev_b64_e64 v[12:13], v9, 1
	s_delay_alu instid0(VALU_DEP_2) | instskip(SKIP_1) | instid1(VALU_DEP_4)
	v_bfi_b32 v2, v2, 0, v0
	v_lshrrev_b64 v[0:1], v8, v[0:1]
	v_bfi_b32 v3, v3, 0, 0
	s_delay_alu instid0(VALU_DEP_1) | instskip(NEXT) | instid1(VALU_DEP_3)
	v_cmp_eq_u64_e64 s13, v[2:3], v[12:13]
	v_mov_b64_e32 v[2:3], v[0:1]
	s_and_saveexec_b32 s77, s13
; %bb.14934:                            ;   in Loop: Header=BB6_14192 Depth=3
	v_bfe_u32 v2, v0, 21, 1
	v_mov_b32_e32 v3, v113
	s_delay_alu instid0(VALU_DEP_1) | instskip(NEXT) | instid1(VALU_DEP_1)
	v_add_nc_u64_e32 v[2:3], v[0:1], v[2:3]
	v_add_nc_u64_e32 v[2:3], -1, v[2:3]
; %bb.14935:                            ;   in Loop: Header=BB6_14192 Depth=3
	s_or_b32 exec_lo, exec_lo, s77
	v_add_nc_u32_e32 v1, 0xffffff81, v5
	v_lshrrev_b32_e32 v3, 23, v0
	s_mov_b32 s13, exec_lo
	s_delay_alu instid0(VALU_DEP_2) | instskip(NEXT) | instid1(VALU_DEP_1)
	v_cndmask_b32_e64 v1, v1, 0xffffff82, vcc_lo
	v_add3_u32 v3, v8, v1, v3
	v_and_b32_e32 v1, 0x1fffff, v2
                                        ; implicit-def: $vgpr2
	s_delay_alu instid0(VALU_DEP_1) | instskip(SKIP_1) | instid1(VALU_DEP_2)
	v_dual_add_nc_u32 v5, 14, v3 :: v_dual_add_nc_u32 v0, v1, v0
	v_mov_b32_e32 v1, v113
	v_cmpx_ne_u32_e32 0, v5
	s_xor_b32 s13, exec_lo, s13
; %bb.14936:                            ;   in Loop: Header=BB6_14192 Depth=3
	s_delay_alu instid0(VALU_DEP_2) | instskip(SKIP_2) | instid1(VALU_DEP_2)
	v_cmp_lt_u64_e32 vcc_lo, 0xffffff, v[0:1]
	v_add_nc_u32_e32 v2, 15, v3
	v_cndmask_b32_e64 v3, 0, 1, vcc_lo
	v_cndmask_b32_e32 v2, v5, v2, vcc_lo
	s_delay_alu instid0(VALU_DEP_2)
	v_lshrrev_b64 v[0:1], v3, v[0:1]
; %bb.14937:                            ;   in Loop: Header=BB6_14192 Depth=3
	s_and_not1_saveexec_b32 s13, s13
; %bb.14938:                            ;   in Loop: Header=BB6_14192 Depth=3
	s_delay_alu instid0(VALU_DEP_1)
	v_bfe_u32 v2, v0, 23, 1
; %bb.14939:                            ;   in Loop: Header=BB6_14192 Depth=3
	s_or_b32 exec_lo, exec_lo, s13
	s_delay_alu instid0(VALU_DEP_2) | instskip(NEXT) | instid1(VALU_DEP_2)
	v_lshrrev_b64 v[0:1], 21, v[0:1]
	v_cmp_gt_i32_e32 vcc_lo, 32, v2
	v_min_i32_e32 v3, 31, v2
	v_cmp_eq_u32_e64 s13, 0, v2
	s_delay_alu instid0(VALU_DEP_2) | instskip(SKIP_1) | instid1(VALU_DEP_2)
	v_dual_cndmask_b32 v1, 0, v1, vcc_lo :: v_dual_lshlrev_b32 v3, 2, v3
	v_cndmask_b32_e32 v0, 3, v0, vcc_lo
	v_and_b32_e32 v3, 0xfc, v3
	s_delay_alu instid0(VALU_DEP_2) | instskip(NEXT) | instid1(VALU_DEP_2)
	v_cmp_eq_u64_e32 vcc_lo, 0, v[0:1]
	v_and_or_b32 v0, v0, 3, v3
	s_and_b32 s13, s13, vcc_lo
	s_delay_alu instid0(VALU_DEP_1) | instid1(SALU_CYCLE_1)
	v_cndmask_b32_e64 v0, v0, 0, s13
	s_delay_alu instid0(VALU_DEP_1)
	v_or_b32_e32 v86, v0, v4
.LBB6_14940:                            ;   in Loop: Header=BB6_14192 Depth=3
	s_or_b32 exec_lo, exec_lo, s76
                                        ; implicit-def: $vgpr4
.LBB6_14941:                            ;   in Loop: Header=BB6_14192 Depth=3
	s_and_not1_saveexec_b32 s13, s75
; %bb.14942:                            ;   in Loop: Header=BB6_14192 Depth=3
	v_or_b32_e32 v86, 0x7b, v4
; %bb.14943:                            ;   in Loop: Header=BB6_14192 Depth=3
	s_or_b32 exec_lo, exec_lo, s13
                                        ; implicit-def: $vgpr2
                                        ; implicit-def: $vgpr0_vgpr1
                                        ; implicit-def: $vgpr3
.LBB6_14944:                            ;   in Loop: Header=BB6_14192 Depth=3
	s_and_not1_saveexec_b32 s13, s74
	s_cbranch_execz .LBB6_14950
; %bb.14945:                            ;   in Loop: Header=BB6_14192 Depth=3
	s_mov_b32 s74, exec_lo
                                        ; implicit-def: $vgpr86
	v_cmpx_ne_u64_e32 0, v[0:1]
	s_xor_b32 s74, exec_lo, s74
; %bb.14946:                            ;   in Loop: Header=BB6_14192 Depth=3
	v_or_b32_e32 v86, 0x7f, v3
                                        ; implicit-def: $vgpr2
; %bb.14947:                            ;   in Loop: Header=BB6_14192 Depth=3
	s_and_not1_saveexec_b32 s74, s74
; %bb.14948:                            ;   in Loop: Header=BB6_14192 Depth=3
	v_cmp_lt_i32_e32 vcc_lo, -1, v2
	v_mov_b32_e32 v0, 0x7c
	s_delay_alu instid0(VALU_DEP_1)
	v_cndmask_b32_e32 v86, 0xfc, v0, vcc_lo
; %bb.14949:                            ;   in Loop: Header=BB6_14192 Depth=3
	s_or_b32 exec_lo, exec_lo, s74
.LBB6_14950:                            ;   in Loop: Header=BB6_14192 Depth=3
	s_delay_alu instid0(SALU_CYCLE_1) | instskip(SKIP_3) | instid1(VALU_DEP_2)
	s_or_b32 exec_lo, exec_lo, s13
	v_lshrrev_b16 v0, 8, v10
	v_mov_b32_e32 v2, 0
	s_mov_b32 s13, exec_lo
	v_cmpx_ne_u16_e32 0, v0
	s_cbranch_execz .LBB6_14960
; %bb.14951:                            ;   in Loop: Header=BB6_14192 Depth=3
	v_bfrev_b32_e32 v2, 1
	s_mov_b32 s74, exec_lo
	v_cmpx_ne_u16_e32 0x80, v0
	s_cbranch_execz .LBB6_14959
; %bb.14952:                            ;   in Loop: Header=BB6_14192 Depth=3
	v_and_b32_e32 v3, 0xffff, v0
	s_delay_alu instid0(VALU_DEP_1) | instskip(SKIP_1) | instid1(VALU_DEP_2)
	v_and_b32_e32 v2, 0x7c, v3
	v_and_b32_e32 v1, 3, v3
	v_cmp_ne_u32_e32 vcc_lo, 0x7c, v2
                                        ; implicit-def: $vgpr2
	s_and_saveexec_b32 s75, vcc_lo
	s_delay_alu instid0(SALU_CYCLE_1)
	s_xor_b32 s75, exec_lo, s75
	s_cbranch_execz .LBB6_14956
; %bb.14953:                            ;   in Loop: Header=BB6_14192 Depth=3
	v_bfe_u32 v2, v3, 2, 5
	s_mov_b32 s76, exec_lo
	s_delay_alu instid0(VALU_DEP_1)
	v_cmpx_eq_u32_e32 0, v2
	s_cbranch_execz .LBB6_14955
; %bb.14954:                            ;   in Loop: Header=BB6_14192 Depth=3
	v_clz_i32_u32_e32 v1, v1
	s_delay_alu instid0(VALU_DEP_1) | instskip(SKIP_1) | instid1(VALU_DEP_2)
	v_min_u32_e32 v2, 32, v1
	v_mov_b32_e32 v1, v113
	v_subrev_nc_u32_e32 v3, 29, v2
	v_sub_nc_u32_e32 v2, 30, v2
	s_delay_alu instid0(VALU_DEP_2) | instskip(NEXT) | instid1(VALU_DEP_1)
	v_lshlrev_b64_e32 v[0:1], v3, v[0:1]
	v_and_b32_e32 v1, 3, v0
.LBB6_14955:                            ;   in Loop: Header=BB6_14192 Depth=3
	s_or_b32 exec_lo, exec_lo, s76
	v_lshlrev_b32_e32 v0, 16, v10
	s_delay_alu instid0(VALU_DEP_1) | instskip(NEXT) | instid1(VALU_DEP_1)
	v_and_b32_e32 v0, 0x80000000, v0
	v_lshl_add_u32 v0, v2, 23, v0
	s_delay_alu instid0(VALU_DEP_1) | instskip(NEXT) | instid1(VALU_DEP_1)
	v_lshl_or_b32 v0, v1, 21, v0
                                        ; implicit-def: $vgpr1
	v_add_nc_u32_e32 v2, 0x38000000, v0
.LBB6_14956:                            ;   in Loop: Header=BB6_14192 Depth=3
	s_and_not1_saveexec_b32 s75, s75
; %bb.14957:                            ;   in Loop: Header=BB6_14192 Depth=3
	v_cmp_lt_i16_e32 vcc_lo, -1, v10
	v_mov_b32_e32 v0, 0x7f800000
	s_delay_alu instid0(VALU_DEP_1) | instskip(SKIP_1) | instid1(VALU_DEP_2)
	v_cndmask_b32_e32 v0, 0xff800000, v0, vcc_lo
	v_cmp_eq_u32_e32 vcc_lo, 0, v1
	v_cndmask_b32_e32 v2, 0x7f800001, v0, vcc_lo
; %bb.14958:                            ;   in Loop: Header=BB6_14192 Depth=3
	s_or_b32 exec_lo, exec_lo, s75
.LBB6_14959:                            ;   in Loop: Header=BB6_14192 Depth=3
	s_delay_alu instid0(SALU_CYCLE_1)
	s_or_b32 exec_lo, exec_lo, s74
.LBB6_14960:                            ;   in Loop: Header=BB6_14192 Depth=3
	s_delay_alu instid0(SALU_CYCLE_1) | instskip(NEXT) | instid1(VALU_DEP_1)
	s_or_b32 exec_lo, exec_lo, s13
	v_dual_mul_f32 v2, s73, v2 :: v_dual_mov_b32 v5, v113
	v_mov_b32_e32 v1, v113
                                        ; implicit-def: $vgpr101
	s_mov_b32 s13, exec_lo
	s_delay_alu instid0(VALU_DEP_2) | instskip(SKIP_2) | instid1(VALU_DEP_3)
	v_and_b32_e32 v4, 0x7f800000, v2
	v_and_b32_e32 v0, 0x7fffff, v2
	v_lshrrev_b32_e32 v3, 24, v2
	v_cmpx_ne_u64_e32 0x7f800000, v[4:5]
	s_xor_b32 s74, exec_lo, s13
	s_cbranch_execz .LBB6_14974
; %bb.14961:                            ;   in Loop: Header=BB6_14192 Depth=3
	v_and_b32_e32 v4, 0x7fffffff, v2
	v_mov_b32_e32 v5, v113
                                        ; implicit-def: $vgpr101
	s_delay_alu instid0(VALU_DEP_1) | instskip(SKIP_2) | instid1(SALU_CYCLE_1)
	v_cmp_gt_u64_e32 vcc_lo, 0x47600001, v[4:5]
	v_and_b32_e32 v4, 0x80, v3
	s_and_saveexec_b32 s13, vcc_lo
	s_xor_b32 s75, exec_lo, s13
	s_cbranch_execz .LBB6_14971
; %bb.14962:                            ;   in Loop: Header=BB6_14192 Depth=3
	v_mov_b32_e32 v101, 0
	s_mov_b32 s76, exec_lo
	v_cmpx_ne_u32_e32 0, v2
	s_cbranch_execz .LBB6_14970
; %bb.14963:                            ;   in Loop: Header=BB6_14192 Depth=3
	v_bfe_u32 v5, v2, 23, 8
	v_or_b32_e32 v3, 0x800000, v0
	s_delay_alu instid0(VALU_DEP_2) | instskip(SKIP_2) | instid1(VALU_DEP_2)
	v_cmp_gt_u32_e64 s13, 0x72, v5
	v_sub_nc_u32_e32 v2, 0x71, v5
	v_cmp_eq_u32_e32 vcc_lo, 0, v5
	v_dual_cndmask_b32 v2, 0, v2, s13 :: v_dual_cndmask_b32 v0, v3, v0, vcc_lo
	s_delay_alu instid0(VALU_DEP_1) | instskip(NEXT) | instid1(VALU_DEP_1)
	v_cndmask_b32_e64 v8, v2, 0x70, vcc_lo
	v_dual_add_nc_u32 v2, 21, v8 :: v_dual_add_nc_u32 v9, 20, v8
	s_delay_alu instid0(VALU_DEP_1) | instskip(NEXT) | instid1(VALU_DEP_2)
	v_lshlrev_b64_e64 v[2:3], v2, -1
	v_lshlrev_b64_e64 v[12:13], v9, 1
	s_delay_alu instid0(VALU_DEP_2) | instskip(SKIP_1) | instid1(VALU_DEP_4)
	v_bfi_b32 v2, v2, 0, v0
	v_lshrrev_b64 v[0:1], v8, v[0:1]
	v_bfi_b32 v3, v3, 0, 0
	s_delay_alu instid0(VALU_DEP_1) | instskip(NEXT) | instid1(VALU_DEP_3)
	v_cmp_eq_u64_e64 s13, v[2:3], v[12:13]
	v_mov_b64_e32 v[2:3], v[0:1]
	s_and_saveexec_b32 s77, s13
; %bb.14964:                            ;   in Loop: Header=BB6_14192 Depth=3
	v_bfe_u32 v2, v0, 21, 1
	v_mov_b32_e32 v3, v113
	s_delay_alu instid0(VALU_DEP_1) | instskip(NEXT) | instid1(VALU_DEP_1)
	v_add_nc_u64_e32 v[2:3], v[0:1], v[2:3]
	v_add_nc_u64_e32 v[2:3], -1, v[2:3]
; %bb.14965:                            ;   in Loop: Header=BB6_14192 Depth=3
	s_or_b32 exec_lo, exec_lo, s77
	v_add_nc_u32_e32 v1, 0xffffff81, v5
	v_lshrrev_b32_e32 v3, 23, v0
	s_mov_b32 s13, exec_lo
	s_delay_alu instid0(VALU_DEP_2) | instskip(NEXT) | instid1(VALU_DEP_1)
	v_cndmask_b32_e64 v1, v1, 0xffffff82, vcc_lo
	v_add3_u32 v5, v8, v1, v3
	v_and_b32_e32 v1, 0x1fffff, v2
                                        ; implicit-def: $vgpr2
	s_delay_alu instid0(VALU_DEP_1) | instskip(SKIP_1) | instid1(VALU_DEP_2)
	v_dual_add_nc_u32 v3, 14, v5 :: v_dual_add_nc_u32 v0, v1, v0
	v_mov_b32_e32 v1, v113
	v_cmpx_ne_u32_e32 0, v3
	s_xor_b32 s13, exec_lo, s13
; %bb.14966:                            ;   in Loop: Header=BB6_14192 Depth=3
	s_delay_alu instid0(VALU_DEP_2) | instskip(SKIP_1) | instid1(VALU_DEP_1)
	v_cmp_lt_u64_e32 vcc_lo, 0xffffff, v[0:1]
	v_add_nc_u32_e32 v2, 15, v5
	v_cndmask_b32_e32 v2, v3, v2, vcc_lo
	v_cndmask_b32_e64 v3, 0, 1, vcc_lo
	s_delay_alu instid0(VALU_DEP_1)
	v_lshrrev_b64 v[0:1], v3, v[0:1]
; %bb.14967:                            ;   in Loop: Header=BB6_14192 Depth=3
	s_and_not1_saveexec_b32 s13, s13
; %bb.14968:                            ;   in Loop: Header=BB6_14192 Depth=3
	s_delay_alu instid0(VALU_DEP_1)
	v_bfe_u32 v2, v0, 23, 1
; %bb.14969:                            ;   in Loop: Header=BB6_14192 Depth=3
	s_or_b32 exec_lo, exec_lo, s13
	s_delay_alu instid0(VALU_DEP_2) | instskip(NEXT) | instid1(VALU_DEP_2)
	v_lshrrev_b64 v[0:1], 21, v[0:1]
	v_cmp_gt_i32_e32 vcc_lo, 32, v2
	v_min_i32_e32 v3, 31, v2
	v_cmp_eq_u32_e64 s13, 0, v2
	s_delay_alu instid0(VALU_DEP_2) | instskip(SKIP_1) | instid1(VALU_DEP_2)
	v_dual_cndmask_b32 v1, 0, v1, vcc_lo :: v_dual_lshlrev_b32 v3, 2, v3
	v_cndmask_b32_e32 v0, 3, v0, vcc_lo
	v_and_b32_e32 v3, 0xfc, v3
	s_delay_alu instid0(VALU_DEP_2) | instskip(NEXT) | instid1(VALU_DEP_2)
	v_cmp_eq_u64_e32 vcc_lo, 0, v[0:1]
	v_and_or_b32 v0, v0, 3, v3
	s_and_b32 s13, s13, vcc_lo
	s_delay_alu instid0(VALU_DEP_1) | instid1(SALU_CYCLE_1)
	v_cndmask_b32_e64 v0, v0, 0, s13
	s_delay_alu instid0(VALU_DEP_1)
	v_or_b32_e32 v101, v0, v4
.LBB6_14970:                            ;   in Loop: Header=BB6_14192 Depth=3
	s_or_b32 exec_lo, exec_lo, s76
                                        ; implicit-def: $vgpr4
.LBB6_14971:                            ;   in Loop: Header=BB6_14192 Depth=3
	s_and_not1_saveexec_b32 s13, s75
; %bb.14972:                            ;   in Loop: Header=BB6_14192 Depth=3
	v_or_b32_e32 v101, 0x7b, v4
; %bb.14973:                            ;   in Loop: Header=BB6_14192 Depth=3
	s_or_b32 exec_lo, exec_lo, s13
                                        ; implicit-def: $vgpr2
                                        ; implicit-def: $vgpr0_vgpr1
                                        ; implicit-def: $vgpr3
.LBB6_14974:                            ;   in Loop: Header=BB6_14192 Depth=3
	s_and_not1_saveexec_b32 s13, s74
	s_cbranch_execz .LBB6_14980
; %bb.14975:                            ;   in Loop: Header=BB6_14192 Depth=3
	s_mov_b32 s74, exec_lo
                                        ; implicit-def: $vgpr101
	v_cmpx_ne_u64_e32 0, v[0:1]
	s_xor_b32 s74, exec_lo, s74
; %bb.14976:                            ;   in Loop: Header=BB6_14192 Depth=3
	v_or_b32_e32 v101, 0x7f, v3
                                        ; implicit-def: $vgpr2
; %bb.14977:                            ;   in Loop: Header=BB6_14192 Depth=3
	s_and_not1_saveexec_b32 s74, s74
; %bb.14978:                            ;   in Loop: Header=BB6_14192 Depth=3
	v_cmp_lt_i32_e32 vcc_lo, -1, v2
	v_mov_b32_e32 v0, 0x7c
	s_delay_alu instid0(VALU_DEP_1)
	v_cndmask_b32_e32 v101, 0xfc, v0, vcc_lo
; %bb.14979:                            ;   in Loop: Header=BB6_14192 Depth=3
	s_or_b32 exec_lo, exec_lo, s74
.LBB6_14980:                            ;   in Loop: Header=BB6_14192 Depth=3
	s_delay_alu instid0(SALU_CYCLE_1) | instskip(SKIP_2) | instid1(VALU_DEP_1)
	s_or_b32 exec_lo, exec_lo, s13
	v_dual_lshrrev_b32 v0, 16, v10 :: v_dual_mov_b32 v2, 0
	s_mov_b32 s13, exec_lo
	v_and_b32_e32 v1, 0xff, v0
	s_delay_alu instid0(VALU_DEP_1)
	v_cmpx_ne_u16_e32 0, v1
	s_cbranch_execz .LBB6_14990
; %bb.14981:                            ;   in Loop: Header=BB6_14192 Depth=3
	v_bfrev_b32_e32 v2, 1
	s_mov_b32 s74, exec_lo
	v_cmpx_ne_u16_e32 0x80, v1
	s_cbranch_execz .LBB6_14989
; %bb.14982:                            ;   in Loop: Header=BB6_14192 Depth=3
	v_and_b32_e32 v2, 0x7c0000, v10
	v_bfe_u32 v1, v10, 16, 2
	s_delay_alu instid0(VALU_DEP_2) | instskip(SKIP_1) | instid1(SALU_CYCLE_1)
	v_cmp_ne_u32_e32 vcc_lo, 0x7c0000, v2
                                        ; implicit-def: $vgpr2
	s_and_saveexec_b32 s75, vcc_lo
	s_xor_b32 s75, exec_lo, s75
	s_cbranch_execz .LBB6_14986
; %bb.14983:                            ;   in Loop: Header=BB6_14192 Depth=3
	v_bfe_u32 v2, v10, 18, 5
	s_mov_b32 s76, exec_lo
	s_delay_alu instid0(VALU_DEP_1)
	v_cmpx_eq_u32_e32 0, v2
; %bb.14984:                            ;   in Loop: Header=BB6_14192 Depth=3
	v_clz_i32_u32_e32 v1, v1
	s_delay_alu instid0(VALU_DEP_1) | instskip(NEXT) | instid1(VALU_DEP_1)
	v_min_u32_e32 v1, 32, v1
	v_subrev_nc_u32_e32 v2, 29, v1
	s_delay_alu instid0(VALU_DEP_1) | instskip(NEXT) | instid1(VALU_DEP_1)
	v_lshlrev_b64_e32 v[4:5], v2, v[0:1]
	v_dual_sub_nc_u32 v2, 30, v1 :: v_dual_bitop2_b32 v1, 3, v4 bitop3:0x40
; %bb.14985:                            ;   in Loop: Header=BB6_14192 Depth=3
	s_or_b32 exec_lo, exec_lo, s76
	v_lshlrev_b32_e32 v0, 24, v0
	s_delay_alu instid0(VALU_DEP_1) | instskip(NEXT) | instid1(VALU_DEP_1)
	v_and_b32_e32 v0, 0x80000000, v0
	v_lshl_add_u32 v0, v2, 23, v0
	s_delay_alu instid0(VALU_DEP_1) | instskip(NEXT) | instid1(VALU_DEP_1)
	v_lshl_or_b32 v0, v1, 21, v0
                                        ; implicit-def: $vgpr1
	v_add_nc_u32_e32 v2, 0x38000000, v0
                                        ; implicit-def: $vgpr0
.LBB6_14986:                            ;   in Loop: Header=BB6_14192 Depth=3
	s_and_not1_saveexec_b32 s75, s75
; %bb.14987:                            ;   in Loop: Header=BB6_14192 Depth=3
	v_bfe_i32 v0, v0, 0, 8
	s_delay_alu instid0(VALU_DEP_1) | instskip(SKIP_1) | instid1(VALU_DEP_1)
	v_cmp_lt_i16_e32 vcc_lo, -1, v0
	v_mov_b32_e32 v0, 0x7f800000
	v_cndmask_b32_e32 v0, 0xff800000, v0, vcc_lo
	v_cmp_eq_u32_e32 vcc_lo, 0, v1
	s_delay_alu instid0(VALU_DEP_2)
	v_cndmask_b32_e32 v2, 0x7f800001, v0, vcc_lo
; %bb.14988:                            ;   in Loop: Header=BB6_14192 Depth=3
	s_or_b32 exec_lo, exec_lo, s75
.LBB6_14989:                            ;   in Loop: Header=BB6_14192 Depth=3
	s_delay_alu instid0(SALU_CYCLE_1)
	s_or_b32 exec_lo, exec_lo, s74
.LBB6_14990:                            ;   in Loop: Header=BB6_14192 Depth=3
	s_delay_alu instid0(SALU_CYCLE_1) | instskip(NEXT) | instid1(VALU_DEP_1)
	s_or_b32 exec_lo, exec_lo, s13
	v_dual_mul_f32 v2, s73, v2 :: v_dual_mov_b32 v5, v113
	v_mov_b32_e32 v1, v113
                                        ; implicit-def: $vgpr103
	s_mov_b32 s13, exec_lo
	s_delay_alu instid0(VALU_DEP_2) | instskip(SKIP_2) | instid1(VALU_DEP_3)
	v_and_b32_e32 v4, 0x7f800000, v2
	v_and_b32_e32 v0, 0x7fffff, v2
	v_lshrrev_b32_e32 v3, 24, v2
	v_cmpx_ne_u64_e32 0x7f800000, v[4:5]
	s_xor_b32 s74, exec_lo, s13
	s_cbranch_execz .LBB6_15004
; %bb.14991:                            ;   in Loop: Header=BB6_14192 Depth=3
	v_and_b32_e32 v4, 0x7fffffff, v2
	v_mov_b32_e32 v5, v113
                                        ; implicit-def: $vgpr103
	s_delay_alu instid0(VALU_DEP_1) | instskip(SKIP_2) | instid1(SALU_CYCLE_1)
	v_cmp_gt_u64_e32 vcc_lo, 0x47600001, v[4:5]
	v_and_b32_e32 v4, 0x80, v3
	s_and_saveexec_b32 s13, vcc_lo
	s_xor_b32 s75, exec_lo, s13
	s_cbranch_execz .LBB6_15001
; %bb.14992:                            ;   in Loop: Header=BB6_14192 Depth=3
	v_mov_b32_e32 v103, 0
	s_mov_b32 s76, exec_lo
	v_cmpx_ne_u32_e32 0, v2
	s_cbranch_execz .LBB6_15000
; %bb.14993:                            ;   in Loop: Header=BB6_14192 Depth=3
	v_bfe_u32 v5, v2, 23, 8
	v_or_b32_e32 v3, 0x800000, v0
	s_delay_alu instid0(VALU_DEP_2) | instskip(SKIP_2) | instid1(VALU_DEP_2)
	v_cmp_gt_u32_e64 s13, 0x72, v5
	v_sub_nc_u32_e32 v2, 0x71, v5
	v_cmp_eq_u32_e32 vcc_lo, 0, v5
	v_dual_cndmask_b32 v2, 0, v2, s13 :: v_dual_cndmask_b32 v0, v3, v0, vcc_lo
	s_delay_alu instid0(VALU_DEP_1) | instskip(NEXT) | instid1(VALU_DEP_1)
	v_cndmask_b32_e64 v8, v2, 0x70, vcc_lo
	v_dual_add_nc_u32 v2, 21, v8 :: v_dual_add_nc_u32 v9, 20, v8
	s_delay_alu instid0(VALU_DEP_1) | instskip(NEXT) | instid1(VALU_DEP_2)
	v_lshlrev_b64_e64 v[2:3], v2, -1
	v_lshlrev_b64_e64 v[12:13], v9, 1
	s_delay_alu instid0(VALU_DEP_2) | instskip(SKIP_1) | instid1(VALU_DEP_4)
	v_bfi_b32 v2, v2, 0, v0
	v_lshrrev_b64 v[0:1], v8, v[0:1]
	v_bfi_b32 v3, v3, 0, 0
	s_delay_alu instid0(VALU_DEP_1) | instskip(NEXT) | instid1(VALU_DEP_3)
	v_cmp_eq_u64_e64 s13, v[2:3], v[12:13]
	v_mov_b64_e32 v[2:3], v[0:1]
	s_and_saveexec_b32 s77, s13
; %bb.14994:                            ;   in Loop: Header=BB6_14192 Depth=3
	v_bfe_u32 v2, v0, 21, 1
	v_mov_b32_e32 v3, v113
	s_delay_alu instid0(VALU_DEP_1) | instskip(NEXT) | instid1(VALU_DEP_1)
	v_add_nc_u64_e32 v[2:3], v[0:1], v[2:3]
	v_add_nc_u64_e32 v[2:3], -1, v[2:3]
; %bb.14995:                            ;   in Loop: Header=BB6_14192 Depth=3
	s_or_b32 exec_lo, exec_lo, s77
	v_add_nc_u32_e32 v1, 0xffffff81, v5
	v_lshrrev_b32_e32 v3, 23, v0
	s_mov_b32 s13, exec_lo
	s_delay_alu instid0(VALU_DEP_2) | instskip(NEXT) | instid1(VALU_DEP_1)
	v_cndmask_b32_e64 v1, v1, 0xffffff82, vcc_lo
	v_add3_u32 v5, v8, v1, v3
	v_and_b32_e32 v1, 0x1fffff, v2
                                        ; implicit-def: $vgpr2
	s_delay_alu instid0(VALU_DEP_1) | instskip(SKIP_1) | instid1(VALU_DEP_2)
	v_dual_add_nc_u32 v3, 14, v5 :: v_dual_add_nc_u32 v0, v1, v0
	v_mov_b32_e32 v1, v113
	v_cmpx_ne_u32_e32 0, v3
	s_xor_b32 s13, exec_lo, s13
; %bb.14996:                            ;   in Loop: Header=BB6_14192 Depth=3
	s_delay_alu instid0(VALU_DEP_2) | instskip(SKIP_1) | instid1(VALU_DEP_1)
	v_cmp_lt_u64_e32 vcc_lo, 0xffffff, v[0:1]
	v_add_nc_u32_e32 v2, 15, v5
	v_cndmask_b32_e32 v2, v3, v2, vcc_lo
	v_cndmask_b32_e64 v3, 0, 1, vcc_lo
	s_delay_alu instid0(VALU_DEP_1)
	v_lshrrev_b64 v[0:1], v3, v[0:1]
; %bb.14997:                            ;   in Loop: Header=BB6_14192 Depth=3
	s_and_not1_saveexec_b32 s13, s13
; %bb.14998:                            ;   in Loop: Header=BB6_14192 Depth=3
	s_delay_alu instid0(VALU_DEP_1)
	v_bfe_u32 v2, v0, 23, 1
; %bb.14999:                            ;   in Loop: Header=BB6_14192 Depth=3
	s_or_b32 exec_lo, exec_lo, s13
	s_delay_alu instid0(VALU_DEP_2) | instskip(NEXT) | instid1(VALU_DEP_2)
	v_lshrrev_b64 v[0:1], 21, v[0:1]
	v_cmp_gt_i32_e32 vcc_lo, 32, v2
	v_min_i32_e32 v3, 31, v2
	v_cmp_eq_u32_e64 s13, 0, v2
	s_delay_alu instid0(VALU_DEP_2) | instskip(SKIP_1) | instid1(VALU_DEP_2)
	v_dual_cndmask_b32 v1, 0, v1, vcc_lo :: v_dual_lshlrev_b32 v3, 2, v3
	v_cndmask_b32_e32 v0, 3, v0, vcc_lo
	v_and_b32_e32 v3, 0xfc, v3
	s_delay_alu instid0(VALU_DEP_2) | instskip(NEXT) | instid1(VALU_DEP_2)
	v_cmp_eq_u64_e32 vcc_lo, 0, v[0:1]
	v_and_or_b32 v0, v0, 3, v3
	s_and_b32 s13, s13, vcc_lo
	s_delay_alu instid0(VALU_DEP_1) | instid1(SALU_CYCLE_1)
	v_cndmask_b32_e64 v0, v0, 0, s13
	s_delay_alu instid0(VALU_DEP_1)
	v_or_b32_e32 v103, v0, v4
.LBB6_15000:                            ;   in Loop: Header=BB6_14192 Depth=3
	s_or_b32 exec_lo, exec_lo, s76
                                        ; implicit-def: $vgpr4
.LBB6_15001:                            ;   in Loop: Header=BB6_14192 Depth=3
	s_and_not1_saveexec_b32 s13, s75
; %bb.15002:                            ;   in Loop: Header=BB6_14192 Depth=3
	v_or_b32_e32 v103, 0x7b, v4
; %bb.15003:                            ;   in Loop: Header=BB6_14192 Depth=3
	s_or_b32 exec_lo, exec_lo, s13
                                        ; implicit-def: $vgpr2
                                        ; implicit-def: $vgpr0_vgpr1
                                        ; implicit-def: $vgpr3
.LBB6_15004:                            ;   in Loop: Header=BB6_14192 Depth=3
	s_and_not1_saveexec_b32 s13, s74
	s_cbranch_execz .LBB6_15010
; %bb.15005:                            ;   in Loop: Header=BB6_14192 Depth=3
	s_mov_b32 s74, exec_lo
                                        ; implicit-def: $vgpr103
	v_cmpx_ne_u64_e32 0, v[0:1]
	s_xor_b32 s74, exec_lo, s74
; %bb.15006:                            ;   in Loop: Header=BB6_14192 Depth=3
	v_or_b32_e32 v103, 0x7f, v3
                                        ; implicit-def: $vgpr2
; %bb.15007:                            ;   in Loop: Header=BB6_14192 Depth=3
	s_and_not1_saveexec_b32 s74, s74
; %bb.15008:                            ;   in Loop: Header=BB6_14192 Depth=3
	v_cmp_lt_i32_e32 vcc_lo, -1, v2
	v_mov_b32_e32 v0, 0x7c
	s_delay_alu instid0(VALU_DEP_1)
	v_cndmask_b32_e32 v103, 0xfc, v0, vcc_lo
; %bb.15009:                            ;   in Loop: Header=BB6_14192 Depth=3
	s_or_b32 exec_lo, exec_lo, s74
.LBB6_15010:                            ;   in Loop: Header=BB6_14192 Depth=3
	s_delay_alu instid0(SALU_CYCLE_1)
	s_or_b32 exec_lo, exec_lo, s13
	v_mov_b32_e32 v1, 0
	s_mov_b32 s13, exec_lo
	v_cmpx_lt_u32_e32 0xffffff, v10
	s_cbranch_execz .LBB6_15020
; %bb.15011:                            ;   in Loop: Header=BB6_14192 Depth=3
	v_lshrrev_b32_e32 v0, 24, v10
	v_bfrev_b32_e32 v1, 1
	s_mov_b32 s74, exec_lo
	s_delay_alu instid0(VALU_DEP_2)
	v_cmpx_ne_u32_e32 0x80, v0
	s_cbranch_execz .LBB6_15019
; %bb.15012:                            ;   in Loop: Header=BB6_14192 Depth=3
	v_and_b32_e32 v1, 0x7c000000, v10
	v_bfe_u32 v2, v10, 24, 2
	s_delay_alu instid0(VALU_DEP_2) | instskip(SKIP_1) | instid1(SALU_CYCLE_1)
	v_cmp_ne_u32_e32 vcc_lo, 0x7c000000, v1
                                        ; implicit-def: $vgpr1
	s_and_saveexec_b32 s75, vcc_lo
	s_xor_b32 s75, exec_lo, s75
	s_cbranch_execz .LBB6_15016
; %bb.15013:                            ;   in Loop: Header=BB6_14192 Depth=3
	v_bfe_u32 v1, v10, 26, 5
	s_mov_b32 s76, exec_lo
	s_delay_alu instid0(VALU_DEP_1)
	v_cmpx_eq_u32_e32 0, v1
; %bb.15014:                            ;   in Loop: Header=BB6_14192 Depth=3
	v_clz_i32_u32_e32 v1, v2
	s_delay_alu instid0(VALU_DEP_1) | instskip(NEXT) | instid1(VALU_DEP_1)
	v_min_u32_e32 v2, 32, v1
	v_subrev_nc_u32_e32 v1, 29, v2
	s_delay_alu instid0(VALU_DEP_1) | instskip(NEXT) | instid1(VALU_DEP_1)
	v_lshlrev_b64_e32 v[0:1], v1, v[0:1]
	v_dual_sub_nc_u32 v1, 30, v2 :: v_dual_bitop2_b32 v2, 3, v0 bitop3:0x40
; %bb.15015:                            ;   in Loop: Header=BB6_14192 Depth=3
	s_or_b32 exec_lo, exec_lo, s76
	v_and_b32_e32 v0, 0x80000000, v10
	s_delay_alu instid0(VALU_DEP_1) | instskip(NEXT) | instid1(VALU_DEP_1)
	v_lshl_add_u32 v0, v1, 23, v0
	v_lshl_or_b32 v0, v2, 21, v0
                                        ; implicit-def: $vgpr2
	s_delay_alu instid0(VALU_DEP_1)
	v_add_nc_u32_e32 v1, 0x38000000, v0
.LBB6_15016:                            ;   in Loop: Header=BB6_14192 Depth=3
	s_and_not1_saveexec_b32 s75, s75
; %bb.15017:                            ;   in Loop: Header=BB6_14192 Depth=3
	v_cmp_lt_i32_e32 vcc_lo, -1, v10
	v_mov_b32_e32 v0, 0x7f800000
	s_delay_alu instid0(VALU_DEP_1) | instskip(SKIP_1) | instid1(VALU_DEP_2)
	v_cndmask_b32_e32 v0, 0xff800000, v0, vcc_lo
	v_cmp_eq_u32_e32 vcc_lo, 0, v2
	v_cndmask_b32_e32 v1, 0x7f800001, v0, vcc_lo
; %bb.15018:                            ;   in Loop: Header=BB6_14192 Depth=3
	s_or_b32 exec_lo, exec_lo, s75
.LBB6_15019:                            ;   in Loop: Header=BB6_14192 Depth=3
	s_delay_alu instid0(SALU_CYCLE_1)
	s_or_b32 exec_lo, exec_lo, s74
.LBB6_15020:                            ;   in Loop: Header=BB6_14192 Depth=3
	s_delay_alu instid0(SALU_CYCLE_1) | instskip(NEXT) | instid1(VALU_DEP_1)
	s_or_b32 exec_lo, exec_lo, s13
	v_dual_mul_f32 v2, s73, v1 :: v_dual_mov_b32 v5, v113
	v_mov_b32_e32 v1, v113
                                        ; implicit-def: $vgpr116
	s_mov_b32 s13, exec_lo
	s_delay_alu instid0(VALU_DEP_2) | instskip(SKIP_2) | instid1(VALU_DEP_3)
	v_and_b32_e32 v4, 0x7f800000, v2
	v_and_b32_e32 v0, 0x7fffff, v2
	v_lshrrev_b32_e32 v3, 24, v2
	v_cmpx_ne_u64_e32 0x7f800000, v[4:5]
	s_xor_b32 s74, exec_lo, s13
	s_cbranch_execz .LBB6_15034
; %bb.15021:                            ;   in Loop: Header=BB6_14192 Depth=3
	v_and_b32_e32 v4, 0x7fffffff, v2
	v_mov_b32_e32 v5, v113
                                        ; implicit-def: $vgpr116
	s_delay_alu instid0(VALU_DEP_1) | instskip(SKIP_2) | instid1(SALU_CYCLE_1)
	v_cmp_gt_u64_e32 vcc_lo, 0x47600001, v[4:5]
	v_and_b32_e32 v4, 0x80, v3
	s_and_saveexec_b32 s13, vcc_lo
	s_xor_b32 s75, exec_lo, s13
	s_cbranch_execz .LBB6_15031
; %bb.15022:                            ;   in Loop: Header=BB6_14192 Depth=3
	v_mov_b32_e32 v116, 0
	s_mov_b32 s76, exec_lo
	v_cmpx_ne_u32_e32 0, v2
	s_cbranch_execz .LBB6_15030
; %bb.15023:                            ;   in Loop: Header=BB6_14192 Depth=3
	v_bfe_u32 v5, v2, 23, 8
	v_or_b32_e32 v3, 0x800000, v0
	s_delay_alu instid0(VALU_DEP_2) | instskip(SKIP_2) | instid1(VALU_DEP_2)
	v_cmp_gt_u32_e64 s13, 0x72, v5
	v_sub_nc_u32_e32 v2, 0x71, v5
	v_cmp_eq_u32_e32 vcc_lo, 0, v5
	v_dual_cndmask_b32 v2, 0, v2, s13 :: v_dual_cndmask_b32 v0, v3, v0, vcc_lo
	s_delay_alu instid0(VALU_DEP_1) | instskip(NEXT) | instid1(VALU_DEP_1)
	v_cndmask_b32_e64 v8, v2, 0x70, vcc_lo
	v_dual_add_nc_u32 v2, 21, v8 :: v_dual_add_nc_u32 v9, 20, v8
	s_delay_alu instid0(VALU_DEP_1) | instskip(NEXT) | instid1(VALU_DEP_2)
	v_lshlrev_b64_e64 v[2:3], v2, -1
	v_lshlrev_b64_e64 v[12:13], v9, 1
	s_delay_alu instid0(VALU_DEP_2) | instskip(SKIP_1) | instid1(VALU_DEP_4)
	v_bfi_b32 v2, v2, 0, v0
	v_lshrrev_b64 v[0:1], v8, v[0:1]
	v_bfi_b32 v3, v3, 0, 0
	s_delay_alu instid0(VALU_DEP_1) | instskip(NEXT) | instid1(VALU_DEP_3)
	v_cmp_eq_u64_e64 s13, v[2:3], v[12:13]
	v_mov_b64_e32 v[2:3], v[0:1]
	s_and_saveexec_b32 s77, s13
; %bb.15024:                            ;   in Loop: Header=BB6_14192 Depth=3
	v_bfe_u32 v2, v0, 21, 1
	v_mov_b32_e32 v3, v113
	s_delay_alu instid0(VALU_DEP_1) | instskip(NEXT) | instid1(VALU_DEP_1)
	v_add_nc_u64_e32 v[2:3], v[0:1], v[2:3]
	v_add_nc_u64_e32 v[2:3], -1, v[2:3]
; %bb.15025:                            ;   in Loop: Header=BB6_14192 Depth=3
	s_or_b32 exec_lo, exec_lo, s77
	v_add_nc_u32_e32 v1, 0xffffff81, v5
	v_lshrrev_b32_e32 v3, 23, v0
	s_mov_b32 s13, exec_lo
	s_delay_alu instid0(VALU_DEP_2) | instskip(NEXT) | instid1(VALU_DEP_1)
	v_cndmask_b32_e64 v1, v1, 0xffffff82, vcc_lo
	v_add3_u32 v5, v8, v1, v3
	v_and_b32_e32 v1, 0x1fffff, v2
                                        ; implicit-def: $vgpr2
	s_delay_alu instid0(VALU_DEP_1) | instskip(SKIP_1) | instid1(VALU_DEP_2)
	v_dual_add_nc_u32 v3, 14, v5 :: v_dual_add_nc_u32 v0, v1, v0
	v_mov_b32_e32 v1, v113
	v_cmpx_ne_u32_e32 0, v3
	s_xor_b32 s13, exec_lo, s13
; %bb.15026:                            ;   in Loop: Header=BB6_14192 Depth=3
	s_delay_alu instid0(VALU_DEP_2) | instskip(SKIP_1) | instid1(VALU_DEP_1)
	v_cmp_lt_u64_e32 vcc_lo, 0xffffff, v[0:1]
	v_add_nc_u32_e32 v2, 15, v5
	v_cndmask_b32_e32 v2, v3, v2, vcc_lo
	v_cndmask_b32_e64 v3, 0, 1, vcc_lo
	s_delay_alu instid0(VALU_DEP_1)
	v_lshrrev_b64 v[0:1], v3, v[0:1]
; %bb.15027:                            ;   in Loop: Header=BB6_14192 Depth=3
	s_and_not1_saveexec_b32 s13, s13
; %bb.15028:                            ;   in Loop: Header=BB6_14192 Depth=3
	s_delay_alu instid0(VALU_DEP_1)
	v_bfe_u32 v2, v0, 23, 1
; %bb.15029:                            ;   in Loop: Header=BB6_14192 Depth=3
	s_or_b32 exec_lo, exec_lo, s13
	s_delay_alu instid0(VALU_DEP_2) | instskip(NEXT) | instid1(VALU_DEP_2)
	v_lshrrev_b64 v[0:1], 21, v[0:1]
	v_cmp_gt_i32_e32 vcc_lo, 32, v2
	v_min_i32_e32 v3, 31, v2
	v_cmp_eq_u32_e64 s13, 0, v2
	s_delay_alu instid0(VALU_DEP_2) | instskip(SKIP_1) | instid1(VALU_DEP_2)
	v_dual_cndmask_b32 v1, 0, v1, vcc_lo :: v_dual_lshlrev_b32 v3, 2, v3
	v_cndmask_b32_e32 v0, 3, v0, vcc_lo
	v_and_b32_e32 v3, 0xfc, v3
	s_delay_alu instid0(VALU_DEP_2) | instskip(NEXT) | instid1(VALU_DEP_2)
	v_cmp_eq_u64_e32 vcc_lo, 0, v[0:1]
	v_and_or_b32 v0, v0, 3, v3
	s_and_b32 s13, s13, vcc_lo
	s_delay_alu instid0(VALU_DEP_1) | instid1(SALU_CYCLE_1)
	v_cndmask_b32_e64 v0, v0, 0, s13
	s_delay_alu instid0(VALU_DEP_1)
	v_or_b32_e32 v116, v0, v4
.LBB6_15030:                            ;   in Loop: Header=BB6_14192 Depth=3
	s_or_b32 exec_lo, exec_lo, s76
                                        ; implicit-def: $vgpr4
.LBB6_15031:                            ;   in Loop: Header=BB6_14192 Depth=3
	s_and_not1_saveexec_b32 s13, s75
; %bb.15032:                            ;   in Loop: Header=BB6_14192 Depth=3
	v_or_b32_e32 v116, 0x7b, v4
; %bb.15033:                            ;   in Loop: Header=BB6_14192 Depth=3
	s_or_b32 exec_lo, exec_lo, s13
                                        ; implicit-def: $vgpr2
                                        ; implicit-def: $vgpr0_vgpr1
                                        ; implicit-def: $vgpr3
.LBB6_15034:                            ;   in Loop: Header=BB6_14192 Depth=3
	s_and_not1_saveexec_b32 s13, s74
	s_cbranch_execz .LBB6_15040
; %bb.15035:                            ;   in Loop: Header=BB6_14192 Depth=3
	s_mov_b32 s74, exec_lo
                                        ; implicit-def: $vgpr116
	v_cmpx_ne_u64_e32 0, v[0:1]
	s_xor_b32 s74, exec_lo, s74
; %bb.15036:                            ;   in Loop: Header=BB6_14192 Depth=3
	v_or_b32_e32 v116, 0x7f, v3
                                        ; implicit-def: $vgpr2
; %bb.15037:                            ;   in Loop: Header=BB6_14192 Depth=3
	s_and_not1_saveexec_b32 s74, s74
; %bb.15038:                            ;   in Loop: Header=BB6_14192 Depth=3
	v_cmp_lt_i32_e32 vcc_lo, -1, v2
	v_mov_b32_e32 v0, 0x7c
	s_delay_alu instid0(VALU_DEP_1)
	v_cndmask_b32_e32 v116, 0xfc, v0, vcc_lo
; %bb.15039:                            ;   in Loop: Header=BB6_14192 Depth=3
	s_or_b32 exec_lo, exec_lo, s74
.LBB6_15040:                            ;   in Loop: Header=BB6_14192 Depth=3
	s_delay_alu instid0(SALU_CYCLE_1) | instskip(SKIP_4) | instid1(VALU_DEP_3)
	s_or_b32 exec_lo, exec_lo, s13
	v_and_b32_e32 v3, 0xff, v11
	v_dual_mov_b32 v0, v11 :: v_dual_mov_b32 v1, v113
	v_mov_b32_e32 v2, 0
	s_mov_b32 s74, exec_lo
	v_cmpx_ne_u16_e32 0, v3
	s_cbranch_execz .LBB6_15050
; %bb.15041:                            ;   in Loop: Header=BB6_14192 Depth=3
	v_bfrev_b32_e32 v2, 1
	s_mov_b32 s75, exec_lo
	v_cmpx_ne_u16_e32 0x80, v3
	s_cbranch_execz .LBB6_15049
; %bb.15042:                            ;   in Loop: Header=BB6_14192 Depth=3
	v_and_b32_e32 v2, 0x7c, v11
	v_and_b32_e32 v3, 3, v11
	s_delay_alu instid0(VALU_DEP_2) | instskip(SKIP_1) | instid1(SALU_CYCLE_1)
	v_cmp_ne_u32_e32 vcc_lo, 0x7c, v2
                                        ; implicit-def: $vgpr2
	s_and_saveexec_b32 s13, vcc_lo
	s_xor_b32 s13, exec_lo, s13
	s_cbranch_execz .LBB6_15046
; %bb.15043:                            ;   in Loop: Header=BB6_14192 Depth=3
	v_bfe_u32 v2, v11, 2, 5
	s_mov_b32 s76, exec_lo
	s_delay_alu instid0(VALU_DEP_1)
	v_cmpx_eq_u32_e32 0, v2
; %bb.15044:                            ;   in Loop: Header=BB6_14192 Depth=3
	v_clz_i32_u32_e32 v2, v3
	s_delay_alu instid0(VALU_DEP_1) | instskip(NEXT) | instid1(VALU_DEP_1)
	v_min_u32_e32 v2, 32, v2
	v_subrev_nc_u32_e32 v3, 29, v2
	s_delay_alu instid0(VALU_DEP_1) | instskip(NEXT) | instid1(VALU_DEP_1)
	v_lshlrev_b64_e32 v[4:5], v3, v[0:1]
	v_dual_sub_nc_u32 v2, 30, v2 :: v_dual_bitop2_b32 v3, 3, v4 bitop3:0x40
; %bb.15045:                            ;   in Loop: Header=BB6_14192 Depth=3
	s_or_b32 exec_lo, exec_lo, s76
	v_lshlrev_b32_e32 v1, 24, v11
	s_delay_alu instid0(VALU_DEP_1) | instskip(NEXT) | instid1(VALU_DEP_1)
	v_and_b32_e32 v1, 0x80000000, v1
	v_lshl_add_u32 v1, v2, 23, v1
	s_delay_alu instid0(VALU_DEP_1) | instskip(NEXT) | instid1(VALU_DEP_1)
	v_lshl_or_b32 v1, v3, 21, v1
                                        ; implicit-def: $vgpr3
	v_add_nc_u32_e32 v2, 0x38000000, v1
.LBB6_15046:                            ;   in Loop: Header=BB6_14192 Depth=3
	s_and_not1_saveexec_b32 s76, s13
; %bb.15047:                            ;   in Loop: Header=BB6_14192 Depth=3
	v_bfe_i32 v1, v11, 0, 8
	v_cmp_eq_u32_e32 vcc_lo, 0, v3
	s_delay_alu instid0(VALU_DEP_2) | instskip(SKIP_1) | instid1(VALU_DEP_1)
	v_cmp_lt_i16_e64 s13, -1, v1
	v_mov_b32_e32 v1, 0x7f800000
	v_cndmask_b32_e64 v1, 0xff800000, v1, s13
	s_delay_alu instid0(VALU_DEP_1)
	v_cndmask_b32_e32 v2, 0x7f800001, v1, vcc_lo
; %bb.15048:                            ;   in Loop: Header=BB6_14192 Depth=3
	s_or_b32 exec_lo, exec_lo, s76
.LBB6_15049:                            ;   in Loop: Header=BB6_14192 Depth=3
	s_delay_alu instid0(SALU_CYCLE_1)
	s_or_b32 exec_lo, exec_lo, s75
.LBB6_15050:                            ;   in Loop: Header=BB6_14192 Depth=3
	s_delay_alu instid0(SALU_CYCLE_1) | instskip(NEXT) | instid1(VALU_DEP_1)
	s_or_b32 exec_lo, exec_lo, s74
	v_dual_mul_f32 v4, s73, v2 :: v_dual_mov_b32 v9, v113
	v_mov_b32_e32 v3, v113
                                        ; implicit-def: $vgpr82
	s_mov_b32 s13, exec_lo
	s_delay_alu instid0(VALU_DEP_2) | instskip(SKIP_2) | instid1(VALU_DEP_3)
	v_and_b32_e32 v8, 0x7f800000, v4
	v_and_b32_e32 v2, 0x7fffff, v4
	v_lshrrev_b32_e32 v1, 24, v4
	v_cmpx_ne_u64_e32 0x7f800000, v[8:9]
	s_xor_b32 s74, exec_lo, s13
	s_cbranch_execz .LBB6_15064
; %bb.15051:                            ;   in Loop: Header=BB6_14192 Depth=3
	v_and_b32_e32 v8, 0x7fffffff, v4
	v_mov_b32_e32 v9, v113
	v_and_b32_e32 v1, 0x80, v1
                                        ; implicit-def: $vgpr82
	s_mov_b32 s13, exec_lo
	s_delay_alu instid0(VALU_DEP_2)
	v_cmpx_gt_u64_e32 0x47600001, v[8:9]
	s_xor_b32 s75, exec_lo, s13
	s_cbranch_execz .LBB6_15061
; %bb.15052:                            ;   in Loop: Header=BB6_14192 Depth=3
	v_mov_b32_e32 v82, 0
	s_mov_b32 s76, exec_lo
	v_cmpx_ne_u32_e32 0, v4
	s_cbranch_execz .LBB6_15060
; %bb.15053:                            ;   in Loop: Header=BB6_14192 Depth=3
	v_bfe_u32 v8, v4, 23, 8
	v_or_b32_e32 v5, 0x800000, v2
	s_delay_alu instid0(VALU_DEP_2) | instskip(SKIP_2) | instid1(VALU_DEP_2)
	v_cmp_gt_u32_e64 s13, 0x72, v8
	v_sub_nc_u32_e32 v4, 0x71, v8
	v_cmp_eq_u32_e32 vcc_lo, 0, v8
	v_dual_cndmask_b32 v4, 0, v4, s13 :: v_dual_cndmask_b32 v2, v5, v2, vcc_lo
	s_delay_alu instid0(VALU_DEP_1) | instskip(NEXT) | instid1(VALU_DEP_1)
	v_cndmask_b32_e64 v9, v4, 0x70, vcc_lo
	v_dual_add_nc_u32 v4, 21, v9 :: v_dual_add_nc_u32 v12, 20, v9
	s_delay_alu instid0(VALU_DEP_1) | instskip(NEXT) | instid1(VALU_DEP_2)
	v_lshlrev_b64_e64 v[4:5], v4, -1
	v_lshlrev_b64_e64 v[12:13], v12, 1
	s_delay_alu instid0(VALU_DEP_2) | instskip(SKIP_1) | instid1(VALU_DEP_4)
	v_bfi_b32 v4, v4, 0, v2
	v_lshrrev_b64 v[2:3], v9, v[2:3]
	v_bfi_b32 v5, v5, 0, 0
	s_delay_alu instid0(VALU_DEP_1) | instskip(NEXT) | instid1(VALU_DEP_3)
	v_cmp_eq_u64_e64 s13, v[4:5], v[12:13]
	v_mov_b64_e32 v[4:5], v[2:3]
	s_and_saveexec_b32 s77, s13
; %bb.15054:                            ;   in Loop: Header=BB6_14192 Depth=3
	v_bfe_u32 v4, v2, 21, 1
	v_mov_b32_e32 v5, v113
	s_delay_alu instid0(VALU_DEP_1) | instskip(NEXT) | instid1(VALU_DEP_1)
	v_add_nc_u64_e32 v[4:5], v[2:3], v[4:5]
	v_add_nc_u64_e32 v[4:5], -1, v[4:5]
; %bb.15055:                            ;   in Loop: Header=BB6_14192 Depth=3
	s_or_b32 exec_lo, exec_lo, s77
	v_add_nc_u32_e32 v3, 0xffffff81, v8
	v_lshrrev_b32_e32 v5, 23, v2
	s_mov_b32 s13, exec_lo
	s_delay_alu instid0(VALU_DEP_2) | instskip(NEXT) | instid1(VALU_DEP_1)
	v_cndmask_b32_e64 v3, v3, 0xffffff82, vcc_lo
	v_add3_u32 v8, v9, v3, v5
	v_and_b32_e32 v3, 0x1fffff, v4
                                        ; implicit-def: $vgpr4
	s_delay_alu instid0(VALU_DEP_1) | instskip(SKIP_1) | instid1(VALU_DEP_2)
	v_dual_add_nc_u32 v5, 14, v8 :: v_dual_add_nc_u32 v2, v3, v2
	v_mov_b32_e32 v3, v113
	v_cmpx_ne_u32_e32 0, v5
	s_xor_b32 s13, exec_lo, s13
; %bb.15056:                            ;   in Loop: Header=BB6_14192 Depth=3
	s_delay_alu instid0(VALU_DEP_2) | instskip(SKIP_1) | instid1(VALU_DEP_1)
	v_cmp_lt_u64_e32 vcc_lo, 0xffffff, v[2:3]
	v_add_nc_u32_e32 v4, 15, v8
	v_cndmask_b32_e32 v4, v5, v4, vcc_lo
	v_cndmask_b32_e64 v5, 0, 1, vcc_lo
	s_delay_alu instid0(VALU_DEP_1)
	v_lshrrev_b64 v[2:3], v5, v[2:3]
; %bb.15057:                            ;   in Loop: Header=BB6_14192 Depth=3
	s_and_not1_saveexec_b32 s13, s13
; %bb.15058:                            ;   in Loop: Header=BB6_14192 Depth=3
	s_delay_alu instid0(VALU_DEP_1)
	v_bfe_u32 v4, v2, 23, 1
; %bb.15059:                            ;   in Loop: Header=BB6_14192 Depth=3
	s_or_b32 exec_lo, exec_lo, s13
	s_delay_alu instid0(VALU_DEP_2) | instskip(NEXT) | instid1(VALU_DEP_2)
	v_lshrrev_b64 v[2:3], 21, v[2:3]
	v_cmp_gt_i32_e32 vcc_lo, 32, v4
	v_min_i32_e32 v5, 31, v4
	v_cmp_eq_u32_e64 s13, 0, v4
	s_delay_alu instid0(VALU_DEP_2) | instskip(SKIP_1) | instid1(VALU_DEP_2)
	v_dual_cndmask_b32 v3, 0, v3, vcc_lo :: v_dual_lshlrev_b32 v5, 2, v5
	v_cndmask_b32_e32 v2, 3, v2, vcc_lo
	v_and_b32_e32 v5, 0xfc, v5
	s_delay_alu instid0(VALU_DEP_2) | instskip(NEXT) | instid1(VALU_DEP_2)
	v_cmp_eq_u64_e32 vcc_lo, 0, v[2:3]
	v_and_or_b32 v2, v2, 3, v5
	s_and_b32 s13, s13, vcc_lo
	s_delay_alu instid0(VALU_DEP_1) | instid1(SALU_CYCLE_1)
	v_cndmask_b32_e64 v2, v2, 0, s13
	s_delay_alu instid0(VALU_DEP_1)
	v_or_b32_e32 v82, v2, v1
.LBB6_15060:                            ;   in Loop: Header=BB6_14192 Depth=3
	s_or_b32 exec_lo, exec_lo, s76
                                        ; implicit-def: $vgpr1
.LBB6_15061:                            ;   in Loop: Header=BB6_14192 Depth=3
	s_and_not1_saveexec_b32 s13, s75
; %bb.15062:                            ;   in Loop: Header=BB6_14192 Depth=3
	v_or_b32_e32 v82, 0x7b, v1
; %bb.15063:                            ;   in Loop: Header=BB6_14192 Depth=3
	s_or_b32 exec_lo, exec_lo, s13
                                        ; implicit-def: $vgpr4
                                        ; implicit-def: $vgpr2_vgpr3
                                        ; implicit-def: $vgpr1
.LBB6_15064:                            ;   in Loop: Header=BB6_14192 Depth=3
	s_and_not1_saveexec_b32 s13, s74
	s_cbranch_execz .LBB6_15070
; %bb.15065:                            ;   in Loop: Header=BB6_14192 Depth=3
	s_mov_b32 s74, exec_lo
                                        ; implicit-def: $vgpr82
	v_cmpx_ne_u64_e32 0, v[2:3]
	s_xor_b32 s74, exec_lo, s74
; %bb.15066:                            ;   in Loop: Header=BB6_14192 Depth=3
	v_or_b32_e32 v82, 0x7f, v1
                                        ; implicit-def: $vgpr4
; %bb.15067:                            ;   in Loop: Header=BB6_14192 Depth=3
	s_and_not1_saveexec_b32 s74, s74
; %bb.15068:                            ;   in Loop: Header=BB6_14192 Depth=3
	v_cmp_lt_i32_e32 vcc_lo, -1, v4
	v_mov_b32_e32 v1, 0x7c
	s_delay_alu instid0(VALU_DEP_1)
	v_cndmask_b32_e32 v82, 0xfc, v1, vcc_lo
; %bb.15069:                            ;   in Loop: Header=BB6_14192 Depth=3
	s_or_b32 exec_lo, exec_lo, s74
.LBB6_15070:                            ;   in Loop: Header=BB6_14192 Depth=3
	s_delay_alu instid0(SALU_CYCLE_1) | instskip(SKIP_3) | instid1(VALU_DEP_2)
	s_or_b32 exec_lo, exec_lo, s13
	v_lshrrev_b16 v2, 8, v0
	v_mov_b32_e32 v3, 0
	s_mov_b32 s74, exec_lo
	v_cmpx_ne_u16_e32 0, v2
	s_cbranch_execz .LBB6_15080
; %bb.15071:                            ;   in Loop: Header=BB6_14192 Depth=3
	v_bfrev_b32_e32 v3, 1
	s_mov_b32 s75, exec_lo
	v_cmpx_ne_u16_e32 0x80, v2
	s_cbranch_execz .LBB6_15079
; %bb.15072:                            ;   in Loop: Header=BB6_14192 Depth=3
	v_and_b32_e32 v1, 0xffff, v2
	s_delay_alu instid0(VALU_DEP_1) | instskip(SKIP_1) | instid1(VALU_DEP_2)
	v_and_b32_e32 v3, 0x7c, v1
	v_and_b32_e32 v4, 3, v1
	v_cmp_ne_u32_e32 vcc_lo, 0x7c, v3
                                        ; implicit-def: $vgpr3
	s_and_saveexec_b32 s13, vcc_lo
	s_delay_alu instid0(SALU_CYCLE_1)
	s_xor_b32 s13, exec_lo, s13
	s_cbranch_execz .LBB6_15076
; %bb.15073:                            ;   in Loop: Header=BB6_14192 Depth=3
	v_bfe_u32 v1, v1, 2, 5
	s_mov_b32 s76, exec_lo
	s_delay_alu instid0(VALU_DEP_1)
	v_cmpx_eq_u32_e32 0, v1
	s_cbranch_execz .LBB6_15075
; %bb.15074:                            ;   in Loop: Header=BB6_14192 Depth=3
	v_clz_i32_u32_e32 v1, v4
	s_delay_alu instid0(VALU_DEP_1) | instskip(SKIP_1) | instid1(VALU_DEP_2)
	v_min_u32_e32 v1, 32, v1
	v_mov_b32_e32 v3, v113
	v_subrev_nc_u32_e32 v4, 29, v1
	v_sub_nc_u32_e32 v1, 30, v1
	s_delay_alu instid0(VALU_DEP_2) | instskip(NEXT) | instid1(VALU_DEP_1)
	v_lshlrev_b64_e32 v[2:3], v4, v[2:3]
	v_and_b32_e32 v4, 3, v2
.LBB6_15075:                            ;   in Loop: Header=BB6_14192 Depth=3
	s_or_b32 exec_lo, exec_lo, s76
	v_lshlrev_b32_e32 v0, 16, v0
	s_delay_alu instid0(VALU_DEP_1) | instskip(NEXT) | instid1(VALU_DEP_1)
	v_and_b32_e32 v0, 0x80000000, v0
	v_lshl_add_u32 v0, v1, 23, v0
	s_delay_alu instid0(VALU_DEP_1) | instskip(NEXT) | instid1(VALU_DEP_1)
	v_lshl_or_b32 v0, v4, 21, v0
                                        ; implicit-def: $vgpr4
	v_add_nc_u32_e32 v3, 0x38000000, v0
                                        ; implicit-def: $vgpr0_vgpr1
.LBB6_15076:                            ;   in Loop: Header=BB6_14192 Depth=3
	s_and_not1_saveexec_b32 s76, s13
; %bb.15077:                            ;   in Loop: Header=BB6_14192 Depth=3
	v_cmp_lt_i16_e64 s13, -1, v0
	v_mov_b32_e32 v0, 0x7f800000
	v_cmp_eq_u32_e32 vcc_lo, 0, v4
	s_delay_alu instid0(VALU_DEP_2) | instskip(NEXT) | instid1(VALU_DEP_1)
	v_cndmask_b32_e64 v0, 0xff800000, v0, s13
	v_cndmask_b32_e32 v3, 0x7f800001, v0, vcc_lo
; %bb.15078:                            ;   in Loop: Header=BB6_14192 Depth=3
	s_or_b32 exec_lo, exec_lo, s76
.LBB6_15079:                            ;   in Loop: Header=BB6_14192 Depth=3
	s_delay_alu instid0(SALU_CYCLE_1)
	s_or_b32 exec_lo, exec_lo, s75
.LBB6_15080:                            ;   in Loop: Header=BB6_14192 Depth=3
	s_delay_alu instid0(SALU_CYCLE_1) | instskip(NEXT) | instid1(VALU_DEP_1)
	s_or_b32 exec_lo, exec_lo, s74
	v_dual_mul_f32 v2, s73, v3 :: v_dual_mov_b32 v5, v113
	v_mov_b32_e32 v1, v113
                                        ; implicit-def: $vgpr96
	s_mov_b32 s13, exec_lo
	s_delay_alu instid0(VALU_DEP_2) | instskip(SKIP_2) | instid1(VALU_DEP_3)
	v_and_b32_e32 v4, 0x7f800000, v2
	v_and_b32_e32 v0, 0x7fffff, v2
	v_lshrrev_b32_e32 v3, 24, v2
	v_cmpx_ne_u64_e32 0x7f800000, v[4:5]
	s_xor_b32 s74, exec_lo, s13
	s_cbranch_execz .LBB6_15094
; %bb.15081:                            ;   in Loop: Header=BB6_14192 Depth=3
	v_and_b32_e32 v4, 0x7fffffff, v2
	v_mov_b32_e32 v5, v113
                                        ; implicit-def: $vgpr96
	s_delay_alu instid0(VALU_DEP_1) | instskip(SKIP_2) | instid1(SALU_CYCLE_1)
	v_cmp_gt_u64_e32 vcc_lo, 0x47600001, v[4:5]
	v_and_b32_e32 v4, 0x80, v3
	s_and_saveexec_b32 s13, vcc_lo
	s_xor_b32 s75, exec_lo, s13
	s_cbranch_execz .LBB6_15091
; %bb.15082:                            ;   in Loop: Header=BB6_14192 Depth=3
	v_mov_b32_e32 v96, 0
	s_mov_b32 s76, exec_lo
	v_cmpx_ne_u32_e32 0, v2
	s_cbranch_execz .LBB6_15090
; %bb.15083:                            ;   in Loop: Header=BB6_14192 Depth=3
	v_bfe_u32 v5, v2, 23, 8
	v_or_b32_e32 v3, 0x800000, v0
	s_delay_alu instid0(VALU_DEP_2) | instskip(SKIP_2) | instid1(VALU_DEP_2)
	v_cmp_gt_u32_e64 s13, 0x72, v5
	v_sub_nc_u32_e32 v2, 0x71, v5
	v_cmp_eq_u32_e32 vcc_lo, 0, v5
	v_dual_cndmask_b32 v2, 0, v2, s13 :: v_dual_cndmask_b32 v0, v3, v0, vcc_lo
	s_delay_alu instid0(VALU_DEP_1) | instskip(NEXT) | instid1(VALU_DEP_1)
	v_cndmask_b32_e64 v8, v2, 0x70, vcc_lo
	v_dual_add_nc_u32 v2, 21, v8 :: v_dual_add_nc_u32 v9, 20, v8
	s_delay_alu instid0(VALU_DEP_1) | instskip(NEXT) | instid1(VALU_DEP_2)
	v_lshlrev_b64_e64 v[2:3], v2, -1
	v_lshlrev_b64_e64 v[12:13], v9, 1
	s_delay_alu instid0(VALU_DEP_2) | instskip(SKIP_1) | instid1(VALU_DEP_4)
	v_bfi_b32 v2, v2, 0, v0
	v_lshrrev_b64 v[0:1], v8, v[0:1]
	v_bfi_b32 v3, v3, 0, 0
	s_delay_alu instid0(VALU_DEP_1) | instskip(NEXT) | instid1(VALU_DEP_3)
	v_cmp_eq_u64_e64 s13, v[2:3], v[12:13]
	v_mov_b64_e32 v[2:3], v[0:1]
	s_and_saveexec_b32 s77, s13
; %bb.15084:                            ;   in Loop: Header=BB6_14192 Depth=3
	v_bfe_u32 v2, v0, 21, 1
	v_mov_b32_e32 v3, v113
	s_delay_alu instid0(VALU_DEP_1) | instskip(NEXT) | instid1(VALU_DEP_1)
	v_add_nc_u64_e32 v[2:3], v[0:1], v[2:3]
	v_add_nc_u64_e32 v[2:3], -1, v[2:3]
; %bb.15085:                            ;   in Loop: Header=BB6_14192 Depth=3
	s_or_b32 exec_lo, exec_lo, s77
	v_add_nc_u32_e32 v1, 0xffffff81, v5
	v_lshrrev_b32_e32 v3, 23, v0
	s_mov_b32 s13, exec_lo
	s_delay_alu instid0(VALU_DEP_2) | instskip(NEXT) | instid1(VALU_DEP_1)
	v_cndmask_b32_e64 v1, v1, 0xffffff82, vcc_lo
	v_add3_u32 v5, v8, v1, v3
	v_and_b32_e32 v1, 0x1fffff, v2
                                        ; implicit-def: $vgpr2
	s_delay_alu instid0(VALU_DEP_1) | instskip(SKIP_1) | instid1(VALU_DEP_2)
	v_dual_add_nc_u32 v3, 14, v5 :: v_dual_add_nc_u32 v0, v1, v0
	v_mov_b32_e32 v1, v113
	v_cmpx_ne_u32_e32 0, v3
	s_xor_b32 s13, exec_lo, s13
; %bb.15086:                            ;   in Loop: Header=BB6_14192 Depth=3
	s_delay_alu instid0(VALU_DEP_2) | instskip(SKIP_1) | instid1(VALU_DEP_1)
	v_cmp_lt_u64_e32 vcc_lo, 0xffffff, v[0:1]
	v_add_nc_u32_e32 v2, 15, v5
	v_cndmask_b32_e32 v2, v3, v2, vcc_lo
	v_cndmask_b32_e64 v3, 0, 1, vcc_lo
	s_delay_alu instid0(VALU_DEP_1)
	v_lshrrev_b64 v[0:1], v3, v[0:1]
; %bb.15087:                            ;   in Loop: Header=BB6_14192 Depth=3
	s_and_not1_saveexec_b32 s13, s13
; %bb.15088:                            ;   in Loop: Header=BB6_14192 Depth=3
	s_delay_alu instid0(VALU_DEP_1)
	v_bfe_u32 v2, v0, 23, 1
; %bb.15089:                            ;   in Loop: Header=BB6_14192 Depth=3
	s_or_b32 exec_lo, exec_lo, s13
	s_delay_alu instid0(VALU_DEP_2) | instskip(NEXT) | instid1(VALU_DEP_2)
	v_lshrrev_b64 v[0:1], 21, v[0:1]
	v_cmp_gt_i32_e32 vcc_lo, 32, v2
	v_min_i32_e32 v3, 31, v2
	v_cmp_eq_u32_e64 s13, 0, v2
	s_delay_alu instid0(VALU_DEP_2) | instskip(SKIP_1) | instid1(VALU_DEP_2)
	v_dual_cndmask_b32 v1, 0, v1, vcc_lo :: v_dual_lshlrev_b32 v3, 2, v3
	v_cndmask_b32_e32 v0, 3, v0, vcc_lo
	v_and_b32_e32 v3, 0xfc, v3
	s_delay_alu instid0(VALU_DEP_2) | instskip(NEXT) | instid1(VALU_DEP_2)
	v_cmp_eq_u64_e32 vcc_lo, 0, v[0:1]
	v_and_or_b32 v0, v0, 3, v3
	s_and_b32 s13, s13, vcc_lo
	s_delay_alu instid0(VALU_DEP_1) | instid1(SALU_CYCLE_1)
	v_cndmask_b32_e64 v0, v0, 0, s13
	s_delay_alu instid0(VALU_DEP_1)
	v_or_b32_e32 v96, v0, v4
.LBB6_15090:                            ;   in Loop: Header=BB6_14192 Depth=3
	s_or_b32 exec_lo, exec_lo, s76
                                        ; implicit-def: $vgpr4
.LBB6_15091:                            ;   in Loop: Header=BB6_14192 Depth=3
	s_and_not1_saveexec_b32 s13, s75
; %bb.15092:                            ;   in Loop: Header=BB6_14192 Depth=3
	v_or_b32_e32 v96, 0x7b, v4
; %bb.15093:                            ;   in Loop: Header=BB6_14192 Depth=3
	s_or_b32 exec_lo, exec_lo, s13
                                        ; implicit-def: $vgpr2
                                        ; implicit-def: $vgpr0_vgpr1
                                        ; implicit-def: $vgpr3
.LBB6_15094:                            ;   in Loop: Header=BB6_14192 Depth=3
	s_and_not1_saveexec_b32 s13, s74
	s_cbranch_execz .LBB6_15100
; %bb.15095:                            ;   in Loop: Header=BB6_14192 Depth=3
	s_mov_b32 s74, exec_lo
                                        ; implicit-def: $vgpr96
	v_cmpx_ne_u64_e32 0, v[0:1]
	s_xor_b32 s74, exec_lo, s74
; %bb.15096:                            ;   in Loop: Header=BB6_14192 Depth=3
	v_or_b32_e32 v96, 0x7f, v3
                                        ; implicit-def: $vgpr2
; %bb.15097:                            ;   in Loop: Header=BB6_14192 Depth=3
	s_and_not1_saveexec_b32 s74, s74
; %bb.15098:                            ;   in Loop: Header=BB6_14192 Depth=3
	v_cmp_lt_i32_e32 vcc_lo, -1, v2
	v_mov_b32_e32 v0, 0x7c
	s_delay_alu instid0(VALU_DEP_1)
	v_cndmask_b32_e32 v96, 0xfc, v0, vcc_lo
; %bb.15099:                            ;   in Loop: Header=BB6_14192 Depth=3
	s_or_b32 exec_lo, exec_lo, s74
.LBB6_15100:                            ;   in Loop: Header=BB6_14192 Depth=3
	s_delay_alu instid0(SALU_CYCLE_1) | instskip(SKIP_2) | instid1(VALU_DEP_1)
	s_or_b32 exec_lo, exec_lo, s13
	v_dual_mov_b32 v1, 0 :: v_dual_lshrrev_b32 v0, 16, v11
	s_mov_b32 s74, exec_lo
	v_and_b32_e32 v2, 0xff, v0
	s_delay_alu instid0(VALU_DEP_1)
	v_cmpx_ne_u16_e32 0, v2
	s_cbranch_execz .LBB6_15110
; %bb.15101:                            ;   in Loop: Header=BB6_14192 Depth=3
	v_bfrev_b32_e32 v1, 1
	s_mov_b32 s75, exec_lo
	v_cmpx_ne_u16_e32 0x80, v2
	s_cbranch_execz .LBB6_15109
; %bb.15102:                            ;   in Loop: Header=BB6_14192 Depth=3
	v_and_b32_e32 v1, 0x7c0000, v11
	v_bfe_u32 v2, v11, 16, 2
	s_delay_alu instid0(VALU_DEP_2) | instskip(SKIP_1) | instid1(SALU_CYCLE_1)
	v_cmp_ne_u32_e32 vcc_lo, 0x7c0000, v1
                                        ; implicit-def: $vgpr1
	s_and_saveexec_b32 s13, vcc_lo
	s_xor_b32 s13, exec_lo, s13
	s_cbranch_execz .LBB6_15106
; %bb.15103:                            ;   in Loop: Header=BB6_14192 Depth=3
	v_bfe_u32 v1, v11, 18, 5
	s_mov_b32 s76, exec_lo
	s_delay_alu instid0(VALU_DEP_1)
	v_cmpx_eq_u32_e32 0, v1
; %bb.15104:                            ;   in Loop: Header=BB6_14192 Depth=3
	v_clz_i32_u32_e32 v1, v2
	s_delay_alu instid0(VALU_DEP_1) | instskip(NEXT) | instid1(VALU_DEP_1)
	v_min_u32_e32 v1, 32, v1
	v_subrev_nc_u32_e32 v2, 29, v1
	s_delay_alu instid0(VALU_DEP_1) | instskip(NEXT) | instid1(VALU_DEP_1)
	v_lshlrev_b64_e32 v[2:3], v2, v[0:1]
	v_dual_sub_nc_u32 v1, 30, v1 :: v_dual_bitop2_b32 v2, 3, v2 bitop3:0x40
; %bb.15105:                            ;   in Loop: Header=BB6_14192 Depth=3
	s_or_b32 exec_lo, exec_lo, s76
	v_lshlrev_b32_e32 v0, 24, v0
	s_delay_alu instid0(VALU_DEP_1) | instskip(NEXT) | instid1(VALU_DEP_1)
	v_and_b32_e32 v0, 0x80000000, v0
	v_lshl_add_u32 v0, v1, 23, v0
	s_delay_alu instid0(VALU_DEP_1) | instskip(NEXT) | instid1(VALU_DEP_1)
	v_lshl_or_b32 v0, v2, 21, v0
                                        ; implicit-def: $vgpr2
	v_add_nc_u32_e32 v1, 0x38000000, v0
                                        ; implicit-def: $vgpr0
.LBB6_15106:                            ;   in Loop: Header=BB6_14192 Depth=3
	s_and_not1_saveexec_b32 s76, s13
; %bb.15107:                            ;   in Loop: Header=BB6_14192 Depth=3
	v_bfe_i32 v0, v0, 0, 8
	v_cmp_eq_u32_e32 vcc_lo, 0, v2
	s_delay_alu instid0(VALU_DEP_2) | instskip(SKIP_1) | instid1(VALU_DEP_1)
	v_cmp_lt_i16_e64 s13, -1, v0
	v_mov_b32_e32 v0, 0x7f800000
	v_cndmask_b32_e64 v0, 0xff800000, v0, s13
	s_delay_alu instid0(VALU_DEP_1)
	v_cndmask_b32_e32 v1, 0x7f800001, v0, vcc_lo
; %bb.15108:                            ;   in Loop: Header=BB6_14192 Depth=3
	s_or_b32 exec_lo, exec_lo, s76
.LBB6_15109:                            ;   in Loop: Header=BB6_14192 Depth=3
	s_delay_alu instid0(SALU_CYCLE_1)
	s_or_b32 exec_lo, exec_lo, s75
.LBB6_15110:                            ;   in Loop: Header=BB6_14192 Depth=3
	s_delay_alu instid0(SALU_CYCLE_1) | instskip(NEXT) | instid1(VALU_DEP_1)
	s_or_b32 exec_lo, exec_lo, s74
	v_dual_mul_f32 v2, s73, v1 :: v_dual_mov_b32 v5, v113
	v_mov_b32_e32 v1, v113
                                        ; implicit-def: $vgpr98
	s_mov_b32 s13, exec_lo
	s_delay_alu instid0(VALU_DEP_2) | instskip(SKIP_2) | instid1(VALU_DEP_3)
	v_and_b32_e32 v4, 0x7f800000, v2
	v_and_b32_e32 v0, 0x7fffff, v2
	v_lshrrev_b32_e32 v3, 24, v2
	v_cmpx_ne_u64_e32 0x7f800000, v[4:5]
	s_xor_b32 s74, exec_lo, s13
	s_cbranch_execz .LBB6_15124
; %bb.15111:                            ;   in Loop: Header=BB6_14192 Depth=3
	v_and_b32_e32 v4, 0x7fffffff, v2
	v_mov_b32_e32 v5, v113
                                        ; implicit-def: $vgpr98
	s_delay_alu instid0(VALU_DEP_1) | instskip(SKIP_2) | instid1(SALU_CYCLE_1)
	v_cmp_gt_u64_e32 vcc_lo, 0x47600001, v[4:5]
	v_and_b32_e32 v4, 0x80, v3
	s_and_saveexec_b32 s13, vcc_lo
	s_xor_b32 s75, exec_lo, s13
	s_cbranch_execz .LBB6_15121
; %bb.15112:                            ;   in Loop: Header=BB6_14192 Depth=3
	v_mov_b32_e32 v98, 0
	s_mov_b32 s76, exec_lo
	v_cmpx_ne_u32_e32 0, v2
	s_cbranch_execz .LBB6_15120
; %bb.15113:                            ;   in Loop: Header=BB6_14192 Depth=3
	v_bfe_u32 v5, v2, 23, 8
	v_or_b32_e32 v3, 0x800000, v0
	s_delay_alu instid0(VALU_DEP_2) | instskip(SKIP_2) | instid1(VALU_DEP_2)
	v_cmp_gt_u32_e64 s13, 0x72, v5
	v_sub_nc_u32_e32 v2, 0x71, v5
	v_cmp_eq_u32_e32 vcc_lo, 0, v5
	v_dual_cndmask_b32 v2, 0, v2, s13 :: v_dual_cndmask_b32 v0, v3, v0, vcc_lo
	s_delay_alu instid0(VALU_DEP_1) | instskip(NEXT) | instid1(VALU_DEP_1)
	v_cndmask_b32_e64 v8, v2, 0x70, vcc_lo
	v_dual_add_nc_u32 v2, 21, v8 :: v_dual_add_nc_u32 v9, 20, v8
	s_delay_alu instid0(VALU_DEP_1) | instskip(NEXT) | instid1(VALU_DEP_2)
	v_lshlrev_b64_e64 v[2:3], v2, -1
	v_lshlrev_b64_e64 v[12:13], v9, 1
	s_delay_alu instid0(VALU_DEP_2) | instskip(SKIP_1) | instid1(VALU_DEP_4)
	v_bfi_b32 v2, v2, 0, v0
	v_lshrrev_b64 v[0:1], v8, v[0:1]
	v_bfi_b32 v3, v3, 0, 0
	s_delay_alu instid0(VALU_DEP_1) | instskip(NEXT) | instid1(VALU_DEP_3)
	v_cmp_eq_u64_e64 s13, v[2:3], v[12:13]
	v_mov_b64_e32 v[2:3], v[0:1]
	s_and_saveexec_b32 s77, s13
; %bb.15114:                            ;   in Loop: Header=BB6_14192 Depth=3
	v_bfe_u32 v2, v0, 21, 1
	v_mov_b32_e32 v3, v113
	s_delay_alu instid0(VALU_DEP_1) | instskip(NEXT) | instid1(VALU_DEP_1)
	v_add_nc_u64_e32 v[2:3], v[0:1], v[2:3]
	v_add_nc_u64_e32 v[2:3], -1, v[2:3]
; %bb.15115:                            ;   in Loop: Header=BB6_14192 Depth=3
	s_or_b32 exec_lo, exec_lo, s77
	v_add_nc_u32_e32 v1, 0xffffff81, v5
	v_lshrrev_b32_e32 v3, 23, v0
	s_mov_b32 s13, exec_lo
	s_delay_alu instid0(VALU_DEP_2) | instskip(NEXT) | instid1(VALU_DEP_1)
	v_cndmask_b32_e64 v1, v1, 0xffffff82, vcc_lo
	v_add3_u32 v5, v8, v1, v3
	v_and_b32_e32 v1, 0x1fffff, v2
                                        ; implicit-def: $vgpr2
	s_delay_alu instid0(VALU_DEP_1) | instskip(SKIP_1) | instid1(VALU_DEP_2)
	v_dual_add_nc_u32 v3, 14, v5 :: v_dual_add_nc_u32 v0, v1, v0
	v_mov_b32_e32 v1, v113
	v_cmpx_ne_u32_e32 0, v3
	s_xor_b32 s13, exec_lo, s13
; %bb.15116:                            ;   in Loop: Header=BB6_14192 Depth=3
	s_delay_alu instid0(VALU_DEP_2) | instskip(SKIP_1) | instid1(VALU_DEP_1)
	v_cmp_lt_u64_e32 vcc_lo, 0xffffff, v[0:1]
	v_add_nc_u32_e32 v2, 15, v5
	v_cndmask_b32_e32 v2, v3, v2, vcc_lo
	v_cndmask_b32_e64 v3, 0, 1, vcc_lo
	s_delay_alu instid0(VALU_DEP_1)
	v_lshrrev_b64 v[0:1], v3, v[0:1]
; %bb.15117:                            ;   in Loop: Header=BB6_14192 Depth=3
	s_and_not1_saveexec_b32 s13, s13
; %bb.15118:                            ;   in Loop: Header=BB6_14192 Depth=3
	s_delay_alu instid0(VALU_DEP_1)
	v_bfe_u32 v2, v0, 23, 1
; %bb.15119:                            ;   in Loop: Header=BB6_14192 Depth=3
	s_or_b32 exec_lo, exec_lo, s13
	s_delay_alu instid0(VALU_DEP_2) | instskip(NEXT) | instid1(VALU_DEP_2)
	v_lshrrev_b64 v[0:1], 21, v[0:1]
	v_cmp_gt_i32_e32 vcc_lo, 32, v2
	v_min_i32_e32 v3, 31, v2
	v_cmp_eq_u32_e64 s13, 0, v2
	s_delay_alu instid0(VALU_DEP_2) | instskip(SKIP_1) | instid1(VALU_DEP_2)
	v_dual_cndmask_b32 v1, 0, v1, vcc_lo :: v_dual_lshlrev_b32 v3, 2, v3
	v_cndmask_b32_e32 v0, 3, v0, vcc_lo
	v_and_b32_e32 v3, 0xfc, v3
	s_delay_alu instid0(VALU_DEP_2) | instskip(NEXT) | instid1(VALU_DEP_2)
	v_cmp_eq_u64_e32 vcc_lo, 0, v[0:1]
	v_and_or_b32 v0, v0, 3, v3
	s_and_b32 s13, s13, vcc_lo
	s_delay_alu instid0(VALU_DEP_1) | instid1(SALU_CYCLE_1)
	v_cndmask_b32_e64 v0, v0, 0, s13
	s_delay_alu instid0(VALU_DEP_1)
	v_or_b32_e32 v98, v0, v4
.LBB6_15120:                            ;   in Loop: Header=BB6_14192 Depth=3
	s_or_b32 exec_lo, exec_lo, s76
                                        ; implicit-def: $vgpr4
.LBB6_15121:                            ;   in Loop: Header=BB6_14192 Depth=3
	s_and_not1_saveexec_b32 s13, s75
; %bb.15122:                            ;   in Loop: Header=BB6_14192 Depth=3
	v_or_b32_e32 v98, 0x7b, v4
; %bb.15123:                            ;   in Loop: Header=BB6_14192 Depth=3
	s_or_b32 exec_lo, exec_lo, s13
                                        ; implicit-def: $vgpr2
                                        ; implicit-def: $vgpr0_vgpr1
                                        ; implicit-def: $vgpr3
.LBB6_15124:                            ;   in Loop: Header=BB6_14192 Depth=3
	s_and_not1_saveexec_b32 s13, s74
	s_cbranch_execz .LBB6_15130
; %bb.15125:                            ;   in Loop: Header=BB6_14192 Depth=3
	s_mov_b32 s74, exec_lo
                                        ; implicit-def: $vgpr98
	v_cmpx_ne_u64_e32 0, v[0:1]
	s_xor_b32 s74, exec_lo, s74
; %bb.15126:                            ;   in Loop: Header=BB6_14192 Depth=3
	v_or_b32_e32 v98, 0x7f, v3
                                        ; implicit-def: $vgpr2
; %bb.15127:                            ;   in Loop: Header=BB6_14192 Depth=3
	s_and_not1_saveexec_b32 s74, s74
; %bb.15128:                            ;   in Loop: Header=BB6_14192 Depth=3
	v_cmp_lt_i32_e32 vcc_lo, -1, v2
	v_mov_b32_e32 v0, 0x7c
	s_delay_alu instid0(VALU_DEP_1)
	v_cndmask_b32_e32 v98, 0xfc, v0, vcc_lo
; %bb.15129:                            ;   in Loop: Header=BB6_14192 Depth=3
	s_or_b32 exec_lo, exec_lo, s74
.LBB6_15130:                            ;   in Loop: Header=BB6_14192 Depth=3
	s_delay_alu instid0(SALU_CYCLE_1)
	s_or_b32 exec_lo, exec_lo, s13
	v_mov_b32_e32 v1, 0
	s_mov_b32 s74, exec_lo
	v_cmpx_lt_u64_e64 s[22:23], v[10:11]
	s_cbranch_execz .LBB6_15140
; %bb.15131:                            ;   in Loop: Header=BB6_14192 Depth=3
	v_lshrrev_b32_e32 v0, 24, v11
	v_bfrev_b32_e32 v1, 1
	s_mov_b32 s75, exec_lo
	s_delay_alu instid0(VALU_DEP_2)
	v_cmpx_ne_u32_e32 0x80, v0
	s_cbranch_execz .LBB6_15139
; %bb.15132:                            ;   in Loop: Header=BB6_14192 Depth=3
	v_and_b32_e32 v1, 0x7c000000, v11
	v_bfe_u32 v2, v11, 24, 2
	s_delay_alu instid0(VALU_DEP_2) | instskip(SKIP_1) | instid1(SALU_CYCLE_1)
	v_cmp_ne_u32_e32 vcc_lo, 0x7c000000, v1
                                        ; implicit-def: $vgpr1
	s_and_saveexec_b32 s13, vcc_lo
	s_xor_b32 s13, exec_lo, s13
	s_cbranch_execz .LBB6_15136
; %bb.15133:                            ;   in Loop: Header=BB6_14192 Depth=3
	v_bfe_u32 v1, v11, 26, 5
	s_mov_b32 s76, exec_lo
	s_delay_alu instid0(VALU_DEP_1)
	v_cmpx_eq_u32_e32 0, v1
; %bb.15134:                            ;   in Loop: Header=BB6_14192 Depth=3
	v_clz_i32_u32_e32 v1, v2
	s_delay_alu instid0(VALU_DEP_1) | instskip(NEXT) | instid1(VALU_DEP_1)
	v_min_u32_e32 v2, 32, v1
	v_subrev_nc_u32_e32 v1, 29, v2
	s_delay_alu instid0(VALU_DEP_1) | instskip(NEXT) | instid1(VALU_DEP_1)
	v_lshlrev_b64_e32 v[0:1], v1, v[0:1]
	v_dual_sub_nc_u32 v1, 30, v2 :: v_dual_bitop2_b32 v2, 3, v0 bitop3:0x40
; %bb.15135:                            ;   in Loop: Header=BB6_14192 Depth=3
	s_or_b32 exec_lo, exec_lo, s76
	v_and_b32_e32 v0, 0x80000000, v11
                                        ; implicit-def: $vgpr10_vgpr11
	s_delay_alu instid0(VALU_DEP_1) | instskip(NEXT) | instid1(VALU_DEP_1)
	v_lshl_add_u32 v0, v1, 23, v0
	v_lshl_or_b32 v0, v2, 21, v0
                                        ; implicit-def: $vgpr2
	s_delay_alu instid0(VALU_DEP_1)
	v_add_nc_u32_e32 v1, 0x38000000, v0
.LBB6_15136:                            ;   in Loop: Header=BB6_14192 Depth=3
	s_and_not1_saveexec_b32 s76, s13
; %bb.15137:                            ;   in Loop: Header=BB6_14192 Depth=3
	v_cmp_lt_i64_e64 s13, -1, v[10:11]
	v_mov_b32_e32 v0, 0x7f800000
	v_cmp_eq_u32_e32 vcc_lo, 0, v2
	s_delay_alu instid0(VALU_DEP_2) | instskip(NEXT) | instid1(VALU_DEP_1)
	v_cndmask_b32_e64 v0, 0xff800000, v0, s13
	v_cndmask_b32_e32 v1, 0x7f800001, v0, vcc_lo
; %bb.15138:                            ;   in Loop: Header=BB6_14192 Depth=3
	s_or_b32 exec_lo, exec_lo, s76
.LBB6_15139:                            ;   in Loop: Header=BB6_14192 Depth=3
	s_delay_alu instid0(SALU_CYCLE_1)
	s_or_b32 exec_lo, exec_lo, s75
.LBB6_15140:                            ;   in Loop: Header=BB6_14192 Depth=3
	s_delay_alu instid0(SALU_CYCLE_1) | instskip(NEXT) | instid1(VALU_DEP_1)
	s_or_b32 exec_lo, exec_lo, s74
	v_dual_mul_f32 v2, s73, v1 :: v_dual_mov_b32 v5, v113
	v_mov_b32_e32 v1, v113
                                        ; implicit-def: $vgpr102
	s_mov_b32 s13, exec_lo
	s_delay_alu instid0(VALU_DEP_2) | instskip(SKIP_2) | instid1(VALU_DEP_3)
	v_and_b32_e32 v4, 0x7f800000, v2
	v_and_b32_e32 v0, 0x7fffff, v2
	v_lshrrev_b32_e32 v3, 24, v2
	v_cmpx_ne_u64_e32 0x7f800000, v[4:5]
	s_xor_b32 s74, exec_lo, s13
	s_cbranch_execz .LBB6_15154
; %bb.15141:                            ;   in Loop: Header=BB6_14192 Depth=3
	v_and_b32_e32 v4, 0x7fffffff, v2
	v_mov_b32_e32 v5, v113
                                        ; implicit-def: $vgpr102
	s_delay_alu instid0(VALU_DEP_1) | instskip(SKIP_2) | instid1(SALU_CYCLE_1)
	v_cmp_gt_u64_e32 vcc_lo, 0x47600001, v[4:5]
	v_and_b32_e32 v4, 0x80, v3
	s_and_saveexec_b32 s13, vcc_lo
	s_xor_b32 s75, exec_lo, s13
	s_cbranch_execz .LBB6_15151
; %bb.15142:                            ;   in Loop: Header=BB6_14192 Depth=3
	v_mov_b32_e32 v102, 0
	s_mov_b32 s76, exec_lo
	v_cmpx_ne_u32_e32 0, v2
	s_cbranch_execz .LBB6_15150
; %bb.15143:                            ;   in Loop: Header=BB6_14192 Depth=3
	v_bfe_u32 v5, v2, 23, 8
	v_or_b32_e32 v3, 0x800000, v0
	s_delay_alu instid0(VALU_DEP_2) | instskip(SKIP_2) | instid1(VALU_DEP_2)
	v_cmp_gt_u32_e64 s13, 0x72, v5
	v_sub_nc_u32_e32 v2, 0x71, v5
	v_cmp_eq_u32_e32 vcc_lo, 0, v5
	v_dual_cndmask_b32 v2, 0, v2, s13 :: v_dual_cndmask_b32 v0, v3, v0, vcc_lo
	s_delay_alu instid0(VALU_DEP_1) | instskip(NEXT) | instid1(VALU_DEP_1)
	v_cndmask_b32_e64 v8, v2, 0x70, vcc_lo
	v_dual_add_nc_u32 v2, 21, v8 :: v_dual_add_nc_u32 v9, 20, v8
	s_delay_alu instid0(VALU_DEP_1) | instskip(NEXT) | instid1(VALU_DEP_2)
	v_lshlrev_b64_e64 v[2:3], v2, -1
	v_lshlrev_b64_e64 v[10:11], v9, 1
	s_delay_alu instid0(VALU_DEP_2) | instskip(SKIP_1) | instid1(VALU_DEP_4)
	v_bfi_b32 v2, v2, 0, v0
	v_lshrrev_b64 v[0:1], v8, v[0:1]
	v_bfi_b32 v3, v3, 0, 0
	s_delay_alu instid0(VALU_DEP_1) | instskip(NEXT) | instid1(VALU_DEP_3)
	v_cmp_eq_u64_e64 s13, v[2:3], v[10:11]
	v_mov_b64_e32 v[2:3], v[0:1]
	s_and_saveexec_b32 s77, s13
; %bb.15144:                            ;   in Loop: Header=BB6_14192 Depth=3
	v_bfe_u32 v2, v0, 21, 1
	v_mov_b32_e32 v3, v113
	s_delay_alu instid0(VALU_DEP_1) | instskip(NEXT) | instid1(VALU_DEP_1)
	v_add_nc_u64_e32 v[2:3], v[0:1], v[2:3]
	v_add_nc_u64_e32 v[2:3], -1, v[2:3]
; %bb.15145:                            ;   in Loop: Header=BB6_14192 Depth=3
	s_or_b32 exec_lo, exec_lo, s77
	v_add_nc_u32_e32 v1, 0xffffff81, v5
	v_lshrrev_b32_e32 v3, 23, v0
	s_mov_b32 s13, exec_lo
	s_delay_alu instid0(VALU_DEP_2) | instskip(NEXT) | instid1(VALU_DEP_1)
	v_cndmask_b32_e64 v1, v1, 0xffffff82, vcc_lo
	v_add3_u32 v5, v8, v1, v3
	v_and_b32_e32 v1, 0x1fffff, v2
                                        ; implicit-def: $vgpr2
	s_delay_alu instid0(VALU_DEP_1) | instskip(SKIP_1) | instid1(VALU_DEP_2)
	v_dual_add_nc_u32 v3, 14, v5 :: v_dual_add_nc_u32 v0, v1, v0
	v_mov_b32_e32 v1, v113
	v_cmpx_ne_u32_e32 0, v3
	s_xor_b32 s13, exec_lo, s13
; %bb.15146:                            ;   in Loop: Header=BB6_14192 Depth=3
	s_delay_alu instid0(VALU_DEP_2) | instskip(SKIP_1) | instid1(VALU_DEP_1)
	v_cmp_lt_u64_e32 vcc_lo, 0xffffff, v[0:1]
	v_add_nc_u32_e32 v2, 15, v5
	v_cndmask_b32_e32 v2, v3, v2, vcc_lo
	v_cndmask_b32_e64 v3, 0, 1, vcc_lo
	s_delay_alu instid0(VALU_DEP_1)
	v_lshrrev_b64 v[0:1], v3, v[0:1]
; %bb.15147:                            ;   in Loop: Header=BB6_14192 Depth=3
	s_and_not1_saveexec_b32 s13, s13
; %bb.15148:                            ;   in Loop: Header=BB6_14192 Depth=3
	s_delay_alu instid0(VALU_DEP_1)
	v_bfe_u32 v2, v0, 23, 1
; %bb.15149:                            ;   in Loop: Header=BB6_14192 Depth=3
	s_or_b32 exec_lo, exec_lo, s13
	s_delay_alu instid0(VALU_DEP_2) | instskip(NEXT) | instid1(VALU_DEP_2)
	v_lshrrev_b64 v[0:1], 21, v[0:1]
	v_cmp_gt_i32_e32 vcc_lo, 32, v2
	v_min_i32_e32 v3, 31, v2
	v_cmp_eq_u32_e64 s13, 0, v2
	s_delay_alu instid0(VALU_DEP_2) | instskip(SKIP_1) | instid1(VALU_DEP_2)
	v_dual_cndmask_b32 v1, 0, v1, vcc_lo :: v_dual_lshlrev_b32 v3, 2, v3
	v_cndmask_b32_e32 v0, 3, v0, vcc_lo
	v_and_b32_e32 v3, 0xfc, v3
	s_delay_alu instid0(VALU_DEP_2) | instskip(NEXT) | instid1(VALU_DEP_2)
	v_cmp_eq_u64_e32 vcc_lo, 0, v[0:1]
	v_and_or_b32 v0, v0, 3, v3
	s_and_b32 s13, s13, vcc_lo
	s_delay_alu instid0(VALU_DEP_1) | instid1(SALU_CYCLE_1)
	v_cndmask_b32_e64 v0, v0, 0, s13
	s_delay_alu instid0(VALU_DEP_1)
	v_or_b32_e32 v102, v0, v4
.LBB6_15150:                            ;   in Loop: Header=BB6_14192 Depth=3
	s_or_b32 exec_lo, exec_lo, s76
                                        ; implicit-def: $vgpr4
.LBB6_15151:                            ;   in Loop: Header=BB6_14192 Depth=3
	s_and_not1_saveexec_b32 s13, s75
; %bb.15152:                            ;   in Loop: Header=BB6_14192 Depth=3
	v_or_b32_e32 v102, 0x7b, v4
; %bb.15153:                            ;   in Loop: Header=BB6_14192 Depth=3
	s_or_b32 exec_lo, exec_lo, s13
                                        ; implicit-def: $vgpr2
                                        ; implicit-def: $vgpr0_vgpr1
                                        ; implicit-def: $vgpr3
.LBB6_15154:                            ;   in Loop: Header=BB6_14192 Depth=3
	s_and_not1_saveexec_b32 s13, s74
	s_cbranch_execz .LBB6_15160
; %bb.15155:                            ;   in Loop: Header=BB6_14192 Depth=3
	s_mov_b32 s74, exec_lo
                                        ; implicit-def: $vgpr102
	v_cmpx_ne_u64_e32 0, v[0:1]
	s_xor_b32 s74, exec_lo, s74
; %bb.15156:                            ;   in Loop: Header=BB6_14192 Depth=3
	v_or_b32_e32 v102, 0x7f, v3
                                        ; implicit-def: $vgpr2
; %bb.15157:                            ;   in Loop: Header=BB6_14192 Depth=3
	s_and_not1_saveexec_b32 s74, s74
; %bb.15158:                            ;   in Loop: Header=BB6_14192 Depth=3
	v_cmp_lt_i32_e32 vcc_lo, -1, v2
	v_mov_b32_e32 v0, 0x7c
	s_delay_alu instid0(VALU_DEP_1)
	v_cndmask_b32_e32 v102, 0xfc, v0, vcc_lo
; %bb.15159:                            ;   in Loop: Header=BB6_14192 Depth=3
	s_or_b32 exec_lo, exec_lo, s74
.LBB6_15160:                            ;   in Loop: Header=BB6_14192 Depth=3
	s_delay_alu instid0(SALU_CYCLE_1) | instskip(SKIP_3) | instid1(VALU_DEP_1)
	s_or_b32 exec_lo, exec_lo, s13
	global_load_b128 v[8:11], v[62:63], off offset:1024 th:TH_LOAD_NT
	s_wait_loadcnt 0x0
	v_and_b32_e32 v0, 0xff, v8
	v_cmp_ne_u16_e32 vcc_lo, 0, v0
	v_mov_b32_e32 v0, 0
	s_wait_xcnt 0x0
	s_and_saveexec_b32 s74, vcc_lo
	s_cbranch_execz .LBB6_15170
; %bb.15161:                            ;   in Loop: Header=BB6_14192 Depth=3
	v_bfe_i32 v2, v8, 0, 8
	v_bfrev_b32_e32 v0, 1
	s_mov_b32 s75, exec_lo
	s_delay_alu instid0(VALU_DEP_2)
	v_cmpx_ne_u16_e32 0xff80, v2
	s_cbranch_execz .LBB6_15169
; %bb.15162:                            ;   in Loop: Header=BB6_14192 Depth=3
	v_and_b32_e32 v0, 0x7c, v8
	v_and_b32_e32 v1, 3, v8
	s_delay_alu instid0(VALU_DEP_2) | instskip(SKIP_1) | instid1(SALU_CYCLE_1)
	v_cmp_ne_u32_e32 vcc_lo, 0x7c, v0
                                        ; implicit-def: $vgpr0
	s_and_saveexec_b32 s13, vcc_lo
	s_xor_b32 s13, exec_lo, s13
	s_cbranch_execz .LBB6_15166
; %bb.15163:                            ;   in Loop: Header=BB6_14192 Depth=3
	v_bfe_u32 v0, v8, 2, 5
	s_mov_b32 s76, exec_lo
	s_delay_alu instid0(VALU_DEP_1)
	v_cmpx_eq_u32_e32 0, v0
; %bb.15164:                            ;   in Loop: Header=BB6_14192 Depth=3
	v_clz_i32_u32_e32 v0, v1
	s_delay_alu instid0(VALU_DEP_1) | instskip(NEXT) | instid1(VALU_DEP_1)
	v_min_u32_e32 v0, 32, v0
	v_subrev_nc_u32_e32 v1, 29, v0
	s_delay_alu instid0(VALU_DEP_1) | instskip(NEXT) | instid1(VALU_DEP_1)
	v_lshlrev_b64_e32 v[2:3], v1, v[8:9]
	v_dual_sub_nc_u32 v0, 30, v0 :: v_dual_bitop2_b32 v1, 3, v2 bitop3:0x40
; %bb.15165:                            ;   in Loop: Header=BB6_14192 Depth=3
	s_or_b32 exec_lo, exec_lo, s76
	v_lshlrev_b32_e32 v2, 24, v8
	s_delay_alu instid0(VALU_DEP_1) | instskip(NEXT) | instid1(VALU_DEP_1)
	v_and_b32_e32 v2, 0x80000000, v2
	v_lshl_add_u32 v0, v0, 23, v2
                                        ; implicit-def: $vgpr2
	s_delay_alu instid0(VALU_DEP_1) | instskip(NEXT) | instid1(VALU_DEP_1)
	v_lshl_or_b32 v0, v1, 21, v0
                                        ; implicit-def: $vgpr1
	v_add_nc_u32_e32 v0, 0x38000000, v0
.LBB6_15166:                            ;   in Loop: Header=BB6_14192 Depth=3
	s_and_not1_saveexec_b32 s76, s13
; %bb.15167:                            ;   in Loop: Header=BB6_14192 Depth=3
	v_cmp_lt_i16_e64 s13, -1, v2
	v_mov_b32_e32 v0, 0x7f800000
	v_cmp_eq_u32_e32 vcc_lo, 0, v1
	s_delay_alu instid0(VALU_DEP_2) | instskip(NEXT) | instid1(VALU_DEP_1)
	v_cndmask_b32_e64 v0, 0xff800000, v0, s13
	v_cndmask_b32_e32 v0, 0x7f800001, v0, vcc_lo
; %bb.15168:                            ;   in Loop: Header=BB6_14192 Depth=3
	s_or_b32 exec_lo, exec_lo, s76
.LBB6_15169:                            ;   in Loop: Header=BB6_14192 Depth=3
	s_delay_alu instid0(SALU_CYCLE_1)
	s_or_b32 exec_lo, exec_lo, s75
.LBB6_15170:                            ;   in Loop: Header=BB6_14192 Depth=3
	s_delay_alu instid0(SALU_CYCLE_1) | instskip(NEXT) | instid1(VALU_DEP_1)
	s_or_b32 exec_lo, exec_lo, s74
	v_dual_mul_f32 v2, s73, v0 :: v_dual_mov_b32 v5, v113
	v_mov_b32_e32 v1, v113
                                        ; implicit-def: $vgpr70
	s_mov_b32 s13, exec_lo
	s_delay_alu instid0(VALU_DEP_2) | instskip(SKIP_2) | instid1(VALU_DEP_3)
	v_and_b32_e32 v4, 0x7f800000, v2
	v_and_b32_e32 v0, 0x7fffff, v2
	v_lshrrev_b32_e32 v3, 24, v2
	v_cmpx_ne_u64_e32 0x7f800000, v[4:5]
	s_xor_b32 s74, exec_lo, s13
	s_cbranch_execz .LBB6_15184
; %bb.15171:                            ;   in Loop: Header=BB6_14192 Depth=3
	v_and_b32_e32 v4, 0x7fffffff, v2
	v_mov_b32_e32 v5, v113
                                        ; implicit-def: $vgpr70
	s_delay_alu instid0(VALU_DEP_1) | instskip(SKIP_2) | instid1(SALU_CYCLE_1)
	v_cmp_gt_u64_e32 vcc_lo, 0x47600001, v[4:5]
	v_and_b32_e32 v4, 0x80, v3
	s_and_saveexec_b32 s13, vcc_lo
	s_xor_b32 s75, exec_lo, s13
	s_cbranch_execz .LBB6_15181
; %bb.15172:                            ;   in Loop: Header=BB6_14192 Depth=3
	v_mov_b32_e32 v70, 0
	s_mov_b32 s76, exec_lo
	v_cmpx_ne_u32_e32 0, v2
	s_cbranch_execz .LBB6_15180
; %bb.15173:                            ;   in Loop: Header=BB6_14192 Depth=3
	v_bfe_u32 v5, v2, 23, 8
	v_or_b32_e32 v3, 0x800000, v0
	s_delay_alu instid0(VALU_DEP_2) | instskip(SKIP_2) | instid1(VALU_DEP_2)
	v_cmp_gt_u32_e64 s13, 0x72, v5
	v_sub_nc_u32_e32 v2, 0x71, v5
	v_cmp_eq_u32_e32 vcc_lo, 0, v5
	v_dual_cndmask_b32 v2, 0, v2, s13 :: v_dual_cndmask_b32 v0, v3, v0, vcc_lo
	s_delay_alu instid0(VALU_DEP_1) | instskip(NEXT) | instid1(VALU_DEP_1)
	v_cndmask_b32_e64 v12, v2, 0x70, vcc_lo
	v_dual_add_nc_u32 v2, 21, v12 :: v_dual_add_nc_u32 v13, 20, v12
	s_delay_alu instid0(VALU_DEP_1) | instskip(NEXT) | instid1(VALU_DEP_2)
	v_lshlrev_b64_e64 v[2:3], v2, -1
	v_lshlrev_b64_e64 v[14:15], v13, 1
	s_delay_alu instid0(VALU_DEP_2) | instskip(SKIP_1) | instid1(VALU_DEP_4)
	v_bfi_b32 v2, v2, 0, v0
	v_lshrrev_b64 v[0:1], v12, v[0:1]
	v_bfi_b32 v3, v3, 0, 0
	s_delay_alu instid0(VALU_DEP_1) | instskip(NEXT) | instid1(VALU_DEP_3)
	v_cmp_eq_u64_e64 s13, v[2:3], v[14:15]
	v_mov_b64_e32 v[2:3], v[0:1]
	s_and_saveexec_b32 s77, s13
; %bb.15174:                            ;   in Loop: Header=BB6_14192 Depth=3
	v_bfe_u32 v2, v0, 21, 1
	v_mov_b32_e32 v3, v113
	s_delay_alu instid0(VALU_DEP_1) | instskip(NEXT) | instid1(VALU_DEP_1)
	v_add_nc_u64_e32 v[2:3], v[0:1], v[2:3]
	v_add_nc_u64_e32 v[2:3], -1, v[2:3]
; %bb.15175:                            ;   in Loop: Header=BB6_14192 Depth=3
	s_or_b32 exec_lo, exec_lo, s77
	v_add_nc_u32_e32 v1, 0xffffff81, v5
	v_lshrrev_b32_e32 v3, 23, v0
	s_mov_b32 s13, exec_lo
	s_delay_alu instid0(VALU_DEP_2) | instskip(NEXT) | instid1(VALU_DEP_1)
	v_cndmask_b32_e64 v1, v1, 0xffffff82, vcc_lo
	v_add3_u32 v5, v12, v1, v3
	v_and_b32_e32 v1, 0x1fffff, v2
                                        ; implicit-def: $vgpr2
	s_delay_alu instid0(VALU_DEP_1) | instskip(SKIP_1) | instid1(VALU_DEP_2)
	v_dual_add_nc_u32 v3, 14, v5 :: v_dual_add_nc_u32 v0, v1, v0
	v_mov_b32_e32 v1, v113
	v_cmpx_ne_u32_e32 0, v3
	s_xor_b32 s13, exec_lo, s13
; %bb.15176:                            ;   in Loop: Header=BB6_14192 Depth=3
	s_delay_alu instid0(VALU_DEP_2) | instskip(SKIP_1) | instid1(VALU_DEP_1)
	v_cmp_lt_u64_e32 vcc_lo, 0xffffff, v[0:1]
	v_add_nc_u32_e32 v2, 15, v5
	v_cndmask_b32_e32 v2, v3, v2, vcc_lo
	v_cndmask_b32_e64 v3, 0, 1, vcc_lo
	s_delay_alu instid0(VALU_DEP_1)
	v_lshrrev_b64 v[0:1], v3, v[0:1]
; %bb.15177:                            ;   in Loop: Header=BB6_14192 Depth=3
	s_and_not1_saveexec_b32 s13, s13
; %bb.15178:                            ;   in Loop: Header=BB6_14192 Depth=3
	s_delay_alu instid0(VALU_DEP_1)
	v_bfe_u32 v2, v0, 23, 1
; %bb.15179:                            ;   in Loop: Header=BB6_14192 Depth=3
	s_or_b32 exec_lo, exec_lo, s13
	s_delay_alu instid0(VALU_DEP_2) | instskip(NEXT) | instid1(VALU_DEP_2)
	v_lshrrev_b64 v[0:1], 21, v[0:1]
	v_cmp_gt_i32_e32 vcc_lo, 32, v2
	v_min_i32_e32 v3, 31, v2
	v_cmp_eq_u32_e64 s13, 0, v2
	s_delay_alu instid0(VALU_DEP_2) | instskip(SKIP_1) | instid1(VALU_DEP_2)
	v_dual_cndmask_b32 v1, 0, v1, vcc_lo :: v_dual_lshlrev_b32 v3, 2, v3
	v_cndmask_b32_e32 v0, 3, v0, vcc_lo
	v_and_b32_e32 v3, 0xfc, v3
	s_delay_alu instid0(VALU_DEP_2) | instskip(NEXT) | instid1(VALU_DEP_2)
	v_cmp_eq_u64_e32 vcc_lo, 0, v[0:1]
	v_and_or_b32 v0, v0, 3, v3
	s_and_b32 s13, s13, vcc_lo
	s_delay_alu instid0(VALU_DEP_1) | instid1(SALU_CYCLE_1)
	v_cndmask_b32_e64 v0, v0, 0, s13
	s_delay_alu instid0(VALU_DEP_1)
	v_or_b32_e32 v70, v0, v4
.LBB6_15180:                            ;   in Loop: Header=BB6_14192 Depth=3
	s_or_b32 exec_lo, exec_lo, s76
                                        ; implicit-def: $vgpr4
.LBB6_15181:                            ;   in Loop: Header=BB6_14192 Depth=3
	s_and_not1_saveexec_b32 s13, s75
; %bb.15182:                            ;   in Loop: Header=BB6_14192 Depth=3
	v_or_b32_e32 v70, 0x7b, v4
; %bb.15183:                            ;   in Loop: Header=BB6_14192 Depth=3
	s_or_b32 exec_lo, exec_lo, s13
                                        ; implicit-def: $vgpr2
                                        ; implicit-def: $vgpr0_vgpr1
                                        ; implicit-def: $vgpr3
.LBB6_15184:                            ;   in Loop: Header=BB6_14192 Depth=3
	s_and_not1_saveexec_b32 s13, s74
	s_cbranch_execz .LBB6_15190
; %bb.15185:                            ;   in Loop: Header=BB6_14192 Depth=3
	s_mov_b32 s74, exec_lo
                                        ; implicit-def: $vgpr70
	v_cmpx_ne_u64_e32 0, v[0:1]
	s_xor_b32 s74, exec_lo, s74
; %bb.15186:                            ;   in Loop: Header=BB6_14192 Depth=3
	v_or_b32_e32 v70, 0x7f, v3
                                        ; implicit-def: $vgpr2
; %bb.15187:                            ;   in Loop: Header=BB6_14192 Depth=3
	s_and_not1_saveexec_b32 s74, s74
; %bb.15188:                            ;   in Loop: Header=BB6_14192 Depth=3
	v_cmp_lt_i32_e32 vcc_lo, -1, v2
	v_mov_b32_e32 v0, 0x7c
	s_delay_alu instid0(VALU_DEP_1)
	v_cndmask_b32_e32 v70, 0xfc, v0, vcc_lo
; %bb.15189:                            ;   in Loop: Header=BB6_14192 Depth=3
	s_or_b32 exec_lo, exec_lo, s74
.LBB6_15190:                            ;   in Loop: Header=BB6_14192 Depth=3
	s_delay_alu instid0(SALU_CYCLE_1) | instskip(SKIP_3) | instid1(VALU_DEP_2)
	s_or_b32 exec_lo, exec_lo, s13
	v_lshrrev_b16 v0, 8, v8
	v_mov_b32_e32 v1, 0
	s_mov_b32 s74, exec_lo
	v_cmpx_ne_u16_e32 0, v0
	s_cbranch_execz .LBB6_15200
; %bb.15191:                            ;   in Loop: Header=BB6_14192 Depth=3
	v_bfrev_b32_e32 v1, 1
	s_mov_b32 s75, exec_lo
	v_cmpx_ne_u16_e32 0x80, v0
	s_cbranch_execz .LBB6_15199
; %bb.15192:                            ;   in Loop: Header=BB6_14192 Depth=3
	v_and_b32_e32 v3, 0xffff, v0
	s_delay_alu instid0(VALU_DEP_1) | instskip(SKIP_1) | instid1(VALU_DEP_2)
	v_and_b32_e32 v1, 0x7c, v3
	v_and_b32_e32 v2, 3, v3
	v_cmp_ne_u32_e32 vcc_lo, 0x7c, v1
                                        ; implicit-def: $vgpr1
	s_and_saveexec_b32 s13, vcc_lo
	s_delay_alu instid0(SALU_CYCLE_1)
	s_xor_b32 s13, exec_lo, s13
	s_cbranch_execz .LBB6_15196
; %bb.15193:                            ;   in Loop: Header=BB6_14192 Depth=3
	v_bfe_u32 v1, v3, 2, 5
	s_mov_b32 s76, exec_lo
	s_delay_alu instid0(VALU_DEP_1)
	v_cmpx_eq_u32_e32 0, v1
; %bb.15194:                            ;   in Loop: Header=BB6_14192 Depth=3
	v_clz_i32_u32_e32 v1, v2
	s_delay_alu instid0(VALU_DEP_1) | instskip(SKIP_1) | instid1(VALU_DEP_2)
	v_min_u32_e32 v2, 32, v1
	v_mov_b32_e32 v1, v113
	v_subrev_nc_u32_e32 v3, 29, v2
	s_delay_alu instid0(VALU_DEP_1) | instskip(NEXT) | instid1(VALU_DEP_1)
	v_lshlrev_b64_e32 v[0:1], v3, v[0:1]
	v_dual_sub_nc_u32 v1, 30, v2 :: v_dual_bitop2_b32 v2, 3, v0 bitop3:0x40
; %bb.15195:                            ;   in Loop: Header=BB6_14192 Depth=3
	s_or_b32 exec_lo, exec_lo, s76
	v_lshlrev_b32_e32 v0, 16, v8
	s_delay_alu instid0(VALU_DEP_1) | instskip(NEXT) | instid1(VALU_DEP_1)
	v_and_b32_e32 v0, 0x80000000, v0
	v_lshl_add_u32 v0, v1, 23, v0
	s_delay_alu instid0(VALU_DEP_1) | instskip(NEXT) | instid1(VALU_DEP_1)
	v_lshl_or_b32 v0, v2, 21, v0
                                        ; implicit-def: $vgpr2
	v_add_nc_u32_e32 v1, 0x38000000, v0
.LBB6_15196:                            ;   in Loop: Header=BB6_14192 Depth=3
	s_and_not1_saveexec_b32 s76, s13
; %bb.15197:                            ;   in Loop: Header=BB6_14192 Depth=3
	v_cmp_lt_i16_e64 s13, -1, v8
	v_mov_b32_e32 v0, 0x7f800000
	v_cmp_eq_u32_e32 vcc_lo, 0, v2
	s_delay_alu instid0(VALU_DEP_2) | instskip(NEXT) | instid1(VALU_DEP_1)
	v_cndmask_b32_e64 v0, 0xff800000, v0, s13
	v_cndmask_b32_e32 v1, 0x7f800001, v0, vcc_lo
; %bb.15198:                            ;   in Loop: Header=BB6_14192 Depth=3
	s_or_b32 exec_lo, exec_lo, s76
.LBB6_15199:                            ;   in Loop: Header=BB6_14192 Depth=3
	s_delay_alu instid0(SALU_CYCLE_1)
	s_or_b32 exec_lo, exec_lo, s75
.LBB6_15200:                            ;   in Loop: Header=BB6_14192 Depth=3
	s_delay_alu instid0(SALU_CYCLE_1) | instskip(NEXT) | instid1(VALU_DEP_1)
	s_or_b32 exec_lo, exec_lo, s74
	v_dual_mul_f32 v2, s73, v1 :: v_dual_mov_b32 v5, v113
	v_mov_b32_e32 v1, v113
                                        ; implicit-def: $vgpr84
	s_mov_b32 s13, exec_lo
	s_delay_alu instid0(VALU_DEP_2) | instskip(SKIP_2) | instid1(VALU_DEP_3)
	v_and_b32_e32 v4, 0x7f800000, v2
	v_and_b32_e32 v0, 0x7fffff, v2
	v_lshrrev_b32_e32 v3, 24, v2
	v_cmpx_ne_u64_e32 0x7f800000, v[4:5]
	s_xor_b32 s74, exec_lo, s13
	s_cbranch_execz .LBB6_15214
; %bb.15201:                            ;   in Loop: Header=BB6_14192 Depth=3
	v_and_b32_e32 v4, 0x7fffffff, v2
	v_mov_b32_e32 v5, v113
                                        ; implicit-def: $vgpr84
	s_delay_alu instid0(VALU_DEP_1) | instskip(SKIP_2) | instid1(SALU_CYCLE_1)
	v_cmp_gt_u64_e32 vcc_lo, 0x47600001, v[4:5]
	v_and_b32_e32 v4, 0x80, v3
	s_and_saveexec_b32 s13, vcc_lo
	s_xor_b32 s75, exec_lo, s13
	s_cbranch_execz .LBB6_15211
; %bb.15202:                            ;   in Loop: Header=BB6_14192 Depth=3
	v_mov_b32_e32 v84, 0
	s_mov_b32 s76, exec_lo
	v_cmpx_ne_u32_e32 0, v2
	s_cbranch_execz .LBB6_15210
; %bb.15203:                            ;   in Loop: Header=BB6_14192 Depth=3
	v_bfe_u32 v5, v2, 23, 8
	v_or_b32_e32 v3, 0x800000, v0
	s_delay_alu instid0(VALU_DEP_2) | instskip(SKIP_2) | instid1(VALU_DEP_2)
	v_cmp_gt_u32_e64 s13, 0x72, v5
	v_sub_nc_u32_e32 v2, 0x71, v5
	v_cmp_eq_u32_e32 vcc_lo, 0, v5
	v_dual_cndmask_b32 v2, 0, v2, s13 :: v_dual_cndmask_b32 v0, v3, v0, vcc_lo
	s_delay_alu instid0(VALU_DEP_1) | instskip(NEXT) | instid1(VALU_DEP_1)
	v_cndmask_b32_e64 v12, v2, 0x70, vcc_lo
	v_dual_add_nc_u32 v2, 21, v12 :: v_dual_add_nc_u32 v13, 20, v12
	s_delay_alu instid0(VALU_DEP_1) | instskip(NEXT) | instid1(VALU_DEP_2)
	v_lshlrev_b64_e64 v[2:3], v2, -1
	v_lshlrev_b64_e64 v[14:15], v13, 1
	s_delay_alu instid0(VALU_DEP_2) | instskip(SKIP_1) | instid1(VALU_DEP_4)
	v_bfi_b32 v2, v2, 0, v0
	v_lshrrev_b64 v[0:1], v12, v[0:1]
	v_bfi_b32 v3, v3, 0, 0
	s_delay_alu instid0(VALU_DEP_1) | instskip(NEXT) | instid1(VALU_DEP_3)
	v_cmp_eq_u64_e64 s13, v[2:3], v[14:15]
	v_mov_b64_e32 v[2:3], v[0:1]
	s_and_saveexec_b32 s77, s13
; %bb.15204:                            ;   in Loop: Header=BB6_14192 Depth=3
	v_bfe_u32 v2, v0, 21, 1
	v_mov_b32_e32 v3, v113
	s_delay_alu instid0(VALU_DEP_1) | instskip(NEXT) | instid1(VALU_DEP_1)
	v_add_nc_u64_e32 v[2:3], v[0:1], v[2:3]
	v_add_nc_u64_e32 v[2:3], -1, v[2:3]
; %bb.15205:                            ;   in Loop: Header=BB6_14192 Depth=3
	s_or_b32 exec_lo, exec_lo, s77
	v_add_nc_u32_e32 v1, 0xffffff81, v5
	v_lshrrev_b32_e32 v3, 23, v0
	s_mov_b32 s13, exec_lo
	s_delay_alu instid0(VALU_DEP_2) | instskip(NEXT) | instid1(VALU_DEP_1)
	v_cndmask_b32_e64 v1, v1, 0xffffff82, vcc_lo
	v_add3_u32 v5, v12, v1, v3
	v_and_b32_e32 v1, 0x1fffff, v2
                                        ; implicit-def: $vgpr2
	s_delay_alu instid0(VALU_DEP_1) | instskip(SKIP_1) | instid1(VALU_DEP_2)
	v_dual_add_nc_u32 v3, 14, v5 :: v_dual_add_nc_u32 v0, v1, v0
	v_mov_b32_e32 v1, v113
	v_cmpx_ne_u32_e32 0, v3
	s_xor_b32 s13, exec_lo, s13
; %bb.15206:                            ;   in Loop: Header=BB6_14192 Depth=3
	s_delay_alu instid0(VALU_DEP_2) | instskip(SKIP_1) | instid1(VALU_DEP_1)
	v_cmp_lt_u64_e32 vcc_lo, 0xffffff, v[0:1]
	v_add_nc_u32_e32 v2, 15, v5
	v_cndmask_b32_e32 v2, v3, v2, vcc_lo
	v_cndmask_b32_e64 v3, 0, 1, vcc_lo
	s_delay_alu instid0(VALU_DEP_1)
	v_lshrrev_b64 v[0:1], v3, v[0:1]
; %bb.15207:                            ;   in Loop: Header=BB6_14192 Depth=3
	s_and_not1_saveexec_b32 s13, s13
; %bb.15208:                            ;   in Loop: Header=BB6_14192 Depth=3
	s_delay_alu instid0(VALU_DEP_1)
	v_bfe_u32 v2, v0, 23, 1
; %bb.15209:                            ;   in Loop: Header=BB6_14192 Depth=3
	s_or_b32 exec_lo, exec_lo, s13
	s_delay_alu instid0(VALU_DEP_2) | instskip(NEXT) | instid1(VALU_DEP_2)
	v_lshrrev_b64 v[0:1], 21, v[0:1]
	v_cmp_gt_i32_e32 vcc_lo, 32, v2
	v_min_i32_e32 v3, 31, v2
	v_cmp_eq_u32_e64 s13, 0, v2
	s_delay_alu instid0(VALU_DEP_2) | instskip(SKIP_1) | instid1(VALU_DEP_2)
	v_dual_cndmask_b32 v1, 0, v1, vcc_lo :: v_dual_lshlrev_b32 v3, 2, v3
	v_cndmask_b32_e32 v0, 3, v0, vcc_lo
	v_and_b32_e32 v3, 0xfc, v3
	s_delay_alu instid0(VALU_DEP_2) | instskip(NEXT) | instid1(VALU_DEP_2)
	v_cmp_eq_u64_e32 vcc_lo, 0, v[0:1]
	v_and_or_b32 v0, v0, 3, v3
	s_and_b32 s13, s13, vcc_lo
	s_delay_alu instid0(VALU_DEP_1) | instid1(SALU_CYCLE_1)
	v_cndmask_b32_e64 v0, v0, 0, s13
	s_delay_alu instid0(VALU_DEP_1)
	v_or_b32_e32 v84, v0, v4
.LBB6_15210:                            ;   in Loop: Header=BB6_14192 Depth=3
	s_or_b32 exec_lo, exec_lo, s76
                                        ; implicit-def: $vgpr4
.LBB6_15211:                            ;   in Loop: Header=BB6_14192 Depth=3
	s_and_not1_saveexec_b32 s13, s75
; %bb.15212:                            ;   in Loop: Header=BB6_14192 Depth=3
	v_or_b32_e32 v84, 0x7b, v4
; %bb.15213:                            ;   in Loop: Header=BB6_14192 Depth=3
	s_or_b32 exec_lo, exec_lo, s13
                                        ; implicit-def: $vgpr2
                                        ; implicit-def: $vgpr0_vgpr1
                                        ; implicit-def: $vgpr3
.LBB6_15214:                            ;   in Loop: Header=BB6_14192 Depth=3
	s_and_not1_saveexec_b32 s13, s74
	s_cbranch_execz .LBB6_15220
; %bb.15215:                            ;   in Loop: Header=BB6_14192 Depth=3
	s_mov_b32 s74, exec_lo
                                        ; implicit-def: $vgpr84
	v_cmpx_ne_u64_e32 0, v[0:1]
	s_xor_b32 s74, exec_lo, s74
; %bb.15216:                            ;   in Loop: Header=BB6_14192 Depth=3
	v_or_b32_e32 v84, 0x7f, v3
                                        ; implicit-def: $vgpr2
; %bb.15217:                            ;   in Loop: Header=BB6_14192 Depth=3
	s_and_not1_saveexec_b32 s74, s74
; %bb.15218:                            ;   in Loop: Header=BB6_14192 Depth=3
	v_cmp_lt_i32_e32 vcc_lo, -1, v2
	v_mov_b32_e32 v0, 0x7c
	s_delay_alu instid0(VALU_DEP_1)
	v_cndmask_b32_e32 v84, 0xfc, v0, vcc_lo
; %bb.15219:                            ;   in Loop: Header=BB6_14192 Depth=3
	s_or_b32 exec_lo, exec_lo, s74
.LBB6_15220:                            ;   in Loop: Header=BB6_14192 Depth=3
	s_delay_alu instid0(SALU_CYCLE_1) | instskip(SKIP_2) | instid1(VALU_DEP_1)
	s_or_b32 exec_lo, exec_lo, s13
	v_dual_mov_b32 v1, 0 :: v_dual_lshrrev_b32 v0, 16, v8
	s_mov_b32 s74, exec_lo
	v_and_b32_e32 v2, 0xff, v0
	s_delay_alu instid0(VALU_DEP_1)
	v_cmpx_ne_u16_e32 0, v2
	s_cbranch_execz .LBB6_15230
; %bb.15221:                            ;   in Loop: Header=BB6_14192 Depth=3
	v_bfrev_b32_e32 v1, 1
	s_mov_b32 s75, exec_lo
	v_cmpx_ne_u16_e32 0x80, v2
	s_cbranch_execz .LBB6_15229
; %bb.15222:                            ;   in Loop: Header=BB6_14192 Depth=3
	v_and_b32_e32 v1, 0x7c0000, v8
	v_bfe_u32 v2, v8, 16, 2
	s_delay_alu instid0(VALU_DEP_2) | instskip(SKIP_1) | instid1(SALU_CYCLE_1)
	v_cmp_ne_u32_e32 vcc_lo, 0x7c0000, v1
                                        ; implicit-def: $vgpr1
	s_and_saveexec_b32 s13, vcc_lo
	s_xor_b32 s13, exec_lo, s13
	s_cbranch_execz .LBB6_15226
; %bb.15223:                            ;   in Loop: Header=BB6_14192 Depth=3
	v_bfe_u32 v1, v8, 18, 5
	s_mov_b32 s76, exec_lo
	s_delay_alu instid0(VALU_DEP_1)
	v_cmpx_eq_u32_e32 0, v1
; %bb.15224:                            ;   in Loop: Header=BB6_14192 Depth=3
	v_clz_i32_u32_e32 v1, v2
	s_delay_alu instid0(VALU_DEP_1) | instskip(NEXT) | instid1(VALU_DEP_1)
	v_min_u32_e32 v1, 32, v1
	v_subrev_nc_u32_e32 v2, 29, v1
	s_delay_alu instid0(VALU_DEP_1) | instskip(NEXT) | instid1(VALU_DEP_1)
	v_lshlrev_b64_e32 v[2:3], v2, v[0:1]
	v_dual_sub_nc_u32 v1, 30, v1 :: v_dual_bitop2_b32 v2, 3, v2 bitop3:0x40
; %bb.15225:                            ;   in Loop: Header=BB6_14192 Depth=3
	s_or_b32 exec_lo, exec_lo, s76
	v_lshlrev_b32_e32 v0, 24, v0
	s_delay_alu instid0(VALU_DEP_1) | instskip(NEXT) | instid1(VALU_DEP_1)
	v_and_b32_e32 v0, 0x80000000, v0
	v_lshl_add_u32 v0, v1, 23, v0
	s_delay_alu instid0(VALU_DEP_1) | instskip(NEXT) | instid1(VALU_DEP_1)
	v_lshl_or_b32 v0, v2, 21, v0
                                        ; implicit-def: $vgpr2
	v_add_nc_u32_e32 v1, 0x38000000, v0
                                        ; implicit-def: $vgpr0
.LBB6_15226:                            ;   in Loop: Header=BB6_14192 Depth=3
	s_and_not1_saveexec_b32 s76, s13
; %bb.15227:                            ;   in Loop: Header=BB6_14192 Depth=3
	v_bfe_i32 v0, v0, 0, 8
	v_cmp_eq_u32_e32 vcc_lo, 0, v2
	s_delay_alu instid0(VALU_DEP_2) | instskip(SKIP_1) | instid1(VALU_DEP_1)
	v_cmp_lt_i16_e64 s13, -1, v0
	v_mov_b32_e32 v0, 0x7f800000
	v_cndmask_b32_e64 v0, 0xff800000, v0, s13
	s_delay_alu instid0(VALU_DEP_1)
	v_cndmask_b32_e32 v1, 0x7f800001, v0, vcc_lo
; %bb.15228:                            ;   in Loop: Header=BB6_14192 Depth=3
	s_or_b32 exec_lo, exec_lo, s76
.LBB6_15229:                            ;   in Loop: Header=BB6_14192 Depth=3
	s_delay_alu instid0(SALU_CYCLE_1)
	s_or_b32 exec_lo, exec_lo, s75
.LBB6_15230:                            ;   in Loop: Header=BB6_14192 Depth=3
	s_delay_alu instid0(SALU_CYCLE_1) | instskip(NEXT) | instid1(VALU_DEP_1)
	s_or_b32 exec_lo, exec_lo, s74
	v_dual_mul_f32 v2, s73, v1 :: v_dual_mov_b32 v5, v113
	v_mov_b32_e32 v1, v113
                                        ; implicit-def: $vgpr87
	s_mov_b32 s13, exec_lo
	s_delay_alu instid0(VALU_DEP_2) | instskip(SKIP_2) | instid1(VALU_DEP_3)
	v_and_b32_e32 v4, 0x7f800000, v2
	v_and_b32_e32 v0, 0x7fffff, v2
	v_lshrrev_b32_e32 v3, 24, v2
	v_cmpx_ne_u64_e32 0x7f800000, v[4:5]
	s_xor_b32 s74, exec_lo, s13
	s_cbranch_execz .LBB6_15244
; %bb.15231:                            ;   in Loop: Header=BB6_14192 Depth=3
	v_and_b32_e32 v4, 0x7fffffff, v2
	v_mov_b32_e32 v5, v113
                                        ; implicit-def: $vgpr87
	s_delay_alu instid0(VALU_DEP_1) | instskip(SKIP_2) | instid1(SALU_CYCLE_1)
	v_cmp_gt_u64_e32 vcc_lo, 0x47600001, v[4:5]
	v_and_b32_e32 v4, 0x80, v3
	s_and_saveexec_b32 s13, vcc_lo
	s_xor_b32 s75, exec_lo, s13
	s_cbranch_execz .LBB6_15241
; %bb.15232:                            ;   in Loop: Header=BB6_14192 Depth=3
	v_mov_b32_e32 v87, 0
	s_mov_b32 s76, exec_lo
	v_cmpx_ne_u32_e32 0, v2
	s_cbranch_execz .LBB6_15240
; %bb.15233:                            ;   in Loop: Header=BB6_14192 Depth=3
	v_bfe_u32 v5, v2, 23, 8
	v_or_b32_e32 v3, 0x800000, v0
	s_delay_alu instid0(VALU_DEP_2) | instskip(SKIP_2) | instid1(VALU_DEP_2)
	v_cmp_gt_u32_e64 s13, 0x72, v5
	v_sub_nc_u32_e32 v2, 0x71, v5
	v_cmp_eq_u32_e32 vcc_lo, 0, v5
	v_dual_cndmask_b32 v2, 0, v2, s13 :: v_dual_cndmask_b32 v0, v3, v0, vcc_lo
	s_delay_alu instid0(VALU_DEP_1) | instskip(NEXT) | instid1(VALU_DEP_1)
	v_cndmask_b32_e64 v12, v2, 0x70, vcc_lo
	v_dual_add_nc_u32 v2, 21, v12 :: v_dual_add_nc_u32 v13, 20, v12
	s_delay_alu instid0(VALU_DEP_1) | instskip(NEXT) | instid1(VALU_DEP_2)
	v_lshlrev_b64_e64 v[2:3], v2, -1
	v_lshlrev_b64_e64 v[14:15], v13, 1
	s_delay_alu instid0(VALU_DEP_2) | instskip(SKIP_1) | instid1(VALU_DEP_4)
	v_bfi_b32 v2, v2, 0, v0
	v_lshrrev_b64 v[0:1], v12, v[0:1]
	v_bfi_b32 v3, v3, 0, 0
	s_delay_alu instid0(VALU_DEP_1) | instskip(NEXT) | instid1(VALU_DEP_3)
	v_cmp_eq_u64_e64 s13, v[2:3], v[14:15]
	v_mov_b64_e32 v[2:3], v[0:1]
	s_and_saveexec_b32 s77, s13
; %bb.15234:                            ;   in Loop: Header=BB6_14192 Depth=3
	v_bfe_u32 v2, v0, 21, 1
	v_mov_b32_e32 v3, v113
	s_delay_alu instid0(VALU_DEP_1) | instskip(NEXT) | instid1(VALU_DEP_1)
	v_add_nc_u64_e32 v[2:3], v[0:1], v[2:3]
	v_add_nc_u64_e32 v[2:3], -1, v[2:3]
; %bb.15235:                            ;   in Loop: Header=BB6_14192 Depth=3
	s_or_b32 exec_lo, exec_lo, s77
	v_add_nc_u32_e32 v1, 0xffffff81, v5
	v_lshrrev_b32_e32 v3, 23, v0
	s_mov_b32 s13, exec_lo
	s_delay_alu instid0(VALU_DEP_2) | instskip(NEXT) | instid1(VALU_DEP_1)
	v_cndmask_b32_e64 v1, v1, 0xffffff82, vcc_lo
	v_add3_u32 v5, v12, v1, v3
	v_and_b32_e32 v1, 0x1fffff, v2
                                        ; implicit-def: $vgpr2
	s_delay_alu instid0(VALU_DEP_1) | instskip(SKIP_1) | instid1(VALU_DEP_2)
	v_dual_add_nc_u32 v3, 14, v5 :: v_dual_add_nc_u32 v0, v1, v0
	v_mov_b32_e32 v1, v113
	v_cmpx_ne_u32_e32 0, v3
	s_xor_b32 s13, exec_lo, s13
; %bb.15236:                            ;   in Loop: Header=BB6_14192 Depth=3
	s_delay_alu instid0(VALU_DEP_2) | instskip(SKIP_1) | instid1(VALU_DEP_1)
	v_cmp_lt_u64_e32 vcc_lo, 0xffffff, v[0:1]
	v_add_nc_u32_e32 v2, 15, v5
	v_cndmask_b32_e32 v2, v3, v2, vcc_lo
	v_cndmask_b32_e64 v3, 0, 1, vcc_lo
	s_delay_alu instid0(VALU_DEP_1)
	v_lshrrev_b64 v[0:1], v3, v[0:1]
; %bb.15237:                            ;   in Loop: Header=BB6_14192 Depth=3
	s_and_not1_saveexec_b32 s13, s13
; %bb.15238:                            ;   in Loop: Header=BB6_14192 Depth=3
	s_delay_alu instid0(VALU_DEP_1)
	v_bfe_u32 v2, v0, 23, 1
; %bb.15239:                            ;   in Loop: Header=BB6_14192 Depth=3
	s_or_b32 exec_lo, exec_lo, s13
	s_delay_alu instid0(VALU_DEP_2) | instskip(NEXT) | instid1(VALU_DEP_2)
	v_lshrrev_b64 v[0:1], 21, v[0:1]
	v_cmp_gt_i32_e32 vcc_lo, 32, v2
	v_min_i32_e32 v3, 31, v2
	v_cmp_eq_u32_e64 s13, 0, v2
	s_delay_alu instid0(VALU_DEP_2) | instskip(SKIP_1) | instid1(VALU_DEP_2)
	v_dual_cndmask_b32 v1, 0, v1, vcc_lo :: v_dual_lshlrev_b32 v3, 2, v3
	v_cndmask_b32_e32 v0, 3, v0, vcc_lo
	v_and_b32_e32 v3, 0xfc, v3
	s_delay_alu instid0(VALU_DEP_2) | instskip(NEXT) | instid1(VALU_DEP_2)
	v_cmp_eq_u64_e32 vcc_lo, 0, v[0:1]
	v_and_or_b32 v0, v0, 3, v3
	s_and_b32 s13, s13, vcc_lo
	s_delay_alu instid0(VALU_DEP_1) | instid1(SALU_CYCLE_1)
	v_cndmask_b32_e64 v0, v0, 0, s13
	s_delay_alu instid0(VALU_DEP_1)
	v_or_b32_e32 v87, v0, v4
.LBB6_15240:                            ;   in Loop: Header=BB6_14192 Depth=3
	s_or_b32 exec_lo, exec_lo, s76
                                        ; implicit-def: $vgpr4
.LBB6_15241:                            ;   in Loop: Header=BB6_14192 Depth=3
	s_and_not1_saveexec_b32 s13, s75
; %bb.15242:                            ;   in Loop: Header=BB6_14192 Depth=3
	v_or_b32_e32 v87, 0x7b, v4
; %bb.15243:                            ;   in Loop: Header=BB6_14192 Depth=3
	s_or_b32 exec_lo, exec_lo, s13
                                        ; implicit-def: $vgpr2
                                        ; implicit-def: $vgpr0_vgpr1
                                        ; implicit-def: $vgpr3
.LBB6_15244:                            ;   in Loop: Header=BB6_14192 Depth=3
	s_and_not1_saveexec_b32 s13, s74
	s_cbranch_execz .LBB6_15250
; %bb.15245:                            ;   in Loop: Header=BB6_14192 Depth=3
	s_mov_b32 s74, exec_lo
                                        ; implicit-def: $vgpr87
	v_cmpx_ne_u64_e32 0, v[0:1]
	s_xor_b32 s74, exec_lo, s74
; %bb.15246:                            ;   in Loop: Header=BB6_14192 Depth=3
	v_or_b32_e32 v87, 0x7f, v3
                                        ; implicit-def: $vgpr2
; %bb.15247:                            ;   in Loop: Header=BB6_14192 Depth=3
	s_and_not1_saveexec_b32 s74, s74
; %bb.15248:                            ;   in Loop: Header=BB6_14192 Depth=3
	v_cmp_lt_i32_e32 vcc_lo, -1, v2
	v_mov_b32_e32 v0, 0x7c
	s_delay_alu instid0(VALU_DEP_1)
	v_cndmask_b32_e32 v87, 0xfc, v0, vcc_lo
; %bb.15249:                            ;   in Loop: Header=BB6_14192 Depth=3
	s_or_b32 exec_lo, exec_lo, s74
.LBB6_15250:                            ;   in Loop: Header=BB6_14192 Depth=3
	s_delay_alu instid0(SALU_CYCLE_1)
	s_or_b32 exec_lo, exec_lo, s13
	v_mov_b32_e32 v1, 0
	s_mov_b32 s74, exec_lo
	v_cmpx_lt_u32_e32 0xffffff, v8
	s_cbranch_execz .LBB6_15260
; %bb.15251:                            ;   in Loop: Header=BB6_14192 Depth=3
	v_lshrrev_b32_e32 v0, 24, v8
	v_bfrev_b32_e32 v1, 1
	s_mov_b32 s75, exec_lo
	s_delay_alu instid0(VALU_DEP_2)
	v_cmpx_ne_u32_e32 0x80, v0
	s_cbranch_execz .LBB6_15259
; %bb.15252:                            ;   in Loop: Header=BB6_14192 Depth=3
	v_and_b32_e32 v1, 0x7c000000, v8
	v_bfe_u32 v2, v8, 24, 2
	s_delay_alu instid0(VALU_DEP_2) | instskip(SKIP_1) | instid1(SALU_CYCLE_1)
	v_cmp_ne_u32_e32 vcc_lo, 0x7c000000, v1
                                        ; implicit-def: $vgpr1
	s_and_saveexec_b32 s13, vcc_lo
	s_xor_b32 s13, exec_lo, s13
	s_cbranch_execz .LBB6_15256
; %bb.15253:                            ;   in Loop: Header=BB6_14192 Depth=3
	v_bfe_u32 v1, v8, 26, 5
	s_mov_b32 s76, exec_lo
	s_delay_alu instid0(VALU_DEP_1)
	v_cmpx_eq_u32_e32 0, v1
; %bb.15254:                            ;   in Loop: Header=BB6_14192 Depth=3
	v_clz_i32_u32_e32 v1, v2
	s_delay_alu instid0(VALU_DEP_1) | instskip(NEXT) | instid1(VALU_DEP_1)
	v_min_u32_e32 v2, 32, v1
	v_subrev_nc_u32_e32 v1, 29, v2
	s_delay_alu instid0(VALU_DEP_1) | instskip(NEXT) | instid1(VALU_DEP_1)
	v_lshlrev_b64_e32 v[0:1], v1, v[0:1]
	v_dual_sub_nc_u32 v1, 30, v2 :: v_dual_bitop2_b32 v2, 3, v0 bitop3:0x40
; %bb.15255:                            ;   in Loop: Header=BB6_14192 Depth=3
	s_or_b32 exec_lo, exec_lo, s76
	v_and_b32_e32 v0, 0x80000000, v8
	s_delay_alu instid0(VALU_DEP_1) | instskip(NEXT) | instid1(VALU_DEP_1)
	v_lshl_add_u32 v0, v1, 23, v0
	v_lshl_or_b32 v0, v2, 21, v0
                                        ; implicit-def: $vgpr2
	s_delay_alu instid0(VALU_DEP_1)
	v_add_nc_u32_e32 v1, 0x38000000, v0
.LBB6_15256:                            ;   in Loop: Header=BB6_14192 Depth=3
	s_and_not1_saveexec_b32 s76, s13
; %bb.15257:                            ;   in Loop: Header=BB6_14192 Depth=3
	v_cmp_lt_i32_e64 s13, -1, v8
	v_mov_b32_e32 v0, 0x7f800000
	v_cmp_eq_u32_e32 vcc_lo, 0, v2
	s_delay_alu instid0(VALU_DEP_2) | instskip(NEXT) | instid1(VALU_DEP_1)
	v_cndmask_b32_e64 v0, 0xff800000, v0, s13
	v_cndmask_b32_e32 v1, 0x7f800001, v0, vcc_lo
; %bb.15258:                            ;   in Loop: Header=BB6_14192 Depth=3
	s_or_b32 exec_lo, exec_lo, s76
.LBB6_15259:                            ;   in Loop: Header=BB6_14192 Depth=3
	s_delay_alu instid0(SALU_CYCLE_1)
	s_or_b32 exec_lo, exec_lo, s75
.LBB6_15260:                            ;   in Loop: Header=BB6_14192 Depth=3
	s_delay_alu instid0(SALU_CYCLE_1) | instskip(NEXT) | instid1(VALU_DEP_1)
	s_or_b32 exec_lo, exec_lo, s74
	v_dual_mul_f32 v2, s73, v1 :: v_dual_mov_b32 v5, v113
	v_mov_b32_e32 v1, v113
                                        ; implicit-def: $vgpr97
	s_mov_b32 s13, exec_lo
	s_delay_alu instid0(VALU_DEP_2) | instskip(SKIP_2) | instid1(VALU_DEP_3)
	v_and_b32_e32 v4, 0x7f800000, v2
	v_and_b32_e32 v0, 0x7fffff, v2
	v_lshrrev_b32_e32 v3, 24, v2
	v_cmpx_ne_u64_e32 0x7f800000, v[4:5]
	s_xor_b32 s74, exec_lo, s13
	s_cbranch_execz .LBB6_15274
; %bb.15261:                            ;   in Loop: Header=BB6_14192 Depth=3
	v_and_b32_e32 v4, 0x7fffffff, v2
	v_mov_b32_e32 v5, v113
                                        ; implicit-def: $vgpr97
	s_delay_alu instid0(VALU_DEP_1) | instskip(SKIP_2) | instid1(SALU_CYCLE_1)
	v_cmp_gt_u64_e32 vcc_lo, 0x47600001, v[4:5]
	v_and_b32_e32 v4, 0x80, v3
	s_and_saveexec_b32 s13, vcc_lo
	s_xor_b32 s75, exec_lo, s13
	s_cbranch_execz .LBB6_15271
; %bb.15262:                            ;   in Loop: Header=BB6_14192 Depth=3
	v_mov_b32_e32 v97, 0
	s_mov_b32 s76, exec_lo
	v_cmpx_ne_u32_e32 0, v2
	s_cbranch_execz .LBB6_15270
; %bb.15263:                            ;   in Loop: Header=BB6_14192 Depth=3
	v_bfe_u32 v5, v2, 23, 8
	v_or_b32_e32 v3, 0x800000, v0
	s_delay_alu instid0(VALU_DEP_2) | instskip(SKIP_2) | instid1(VALU_DEP_2)
	v_cmp_gt_u32_e64 s13, 0x72, v5
	v_sub_nc_u32_e32 v2, 0x71, v5
	v_cmp_eq_u32_e32 vcc_lo, 0, v5
	v_dual_cndmask_b32 v2, 0, v2, s13 :: v_dual_cndmask_b32 v0, v3, v0, vcc_lo
	s_delay_alu instid0(VALU_DEP_1) | instskip(NEXT) | instid1(VALU_DEP_1)
	v_cndmask_b32_e64 v12, v2, 0x70, vcc_lo
	v_dual_add_nc_u32 v2, 21, v12 :: v_dual_add_nc_u32 v13, 20, v12
	s_delay_alu instid0(VALU_DEP_1) | instskip(NEXT) | instid1(VALU_DEP_2)
	v_lshlrev_b64_e64 v[2:3], v2, -1
	v_lshlrev_b64_e64 v[14:15], v13, 1
	s_delay_alu instid0(VALU_DEP_2) | instskip(SKIP_1) | instid1(VALU_DEP_4)
	v_bfi_b32 v2, v2, 0, v0
	v_lshrrev_b64 v[0:1], v12, v[0:1]
	v_bfi_b32 v3, v3, 0, 0
	s_delay_alu instid0(VALU_DEP_1) | instskip(NEXT) | instid1(VALU_DEP_3)
	v_cmp_eq_u64_e64 s13, v[2:3], v[14:15]
	v_mov_b64_e32 v[2:3], v[0:1]
	s_and_saveexec_b32 s77, s13
; %bb.15264:                            ;   in Loop: Header=BB6_14192 Depth=3
	v_bfe_u32 v2, v0, 21, 1
	v_mov_b32_e32 v3, v113
	s_delay_alu instid0(VALU_DEP_1) | instskip(NEXT) | instid1(VALU_DEP_1)
	v_add_nc_u64_e32 v[2:3], v[0:1], v[2:3]
	v_add_nc_u64_e32 v[2:3], -1, v[2:3]
; %bb.15265:                            ;   in Loop: Header=BB6_14192 Depth=3
	s_or_b32 exec_lo, exec_lo, s77
	v_add_nc_u32_e32 v1, 0xffffff81, v5
	v_lshrrev_b32_e32 v3, 23, v0
	s_mov_b32 s13, exec_lo
	s_delay_alu instid0(VALU_DEP_2) | instskip(NEXT) | instid1(VALU_DEP_1)
	v_cndmask_b32_e64 v1, v1, 0xffffff82, vcc_lo
	v_add3_u32 v5, v12, v1, v3
	v_and_b32_e32 v1, 0x1fffff, v2
                                        ; implicit-def: $vgpr2
	s_delay_alu instid0(VALU_DEP_1) | instskip(SKIP_1) | instid1(VALU_DEP_2)
	v_dual_add_nc_u32 v3, 14, v5 :: v_dual_add_nc_u32 v0, v1, v0
	v_mov_b32_e32 v1, v113
	v_cmpx_ne_u32_e32 0, v3
	s_xor_b32 s13, exec_lo, s13
; %bb.15266:                            ;   in Loop: Header=BB6_14192 Depth=3
	s_delay_alu instid0(VALU_DEP_2) | instskip(SKIP_1) | instid1(VALU_DEP_1)
	v_cmp_lt_u64_e32 vcc_lo, 0xffffff, v[0:1]
	v_add_nc_u32_e32 v2, 15, v5
	v_cndmask_b32_e32 v2, v3, v2, vcc_lo
	v_cndmask_b32_e64 v3, 0, 1, vcc_lo
	s_delay_alu instid0(VALU_DEP_1)
	v_lshrrev_b64 v[0:1], v3, v[0:1]
; %bb.15267:                            ;   in Loop: Header=BB6_14192 Depth=3
	s_and_not1_saveexec_b32 s13, s13
; %bb.15268:                            ;   in Loop: Header=BB6_14192 Depth=3
	s_delay_alu instid0(VALU_DEP_1)
	v_bfe_u32 v2, v0, 23, 1
; %bb.15269:                            ;   in Loop: Header=BB6_14192 Depth=3
	s_or_b32 exec_lo, exec_lo, s13
	s_delay_alu instid0(VALU_DEP_2) | instskip(NEXT) | instid1(VALU_DEP_2)
	v_lshrrev_b64 v[0:1], 21, v[0:1]
	v_cmp_gt_i32_e32 vcc_lo, 32, v2
	v_min_i32_e32 v3, 31, v2
	v_cmp_eq_u32_e64 s13, 0, v2
	s_delay_alu instid0(VALU_DEP_2) | instskip(SKIP_1) | instid1(VALU_DEP_2)
	v_dual_cndmask_b32 v1, 0, v1, vcc_lo :: v_dual_lshlrev_b32 v3, 2, v3
	v_cndmask_b32_e32 v0, 3, v0, vcc_lo
	v_and_b32_e32 v3, 0xfc, v3
	s_delay_alu instid0(VALU_DEP_2) | instskip(NEXT) | instid1(VALU_DEP_2)
	v_cmp_eq_u64_e32 vcc_lo, 0, v[0:1]
	v_and_or_b32 v0, v0, 3, v3
	s_and_b32 s13, s13, vcc_lo
	s_delay_alu instid0(VALU_DEP_1) | instid1(SALU_CYCLE_1)
	v_cndmask_b32_e64 v0, v0, 0, s13
	s_delay_alu instid0(VALU_DEP_1)
	v_or_b32_e32 v97, v0, v4
.LBB6_15270:                            ;   in Loop: Header=BB6_14192 Depth=3
	s_or_b32 exec_lo, exec_lo, s76
                                        ; implicit-def: $vgpr4
.LBB6_15271:                            ;   in Loop: Header=BB6_14192 Depth=3
	s_and_not1_saveexec_b32 s13, s75
; %bb.15272:                            ;   in Loop: Header=BB6_14192 Depth=3
	v_or_b32_e32 v97, 0x7b, v4
; %bb.15273:                            ;   in Loop: Header=BB6_14192 Depth=3
	s_or_b32 exec_lo, exec_lo, s13
                                        ; implicit-def: $vgpr2
                                        ; implicit-def: $vgpr0_vgpr1
                                        ; implicit-def: $vgpr3
.LBB6_15274:                            ;   in Loop: Header=BB6_14192 Depth=3
	s_and_not1_saveexec_b32 s13, s74
	s_cbranch_execz .LBB6_15280
; %bb.15275:                            ;   in Loop: Header=BB6_14192 Depth=3
	s_mov_b32 s74, exec_lo
                                        ; implicit-def: $vgpr97
	v_cmpx_ne_u64_e32 0, v[0:1]
	s_xor_b32 s74, exec_lo, s74
; %bb.15276:                            ;   in Loop: Header=BB6_14192 Depth=3
	v_or_b32_e32 v97, 0x7f, v3
                                        ; implicit-def: $vgpr2
; %bb.15277:                            ;   in Loop: Header=BB6_14192 Depth=3
	s_and_not1_saveexec_b32 s74, s74
; %bb.15278:                            ;   in Loop: Header=BB6_14192 Depth=3
	v_cmp_lt_i32_e32 vcc_lo, -1, v2
	v_mov_b32_e32 v0, 0x7c
	s_delay_alu instid0(VALU_DEP_1)
	v_cndmask_b32_e32 v97, 0xfc, v0, vcc_lo
; %bb.15279:                            ;   in Loop: Header=BB6_14192 Depth=3
	s_or_b32 exec_lo, exec_lo, s74
.LBB6_15280:                            ;   in Loop: Header=BB6_14192 Depth=3
	s_delay_alu instid0(SALU_CYCLE_1) | instskip(SKIP_4) | instid1(VALU_DEP_3)
	s_or_b32 exec_lo, exec_lo, s13
	v_and_b32_e32 v3, 0xff, v9
	v_dual_mov_b32 v0, v9 :: v_dual_mov_b32 v1, v113
	v_mov_b32_e32 v2, 0
	s_mov_b32 s74, exec_lo
	v_cmpx_ne_u16_e32 0, v3
	s_cbranch_execz .LBB6_15290
; %bb.15281:                            ;   in Loop: Header=BB6_14192 Depth=3
	v_bfrev_b32_e32 v2, 1
	s_mov_b32 s75, exec_lo
	v_cmpx_ne_u16_e32 0x80, v3
	s_cbranch_execz .LBB6_15289
; %bb.15282:                            ;   in Loop: Header=BB6_14192 Depth=3
	v_and_b32_e32 v2, 0x7c, v9
	v_and_b32_e32 v3, 3, v9
	s_delay_alu instid0(VALU_DEP_2) | instskip(SKIP_1) | instid1(SALU_CYCLE_1)
	v_cmp_ne_u32_e32 vcc_lo, 0x7c, v2
                                        ; implicit-def: $vgpr2
	s_and_saveexec_b32 s13, vcc_lo
	s_xor_b32 s13, exec_lo, s13
	s_cbranch_execz .LBB6_15286
; %bb.15283:                            ;   in Loop: Header=BB6_14192 Depth=3
	v_bfe_u32 v2, v9, 2, 5
	s_mov_b32 s76, exec_lo
	s_delay_alu instid0(VALU_DEP_1)
	v_cmpx_eq_u32_e32 0, v2
; %bb.15284:                            ;   in Loop: Header=BB6_14192 Depth=3
	v_clz_i32_u32_e32 v2, v3
	s_delay_alu instid0(VALU_DEP_1) | instskip(NEXT) | instid1(VALU_DEP_1)
	v_min_u32_e32 v2, 32, v2
	v_subrev_nc_u32_e32 v3, 29, v2
	s_delay_alu instid0(VALU_DEP_1) | instskip(NEXT) | instid1(VALU_DEP_1)
	v_lshlrev_b64_e32 v[4:5], v3, v[0:1]
	v_dual_sub_nc_u32 v2, 30, v2 :: v_dual_bitop2_b32 v3, 3, v4 bitop3:0x40
; %bb.15285:                            ;   in Loop: Header=BB6_14192 Depth=3
	s_or_b32 exec_lo, exec_lo, s76
	v_lshlrev_b32_e32 v1, 24, v9
	s_delay_alu instid0(VALU_DEP_1) | instskip(NEXT) | instid1(VALU_DEP_1)
	v_and_b32_e32 v1, 0x80000000, v1
	v_lshl_add_u32 v1, v2, 23, v1
	s_delay_alu instid0(VALU_DEP_1) | instskip(NEXT) | instid1(VALU_DEP_1)
	v_lshl_or_b32 v1, v3, 21, v1
                                        ; implicit-def: $vgpr3
	v_add_nc_u32_e32 v2, 0x38000000, v1
.LBB6_15286:                            ;   in Loop: Header=BB6_14192 Depth=3
	s_and_not1_saveexec_b32 s76, s13
; %bb.15287:                            ;   in Loop: Header=BB6_14192 Depth=3
	v_bfe_i32 v1, v9, 0, 8
	v_cmp_eq_u32_e32 vcc_lo, 0, v3
	s_delay_alu instid0(VALU_DEP_2) | instskip(SKIP_1) | instid1(VALU_DEP_1)
	v_cmp_lt_i16_e64 s13, -1, v1
	v_mov_b32_e32 v1, 0x7f800000
	v_cndmask_b32_e64 v1, 0xff800000, v1, s13
	s_delay_alu instid0(VALU_DEP_1)
	v_cndmask_b32_e32 v2, 0x7f800001, v1, vcc_lo
; %bb.15288:                            ;   in Loop: Header=BB6_14192 Depth=3
	s_or_b32 exec_lo, exec_lo, s76
.LBB6_15289:                            ;   in Loop: Header=BB6_14192 Depth=3
	s_delay_alu instid0(SALU_CYCLE_1)
	s_or_b32 exec_lo, exec_lo, s75
.LBB6_15290:                            ;   in Loop: Header=BB6_14192 Depth=3
	s_delay_alu instid0(SALU_CYCLE_1) | instskip(NEXT) | instid1(VALU_DEP_1)
	s_or_b32 exec_lo, exec_lo, s74
	v_dual_mul_f32 v4, s73, v2 :: v_dual_mov_b32 v13, v113
	v_mov_b32_e32 v3, v113
                                        ; implicit-def: $vgpr65
	s_mov_b32 s13, exec_lo
	s_delay_alu instid0(VALU_DEP_2) | instskip(SKIP_2) | instid1(VALU_DEP_3)
	v_and_b32_e32 v12, 0x7f800000, v4
	v_and_b32_e32 v2, 0x7fffff, v4
	v_lshrrev_b32_e32 v1, 24, v4
	v_cmpx_ne_u64_e32 0x7f800000, v[12:13]
	s_xor_b32 s74, exec_lo, s13
	s_cbranch_execz .LBB6_15304
; %bb.15291:                            ;   in Loop: Header=BB6_14192 Depth=3
	v_and_b32_e32 v12, 0x7fffffff, v4
	v_mov_b32_e32 v13, v113
	v_and_b32_e32 v1, 0x80, v1
                                        ; implicit-def: $vgpr65
	s_mov_b32 s13, exec_lo
	s_delay_alu instid0(VALU_DEP_2)
	v_cmpx_gt_u64_e32 0x47600001, v[12:13]
	s_xor_b32 s75, exec_lo, s13
	s_cbranch_execz .LBB6_15301
; %bb.15292:                            ;   in Loop: Header=BB6_14192 Depth=3
	v_mov_b32_e32 v65, 0
	s_mov_b32 s76, exec_lo
	v_cmpx_ne_u32_e32 0, v4
	s_cbranch_execz .LBB6_15300
; %bb.15293:                            ;   in Loop: Header=BB6_14192 Depth=3
	v_bfe_u32 v12, v4, 23, 8
	v_or_b32_e32 v5, 0x800000, v2
	s_delay_alu instid0(VALU_DEP_2) | instskip(SKIP_2) | instid1(VALU_DEP_2)
	v_cmp_gt_u32_e64 s13, 0x72, v12
	v_sub_nc_u32_e32 v4, 0x71, v12
	v_cmp_eq_u32_e32 vcc_lo, 0, v12
	v_dual_cndmask_b32 v4, 0, v4, s13 :: v_dual_cndmask_b32 v2, v5, v2, vcc_lo
	s_delay_alu instid0(VALU_DEP_1) | instskip(NEXT) | instid1(VALU_DEP_1)
	v_cndmask_b32_e64 v13, v4, 0x70, vcc_lo
	v_dual_add_nc_u32 v4, 21, v13 :: v_dual_add_nc_u32 v14, 20, v13
	s_delay_alu instid0(VALU_DEP_1) | instskip(NEXT) | instid1(VALU_DEP_2)
	v_lshlrev_b64_e64 v[4:5], v4, -1
	v_lshlrev_b64_e64 v[14:15], v14, 1
	s_delay_alu instid0(VALU_DEP_2) | instskip(SKIP_1) | instid1(VALU_DEP_4)
	v_bfi_b32 v4, v4, 0, v2
	v_lshrrev_b64 v[2:3], v13, v[2:3]
	v_bfi_b32 v5, v5, 0, 0
	s_delay_alu instid0(VALU_DEP_1) | instskip(NEXT) | instid1(VALU_DEP_3)
	v_cmp_eq_u64_e64 s13, v[4:5], v[14:15]
	v_mov_b64_e32 v[4:5], v[2:3]
	s_and_saveexec_b32 s77, s13
; %bb.15294:                            ;   in Loop: Header=BB6_14192 Depth=3
	v_bfe_u32 v4, v2, 21, 1
	v_mov_b32_e32 v5, v113
	s_delay_alu instid0(VALU_DEP_1) | instskip(NEXT) | instid1(VALU_DEP_1)
	v_add_nc_u64_e32 v[4:5], v[2:3], v[4:5]
	v_add_nc_u64_e32 v[4:5], -1, v[4:5]
; %bb.15295:                            ;   in Loop: Header=BB6_14192 Depth=3
	s_or_b32 exec_lo, exec_lo, s77
	v_add_nc_u32_e32 v3, 0xffffff81, v12
	v_lshrrev_b32_e32 v5, 23, v2
	s_mov_b32 s13, exec_lo
	s_delay_alu instid0(VALU_DEP_2) | instskip(NEXT) | instid1(VALU_DEP_1)
	v_cndmask_b32_e64 v3, v3, 0xffffff82, vcc_lo
	v_add3_u32 v12, v13, v3, v5
	v_and_b32_e32 v3, 0x1fffff, v4
                                        ; implicit-def: $vgpr4
	s_delay_alu instid0(VALU_DEP_1) | instskip(SKIP_1) | instid1(VALU_DEP_2)
	v_dual_add_nc_u32 v5, 14, v12 :: v_dual_add_nc_u32 v2, v3, v2
	v_mov_b32_e32 v3, v113
	v_cmpx_ne_u32_e32 0, v5
	s_xor_b32 s13, exec_lo, s13
; %bb.15296:                            ;   in Loop: Header=BB6_14192 Depth=3
	s_delay_alu instid0(VALU_DEP_2) | instskip(SKIP_1) | instid1(VALU_DEP_1)
	v_cmp_lt_u64_e32 vcc_lo, 0xffffff, v[2:3]
	v_add_nc_u32_e32 v4, 15, v12
	v_cndmask_b32_e32 v4, v5, v4, vcc_lo
	v_cndmask_b32_e64 v5, 0, 1, vcc_lo
	s_delay_alu instid0(VALU_DEP_1)
	v_lshrrev_b64 v[2:3], v5, v[2:3]
; %bb.15297:                            ;   in Loop: Header=BB6_14192 Depth=3
	s_and_not1_saveexec_b32 s13, s13
; %bb.15298:                            ;   in Loop: Header=BB6_14192 Depth=3
	s_delay_alu instid0(VALU_DEP_1)
	v_bfe_u32 v4, v2, 23, 1
; %bb.15299:                            ;   in Loop: Header=BB6_14192 Depth=3
	s_or_b32 exec_lo, exec_lo, s13
	s_delay_alu instid0(VALU_DEP_2) | instskip(NEXT) | instid1(VALU_DEP_2)
	v_lshrrev_b64 v[2:3], 21, v[2:3]
	v_cmp_gt_i32_e32 vcc_lo, 32, v4
	v_min_i32_e32 v5, 31, v4
	v_cmp_eq_u32_e64 s13, 0, v4
	s_delay_alu instid0(VALU_DEP_2) | instskip(SKIP_1) | instid1(VALU_DEP_2)
	v_dual_cndmask_b32 v3, 0, v3, vcc_lo :: v_dual_lshlrev_b32 v5, 2, v5
	v_cndmask_b32_e32 v2, 3, v2, vcc_lo
	v_and_b32_e32 v5, 0xfc, v5
	s_delay_alu instid0(VALU_DEP_2) | instskip(NEXT) | instid1(VALU_DEP_2)
	v_cmp_eq_u64_e32 vcc_lo, 0, v[2:3]
	v_and_or_b32 v2, v2, 3, v5
	s_and_b32 s13, s13, vcc_lo
	s_delay_alu instid0(VALU_DEP_1) | instid1(SALU_CYCLE_1)
	v_cndmask_b32_e64 v2, v2, 0, s13
	s_delay_alu instid0(VALU_DEP_1)
	v_or_b32_e32 v65, v2, v1
.LBB6_15300:                            ;   in Loop: Header=BB6_14192 Depth=3
	s_or_b32 exec_lo, exec_lo, s76
                                        ; implicit-def: $vgpr1
.LBB6_15301:                            ;   in Loop: Header=BB6_14192 Depth=3
	s_and_not1_saveexec_b32 s13, s75
; %bb.15302:                            ;   in Loop: Header=BB6_14192 Depth=3
	v_or_b32_e32 v65, 0x7b, v1
; %bb.15303:                            ;   in Loop: Header=BB6_14192 Depth=3
	s_or_b32 exec_lo, exec_lo, s13
                                        ; implicit-def: $vgpr4
                                        ; implicit-def: $vgpr2_vgpr3
                                        ; implicit-def: $vgpr1
.LBB6_15304:                            ;   in Loop: Header=BB6_14192 Depth=3
	s_and_not1_saveexec_b32 s13, s74
	s_cbranch_execz .LBB6_15310
; %bb.15305:                            ;   in Loop: Header=BB6_14192 Depth=3
	s_mov_b32 s74, exec_lo
                                        ; implicit-def: $vgpr65
	v_cmpx_ne_u64_e32 0, v[2:3]
	s_xor_b32 s74, exec_lo, s74
; %bb.15306:                            ;   in Loop: Header=BB6_14192 Depth=3
	v_or_b32_e32 v65, 0x7f, v1
                                        ; implicit-def: $vgpr4
; %bb.15307:                            ;   in Loop: Header=BB6_14192 Depth=3
	s_and_not1_saveexec_b32 s74, s74
; %bb.15308:                            ;   in Loop: Header=BB6_14192 Depth=3
	v_cmp_lt_i32_e32 vcc_lo, -1, v4
	v_mov_b32_e32 v1, 0x7c
	s_delay_alu instid0(VALU_DEP_1)
	v_cndmask_b32_e32 v65, 0xfc, v1, vcc_lo
; %bb.15309:                            ;   in Loop: Header=BB6_14192 Depth=3
	s_or_b32 exec_lo, exec_lo, s74
.LBB6_15310:                            ;   in Loop: Header=BB6_14192 Depth=3
	s_delay_alu instid0(SALU_CYCLE_1) | instskip(SKIP_3) | instid1(VALU_DEP_2)
	s_or_b32 exec_lo, exec_lo, s13
	v_lshrrev_b16 v2, 8, v0
	v_mov_b32_e32 v3, 0
	s_mov_b32 s74, exec_lo
	v_cmpx_ne_u16_e32 0, v2
	s_cbranch_execz .LBB6_15320
; %bb.15311:                            ;   in Loop: Header=BB6_14192 Depth=3
	v_bfrev_b32_e32 v3, 1
	s_mov_b32 s75, exec_lo
	v_cmpx_ne_u16_e32 0x80, v2
	s_cbranch_execz .LBB6_15319
; %bb.15312:                            ;   in Loop: Header=BB6_14192 Depth=3
	v_and_b32_e32 v1, 0xffff, v2
	s_delay_alu instid0(VALU_DEP_1) | instskip(SKIP_1) | instid1(VALU_DEP_2)
	v_and_b32_e32 v3, 0x7c, v1
	v_and_b32_e32 v4, 3, v1
	v_cmp_ne_u32_e32 vcc_lo, 0x7c, v3
                                        ; implicit-def: $vgpr3
	s_and_saveexec_b32 s13, vcc_lo
	s_delay_alu instid0(SALU_CYCLE_1)
	s_xor_b32 s13, exec_lo, s13
	s_cbranch_execz .LBB6_15316
; %bb.15313:                            ;   in Loop: Header=BB6_14192 Depth=3
	v_bfe_u32 v1, v1, 2, 5
	s_mov_b32 s76, exec_lo
	s_delay_alu instid0(VALU_DEP_1)
	v_cmpx_eq_u32_e32 0, v1
	s_cbranch_execz .LBB6_15315
; %bb.15314:                            ;   in Loop: Header=BB6_14192 Depth=3
	v_clz_i32_u32_e32 v1, v4
	s_delay_alu instid0(VALU_DEP_1) | instskip(SKIP_1) | instid1(VALU_DEP_2)
	v_min_u32_e32 v1, 32, v1
	v_mov_b32_e32 v3, v113
	v_subrev_nc_u32_e32 v4, 29, v1
	v_sub_nc_u32_e32 v1, 30, v1
	s_delay_alu instid0(VALU_DEP_2) | instskip(NEXT) | instid1(VALU_DEP_1)
	v_lshlrev_b64_e32 v[2:3], v4, v[2:3]
	v_and_b32_e32 v4, 3, v2
.LBB6_15315:                            ;   in Loop: Header=BB6_14192 Depth=3
	s_or_b32 exec_lo, exec_lo, s76
	v_lshlrev_b32_e32 v0, 16, v0
	s_delay_alu instid0(VALU_DEP_1) | instskip(NEXT) | instid1(VALU_DEP_1)
	v_and_b32_e32 v0, 0x80000000, v0
	v_lshl_add_u32 v0, v1, 23, v0
	s_delay_alu instid0(VALU_DEP_1) | instskip(NEXT) | instid1(VALU_DEP_1)
	v_lshl_or_b32 v0, v4, 21, v0
                                        ; implicit-def: $vgpr4
	v_add_nc_u32_e32 v3, 0x38000000, v0
                                        ; implicit-def: $vgpr0_vgpr1
.LBB6_15316:                            ;   in Loop: Header=BB6_14192 Depth=3
	s_and_not1_saveexec_b32 s76, s13
; %bb.15317:                            ;   in Loop: Header=BB6_14192 Depth=3
	v_cmp_lt_i16_e64 s13, -1, v0
	v_mov_b32_e32 v0, 0x7f800000
	v_cmp_eq_u32_e32 vcc_lo, 0, v4
	s_delay_alu instid0(VALU_DEP_2) | instskip(NEXT) | instid1(VALU_DEP_1)
	v_cndmask_b32_e64 v0, 0xff800000, v0, s13
	v_cndmask_b32_e32 v3, 0x7f800001, v0, vcc_lo
; %bb.15318:                            ;   in Loop: Header=BB6_14192 Depth=3
	s_or_b32 exec_lo, exec_lo, s76
.LBB6_15319:                            ;   in Loop: Header=BB6_14192 Depth=3
	s_delay_alu instid0(SALU_CYCLE_1)
	s_or_b32 exec_lo, exec_lo, s75
.LBB6_15320:                            ;   in Loop: Header=BB6_14192 Depth=3
	s_delay_alu instid0(SALU_CYCLE_1) | instskip(NEXT) | instid1(VALU_DEP_1)
	s_or_b32 exec_lo, exec_lo, s74
	v_dual_mul_f32 v2, s73, v3 :: v_dual_mov_b32 v5, v113
	v_mov_b32_e32 v1, v113
                                        ; implicit-def: $vgpr80
	s_mov_b32 s13, exec_lo
	s_delay_alu instid0(VALU_DEP_2) | instskip(SKIP_2) | instid1(VALU_DEP_3)
	v_and_b32_e32 v4, 0x7f800000, v2
	v_and_b32_e32 v0, 0x7fffff, v2
	v_lshrrev_b32_e32 v3, 24, v2
	v_cmpx_ne_u64_e32 0x7f800000, v[4:5]
	s_xor_b32 s74, exec_lo, s13
	s_cbranch_execz .LBB6_15334
; %bb.15321:                            ;   in Loop: Header=BB6_14192 Depth=3
	v_and_b32_e32 v4, 0x7fffffff, v2
	v_mov_b32_e32 v5, v113
                                        ; implicit-def: $vgpr80
	s_delay_alu instid0(VALU_DEP_1) | instskip(SKIP_2) | instid1(SALU_CYCLE_1)
	v_cmp_gt_u64_e32 vcc_lo, 0x47600001, v[4:5]
	v_and_b32_e32 v4, 0x80, v3
	s_and_saveexec_b32 s13, vcc_lo
	s_xor_b32 s75, exec_lo, s13
	s_cbranch_execz .LBB6_15331
; %bb.15322:                            ;   in Loop: Header=BB6_14192 Depth=3
	v_mov_b32_e32 v80, 0
	s_mov_b32 s76, exec_lo
	v_cmpx_ne_u32_e32 0, v2
	s_cbranch_execz .LBB6_15330
; %bb.15323:                            ;   in Loop: Header=BB6_14192 Depth=3
	v_bfe_u32 v5, v2, 23, 8
	v_or_b32_e32 v3, 0x800000, v0
	s_delay_alu instid0(VALU_DEP_2) | instskip(SKIP_2) | instid1(VALU_DEP_2)
	v_cmp_gt_u32_e64 s13, 0x72, v5
	v_sub_nc_u32_e32 v2, 0x71, v5
	v_cmp_eq_u32_e32 vcc_lo, 0, v5
	v_dual_cndmask_b32 v2, 0, v2, s13 :: v_dual_cndmask_b32 v0, v3, v0, vcc_lo
	s_delay_alu instid0(VALU_DEP_1) | instskip(NEXT) | instid1(VALU_DEP_1)
	v_cndmask_b32_e64 v12, v2, 0x70, vcc_lo
	v_dual_add_nc_u32 v2, 21, v12 :: v_dual_add_nc_u32 v13, 20, v12
	s_delay_alu instid0(VALU_DEP_1) | instskip(NEXT) | instid1(VALU_DEP_2)
	v_lshlrev_b64_e64 v[2:3], v2, -1
	v_lshlrev_b64_e64 v[14:15], v13, 1
	s_delay_alu instid0(VALU_DEP_2) | instskip(SKIP_1) | instid1(VALU_DEP_4)
	v_bfi_b32 v2, v2, 0, v0
	v_lshrrev_b64 v[0:1], v12, v[0:1]
	v_bfi_b32 v3, v3, 0, 0
	s_delay_alu instid0(VALU_DEP_1) | instskip(NEXT) | instid1(VALU_DEP_3)
	v_cmp_eq_u64_e64 s13, v[2:3], v[14:15]
	v_mov_b64_e32 v[2:3], v[0:1]
	s_and_saveexec_b32 s77, s13
; %bb.15324:                            ;   in Loop: Header=BB6_14192 Depth=3
	v_bfe_u32 v2, v0, 21, 1
	v_mov_b32_e32 v3, v113
	s_delay_alu instid0(VALU_DEP_1) | instskip(NEXT) | instid1(VALU_DEP_1)
	v_add_nc_u64_e32 v[2:3], v[0:1], v[2:3]
	v_add_nc_u64_e32 v[2:3], -1, v[2:3]
; %bb.15325:                            ;   in Loop: Header=BB6_14192 Depth=3
	s_or_b32 exec_lo, exec_lo, s77
	v_add_nc_u32_e32 v1, 0xffffff81, v5
	v_lshrrev_b32_e32 v3, 23, v0
	s_mov_b32 s13, exec_lo
	s_delay_alu instid0(VALU_DEP_2) | instskip(NEXT) | instid1(VALU_DEP_1)
	v_cndmask_b32_e64 v1, v1, 0xffffff82, vcc_lo
	v_add3_u32 v5, v12, v1, v3
	v_and_b32_e32 v1, 0x1fffff, v2
                                        ; implicit-def: $vgpr2
	s_delay_alu instid0(VALU_DEP_1) | instskip(SKIP_1) | instid1(VALU_DEP_2)
	v_dual_add_nc_u32 v3, 14, v5 :: v_dual_add_nc_u32 v0, v1, v0
	v_mov_b32_e32 v1, v113
	v_cmpx_ne_u32_e32 0, v3
	s_xor_b32 s13, exec_lo, s13
; %bb.15326:                            ;   in Loop: Header=BB6_14192 Depth=3
	s_delay_alu instid0(VALU_DEP_2) | instskip(SKIP_1) | instid1(VALU_DEP_1)
	v_cmp_lt_u64_e32 vcc_lo, 0xffffff, v[0:1]
	v_add_nc_u32_e32 v2, 15, v5
	v_cndmask_b32_e32 v2, v3, v2, vcc_lo
	v_cndmask_b32_e64 v3, 0, 1, vcc_lo
	s_delay_alu instid0(VALU_DEP_1)
	v_lshrrev_b64 v[0:1], v3, v[0:1]
; %bb.15327:                            ;   in Loop: Header=BB6_14192 Depth=3
	s_and_not1_saveexec_b32 s13, s13
; %bb.15328:                            ;   in Loop: Header=BB6_14192 Depth=3
	s_delay_alu instid0(VALU_DEP_1)
	v_bfe_u32 v2, v0, 23, 1
; %bb.15329:                            ;   in Loop: Header=BB6_14192 Depth=3
	s_or_b32 exec_lo, exec_lo, s13
	s_delay_alu instid0(VALU_DEP_2) | instskip(NEXT) | instid1(VALU_DEP_2)
	v_lshrrev_b64 v[0:1], 21, v[0:1]
	v_cmp_gt_i32_e32 vcc_lo, 32, v2
	v_min_i32_e32 v3, 31, v2
	v_cmp_eq_u32_e64 s13, 0, v2
	s_delay_alu instid0(VALU_DEP_2) | instskip(SKIP_1) | instid1(VALU_DEP_2)
	v_dual_cndmask_b32 v1, 0, v1, vcc_lo :: v_dual_lshlrev_b32 v3, 2, v3
	v_cndmask_b32_e32 v0, 3, v0, vcc_lo
	v_and_b32_e32 v3, 0xfc, v3
	s_delay_alu instid0(VALU_DEP_2) | instskip(NEXT) | instid1(VALU_DEP_2)
	v_cmp_eq_u64_e32 vcc_lo, 0, v[0:1]
	v_and_or_b32 v0, v0, 3, v3
	s_and_b32 s13, s13, vcc_lo
	s_delay_alu instid0(VALU_DEP_1) | instid1(SALU_CYCLE_1)
	v_cndmask_b32_e64 v0, v0, 0, s13
	s_delay_alu instid0(VALU_DEP_1)
	v_or_b32_e32 v80, v0, v4
.LBB6_15330:                            ;   in Loop: Header=BB6_14192 Depth=3
	s_or_b32 exec_lo, exec_lo, s76
                                        ; implicit-def: $vgpr4
.LBB6_15331:                            ;   in Loop: Header=BB6_14192 Depth=3
	s_and_not1_saveexec_b32 s13, s75
; %bb.15332:                            ;   in Loop: Header=BB6_14192 Depth=3
	v_or_b32_e32 v80, 0x7b, v4
; %bb.15333:                            ;   in Loop: Header=BB6_14192 Depth=3
	s_or_b32 exec_lo, exec_lo, s13
                                        ; implicit-def: $vgpr2
                                        ; implicit-def: $vgpr0_vgpr1
                                        ; implicit-def: $vgpr3
.LBB6_15334:                            ;   in Loop: Header=BB6_14192 Depth=3
	s_and_not1_saveexec_b32 s13, s74
	s_cbranch_execz .LBB6_15340
; %bb.15335:                            ;   in Loop: Header=BB6_14192 Depth=3
	s_mov_b32 s74, exec_lo
                                        ; implicit-def: $vgpr80
	v_cmpx_ne_u64_e32 0, v[0:1]
	s_xor_b32 s74, exec_lo, s74
; %bb.15336:                            ;   in Loop: Header=BB6_14192 Depth=3
	v_or_b32_e32 v80, 0x7f, v3
                                        ; implicit-def: $vgpr2
; %bb.15337:                            ;   in Loop: Header=BB6_14192 Depth=3
	s_and_not1_saveexec_b32 s74, s74
; %bb.15338:                            ;   in Loop: Header=BB6_14192 Depth=3
	v_cmp_lt_i32_e32 vcc_lo, -1, v2
	v_mov_b32_e32 v0, 0x7c
	s_delay_alu instid0(VALU_DEP_1)
	v_cndmask_b32_e32 v80, 0xfc, v0, vcc_lo
; %bb.15339:                            ;   in Loop: Header=BB6_14192 Depth=3
	s_or_b32 exec_lo, exec_lo, s74
.LBB6_15340:                            ;   in Loop: Header=BB6_14192 Depth=3
	s_delay_alu instid0(SALU_CYCLE_1) | instskip(SKIP_2) | instid1(VALU_DEP_1)
	s_or_b32 exec_lo, exec_lo, s13
	v_dual_mov_b32 v1, 0 :: v_dual_lshrrev_b32 v0, 16, v9
	s_mov_b32 s74, exec_lo
	v_and_b32_e32 v2, 0xff, v0
	s_delay_alu instid0(VALU_DEP_1)
	v_cmpx_ne_u16_e32 0, v2
	s_cbranch_execz .LBB6_15350
; %bb.15341:                            ;   in Loop: Header=BB6_14192 Depth=3
	v_bfrev_b32_e32 v1, 1
	s_mov_b32 s75, exec_lo
	v_cmpx_ne_u16_e32 0x80, v2
	s_cbranch_execz .LBB6_15349
; %bb.15342:                            ;   in Loop: Header=BB6_14192 Depth=3
	v_and_b32_e32 v1, 0x7c0000, v9
	v_bfe_u32 v2, v9, 16, 2
	s_delay_alu instid0(VALU_DEP_2) | instskip(SKIP_1) | instid1(SALU_CYCLE_1)
	v_cmp_ne_u32_e32 vcc_lo, 0x7c0000, v1
                                        ; implicit-def: $vgpr1
	s_and_saveexec_b32 s13, vcc_lo
	s_xor_b32 s13, exec_lo, s13
	s_cbranch_execz .LBB6_15346
; %bb.15343:                            ;   in Loop: Header=BB6_14192 Depth=3
	v_bfe_u32 v1, v9, 18, 5
	s_mov_b32 s76, exec_lo
	s_delay_alu instid0(VALU_DEP_1)
	v_cmpx_eq_u32_e32 0, v1
; %bb.15344:                            ;   in Loop: Header=BB6_14192 Depth=3
	v_clz_i32_u32_e32 v1, v2
	s_delay_alu instid0(VALU_DEP_1) | instskip(NEXT) | instid1(VALU_DEP_1)
	v_min_u32_e32 v1, 32, v1
	v_subrev_nc_u32_e32 v2, 29, v1
	s_delay_alu instid0(VALU_DEP_1) | instskip(NEXT) | instid1(VALU_DEP_1)
	v_lshlrev_b64_e32 v[2:3], v2, v[0:1]
	v_dual_sub_nc_u32 v1, 30, v1 :: v_dual_bitop2_b32 v2, 3, v2 bitop3:0x40
; %bb.15345:                            ;   in Loop: Header=BB6_14192 Depth=3
	s_or_b32 exec_lo, exec_lo, s76
	v_lshlrev_b32_e32 v0, 24, v0
	s_delay_alu instid0(VALU_DEP_1) | instskip(NEXT) | instid1(VALU_DEP_1)
	v_and_b32_e32 v0, 0x80000000, v0
	v_lshl_add_u32 v0, v1, 23, v0
	s_delay_alu instid0(VALU_DEP_1) | instskip(NEXT) | instid1(VALU_DEP_1)
	v_lshl_or_b32 v0, v2, 21, v0
                                        ; implicit-def: $vgpr2
	v_add_nc_u32_e32 v1, 0x38000000, v0
                                        ; implicit-def: $vgpr0
.LBB6_15346:                            ;   in Loop: Header=BB6_14192 Depth=3
	s_and_not1_saveexec_b32 s76, s13
; %bb.15347:                            ;   in Loop: Header=BB6_14192 Depth=3
	v_bfe_i32 v0, v0, 0, 8
	v_cmp_eq_u32_e32 vcc_lo, 0, v2
	s_delay_alu instid0(VALU_DEP_2) | instskip(SKIP_1) | instid1(VALU_DEP_1)
	v_cmp_lt_i16_e64 s13, -1, v0
	v_mov_b32_e32 v0, 0x7f800000
	v_cndmask_b32_e64 v0, 0xff800000, v0, s13
	s_delay_alu instid0(VALU_DEP_1)
	v_cndmask_b32_e32 v1, 0x7f800001, v0, vcc_lo
; %bb.15348:                            ;   in Loop: Header=BB6_14192 Depth=3
	s_or_b32 exec_lo, exec_lo, s76
.LBB6_15349:                            ;   in Loop: Header=BB6_14192 Depth=3
	s_delay_alu instid0(SALU_CYCLE_1)
	s_or_b32 exec_lo, exec_lo, s75
.LBB6_15350:                            ;   in Loop: Header=BB6_14192 Depth=3
	s_delay_alu instid0(SALU_CYCLE_1) | instskip(NEXT) | instid1(VALU_DEP_1)
	s_or_b32 exec_lo, exec_lo, s74
	v_dual_mul_f32 v2, s73, v1 :: v_dual_mov_b32 v5, v113
	v_mov_b32_e32 v1, v113
                                        ; implicit-def: $vgpr83
	s_mov_b32 s13, exec_lo
	s_delay_alu instid0(VALU_DEP_2) | instskip(SKIP_2) | instid1(VALU_DEP_3)
	v_and_b32_e32 v4, 0x7f800000, v2
	v_and_b32_e32 v0, 0x7fffff, v2
	v_lshrrev_b32_e32 v3, 24, v2
	v_cmpx_ne_u64_e32 0x7f800000, v[4:5]
	s_xor_b32 s74, exec_lo, s13
	s_cbranch_execz .LBB6_15364
; %bb.15351:                            ;   in Loop: Header=BB6_14192 Depth=3
	v_and_b32_e32 v4, 0x7fffffff, v2
	v_mov_b32_e32 v5, v113
                                        ; implicit-def: $vgpr83
	s_delay_alu instid0(VALU_DEP_1) | instskip(SKIP_2) | instid1(SALU_CYCLE_1)
	v_cmp_gt_u64_e32 vcc_lo, 0x47600001, v[4:5]
	v_and_b32_e32 v4, 0x80, v3
	s_and_saveexec_b32 s13, vcc_lo
	s_xor_b32 s75, exec_lo, s13
	s_cbranch_execz .LBB6_15361
; %bb.15352:                            ;   in Loop: Header=BB6_14192 Depth=3
	v_mov_b32_e32 v83, 0
	s_mov_b32 s76, exec_lo
	v_cmpx_ne_u32_e32 0, v2
	s_cbranch_execz .LBB6_15360
; %bb.15353:                            ;   in Loop: Header=BB6_14192 Depth=3
	v_bfe_u32 v5, v2, 23, 8
	v_or_b32_e32 v3, 0x800000, v0
	s_delay_alu instid0(VALU_DEP_2) | instskip(SKIP_2) | instid1(VALU_DEP_2)
	v_cmp_gt_u32_e64 s13, 0x72, v5
	v_sub_nc_u32_e32 v2, 0x71, v5
	v_cmp_eq_u32_e32 vcc_lo, 0, v5
	v_dual_cndmask_b32 v2, 0, v2, s13 :: v_dual_cndmask_b32 v0, v3, v0, vcc_lo
	s_delay_alu instid0(VALU_DEP_1) | instskip(NEXT) | instid1(VALU_DEP_1)
	v_cndmask_b32_e64 v12, v2, 0x70, vcc_lo
	v_dual_add_nc_u32 v2, 21, v12 :: v_dual_add_nc_u32 v13, 20, v12
	s_delay_alu instid0(VALU_DEP_1) | instskip(NEXT) | instid1(VALU_DEP_2)
	v_lshlrev_b64_e64 v[2:3], v2, -1
	v_lshlrev_b64_e64 v[14:15], v13, 1
	s_delay_alu instid0(VALU_DEP_2) | instskip(SKIP_1) | instid1(VALU_DEP_4)
	v_bfi_b32 v2, v2, 0, v0
	v_lshrrev_b64 v[0:1], v12, v[0:1]
	v_bfi_b32 v3, v3, 0, 0
	s_delay_alu instid0(VALU_DEP_1) | instskip(NEXT) | instid1(VALU_DEP_3)
	v_cmp_eq_u64_e64 s13, v[2:3], v[14:15]
	v_mov_b64_e32 v[2:3], v[0:1]
	s_and_saveexec_b32 s77, s13
; %bb.15354:                            ;   in Loop: Header=BB6_14192 Depth=3
	v_bfe_u32 v2, v0, 21, 1
	v_mov_b32_e32 v3, v113
	s_delay_alu instid0(VALU_DEP_1) | instskip(NEXT) | instid1(VALU_DEP_1)
	v_add_nc_u64_e32 v[2:3], v[0:1], v[2:3]
	v_add_nc_u64_e32 v[2:3], -1, v[2:3]
; %bb.15355:                            ;   in Loop: Header=BB6_14192 Depth=3
	s_or_b32 exec_lo, exec_lo, s77
	v_add_nc_u32_e32 v1, 0xffffff81, v5
	v_lshrrev_b32_e32 v3, 23, v0
	s_mov_b32 s13, exec_lo
	s_delay_alu instid0(VALU_DEP_2) | instskip(NEXT) | instid1(VALU_DEP_1)
	v_cndmask_b32_e64 v1, v1, 0xffffff82, vcc_lo
	v_add3_u32 v5, v12, v1, v3
	v_and_b32_e32 v1, 0x1fffff, v2
                                        ; implicit-def: $vgpr2
	s_delay_alu instid0(VALU_DEP_1) | instskip(SKIP_1) | instid1(VALU_DEP_2)
	v_dual_add_nc_u32 v3, 14, v5 :: v_dual_add_nc_u32 v0, v1, v0
	v_mov_b32_e32 v1, v113
	v_cmpx_ne_u32_e32 0, v3
	s_xor_b32 s13, exec_lo, s13
; %bb.15356:                            ;   in Loop: Header=BB6_14192 Depth=3
	s_delay_alu instid0(VALU_DEP_2) | instskip(SKIP_1) | instid1(VALU_DEP_1)
	v_cmp_lt_u64_e32 vcc_lo, 0xffffff, v[0:1]
	v_add_nc_u32_e32 v2, 15, v5
	v_cndmask_b32_e32 v2, v3, v2, vcc_lo
	v_cndmask_b32_e64 v3, 0, 1, vcc_lo
	s_delay_alu instid0(VALU_DEP_1)
	v_lshrrev_b64 v[0:1], v3, v[0:1]
; %bb.15357:                            ;   in Loop: Header=BB6_14192 Depth=3
	s_and_not1_saveexec_b32 s13, s13
; %bb.15358:                            ;   in Loop: Header=BB6_14192 Depth=3
	s_delay_alu instid0(VALU_DEP_1)
	v_bfe_u32 v2, v0, 23, 1
; %bb.15359:                            ;   in Loop: Header=BB6_14192 Depth=3
	s_or_b32 exec_lo, exec_lo, s13
	s_delay_alu instid0(VALU_DEP_2) | instskip(NEXT) | instid1(VALU_DEP_2)
	v_lshrrev_b64 v[0:1], 21, v[0:1]
	v_cmp_gt_i32_e32 vcc_lo, 32, v2
	v_min_i32_e32 v3, 31, v2
	v_cmp_eq_u32_e64 s13, 0, v2
	s_delay_alu instid0(VALU_DEP_2) | instskip(SKIP_1) | instid1(VALU_DEP_2)
	v_dual_cndmask_b32 v1, 0, v1, vcc_lo :: v_dual_lshlrev_b32 v3, 2, v3
	v_cndmask_b32_e32 v0, 3, v0, vcc_lo
	v_and_b32_e32 v3, 0xfc, v3
	s_delay_alu instid0(VALU_DEP_2) | instskip(NEXT) | instid1(VALU_DEP_2)
	v_cmp_eq_u64_e32 vcc_lo, 0, v[0:1]
	v_and_or_b32 v0, v0, 3, v3
	s_and_b32 s13, s13, vcc_lo
	s_delay_alu instid0(VALU_DEP_1) | instid1(SALU_CYCLE_1)
	v_cndmask_b32_e64 v0, v0, 0, s13
	s_delay_alu instid0(VALU_DEP_1)
	v_or_b32_e32 v83, v0, v4
.LBB6_15360:                            ;   in Loop: Header=BB6_14192 Depth=3
	s_or_b32 exec_lo, exec_lo, s76
                                        ; implicit-def: $vgpr4
.LBB6_15361:                            ;   in Loop: Header=BB6_14192 Depth=3
	s_and_not1_saveexec_b32 s13, s75
; %bb.15362:                            ;   in Loop: Header=BB6_14192 Depth=3
	v_or_b32_e32 v83, 0x7b, v4
; %bb.15363:                            ;   in Loop: Header=BB6_14192 Depth=3
	s_or_b32 exec_lo, exec_lo, s13
                                        ; implicit-def: $vgpr2
                                        ; implicit-def: $vgpr0_vgpr1
                                        ; implicit-def: $vgpr3
.LBB6_15364:                            ;   in Loop: Header=BB6_14192 Depth=3
	s_and_not1_saveexec_b32 s13, s74
	s_cbranch_execz .LBB6_15370
; %bb.15365:                            ;   in Loop: Header=BB6_14192 Depth=3
	s_mov_b32 s74, exec_lo
                                        ; implicit-def: $vgpr83
	v_cmpx_ne_u64_e32 0, v[0:1]
	s_xor_b32 s74, exec_lo, s74
; %bb.15366:                            ;   in Loop: Header=BB6_14192 Depth=3
	v_or_b32_e32 v83, 0x7f, v3
                                        ; implicit-def: $vgpr2
; %bb.15367:                            ;   in Loop: Header=BB6_14192 Depth=3
	s_and_not1_saveexec_b32 s74, s74
; %bb.15368:                            ;   in Loop: Header=BB6_14192 Depth=3
	v_cmp_lt_i32_e32 vcc_lo, -1, v2
	v_mov_b32_e32 v0, 0x7c
	s_delay_alu instid0(VALU_DEP_1)
	v_cndmask_b32_e32 v83, 0xfc, v0, vcc_lo
; %bb.15369:                            ;   in Loop: Header=BB6_14192 Depth=3
	s_or_b32 exec_lo, exec_lo, s74
.LBB6_15370:                            ;   in Loop: Header=BB6_14192 Depth=3
	s_delay_alu instid0(SALU_CYCLE_1)
	s_or_b32 exec_lo, exec_lo, s13
	v_mov_b32_e32 v1, 0
	s_mov_b32 s74, exec_lo
	v_cmpx_lt_u64_e64 s[22:23], v[8:9]
	s_cbranch_execz .LBB6_15380
; %bb.15371:                            ;   in Loop: Header=BB6_14192 Depth=3
	v_lshrrev_b32_e32 v0, 24, v9
	v_bfrev_b32_e32 v1, 1
	s_mov_b32 s75, exec_lo
	s_delay_alu instid0(VALU_DEP_2)
	v_cmpx_ne_u32_e32 0x80, v0
	s_cbranch_execz .LBB6_15379
; %bb.15372:                            ;   in Loop: Header=BB6_14192 Depth=3
	v_and_b32_e32 v1, 0x7c000000, v9
	v_bfe_u32 v2, v9, 24, 2
	s_delay_alu instid0(VALU_DEP_2) | instskip(SKIP_1) | instid1(SALU_CYCLE_1)
	v_cmp_ne_u32_e32 vcc_lo, 0x7c000000, v1
                                        ; implicit-def: $vgpr1
	s_and_saveexec_b32 s13, vcc_lo
	s_xor_b32 s13, exec_lo, s13
	s_cbranch_execz .LBB6_15376
; %bb.15373:                            ;   in Loop: Header=BB6_14192 Depth=3
	v_bfe_u32 v1, v9, 26, 5
	s_mov_b32 s76, exec_lo
	s_delay_alu instid0(VALU_DEP_1)
	v_cmpx_eq_u32_e32 0, v1
; %bb.15374:                            ;   in Loop: Header=BB6_14192 Depth=3
	v_clz_i32_u32_e32 v1, v2
	s_delay_alu instid0(VALU_DEP_1) | instskip(NEXT) | instid1(VALU_DEP_1)
	v_min_u32_e32 v2, 32, v1
	v_subrev_nc_u32_e32 v1, 29, v2
	s_delay_alu instid0(VALU_DEP_1) | instskip(NEXT) | instid1(VALU_DEP_1)
	v_lshlrev_b64_e32 v[0:1], v1, v[0:1]
	v_dual_sub_nc_u32 v1, 30, v2 :: v_dual_bitop2_b32 v2, 3, v0 bitop3:0x40
; %bb.15375:                            ;   in Loop: Header=BB6_14192 Depth=3
	s_or_b32 exec_lo, exec_lo, s76
	v_and_b32_e32 v0, 0x80000000, v9
	s_delay_alu instid0(VALU_DEP_1) | instskip(NEXT) | instid1(VALU_DEP_1)
	v_lshl_add_u32 v0, v1, 23, v0
	v_lshl_or_b32 v0, v2, 21, v0
                                        ; implicit-def: $vgpr2
	s_delay_alu instid0(VALU_DEP_1)
	v_add_nc_u32_e32 v1, 0x38000000, v0
.LBB6_15376:                            ;   in Loop: Header=BB6_14192 Depth=3
	s_and_not1_saveexec_b32 s76, s13
; %bb.15377:                            ;   in Loop: Header=BB6_14192 Depth=3
	v_cmp_lt_i64_e64 s13, -1, v[8:9]
	v_mov_b32_e32 v0, 0x7f800000
	v_cmp_eq_u32_e32 vcc_lo, 0, v2
	s_delay_alu instid0(VALU_DEP_2) | instskip(NEXT) | instid1(VALU_DEP_1)
	v_cndmask_b32_e64 v0, 0xff800000, v0, s13
	v_cndmask_b32_e32 v1, 0x7f800001, v0, vcc_lo
; %bb.15378:                            ;   in Loop: Header=BB6_14192 Depth=3
	s_or_b32 exec_lo, exec_lo, s76
.LBB6_15379:                            ;   in Loop: Header=BB6_14192 Depth=3
	s_delay_alu instid0(SALU_CYCLE_1)
	s_or_b32 exec_lo, exec_lo, s75
.LBB6_15380:                            ;   in Loop: Header=BB6_14192 Depth=3
	s_delay_alu instid0(SALU_CYCLE_1) | instskip(NEXT) | instid1(VALU_DEP_1)
	s_or_b32 exec_lo, exec_lo, s74
	v_dual_mul_f32 v2, s73, v1 :: v_dual_mov_b32 v5, v113
	v_mov_b32_e32 v1, v113
                                        ; implicit-def: $vgpr85
	s_mov_b32 s13, exec_lo
	s_delay_alu instid0(VALU_DEP_2) | instskip(SKIP_2) | instid1(VALU_DEP_3)
	v_and_b32_e32 v4, 0x7f800000, v2
	v_and_b32_e32 v0, 0x7fffff, v2
	v_lshrrev_b32_e32 v3, 24, v2
	v_cmpx_ne_u64_e32 0x7f800000, v[4:5]
	s_xor_b32 s74, exec_lo, s13
	s_cbranch_execz .LBB6_15394
; %bb.15381:                            ;   in Loop: Header=BB6_14192 Depth=3
	v_and_b32_e32 v4, 0x7fffffff, v2
	v_mov_b32_e32 v5, v113
                                        ; implicit-def: $vgpr85
	s_delay_alu instid0(VALU_DEP_1) | instskip(SKIP_2) | instid1(SALU_CYCLE_1)
	v_cmp_gt_u64_e32 vcc_lo, 0x47600001, v[4:5]
	v_and_b32_e32 v4, 0x80, v3
	s_and_saveexec_b32 s13, vcc_lo
	s_xor_b32 s75, exec_lo, s13
	s_cbranch_execz .LBB6_15391
; %bb.15382:                            ;   in Loop: Header=BB6_14192 Depth=3
	v_mov_b32_e32 v85, 0
	s_mov_b32 s76, exec_lo
	v_cmpx_ne_u32_e32 0, v2
	s_cbranch_execz .LBB6_15390
; %bb.15383:                            ;   in Loop: Header=BB6_14192 Depth=3
	v_bfe_u32 v5, v2, 23, 8
	v_or_b32_e32 v3, 0x800000, v0
	s_delay_alu instid0(VALU_DEP_2) | instskip(SKIP_2) | instid1(VALU_DEP_2)
	v_cmp_gt_u32_e64 s13, 0x72, v5
	v_sub_nc_u32_e32 v2, 0x71, v5
	v_cmp_eq_u32_e32 vcc_lo, 0, v5
	v_dual_cndmask_b32 v2, 0, v2, s13 :: v_dual_cndmask_b32 v0, v3, v0, vcc_lo
	s_delay_alu instid0(VALU_DEP_1) | instskip(NEXT) | instid1(VALU_DEP_1)
	v_cndmask_b32_e64 v8, v2, 0x70, vcc_lo
	v_dual_add_nc_u32 v2, 21, v8 :: v_dual_add_nc_u32 v9, 20, v8
	s_delay_alu instid0(VALU_DEP_1) | instskip(NEXT) | instid1(VALU_DEP_2)
	v_lshlrev_b64_e64 v[2:3], v2, -1
	v_lshlrev_b64_e64 v[12:13], v9, 1
	s_delay_alu instid0(VALU_DEP_2) | instskip(SKIP_1) | instid1(VALU_DEP_4)
	v_bfi_b32 v2, v2, 0, v0
	v_lshrrev_b64 v[0:1], v8, v[0:1]
	v_bfi_b32 v3, v3, 0, 0
	s_delay_alu instid0(VALU_DEP_1) | instskip(NEXT) | instid1(VALU_DEP_3)
	v_cmp_eq_u64_e64 s13, v[2:3], v[12:13]
	v_mov_b64_e32 v[2:3], v[0:1]
	s_and_saveexec_b32 s77, s13
; %bb.15384:                            ;   in Loop: Header=BB6_14192 Depth=3
	v_bfe_u32 v2, v0, 21, 1
	v_mov_b32_e32 v3, v113
	s_delay_alu instid0(VALU_DEP_1) | instskip(NEXT) | instid1(VALU_DEP_1)
	v_add_nc_u64_e32 v[2:3], v[0:1], v[2:3]
	v_add_nc_u64_e32 v[2:3], -1, v[2:3]
; %bb.15385:                            ;   in Loop: Header=BB6_14192 Depth=3
	s_or_b32 exec_lo, exec_lo, s77
	v_add_nc_u32_e32 v1, 0xffffff81, v5
	v_lshrrev_b32_e32 v3, 23, v0
	s_mov_b32 s13, exec_lo
	s_delay_alu instid0(VALU_DEP_2) | instskip(NEXT) | instid1(VALU_DEP_1)
	v_cndmask_b32_e64 v1, v1, 0xffffff82, vcc_lo
	v_add3_u32 v5, v8, v1, v3
	v_and_b32_e32 v1, 0x1fffff, v2
                                        ; implicit-def: $vgpr2
	s_delay_alu instid0(VALU_DEP_1) | instskip(SKIP_1) | instid1(VALU_DEP_2)
	v_dual_add_nc_u32 v3, 14, v5 :: v_dual_add_nc_u32 v0, v1, v0
	v_mov_b32_e32 v1, v113
	v_cmpx_ne_u32_e32 0, v3
	s_xor_b32 s13, exec_lo, s13
; %bb.15386:                            ;   in Loop: Header=BB6_14192 Depth=3
	s_delay_alu instid0(VALU_DEP_2) | instskip(SKIP_1) | instid1(VALU_DEP_1)
	v_cmp_lt_u64_e32 vcc_lo, 0xffffff, v[0:1]
	v_add_nc_u32_e32 v2, 15, v5
	v_cndmask_b32_e32 v2, v3, v2, vcc_lo
	v_cndmask_b32_e64 v3, 0, 1, vcc_lo
	s_delay_alu instid0(VALU_DEP_1)
	v_lshrrev_b64 v[0:1], v3, v[0:1]
; %bb.15387:                            ;   in Loop: Header=BB6_14192 Depth=3
	s_and_not1_saveexec_b32 s13, s13
; %bb.15388:                            ;   in Loop: Header=BB6_14192 Depth=3
	s_delay_alu instid0(VALU_DEP_1)
	v_bfe_u32 v2, v0, 23, 1
; %bb.15389:                            ;   in Loop: Header=BB6_14192 Depth=3
	s_or_b32 exec_lo, exec_lo, s13
	s_delay_alu instid0(VALU_DEP_2) | instskip(NEXT) | instid1(VALU_DEP_2)
	v_lshrrev_b64 v[0:1], 21, v[0:1]
	v_cmp_gt_i32_e32 vcc_lo, 32, v2
	v_min_i32_e32 v3, 31, v2
	v_cmp_eq_u32_e64 s13, 0, v2
	s_delay_alu instid0(VALU_DEP_2) | instskip(SKIP_1) | instid1(VALU_DEP_2)
	v_dual_cndmask_b32 v1, 0, v1, vcc_lo :: v_dual_lshlrev_b32 v3, 2, v3
	v_cndmask_b32_e32 v0, 3, v0, vcc_lo
	v_and_b32_e32 v3, 0xfc, v3
	s_delay_alu instid0(VALU_DEP_2) | instskip(NEXT) | instid1(VALU_DEP_2)
	v_cmp_eq_u64_e32 vcc_lo, 0, v[0:1]
	v_and_or_b32 v0, v0, 3, v3
	s_and_b32 s13, s13, vcc_lo
	s_delay_alu instid0(VALU_DEP_1) | instid1(SALU_CYCLE_1)
	v_cndmask_b32_e64 v0, v0, 0, s13
	s_delay_alu instid0(VALU_DEP_1)
	v_or_b32_e32 v85, v0, v4
.LBB6_15390:                            ;   in Loop: Header=BB6_14192 Depth=3
	s_or_b32 exec_lo, exec_lo, s76
                                        ; implicit-def: $vgpr4
.LBB6_15391:                            ;   in Loop: Header=BB6_14192 Depth=3
	s_and_not1_saveexec_b32 s13, s75
; %bb.15392:                            ;   in Loop: Header=BB6_14192 Depth=3
	v_or_b32_e32 v85, 0x7b, v4
; %bb.15393:                            ;   in Loop: Header=BB6_14192 Depth=3
	s_or_b32 exec_lo, exec_lo, s13
                                        ; implicit-def: $vgpr2
                                        ; implicit-def: $vgpr0_vgpr1
                                        ; implicit-def: $vgpr3
.LBB6_15394:                            ;   in Loop: Header=BB6_14192 Depth=3
	s_and_not1_saveexec_b32 s13, s74
	s_cbranch_execz .LBB6_15400
; %bb.15395:                            ;   in Loop: Header=BB6_14192 Depth=3
	s_mov_b32 s74, exec_lo
                                        ; implicit-def: $vgpr85
	v_cmpx_ne_u64_e32 0, v[0:1]
	s_xor_b32 s74, exec_lo, s74
; %bb.15396:                            ;   in Loop: Header=BB6_14192 Depth=3
	v_or_b32_e32 v85, 0x7f, v3
                                        ; implicit-def: $vgpr2
; %bb.15397:                            ;   in Loop: Header=BB6_14192 Depth=3
	s_and_not1_saveexec_b32 s74, s74
; %bb.15398:                            ;   in Loop: Header=BB6_14192 Depth=3
	v_cmp_lt_i32_e32 vcc_lo, -1, v2
	v_mov_b32_e32 v0, 0x7c
	s_delay_alu instid0(VALU_DEP_1)
	v_cndmask_b32_e32 v85, 0xfc, v0, vcc_lo
; %bb.15399:                            ;   in Loop: Header=BB6_14192 Depth=3
	s_or_b32 exec_lo, exec_lo, s74
.LBB6_15400:                            ;   in Loop: Header=BB6_14192 Depth=3
	s_delay_alu instid0(SALU_CYCLE_1) | instskip(SKIP_1) | instid1(VALU_DEP_1)
	s_or_b32 exec_lo, exec_lo, s13
	v_and_b32_e32 v0, 0xff, v10
	v_cmp_ne_u16_e32 vcc_lo, 0, v0
	v_mov_b32_e32 v0, 0
	s_and_saveexec_b32 s74, vcc_lo
	s_cbranch_execz .LBB6_15410
; %bb.15401:                            ;   in Loop: Header=BB6_14192 Depth=3
	v_bfe_i32 v2, v10, 0, 8
	v_bfrev_b32_e32 v0, 1
	s_mov_b32 s75, exec_lo
	s_delay_alu instid0(VALU_DEP_2)
	v_cmpx_ne_u16_e32 0xff80, v2
	s_cbranch_execz .LBB6_15409
; %bb.15402:                            ;   in Loop: Header=BB6_14192 Depth=3
	v_and_b32_e32 v0, 0x7c, v10
	v_and_b32_e32 v1, 3, v10
	s_delay_alu instid0(VALU_DEP_2) | instskip(SKIP_1) | instid1(SALU_CYCLE_1)
	v_cmp_ne_u32_e32 vcc_lo, 0x7c, v0
                                        ; implicit-def: $vgpr0
	s_and_saveexec_b32 s13, vcc_lo
	s_xor_b32 s13, exec_lo, s13
	s_cbranch_execz .LBB6_15406
; %bb.15403:                            ;   in Loop: Header=BB6_14192 Depth=3
	v_bfe_u32 v0, v10, 2, 5
	s_mov_b32 s76, exec_lo
	s_delay_alu instid0(VALU_DEP_1)
	v_cmpx_eq_u32_e32 0, v0
; %bb.15404:                            ;   in Loop: Header=BB6_14192 Depth=3
	v_clz_i32_u32_e32 v0, v1
	s_delay_alu instid0(VALU_DEP_1) | instskip(NEXT) | instid1(VALU_DEP_1)
	v_min_u32_e32 v0, 32, v0
	v_subrev_nc_u32_e32 v1, 29, v0
	s_delay_alu instid0(VALU_DEP_1) | instskip(NEXT) | instid1(VALU_DEP_1)
	v_lshlrev_b64_e32 v[2:3], v1, v[10:11]
	v_dual_sub_nc_u32 v0, 30, v0 :: v_dual_bitop2_b32 v1, 3, v2 bitop3:0x40
; %bb.15405:                            ;   in Loop: Header=BB6_14192 Depth=3
	s_or_b32 exec_lo, exec_lo, s76
	v_lshlrev_b32_e32 v2, 24, v10
	s_delay_alu instid0(VALU_DEP_1) | instskip(NEXT) | instid1(VALU_DEP_1)
	v_and_b32_e32 v2, 0x80000000, v2
	v_lshl_add_u32 v0, v0, 23, v2
                                        ; implicit-def: $vgpr2
	s_delay_alu instid0(VALU_DEP_1) | instskip(NEXT) | instid1(VALU_DEP_1)
	v_lshl_or_b32 v0, v1, 21, v0
                                        ; implicit-def: $vgpr1
	v_add_nc_u32_e32 v0, 0x38000000, v0
.LBB6_15406:                            ;   in Loop: Header=BB6_14192 Depth=3
	s_and_not1_saveexec_b32 s76, s13
; %bb.15407:                            ;   in Loop: Header=BB6_14192 Depth=3
	v_cmp_lt_i16_e64 s13, -1, v2
	v_mov_b32_e32 v0, 0x7f800000
	v_cmp_eq_u32_e32 vcc_lo, 0, v1
	s_delay_alu instid0(VALU_DEP_2) | instskip(NEXT) | instid1(VALU_DEP_1)
	v_cndmask_b32_e64 v0, 0xff800000, v0, s13
	v_cndmask_b32_e32 v0, 0x7f800001, v0, vcc_lo
; %bb.15408:                            ;   in Loop: Header=BB6_14192 Depth=3
	s_or_b32 exec_lo, exec_lo, s76
.LBB6_15409:                            ;   in Loop: Header=BB6_14192 Depth=3
	s_delay_alu instid0(SALU_CYCLE_1)
	s_or_b32 exec_lo, exec_lo, s75
.LBB6_15410:                            ;   in Loop: Header=BB6_14192 Depth=3
	s_delay_alu instid0(SALU_CYCLE_1) | instskip(NEXT) | instid1(VALU_DEP_1)
	s_or_b32 exec_lo, exec_lo, s74
	v_dual_mul_f32 v2, s73, v0 :: v_dual_mov_b32 v5, v113
	v_mov_b32_e32 v1, v113
                                        ; implicit-def: $vgpr52
	s_mov_b32 s13, exec_lo
	s_delay_alu instid0(VALU_DEP_2) | instskip(SKIP_2) | instid1(VALU_DEP_3)
	v_and_b32_e32 v4, 0x7f800000, v2
	v_and_b32_e32 v0, 0x7fffff, v2
	v_lshrrev_b32_e32 v3, 24, v2
	v_cmpx_ne_u64_e32 0x7f800000, v[4:5]
	s_xor_b32 s74, exec_lo, s13
	s_cbranch_execz .LBB6_15424
; %bb.15411:                            ;   in Loop: Header=BB6_14192 Depth=3
	v_and_b32_e32 v4, 0x7fffffff, v2
	v_mov_b32_e32 v5, v113
                                        ; implicit-def: $vgpr52
	s_delay_alu instid0(VALU_DEP_1) | instskip(SKIP_2) | instid1(SALU_CYCLE_1)
	v_cmp_gt_u64_e32 vcc_lo, 0x47600001, v[4:5]
	v_and_b32_e32 v4, 0x80, v3
	s_and_saveexec_b32 s13, vcc_lo
	s_xor_b32 s75, exec_lo, s13
	s_cbranch_execz .LBB6_15421
; %bb.15412:                            ;   in Loop: Header=BB6_14192 Depth=3
	v_mov_b32_e32 v52, 0
	s_mov_b32 s76, exec_lo
	v_cmpx_ne_u32_e32 0, v2
	s_cbranch_execz .LBB6_15420
; %bb.15413:                            ;   in Loop: Header=BB6_14192 Depth=3
	v_bfe_u32 v5, v2, 23, 8
	v_or_b32_e32 v3, 0x800000, v0
	s_delay_alu instid0(VALU_DEP_2) | instskip(SKIP_2) | instid1(VALU_DEP_2)
	v_cmp_gt_u32_e64 s13, 0x72, v5
	v_sub_nc_u32_e32 v2, 0x71, v5
	v_cmp_eq_u32_e32 vcc_lo, 0, v5
	v_dual_cndmask_b32 v2, 0, v2, s13 :: v_dual_cndmask_b32 v0, v3, v0, vcc_lo
	s_delay_alu instid0(VALU_DEP_1) | instskip(NEXT) | instid1(VALU_DEP_1)
	v_cndmask_b32_e64 v8, v2, 0x70, vcc_lo
	v_dual_add_nc_u32 v2, 21, v8 :: v_dual_add_nc_u32 v9, 20, v8
	s_delay_alu instid0(VALU_DEP_1) | instskip(NEXT) | instid1(VALU_DEP_2)
	v_lshlrev_b64_e64 v[2:3], v2, -1
	v_lshlrev_b64_e64 v[12:13], v9, 1
	s_delay_alu instid0(VALU_DEP_2) | instskip(SKIP_1) | instid1(VALU_DEP_4)
	v_bfi_b32 v2, v2, 0, v0
	v_lshrrev_b64 v[0:1], v8, v[0:1]
	v_bfi_b32 v3, v3, 0, 0
	s_delay_alu instid0(VALU_DEP_1) | instskip(NEXT) | instid1(VALU_DEP_3)
	v_cmp_eq_u64_e64 s13, v[2:3], v[12:13]
	v_mov_b64_e32 v[2:3], v[0:1]
	s_and_saveexec_b32 s77, s13
; %bb.15414:                            ;   in Loop: Header=BB6_14192 Depth=3
	v_bfe_u32 v2, v0, 21, 1
	v_mov_b32_e32 v3, v113
	s_delay_alu instid0(VALU_DEP_1) | instskip(NEXT) | instid1(VALU_DEP_1)
	v_add_nc_u64_e32 v[2:3], v[0:1], v[2:3]
	v_add_nc_u64_e32 v[2:3], -1, v[2:3]
; %bb.15415:                            ;   in Loop: Header=BB6_14192 Depth=3
	s_or_b32 exec_lo, exec_lo, s77
	v_add_nc_u32_e32 v1, 0xffffff81, v5
	v_lshrrev_b32_e32 v3, 23, v0
	s_mov_b32 s13, exec_lo
	s_delay_alu instid0(VALU_DEP_2) | instskip(NEXT) | instid1(VALU_DEP_1)
	v_cndmask_b32_e64 v1, v1, 0xffffff82, vcc_lo
	v_add3_u32 v5, v8, v1, v3
	v_and_b32_e32 v1, 0x1fffff, v2
                                        ; implicit-def: $vgpr2
	s_delay_alu instid0(VALU_DEP_1) | instskip(SKIP_1) | instid1(VALU_DEP_2)
	v_dual_add_nc_u32 v3, 14, v5 :: v_dual_add_nc_u32 v0, v1, v0
	v_mov_b32_e32 v1, v113
	v_cmpx_ne_u32_e32 0, v3
	s_xor_b32 s13, exec_lo, s13
; %bb.15416:                            ;   in Loop: Header=BB6_14192 Depth=3
	s_delay_alu instid0(VALU_DEP_2) | instskip(SKIP_1) | instid1(VALU_DEP_1)
	v_cmp_lt_u64_e32 vcc_lo, 0xffffff, v[0:1]
	v_add_nc_u32_e32 v2, 15, v5
	v_cndmask_b32_e32 v2, v3, v2, vcc_lo
	v_cndmask_b32_e64 v3, 0, 1, vcc_lo
	s_delay_alu instid0(VALU_DEP_1)
	v_lshrrev_b64 v[0:1], v3, v[0:1]
; %bb.15417:                            ;   in Loop: Header=BB6_14192 Depth=3
	s_and_not1_saveexec_b32 s13, s13
; %bb.15418:                            ;   in Loop: Header=BB6_14192 Depth=3
	s_delay_alu instid0(VALU_DEP_1)
	v_bfe_u32 v2, v0, 23, 1
; %bb.15419:                            ;   in Loop: Header=BB6_14192 Depth=3
	s_or_b32 exec_lo, exec_lo, s13
	s_delay_alu instid0(VALU_DEP_2) | instskip(NEXT) | instid1(VALU_DEP_2)
	v_lshrrev_b64 v[0:1], 21, v[0:1]
	v_cmp_gt_i32_e32 vcc_lo, 32, v2
	v_min_i32_e32 v3, 31, v2
	v_cmp_eq_u32_e64 s13, 0, v2
	s_delay_alu instid0(VALU_DEP_2) | instskip(SKIP_1) | instid1(VALU_DEP_2)
	v_dual_cndmask_b32 v1, 0, v1, vcc_lo :: v_dual_lshlrev_b32 v3, 2, v3
	v_cndmask_b32_e32 v0, 3, v0, vcc_lo
	v_and_b32_e32 v3, 0xfc, v3
	s_delay_alu instid0(VALU_DEP_2) | instskip(NEXT) | instid1(VALU_DEP_2)
	v_cmp_eq_u64_e32 vcc_lo, 0, v[0:1]
	v_and_or_b32 v0, v0, 3, v3
	s_and_b32 s13, s13, vcc_lo
	s_delay_alu instid0(VALU_DEP_1) | instid1(SALU_CYCLE_1)
	v_cndmask_b32_e64 v0, v0, 0, s13
	s_delay_alu instid0(VALU_DEP_1)
	v_or_b32_e32 v52, v0, v4
.LBB6_15420:                            ;   in Loop: Header=BB6_14192 Depth=3
	s_or_b32 exec_lo, exec_lo, s76
                                        ; implicit-def: $vgpr4
.LBB6_15421:                            ;   in Loop: Header=BB6_14192 Depth=3
	s_and_not1_saveexec_b32 s13, s75
; %bb.15422:                            ;   in Loop: Header=BB6_14192 Depth=3
	v_or_b32_e32 v52, 0x7b, v4
; %bb.15423:                            ;   in Loop: Header=BB6_14192 Depth=3
	s_or_b32 exec_lo, exec_lo, s13
                                        ; implicit-def: $vgpr2
                                        ; implicit-def: $vgpr0_vgpr1
                                        ; implicit-def: $vgpr3
.LBB6_15424:                            ;   in Loop: Header=BB6_14192 Depth=3
	s_and_not1_saveexec_b32 s13, s74
	s_cbranch_execz .LBB6_15430
; %bb.15425:                            ;   in Loop: Header=BB6_14192 Depth=3
	s_mov_b32 s74, exec_lo
                                        ; implicit-def: $vgpr52
	v_cmpx_ne_u64_e32 0, v[0:1]
	s_xor_b32 s74, exec_lo, s74
; %bb.15426:                            ;   in Loop: Header=BB6_14192 Depth=3
	v_or_b32_e32 v52, 0x7f, v3
                                        ; implicit-def: $vgpr2
; %bb.15427:                            ;   in Loop: Header=BB6_14192 Depth=3
	s_and_not1_saveexec_b32 s74, s74
; %bb.15428:                            ;   in Loop: Header=BB6_14192 Depth=3
	v_cmp_lt_i32_e32 vcc_lo, -1, v2
	v_mov_b32_e32 v0, 0x7c
	s_delay_alu instid0(VALU_DEP_1)
	v_cndmask_b32_e32 v52, 0xfc, v0, vcc_lo
; %bb.15429:                            ;   in Loop: Header=BB6_14192 Depth=3
	s_or_b32 exec_lo, exec_lo, s74
.LBB6_15430:                            ;   in Loop: Header=BB6_14192 Depth=3
	s_delay_alu instid0(SALU_CYCLE_1) | instskip(SKIP_3) | instid1(VALU_DEP_2)
	s_or_b32 exec_lo, exec_lo, s13
	v_lshrrev_b16 v0, 8, v10
	v_mov_b32_e32 v1, 0
	s_mov_b32 s74, exec_lo
	v_cmpx_ne_u16_e32 0, v0
	s_cbranch_execz .LBB6_15440
; %bb.15431:                            ;   in Loop: Header=BB6_14192 Depth=3
	v_bfrev_b32_e32 v1, 1
	s_mov_b32 s75, exec_lo
	v_cmpx_ne_u16_e32 0x80, v0
	s_cbranch_execz .LBB6_15439
; %bb.15432:                            ;   in Loop: Header=BB6_14192 Depth=3
	v_and_b32_e32 v3, 0xffff, v0
	s_delay_alu instid0(VALU_DEP_1) | instskip(SKIP_1) | instid1(VALU_DEP_2)
	v_and_b32_e32 v1, 0x7c, v3
	v_and_b32_e32 v2, 3, v3
	v_cmp_ne_u32_e32 vcc_lo, 0x7c, v1
                                        ; implicit-def: $vgpr1
	s_and_saveexec_b32 s13, vcc_lo
	s_delay_alu instid0(SALU_CYCLE_1)
	s_xor_b32 s13, exec_lo, s13
	s_cbranch_execz .LBB6_15436
; %bb.15433:                            ;   in Loop: Header=BB6_14192 Depth=3
	v_bfe_u32 v1, v3, 2, 5
	s_mov_b32 s76, exec_lo
	s_delay_alu instid0(VALU_DEP_1)
	v_cmpx_eq_u32_e32 0, v1
; %bb.15434:                            ;   in Loop: Header=BB6_14192 Depth=3
	v_clz_i32_u32_e32 v1, v2
	s_delay_alu instid0(VALU_DEP_1) | instskip(SKIP_1) | instid1(VALU_DEP_2)
	v_min_u32_e32 v2, 32, v1
	v_mov_b32_e32 v1, v113
	v_subrev_nc_u32_e32 v3, 29, v2
	s_delay_alu instid0(VALU_DEP_1) | instskip(NEXT) | instid1(VALU_DEP_1)
	v_lshlrev_b64_e32 v[0:1], v3, v[0:1]
	v_dual_sub_nc_u32 v1, 30, v2 :: v_dual_bitop2_b32 v2, 3, v0 bitop3:0x40
; %bb.15435:                            ;   in Loop: Header=BB6_14192 Depth=3
	s_or_b32 exec_lo, exec_lo, s76
	v_lshlrev_b32_e32 v0, 16, v10
	s_delay_alu instid0(VALU_DEP_1) | instskip(NEXT) | instid1(VALU_DEP_1)
	v_and_b32_e32 v0, 0x80000000, v0
	v_lshl_add_u32 v0, v1, 23, v0
	s_delay_alu instid0(VALU_DEP_1) | instskip(NEXT) | instid1(VALU_DEP_1)
	v_lshl_or_b32 v0, v2, 21, v0
                                        ; implicit-def: $vgpr2
	v_add_nc_u32_e32 v1, 0x38000000, v0
.LBB6_15436:                            ;   in Loop: Header=BB6_14192 Depth=3
	s_and_not1_saveexec_b32 s76, s13
; %bb.15437:                            ;   in Loop: Header=BB6_14192 Depth=3
	v_cmp_lt_i16_e64 s13, -1, v10
	v_mov_b32_e32 v0, 0x7f800000
	v_cmp_eq_u32_e32 vcc_lo, 0, v2
	s_delay_alu instid0(VALU_DEP_2) | instskip(NEXT) | instid1(VALU_DEP_1)
	v_cndmask_b32_e64 v0, 0xff800000, v0, s13
	v_cndmask_b32_e32 v1, 0x7f800001, v0, vcc_lo
; %bb.15438:                            ;   in Loop: Header=BB6_14192 Depth=3
	s_or_b32 exec_lo, exec_lo, s76
.LBB6_15439:                            ;   in Loop: Header=BB6_14192 Depth=3
	s_delay_alu instid0(SALU_CYCLE_1)
	s_or_b32 exec_lo, exec_lo, s75
.LBB6_15440:                            ;   in Loop: Header=BB6_14192 Depth=3
	s_delay_alu instid0(SALU_CYCLE_1) | instskip(NEXT) | instid1(VALU_DEP_1)
	s_or_b32 exec_lo, exec_lo, s74
	v_dual_mul_f32 v2, s73, v1 :: v_dual_mov_b32 v5, v113
	v_mov_b32_e32 v1, v113
                                        ; implicit-def: $vgpr67
	s_mov_b32 s13, exec_lo
	s_delay_alu instid0(VALU_DEP_2) | instskip(SKIP_2) | instid1(VALU_DEP_3)
	v_and_b32_e32 v4, 0x7f800000, v2
	v_and_b32_e32 v0, 0x7fffff, v2
	v_lshrrev_b32_e32 v3, 24, v2
	v_cmpx_ne_u64_e32 0x7f800000, v[4:5]
	s_xor_b32 s74, exec_lo, s13
	s_cbranch_execz .LBB6_15454
; %bb.15441:                            ;   in Loop: Header=BB6_14192 Depth=3
	v_and_b32_e32 v4, 0x7fffffff, v2
	v_mov_b32_e32 v5, v113
                                        ; implicit-def: $vgpr67
	s_delay_alu instid0(VALU_DEP_1) | instskip(SKIP_2) | instid1(SALU_CYCLE_1)
	v_cmp_gt_u64_e32 vcc_lo, 0x47600001, v[4:5]
	v_and_b32_e32 v4, 0x80, v3
	s_and_saveexec_b32 s13, vcc_lo
	s_xor_b32 s75, exec_lo, s13
	s_cbranch_execz .LBB6_15451
; %bb.15442:                            ;   in Loop: Header=BB6_14192 Depth=3
	v_mov_b32_e32 v67, 0
	s_mov_b32 s76, exec_lo
	v_cmpx_ne_u32_e32 0, v2
	s_cbranch_execz .LBB6_15450
; %bb.15443:                            ;   in Loop: Header=BB6_14192 Depth=3
	v_bfe_u32 v5, v2, 23, 8
	v_or_b32_e32 v3, 0x800000, v0
	s_delay_alu instid0(VALU_DEP_2) | instskip(SKIP_2) | instid1(VALU_DEP_2)
	v_cmp_gt_u32_e64 s13, 0x72, v5
	v_sub_nc_u32_e32 v2, 0x71, v5
	v_cmp_eq_u32_e32 vcc_lo, 0, v5
	v_dual_cndmask_b32 v2, 0, v2, s13 :: v_dual_cndmask_b32 v0, v3, v0, vcc_lo
	s_delay_alu instid0(VALU_DEP_1) | instskip(NEXT) | instid1(VALU_DEP_1)
	v_cndmask_b32_e64 v8, v2, 0x70, vcc_lo
	v_dual_add_nc_u32 v2, 21, v8 :: v_dual_add_nc_u32 v9, 20, v8
	s_delay_alu instid0(VALU_DEP_1) | instskip(NEXT) | instid1(VALU_DEP_2)
	v_lshlrev_b64_e64 v[2:3], v2, -1
	v_lshlrev_b64_e64 v[12:13], v9, 1
	s_delay_alu instid0(VALU_DEP_2) | instskip(SKIP_1) | instid1(VALU_DEP_4)
	v_bfi_b32 v2, v2, 0, v0
	v_lshrrev_b64 v[0:1], v8, v[0:1]
	v_bfi_b32 v3, v3, 0, 0
	s_delay_alu instid0(VALU_DEP_1) | instskip(NEXT) | instid1(VALU_DEP_3)
	v_cmp_eq_u64_e64 s13, v[2:3], v[12:13]
	v_mov_b64_e32 v[2:3], v[0:1]
	s_and_saveexec_b32 s77, s13
; %bb.15444:                            ;   in Loop: Header=BB6_14192 Depth=3
	v_bfe_u32 v2, v0, 21, 1
	v_mov_b32_e32 v3, v113
	s_delay_alu instid0(VALU_DEP_1) | instskip(NEXT) | instid1(VALU_DEP_1)
	v_add_nc_u64_e32 v[2:3], v[0:1], v[2:3]
	v_add_nc_u64_e32 v[2:3], -1, v[2:3]
; %bb.15445:                            ;   in Loop: Header=BB6_14192 Depth=3
	s_or_b32 exec_lo, exec_lo, s77
	v_add_nc_u32_e32 v1, 0xffffff81, v5
	v_lshrrev_b32_e32 v3, 23, v0
	s_mov_b32 s13, exec_lo
	s_delay_alu instid0(VALU_DEP_2) | instskip(NEXT) | instid1(VALU_DEP_1)
	v_cndmask_b32_e64 v1, v1, 0xffffff82, vcc_lo
	v_add3_u32 v5, v8, v1, v3
	v_and_b32_e32 v1, 0x1fffff, v2
                                        ; implicit-def: $vgpr2
	s_delay_alu instid0(VALU_DEP_1) | instskip(SKIP_1) | instid1(VALU_DEP_2)
	v_dual_add_nc_u32 v3, 14, v5 :: v_dual_add_nc_u32 v0, v1, v0
	v_mov_b32_e32 v1, v113
	v_cmpx_ne_u32_e32 0, v3
	s_xor_b32 s13, exec_lo, s13
; %bb.15446:                            ;   in Loop: Header=BB6_14192 Depth=3
	s_delay_alu instid0(VALU_DEP_2) | instskip(SKIP_1) | instid1(VALU_DEP_1)
	v_cmp_lt_u64_e32 vcc_lo, 0xffffff, v[0:1]
	v_add_nc_u32_e32 v2, 15, v5
	v_cndmask_b32_e32 v2, v3, v2, vcc_lo
	v_cndmask_b32_e64 v3, 0, 1, vcc_lo
	s_delay_alu instid0(VALU_DEP_1)
	v_lshrrev_b64 v[0:1], v3, v[0:1]
; %bb.15447:                            ;   in Loop: Header=BB6_14192 Depth=3
	s_and_not1_saveexec_b32 s13, s13
; %bb.15448:                            ;   in Loop: Header=BB6_14192 Depth=3
	s_delay_alu instid0(VALU_DEP_1)
	v_bfe_u32 v2, v0, 23, 1
; %bb.15449:                            ;   in Loop: Header=BB6_14192 Depth=3
	s_or_b32 exec_lo, exec_lo, s13
	s_delay_alu instid0(VALU_DEP_2) | instskip(NEXT) | instid1(VALU_DEP_2)
	v_lshrrev_b64 v[0:1], 21, v[0:1]
	v_cmp_gt_i32_e32 vcc_lo, 32, v2
	v_min_i32_e32 v3, 31, v2
	v_cmp_eq_u32_e64 s13, 0, v2
	s_delay_alu instid0(VALU_DEP_2) | instskip(SKIP_1) | instid1(VALU_DEP_2)
	v_dual_cndmask_b32 v1, 0, v1, vcc_lo :: v_dual_lshlrev_b32 v3, 2, v3
	v_cndmask_b32_e32 v0, 3, v0, vcc_lo
	v_and_b32_e32 v3, 0xfc, v3
	s_delay_alu instid0(VALU_DEP_2) | instskip(NEXT) | instid1(VALU_DEP_2)
	v_cmp_eq_u64_e32 vcc_lo, 0, v[0:1]
	v_and_or_b32 v0, v0, 3, v3
	s_and_b32 s13, s13, vcc_lo
	s_delay_alu instid0(VALU_DEP_1) | instid1(SALU_CYCLE_1)
	v_cndmask_b32_e64 v0, v0, 0, s13
	s_delay_alu instid0(VALU_DEP_1)
	v_or_b32_e32 v67, v0, v4
.LBB6_15450:                            ;   in Loop: Header=BB6_14192 Depth=3
	s_or_b32 exec_lo, exec_lo, s76
                                        ; implicit-def: $vgpr4
.LBB6_15451:                            ;   in Loop: Header=BB6_14192 Depth=3
	s_and_not1_saveexec_b32 s13, s75
; %bb.15452:                            ;   in Loop: Header=BB6_14192 Depth=3
	v_or_b32_e32 v67, 0x7b, v4
; %bb.15453:                            ;   in Loop: Header=BB6_14192 Depth=3
	s_or_b32 exec_lo, exec_lo, s13
                                        ; implicit-def: $vgpr2
                                        ; implicit-def: $vgpr0_vgpr1
                                        ; implicit-def: $vgpr3
.LBB6_15454:                            ;   in Loop: Header=BB6_14192 Depth=3
	s_and_not1_saveexec_b32 s13, s74
	s_cbranch_execz .LBB6_15460
; %bb.15455:                            ;   in Loop: Header=BB6_14192 Depth=3
	s_mov_b32 s74, exec_lo
                                        ; implicit-def: $vgpr67
	v_cmpx_ne_u64_e32 0, v[0:1]
	s_xor_b32 s74, exec_lo, s74
; %bb.15456:                            ;   in Loop: Header=BB6_14192 Depth=3
	v_or_b32_e32 v67, 0x7f, v3
                                        ; implicit-def: $vgpr2
; %bb.15457:                            ;   in Loop: Header=BB6_14192 Depth=3
	s_and_not1_saveexec_b32 s74, s74
; %bb.15458:                            ;   in Loop: Header=BB6_14192 Depth=3
	v_cmp_lt_i32_e32 vcc_lo, -1, v2
	v_mov_b32_e32 v0, 0x7c
	s_delay_alu instid0(VALU_DEP_1)
	v_cndmask_b32_e32 v67, 0xfc, v0, vcc_lo
; %bb.15459:                            ;   in Loop: Header=BB6_14192 Depth=3
	s_or_b32 exec_lo, exec_lo, s74
.LBB6_15460:                            ;   in Loop: Header=BB6_14192 Depth=3
	s_delay_alu instid0(SALU_CYCLE_1) | instskip(SKIP_2) | instid1(VALU_DEP_1)
	s_or_b32 exec_lo, exec_lo, s13
	v_dual_mov_b32 v1, 0 :: v_dual_lshrrev_b32 v0, 16, v10
	s_mov_b32 s74, exec_lo
	v_and_b32_e32 v2, 0xff, v0
	s_delay_alu instid0(VALU_DEP_1)
	v_cmpx_ne_u16_e32 0, v2
	s_cbranch_execz .LBB6_15470
; %bb.15461:                            ;   in Loop: Header=BB6_14192 Depth=3
	v_bfrev_b32_e32 v1, 1
	s_mov_b32 s75, exec_lo
	v_cmpx_ne_u16_e32 0x80, v2
	s_cbranch_execz .LBB6_15469
; %bb.15462:                            ;   in Loop: Header=BB6_14192 Depth=3
	v_and_b32_e32 v1, 0x7c0000, v10
	v_bfe_u32 v2, v10, 16, 2
	s_delay_alu instid0(VALU_DEP_2) | instskip(SKIP_1) | instid1(SALU_CYCLE_1)
	v_cmp_ne_u32_e32 vcc_lo, 0x7c0000, v1
                                        ; implicit-def: $vgpr1
	s_and_saveexec_b32 s13, vcc_lo
	s_xor_b32 s13, exec_lo, s13
	s_cbranch_execz .LBB6_15466
; %bb.15463:                            ;   in Loop: Header=BB6_14192 Depth=3
	v_bfe_u32 v1, v10, 18, 5
	s_mov_b32 s76, exec_lo
	s_delay_alu instid0(VALU_DEP_1)
	v_cmpx_eq_u32_e32 0, v1
; %bb.15464:                            ;   in Loop: Header=BB6_14192 Depth=3
	v_clz_i32_u32_e32 v1, v2
	s_delay_alu instid0(VALU_DEP_1) | instskip(NEXT) | instid1(VALU_DEP_1)
	v_min_u32_e32 v1, 32, v1
	v_subrev_nc_u32_e32 v2, 29, v1
	s_delay_alu instid0(VALU_DEP_1) | instskip(NEXT) | instid1(VALU_DEP_1)
	v_lshlrev_b64_e32 v[2:3], v2, v[0:1]
	v_dual_sub_nc_u32 v1, 30, v1 :: v_dual_bitop2_b32 v2, 3, v2 bitop3:0x40
; %bb.15465:                            ;   in Loop: Header=BB6_14192 Depth=3
	s_or_b32 exec_lo, exec_lo, s76
	v_lshlrev_b32_e32 v0, 24, v0
	s_delay_alu instid0(VALU_DEP_1) | instskip(NEXT) | instid1(VALU_DEP_1)
	v_and_b32_e32 v0, 0x80000000, v0
	v_lshl_add_u32 v0, v1, 23, v0
	s_delay_alu instid0(VALU_DEP_1) | instskip(NEXT) | instid1(VALU_DEP_1)
	v_lshl_or_b32 v0, v2, 21, v0
                                        ; implicit-def: $vgpr2
	v_add_nc_u32_e32 v1, 0x38000000, v0
                                        ; implicit-def: $vgpr0
.LBB6_15466:                            ;   in Loop: Header=BB6_14192 Depth=3
	s_and_not1_saveexec_b32 s76, s13
; %bb.15467:                            ;   in Loop: Header=BB6_14192 Depth=3
	v_bfe_i32 v0, v0, 0, 8
	v_cmp_eq_u32_e32 vcc_lo, 0, v2
	s_delay_alu instid0(VALU_DEP_2) | instskip(SKIP_1) | instid1(VALU_DEP_1)
	v_cmp_lt_i16_e64 s13, -1, v0
	v_mov_b32_e32 v0, 0x7f800000
	v_cndmask_b32_e64 v0, 0xff800000, v0, s13
	s_delay_alu instid0(VALU_DEP_1)
	v_cndmask_b32_e32 v1, 0x7f800001, v0, vcc_lo
; %bb.15468:                            ;   in Loop: Header=BB6_14192 Depth=3
	s_or_b32 exec_lo, exec_lo, s76
.LBB6_15469:                            ;   in Loop: Header=BB6_14192 Depth=3
	s_delay_alu instid0(SALU_CYCLE_1)
	s_or_b32 exec_lo, exec_lo, s75
.LBB6_15470:                            ;   in Loop: Header=BB6_14192 Depth=3
	s_delay_alu instid0(SALU_CYCLE_1) | instskip(NEXT) | instid1(VALU_DEP_1)
	s_or_b32 exec_lo, exec_lo, s74
	v_dual_mul_f32 v2, s73, v1 :: v_dual_mov_b32 v5, v113
	v_mov_b32_e32 v1, v113
                                        ; implicit-def: $vgpr71
	s_mov_b32 s13, exec_lo
	s_delay_alu instid0(VALU_DEP_2) | instskip(SKIP_2) | instid1(VALU_DEP_3)
	v_and_b32_e32 v4, 0x7f800000, v2
	v_and_b32_e32 v0, 0x7fffff, v2
	v_lshrrev_b32_e32 v3, 24, v2
	v_cmpx_ne_u64_e32 0x7f800000, v[4:5]
	s_xor_b32 s74, exec_lo, s13
	s_cbranch_execz .LBB6_15484
; %bb.15471:                            ;   in Loop: Header=BB6_14192 Depth=3
	v_and_b32_e32 v4, 0x7fffffff, v2
	v_mov_b32_e32 v5, v113
                                        ; implicit-def: $vgpr71
	s_delay_alu instid0(VALU_DEP_1) | instskip(SKIP_2) | instid1(SALU_CYCLE_1)
	v_cmp_gt_u64_e32 vcc_lo, 0x47600001, v[4:5]
	v_and_b32_e32 v4, 0x80, v3
	s_and_saveexec_b32 s13, vcc_lo
	s_xor_b32 s75, exec_lo, s13
	s_cbranch_execz .LBB6_15481
; %bb.15472:                            ;   in Loop: Header=BB6_14192 Depth=3
	v_mov_b32_e32 v71, 0
	s_mov_b32 s76, exec_lo
	v_cmpx_ne_u32_e32 0, v2
	s_cbranch_execz .LBB6_15480
; %bb.15473:                            ;   in Loop: Header=BB6_14192 Depth=3
	v_bfe_u32 v5, v2, 23, 8
	v_or_b32_e32 v3, 0x800000, v0
	s_delay_alu instid0(VALU_DEP_2) | instskip(SKIP_2) | instid1(VALU_DEP_2)
	v_cmp_gt_u32_e64 s13, 0x72, v5
	v_sub_nc_u32_e32 v2, 0x71, v5
	v_cmp_eq_u32_e32 vcc_lo, 0, v5
	v_dual_cndmask_b32 v2, 0, v2, s13 :: v_dual_cndmask_b32 v0, v3, v0, vcc_lo
	s_delay_alu instid0(VALU_DEP_1) | instskip(NEXT) | instid1(VALU_DEP_1)
	v_cndmask_b32_e64 v8, v2, 0x70, vcc_lo
	v_dual_add_nc_u32 v2, 21, v8 :: v_dual_add_nc_u32 v9, 20, v8
	s_delay_alu instid0(VALU_DEP_1) | instskip(NEXT) | instid1(VALU_DEP_2)
	v_lshlrev_b64_e64 v[2:3], v2, -1
	v_lshlrev_b64_e64 v[12:13], v9, 1
	s_delay_alu instid0(VALU_DEP_2) | instskip(SKIP_1) | instid1(VALU_DEP_4)
	v_bfi_b32 v2, v2, 0, v0
	v_lshrrev_b64 v[0:1], v8, v[0:1]
	v_bfi_b32 v3, v3, 0, 0
	s_delay_alu instid0(VALU_DEP_1) | instskip(NEXT) | instid1(VALU_DEP_3)
	v_cmp_eq_u64_e64 s13, v[2:3], v[12:13]
	v_mov_b64_e32 v[2:3], v[0:1]
	s_and_saveexec_b32 s77, s13
; %bb.15474:                            ;   in Loop: Header=BB6_14192 Depth=3
	v_bfe_u32 v2, v0, 21, 1
	v_mov_b32_e32 v3, v113
	s_delay_alu instid0(VALU_DEP_1) | instskip(NEXT) | instid1(VALU_DEP_1)
	v_add_nc_u64_e32 v[2:3], v[0:1], v[2:3]
	v_add_nc_u64_e32 v[2:3], -1, v[2:3]
; %bb.15475:                            ;   in Loop: Header=BB6_14192 Depth=3
	s_or_b32 exec_lo, exec_lo, s77
	v_add_nc_u32_e32 v1, 0xffffff81, v5
	v_lshrrev_b32_e32 v3, 23, v0
	s_mov_b32 s13, exec_lo
	s_delay_alu instid0(VALU_DEP_2) | instskip(NEXT) | instid1(VALU_DEP_1)
	v_cndmask_b32_e64 v1, v1, 0xffffff82, vcc_lo
	v_add3_u32 v5, v8, v1, v3
	v_and_b32_e32 v1, 0x1fffff, v2
                                        ; implicit-def: $vgpr2
	s_delay_alu instid0(VALU_DEP_1) | instskip(SKIP_1) | instid1(VALU_DEP_2)
	v_dual_add_nc_u32 v3, 14, v5 :: v_dual_add_nc_u32 v0, v1, v0
	v_mov_b32_e32 v1, v113
	v_cmpx_ne_u32_e32 0, v3
	s_xor_b32 s13, exec_lo, s13
; %bb.15476:                            ;   in Loop: Header=BB6_14192 Depth=3
	s_delay_alu instid0(VALU_DEP_2) | instskip(SKIP_1) | instid1(VALU_DEP_1)
	v_cmp_lt_u64_e32 vcc_lo, 0xffffff, v[0:1]
	v_add_nc_u32_e32 v2, 15, v5
	v_cndmask_b32_e32 v2, v3, v2, vcc_lo
	v_cndmask_b32_e64 v3, 0, 1, vcc_lo
	s_delay_alu instid0(VALU_DEP_1)
	v_lshrrev_b64 v[0:1], v3, v[0:1]
; %bb.15477:                            ;   in Loop: Header=BB6_14192 Depth=3
	s_and_not1_saveexec_b32 s13, s13
; %bb.15478:                            ;   in Loop: Header=BB6_14192 Depth=3
	s_delay_alu instid0(VALU_DEP_1)
	v_bfe_u32 v2, v0, 23, 1
; %bb.15479:                            ;   in Loop: Header=BB6_14192 Depth=3
	s_or_b32 exec_lo, exec_lo, s13
	s_delay_alu instid0(VALU_DEP_2) | instskip(NEXT) | instid1(VALU_DEP_2)
	v_lshrrev_b64 v[0:1], 21, v[0:1]
	v_cmp_gt_i32_e32 vcc_lo, 32, v2
	v_min_i32_e32 v3, 31, v2
	v_cmp_eq_u32_e64 s13, 0, v2
	s_delay_alu instid0(VALU_DEP_2) | instskip(SKIP_1) | instid1(VALU_DEP_2)
	v_dual_cndmask_b32 v1, 0, v1, vcc_lo :: v_dual_lshlrev_b32 v3, 2, v3
	v_cndmask_b32_e32 v0, 3, v0, vcc_lo
	v_and_b32_e32 v3, 0xfc, v3
	s_delay_alu instid0(VALU_DEP_2) | instskip(NEXT) | instid1(VALU_DEP_2)
	v_cmp_eq_u64_e32 vcc_lo, 0, v[0:1]
	v_and_or_b32 v0, v0, 3, v3
	s_and_b32 s13, s13, vcc_lo
	s_delay_alu instid0(VALU_DEP_1) | instid1(SALU_CYCLE_1)
	v_cndmask_b32_e64 v0, v0, 0, s13
	s_delay_alu instid0(VALU_DEP_1)
	v_or_b32_e32 v71, v0, v4
.LBB6_15480:                            ;   in Loop: Header=BB6_14192 Depth=3
	s_or_b32 exec_lo, exec_lo, s76
                                        ; implicit-def: $vgpr4
.LBB6_15481:                            ;   in Loop: Header=BB6_14192 Depth=3
	s_and_not1_saveexec_b32 s13, s75
; %bb.15482:                            ;   in Loop: Header=BB6_14192 Depth=3
	v_or_b32_e32 v71, 0x7b, v4
; %bb.15483:                            ;   in Loop: Header=BB6_14192 Depth=3
	s_or_b32 exec_lo, exec_lo, s13
                                        ; implicit-def: $vgpr2
                                        ; implicit-def: $vgpr0_vgpr1
                                        ; implicit-def: $vgpr3
.LBB6_15484:                            ;   in Loop: Header=BB6_14192 Depth=3
	s_and_not1_saveexec_b32 s13, s74
	s_cbranch_execz .LBB6_15490
; %bb.15485:                            ;   in Loop: Header=BB6_14192 Depth=3
	s_mov_b32 s74, exec_lo
                                        ; implicit-def: $vgpr71
	v_cmpx_ne_u64_e32 0, v[0:1]
	s_xor_b32 s74, exec_lo, s74
; %bb.15486:                            ;   in Loop: Header=BB6_14192 Depth=3
	v_or_b32_e32 v71, 0x7f, v3
                                        ; implicit-def: $vgpr2
; %bb.15487:                            ;   in Loop: Header=BB6_14192 Depth=3
	s_and_not1_saveexec_b32 s74, s74
; %bb.15488:                            ;   in Loop: Header=BB6_14192 Depth=3
	v_cmp_lt_i32_e32 vcc_lo, -1, v2
	v_mov_b32_e32 v0, 0x7c
	s_delay_alu instid0(VALU_DEP_1)
	v_cndmask_b32_e32 v71, 0xfc, v0, vcc_lo
; %bb.15489:                            ;   in Loop: Header=BB6_14192 Depth=3
	s_or_b32 exec_lo, exec_lo, s74
.LBB6_15490:                            ;   in Loop: Header=BB6_14192 Depth=3
	s_delay_alu instid0(SALU_CYCLE_1)
	s_or_b32 exec_lo, exec_lo, s13
	v_mov_b32_e32 v1, 0
	s_mov_b32 s74, exec_lo
	v_cmpx_lt_u32_e32 0xffffff, v10
	s_cbranch_execz .LBB6_15500
; %bb.15491:                            ;   in Loop: Header=BB6_14192 Depth=3
	v_lshrrev_b32_e32 v0, 24, v10
	v_bfrev_b32_e32 v1, 1
	s_mov_b32 s75, exec_lo
	s_delay_alu instid0(VALU_DEP_2)
	v_cmpx_ne_u32_e32 0x80, v0
	s_cbranch_execz .LBB6_15499
; %bb.15492:                            ;   in Loop: Header=BB6_14192 Depth=3
	v_and_b32_e32 v1, 0x7c000000, v10
	v_bfe_u32 v2, v10, 24, 2
	s_delay_alu instid0(VALU_DEP_2) | instskip(SKIP_1) | instid1(SALU_CYCLE_1)
	v_cmp_ne_u32_e32 vcc_lo, 0x7c000000, v1
                                        ; implicit-def: $vgpr1
	s_and_saveexec_b32 s13, vcc_lo
	s_xor_b32 s13, exec_lo, s13
	s_cbranch_execz .LBB6_15496
; %bb.15493:                            ;   in Loop: Header=BB6_14192 Depth=3
	v_bfe_u32 v1, v10, 26, 5
	s_mov_b32 s76, exec_lo
	s_delay_alu instid0(VALU_DEP_1)
	v_cmpx_eq_u32_e32 0, v1
; %bb.15494:                            ;   in Loop: Header=BB6_14192 Depth=3
	v_clz_i32_u32_e32 v1, v2
	s_delay_alu instid0(VALU_DEP_1) | instskip(NEXT) | instid1(VALU_DEP_1)
	v_min_u32_e32 v2, 32, v1
	v_subrev_nc_u32_e32 v1, 29, v2
	s_delay_alu instid0(VALU_DEP_1) | instskip(NEXT) | instid1(VALU_DEP_1)
	v_lshlrev_b64_e32 v[0:1], v1, v[0:1]
	v_dual_sub_nc_u32 v1, 30, v2 :: v_dual_bitop2_b32 v2, 3, v0 bitop3:0x40
; %bb.15495:                            ;   in Loop: Header=BB6_14192 Depth=3
	s_or_b32 exec_lo, exec_lo, s76
	v_and_b32_e32 v0, 0x80000000, v10
	s_delay_alu instid0(VALU_DEP_1) | instskip(NEXT) | instid1(VALU_DEP_1)
	v_lshl_add_u32 v0, v1, 23, v0
	v_lshl_or_b32 v0, v2, 21, v0
                                        ; implicit-def: $vgpr2
	s_delay_alu instid0(VALU_DEP_1)
	v_add_nc_u32_e32 v1, 0x38000000, v0
.LBB6_15496:                            ;   in Loop: Header=BB6_14192 Depth=3
	s_and_not1_saveexec_b32 s76, s13
; %bb.15497:                            ;   in Loop: Header=BB6_14192 Depth=3
	v_cmp_lt_i32_e64 s13, -1, v10
	v_mov_b32_e32 v0, 0x7f800000
	v_cmp_eq_u32_e32 vcc_lo, 0, v2
	s_delay_alu instid0(VALU_DEP_2) | instskip(NEXT) | instid1(VALU_DEP_1)
	v_cndmask_b32_e64 v0, 0xff800000, v0, s13
	v_cndmask_b32_e32 v1, 0x7f800001, v0, vcc_lo
; %bb.15498:                            ;   in Loop: Header=BB6_14192 Depth=3
	s_or_b32 exec_lo, exec_lo, s76
.LBB6_15499:                            ;   in Loop: Header=BB6_14192 Depth=3
	s_delay_alu instid0(SALU_CYCLE_1)
	s_or_b32 exec_lo, exec_lo, s75
.LBB6_15500:                            ;   in Loop: Header=BB6_14192 Depth=3
	s_delay_alu instid0(SALU_CYCLE_1) | instskip(NEXT) | instid1(VALU_DEP_1)
	s_or_b32 exec_lo, exec_lo, s74
	v_dual_mul_f32 v2, s73, v1 :: v_dual_mov_b32 v5, v113
	v_mov_b32_e32 v1, v113
                                        ; implicit-def: $vgpr81
	s_mov_b32 s13, exec_lo
	s_delay_alu instid0(VALU_DEP_2) | instskip(SKIP_2) | instid1(VALU_DEP_3)
	v_and_b32_e32 v4, 0x7f800000, v2
	v_and_b32_e32 v0, 0x7fffff, v2
	v_lshrrev_b32_e32 v3, 24, v2
	v_cmpx_ne_u64_e32 0x7f800000, v[4:5]
	s_xor_b32 s74, exec_lo, s13
	s_cbranch_execz .LBB6_15514
; %bb.15501:                            ;   in Loop: Header=BB6_14192 Depth=3
	v_and_b32_e32 v4, 0x7fffffff, v2
	v_mov_b32_e32 v5, v113
                                        ; implicit-def: $vgpr81
	s_delay_alu instid0(VALU_DEP_1) | instskip(SKIP_2) | instid1(SALU_CYCLE_1)
	v_cmp_gt_u64_e32 vcc_lo, 0x47600001, v[4:5]
	v_and_b32_e32 v4, 0x80, v3
	s_and_saveexec_b32 s13, vcc_lo
	s_xor_b32 s75, exec_lo, s13
	s_cbranch_execz .LBB6_15511
; %bb.15502:                            ;   in Loop: Header=BB6_14192 Depth=3
	v_mov_b32_e32 v81, 0
	s_mov_b32 s76, exec_lo
	v_cmpx_ne_u32_e32 0, v2
	s_cbranch_execz .LBB6_15510
; %bb.15503:                            ;   in Loop: Header=BB6_14192 Depth=3
	v_bfe_u32 v5, v2, 23, 8
	v_or_b32_e32 v3, 0x800000, v0
	s_delay_alu instid0(VALU_DEP_2) | instskip(SKIP_2) | instid1(VALU_DEP_2)
	v_cmp_gt_u32_e64 s13, 0x72, v5
	v_sub_nc_u32_e32 v2, 0x71, v5
	v_cmp_eq_u32_e32 vcc_lo, 0, v5
	v_dual_cndmask_b32 v2, 0, v2, s13 :: v_dual_cndmask_b32 v0, v3, v0, vcc_lo
	s_delay_alu instid0(VALU_DEP_1) | instskip(NEXT) | instid1(VALU_DEP_1)
	v_cndmask_b32_e64 v8, v2, 0x70, vcc_lo
	v_dual_add_nc_u32 v2, 21, v8 :: v_dual_add_nc_u32 v9, 20, v8
	s_delay_alu instid0(VALU_DEP_1) | instskip(NEXT) | instid1(VALU_DEP_2)
	v_lshlrev_b64_e64 v[2:3], v2, -1
	v_lshlrev_b64_e64 v[12:13], v9, 1
	s_delay_alu instid0(VALU_DEP_2) | instskip(SKIP_1) | instid1(VALU_DEP_4)
	v_bfi_b32 v2, v2, 0, v0
	v_lshrrev_b64 v[0:1], v8, v[0:1]
	v_bfi_b32 v3, v3, 0, 0
	s_delay_alu instid0(VALU_DEP_1) | instskip(NEXT) | instid1(VALU_DEP_3)
	v_cmp_eq_u64_e64 s13, v[2:3], v[12:13]
	v_mov_b64_e32 v[2:3], v[0:1]
	s_and_saveexec_b32 s77, s13
; %bb.15504:                            ;   in Loop: Header=BB6_14192 Depth=3
	v_bfe_u32 v2, v0, 21, 1
	v_mov_b32_e32 v3, v113
	s_delay_alu instid0(VALU_DEP_1) | instskip(NEXT) | instid1(VALU_DEP_1)
	v_add_nc_u64_e32 v[2:3], v[0:1], v[2:3]
	v_add_nc_u64_e32 v[2:3], -1, v[2:3]
; %bb.15505:                            ;   in Loop: Header=BB6_14192 Depth=3
	s_or_b32 exec_lo, exec_lo, s77
	v_add_nc_u32_e32 v1, 0xffffff81, v5
	v_lshrrev_b32_e32 v3, 23, v0
	s_mov_b32 s13, exec_lo
	s_delay_alu instid0(VALU_DEP_2) | instskip(NEXT) | instid1(VALU_DEP_1)
	v_cndmask_b32_e64 v1, v1, 0xffffff82, vcc_lo
	v_add3_u32 v5, v8, v1, v3
	v_and_b32_e32 v1, 0x1fffff, v2
                                        ; implicit-def: $vgpr2
	s_delay_alu instid0(VALU_DEP_1) | instskip(SKIP_1) | instid1(VALU_DEP_2)
	v_dual_add_nc_u32 v3, 14, v5 :: v_dual_add_nc_u32 v0, v1, v0
	v_mov_b32_e32 v1, v113
	v_cmpx_ne_u32_e32 0, v3
	s_xor_b32 s13, exec_lo, s13
; %bb.15506:                            ;   in Loop: Header=BB6_14192 Depth=3
	s_delay_alu instid0(VALU_DEP_2) | instskip(SKIP_1) | instid1(VALU_DEP_1)
	v_cmp_lt_u64_e32 vcc_lo, 0xffffff, v[0:1]
	v_add_nc_u32_e32 v2, 15, v5
	v_cndmask_b32_e32 v2, v3, v2, vcc_lo
	v_cndmask_b32_e64 v3, 0, 1, vcc_lo
	s_delay_alu instid0(VALU_DEP_1)
	v_lshrrev_b64 v[0:1], v3, v[0:1]
; %bb.15507:                            ;   in Loop: Header=BB6_14192 Depth=3
	s_and_not1_saveexec_b32 s13, s13
; %bb.15508:                            ;   in Loop: Header=BB6_14192 Depth=3
	s_delay_alu instid0(VALU_DEP_1)
	v_bfe_u32 v2, v0, 23, 1
; %bb.15509:                            ;   in Loop: Header=BB6_14192 Depth=3
	s_or_b32 exec_lo, exec_lo, s13
	s_delay_alu instid0(VALU_DEP_2) | instskip(NEXT) | instid1(VALU_DEP_2)
	v_lshrrev_b64 v[0:1], 21, v[0:1]
	v_cmp_gt_i32_e32 vcc_lo, 32, v2
	v_min_i32_e32 v3, 31, v2
	v_cmp_eq_u32_e64 s13, 0, v2
	s_delay_alu instid0(VALU_DEP_2) | instskip(SKIP_1) | instid1(VALU_DEP_2)
	v_dual_cndmask_b32 v1, 0, v1, vcc_lo :: v_dual_lshlrev_b32 v3, 2, v3
	v_cndmask_b32_e32 v0, 3, v0, vcc_lo
	v_and_b32_e32 v3, 0xfc, v3
	s_delay_alu instid0(VALU_DEP_2) | instskip(NEXT) | instid1(VALU_DEP_2)
	v_cmp_eq_u64_e32 vcc_lo, 0, v[0:1]
	v_and_or_b32 v0, v0, 3, v3
	s_and_b32 s13, s13, vcc_lo
	s_delay_alu instid0(VALU_DEP_1) | instid1(SALU_CYCLE_1)
	v_cndmask_b32_e64 v0, v0, 0, s13
	s_delay_alu instid0(VALU_DEP_1)
	v_or_b32_e32 v81, v0, v4
.LBB6_15510:                            ;   in Loop: Header=BB6_14192 Depth=3
	s_or_b32 exec_lo, exec_lo, s76
                                        ; implicit-def: $vgpr4
.LBB6_15511:                            ;   in Loop: Header=BB6_14192 Depth=3
	s_and_not1_saveexec_b32 s13, s75
; %bb.15512:                            ;   in Loop: Header=BB6_14192 Depth=3
	v_or_b32_e32 v81, 0x7b, v4
; %bb.15513:                            ;   in Loop: Header=BB6_14192 Depth=3
	s_or_b32 exec_lo, exec_lo, s13
                                        ; implicit-def: $vgpr2
                                        ; implicit-def: $vgpr0_vgpr1
                                        ; implicit-def: $vgpr3
.LBB6_15514:                            ;   in Loop: Header=BB6_14192 Depth=3
	s_and_not1_saveexec_b32 s13, s74
	s_cbranch_execz .LBB6_15520
; %bb.15515:                            ;   in Loop: Header=BB6_14192 Depth=3
	s_mov_b32 s74, exec_lo
                                        ; implicit-def: $vgpr81
	v_cmpx_ne_u64_e32 0, v[0:1]
	s_xor_b32 s74, exec_lo, s74
; %bb.15516:                            ;   in Loop: Header=BB6_14192 Depth=3
	v_or_b32_e32 v81, 0x7f, v3
                                        ; implicit-def: $vgpr2
; %bb.15517:                            ;   in Loop: Header=BB6_14192 Depth=3
	s_and_not1_saveexec_b32 s74, s74
; %bb.15518:                            ;   in Loop: Header=BB6_14192 Depth=3
	v_cmp_lt_i32_e32 vcc_lo, -1, v2
	v_mov_b32_e32 v0, 0x7c
	s_delay_alu instid0(VALU_DEP_1)
	v_cndmask_b32_e32 v81, 0xfc, v0, vcc_lo
; %bb.15519:                            ;   in Loop: Header=BB6_14192 Depth=3
	s_or_b32 exec_lo, exec_lo, s74
.LBB6_15520:                            ;   in Loop: Header=BB6_14192 Depth=3
	s_delay_alu instid0(SALU_CYCLE_1) | instskip(SKIP_4) | instid1(VALU_DEP_3)
	s_or_b32 exec_lo, exec_lo, s13
	v_and_b32_e32 v3, 0xff, v11
	v_dual_mov_b32 v0, v11 :: v_dual_mov_b32 v1, v113
	v_mov_b32_e32 v2, 0
	s_mov_b32 s74, exec_lo
	v_cmpx_ne_u16_e32 0, v3
	s_cbranch_execz .LBB6_15530
; %bb.15521:                            ;   in Loop: Header=BB6_14192 Depth=3
	v_bfrev_b32_e32 v2, 1
	s_mov_b32 s75, exec_lo
	v_cmpx_ne_u16_e32 0x80, v3
	s_cbranch_execz .LBB6_15529
; %bb.15522:                            ;   in Loop: Header=BB6_14192 Depth=3
	v_and_b32_e32 v2, 0x7c, v11
	v_and_b32_e32 v3, 3, v11
	s_delay_alu instid0(VALU_DEP_2) | instskip(SKIP_1) | instid1(SALU_CYCLE_1)
	v_cmp_ne_u32_e32 vcc_lo, 0x7c, v2
                                        ; implicit-def: $vgpr2
	s_and_saveexec_b32 s13, vcc_lo
	s_xor_b32 s13, exec_lo, s13
	s_cbranch_execz .LBB6_15526
; %bb.15523:                            ;   in Loop: Header=BB6_14192 Depth=3
	v_bfe_u32 v2, v11, 2, 5
	s_mov_b32 s76, exec_lo
	s_delay_alu instid0(VALU_DEP_1)
	v_cmpx_eq_u32_e32 0, v2
; %bb.15524:                            ;   in Loop: Header=BB6_14192 Depth=3
	v_clz_i32_u32_e32 v2, v3
	s_delay_alu instid0(VALU_DEP_1) | instskip(NEXT) | instid1(VALU_DEP_1)
	v_min_u32_e32 v2, 32, v2
	v_subrev_nc_u32_e32 v3, 29, v2
	s_delay_alu instid0(VALU_DEP_1) | instskip(NEXT) | instid1(VALU_DEP_1)
	v_lshlrev_b64_e32 v[4:5], v3, v[0:1]
	v_dual_sub_nc_u32 v2, 30, v2 :: v_dual_bitop2_b32 v3, 3, v4 bitop3:0x40
; %bb.15525:                            ;   in Loop: Header=BB6_14192 Depth=3
	s_or_b32 exec_lo, exec_lo, s76
	v_lshlrev_b32_e32 v1, 24, v11
	s_delay_alu instid0(VALU_DEP_1) | instskip(NEXT) | instid1(VALU_DEP_1)
	v_and_b32_e32 v1, 0x80000000, v1
	v_lshl_add_u32 v1, v2, 23, v1
	s_delay_alu instid0(VALU_DEP_1) | instskip(NEXT) | instid1(VALU_DEP_1)
	v_lshl_or_b32 v1, v3, 21, v1
                                        ; implicit-def: $vgpr3
	v_add_nc_u32_e32 v2, 0x38000000, v1
.LBB6_15526:                            ;   in Loop: Header=BB6_14192 Depth=3
	s_and_not1_saveexec_b32 s76, s13
; %bb.15527:                            ;   in Loop: Header=BB6_14192 Depth=3
	v_bfe_i32 v1, v11, 0, 8
	v_cmp_eq_u32_e32 vcc_lo, 0, v3
	s_delay_alu instid0(VALU_DEP_2) | instskip(SKIP_1) | instid1(VALU_DEP_1)
	v_cmp_lt_i16_e64 s13, -1, v1
	v_mov_b32_e32 v1, 0x7f800000
	v_cndmask_b32_e64 v1, 0xff800000, v1, s13
	s_delay_alu instid0(VALU_DEP_1)
	v_cndmask_b32_e32 v2, 0x7f800001, v1, vcc_lo
; %bb.15528:                            ;   in Loop: Header=BB6_14192 Depth=3
	s_or_b32 exec_lo, exec_lo, s76
.LBB6_15529:                            ;   in Loop: Header=BB6_14192 Depth=3
	s_delay_alu instid0(SALU_CYCLE_1)
	s_or_b32 exec_lo, exec_lo, s75
.LBB6_15530:                            ;   in Loop: Header=BB6_14192 Depth=3
	s_delay_alu instid0(SALU_CYCLE_1) | instskip(NEXT) | instid1(VALU_DEP_1)
	s_or_b32 exec_lo, exec_lo, s74
	v_dual_mul_f32 v4, s73, v2 :: v_dual_mov_b32 v9, v113
	v_mov_b32_e32 v3, v113
                                        ; implicit-def: $vgpr39
	s_mov_b32 s13, exec_lo
	s_delay_alu instid0(VALU_DEP_2) | instskip(SKIP_2) | instid1(VALU_DEP_3)
	v_and_b32_e32 v8, 0x7f800000, v4
	v_and_b32_e32 v2, 0x7fffff, v4
	v_lshrrev_b32_e32 v1, 24, v4
	v_cmpx_ne_u64_e32 0x7f800000, v[8:9]
	s_xor_b32 s74, exec_lo, s13
	s_cbranch_execz .LBB6_15544
; %bb.15531:                            ;   in Loop: Header=BB6_14192 Depth=3
	v_and_b32_e32 v8, 0x7fffffff, v4
	v_mov_b32_e32 v9, v113
	v_and_b32_e32 v1, 0x80, v1
                                        ; implicit-def: $vgpr39
	s_mov_b32 s13, exec_lo
	s_delay_alu instid0(VALU_DEP_2)
	v_cmpx_gt_u64_e32 0x47600001, v[8:9]
	s_xor_b32 s75, exec_lo, s13
	s_cbranch_execz .LBB6_15541
; %bb.15532:                            ;   in Loop: Header=BB6_14192 Depth=3
	v_mov_b32_e32 v39, 0
	s_mov_b32 s76, exec_lo
	v_cmpx_ne_u32_e32 0, v4
	s_cbranch_execz .LBB6_15540
; %bb.15533:                            ;   in Loop: Header=BB6_14192 Depth=3
	v_bfe_u32 v8, v4, 23, 8
	v_or_b32_e32 v5, 0x800000, v2
	s_delay_alu instid0(VALU_DEP_2) | instskip(SKIP_2) | instid1(VALU_DEP_2)
	v_cmp_gt_u32_e64 s13, 0x72, v8
	v_sub_nc_u32_e32 v4, 0x71, v8
	v_cmp_eq_u32_e32 vcc_lo, 0, v8
	v_dual_cndmask_b32 v4, 0, v4, s13 :: v_dual_cndmask_b32 v2, v5, v2, vcc_lo
	s_delay_alu instid0(VALU_DEP_1) | instskip(NEXT) | instid1(VALU_DEP_1)
	v_cndmask_b32_e64 v9, v4, 0x70, vcc_lo
	v_dual_add_nc_u32 v4, 21, v9 :: v_dual_add_nc_u32 v12, 20, v9
	s_delay_alu instid0(VALU_DEP_1) | instskip(NEXT) | instid1(VALU_DEP_2)
	v_lshlrev_b64_e64 v[4:5], v4, -1
	v_lshlrev_b64_e64 v[12:13], v12, 1
	s_delay_alu instid0(VALU_DEP_2) | instskip(SKIP_1) | instid1(VALU_DEP_4)
	v_bfi_b32 v4, v4, 0, v2
	v_lshrrev_b64 v[2:3], v9, v[2:3]
	v_bfi_b32 v5, v5, 0, 0
	s_delay_alu instid0(VALU_DEP_1) | instskip(NEXT) | instid1(VALU_DEP_3)
	v_cmp_eq_u64_e64 s13, v[4:5], v[12:13]
	v_mov_b64_e32 v[4:5], v[2:3]
	s_and_saveexec_b32 s77, s13
; %bb.15534:                            ;   in Loop: Header=BB6_14192 Depth=3
	v_bfe_u32 v4, v2, 21, 1
	v_mov_b32_e32 v5, v113
	s_delay_alu instid0(VALU_DEP_1) | instskip(NEXT) | instid1(VALU_DEP_1)
	v_add_nc_u64_e32 v[4:5], v[2:3], v[4:5]
	v_add_nc_u64_e32 v[4:5], -1, v[4:5]
; %bb.15535:                            ;   in Loop: Header=BB6_14192 Depth=3
	s_or_b32 exec_lo, exec_lo, s77
	v_add_nc_u32_e32 v3, 0xffffff81, v8
	v_lshrrev_b32_e32 v5, 23, v2
	s_mov_b32 s13, exec_lo
	s_delay_alu instid0(VALU_DEP_2) | instskip(NEXT) | instid1(VALU_DEP_1)
	v_cndmask_b32_e64 v3, v3, 0xffffff82, vcc_lo
	v_add3_u32 v8, v9, v3, v5
	v_and_b32_e32 v3, 0x1fffff, v4
                                        ; implicit-def: $vgpr4
	s_delay_alu instid0(VALU_DEP_1) | instskip(SKIP_1) | instid1(VALU_DEP_2)
	v_dual_add_nc_u32 v5, 14, v8 :: v_dual_add_nc_u32 v2, v3, v2
	v_mov_b32_e32 v3, v113
	v_cmpx_ne_u32_e32 0, v5
	s_xor_b32 s13, exec_lo, s13
; %bb.15536:                            ;   in Loop: Header=BB6_14192 Depth=3
	s_delay_alu instid0(VALU_DEP_2) | instskip(SKIP_1) | instid1(VALU_DEP_1)
	v_cmp_lt_u64_e32 vcc_lo, 0xffffff, v[2:3]
	v_add_nc_u32_e32 v4, 15, v8
	v_cndmask_b32_e32 v4, v5, v4, vcc_lo
	v_cndmask_b32_e64 v5, 0, 1, vcc_lo
	s_delay_alu instid0(VALU_DEP_1)
	v_lshrrev_b64 v[2:3], v5, v[2:3]
; %bb.15537:                            ;   in Loop: Header=BB6_14192 Depth=3
	s_and_not1_saveexec_b32 s13, s13
; %bb.15538:                            ;   in Loop: Header=BB6_14192 Depth=3
	s_delay_alu instid0(VALU_DEP_1)
	v_bfe_u32 v4, v2, 23, 1
; %bb.15539:                            ;   in Loop: Header=BB6_14192 Depth=3
	s_or_b32 exec_lo, exec_lo, s13
	s_delay_alu instid0(VALU_DEP_2) | instskip(NEXT) | instid1(VALU_DEP_2)
	v_lshrrev_b64 v[2:3], 21, v[2:3]
	v_cmp_gt_i32_e32 vcc_lo, 32, v4
	v_min_i32_e32 v5, 31, v4
	v_cmp_eq_u32_e64 s13, 0, v4
	s_delay_alu instid0(VALU_DEP_2) | instskip(SKIP_1) | instid1(VALU_DEP_2)
	v_dual_cndmask_b32 v3, 0, v3, vcc_lo :: v_dual_lshlrev_b32 v5, 2, v5
	v_cndmask_b32_e32 v2, 3, v2, vcc_lo
	v_and_b32_e32 v5, 0xfc, v5
	s_delay_alu instid0(VALU_DEP_2) | instskip(NEXT) | instid1(VALU_DEP_2)
	v_cmp_eq_u64_e32 vcc_lo, 0, v[2:3]
	v_and_or_b32 v2, v2, 3, v5
	s_and_b32 s13, s13, vcc_lo
	s_delay_alu instid0(VALU_DEP_1) | instid1(SALU_CYCLE_1)
	v_cndmask_b32_e64 v2, v2, 0, s13
	s_delay_alu instid0(VALU_DEP_1)
	v_or_b32_e32 v39, v2, v1
.LBB6_15540:                            ;   in Loop: Header=BB6_14192 Depth=3
	s_or_b32 exec_lo, exec_lo, s76
                                        ; implicit-def: $vgpr1
.LBB6_15541:                            ;   in Loop: Header=BB6_14192 Depth=3
	s_and_not1_saveexec_b32 s13, s75
; %bb.15542:                            ;   in Loop: Header=BB6_14192 Depth=3
	v_or_b32_e32 v39, 0x7b, v1
; %bb.15543:                            ;   in Loop: Header=BB6_14192 Depth=3
	s_or_b32 exec_lo, exec_lo, s13
                                        ; implicit-def: $vgpr4
                                        ; implicit-def: $vgpr2_vgpr3
                                        ; implicit-def: $vgpr1
.LBB6_15544:                            ;   in Loop: Header=BB6_14192 Depth=3
	s_and_not1_saveexec_b32 s13, s74
	s_cbranch_execz .LBB6_15550
; %bb.15545:                            ;   in Loop: Header=BB6_14192 Depth=3
	s_mov_b32 s74, exec_lo
                                        ; implicit-def: $vgpr39
	v_cmpx_ne_u64_e32 0, v[2:3]
	s_xor_b32 s74, exec_lo, s74
; %bb.15546:                            ;   in Loop: Header=BB6_14192 Depth=3
	v_or_b32_e32 v39, 0x7f, v1
                                        ; implicit-def: $vgpr4
; %bb.15547:                            ;   in Loop: Header=BB6_14192 Depth=3
	s_and_not1_saveexec_b32 s74, s74
; %bb.15548:                            ;   in Loop: Header=BB6_14192 Depth=3
	v_cmp_lt_i32_e32 vcc_lo, -1, v4
	v_mov_b32_e32 v1, 0x7c
	s_delay_alu instid0(VALU_DEP_1)
	v_cndmask_b32_e32 v39, 0xfc, v1, vcc_lo
; %bb.15549:                            ;   in Loop: Header=BB6_14192 Depth=3
	s_or_b32 exec_lo, exec_lo, s74
.LBB6_15550:                            ;   in Loop: Header=BB6_14192 Depth=3
	s_delay_alu instid0(SALU_CYCLE_1) | instskip(SKIP_3) | instid1(VALU_DEP_2)
	s_or_b32 exec_lo, exec_lo, s13
	v_lshrrev_b16 v2, 8, v0
	v_mov_b32_e32 v3, 0
	s_mov_b32 s74, exec_lo
	v_cmpx_ne_u16_e32 0, v2
	s_cbranch_execz .LBB6_15560
; %bb.15551:                            ;   in Loop: Header=BB6_14192 Depth=3
	v_bfrev_b32_e32 v3, 1
	s_mov_b32 s75, exec_lo
	v_cmpx_ne_u16_e32 0x80, v2
	s_cbranch_execz .LBB6_15559
; %bb.15552:                            ;   in Loop: Header=BB6_14192 Depth=3
	v_and_b32_e32 v1, 0xffff, v2
	s_delay_alu instid0(VALU_DEP_1) | instskip(SKIP_1) | instid1(VALU_DEP_2)
	v_and_b32_e32 v3, 0x7c, v1
	v_and_b32_e32 v4, 3, v1
	v_cmp_ne_u32_e32 vcc_lo, 0x7c, v3
                                        ; implicit-def: $vgpr3
	s_and_saveexec_b32 s13, vcc_lo
	s_delay_alu instid0(SALU_CYCLE_1)
	s_xor_b32 s13, exec_lo, s13
	s_cbranch_execz .LBB6_15556
; %bb.15553:                            ;   in Loop: Header=BB6_14192 Depth=3
	v_bfe_u32 v1, v1, 2, 5
	s_mov_b32 s76, exec_lo
	s_delay_alu instid0(VALU_DEP_1)
	v_cmpx_eq_u32_e32 0, v1
	s_cbranch_execz .LBB6_15555
; %bb.15554:                            ;   in Loop: Header=BB6_14192 Depth=3
	v_clz_i32_u32_e32 v1, v4
	s_delay_alu instid0(VALU_DEP_1) | instskip(SKIP_1) | instid1(VALU_DEP_2)
	v_min_u32_e32 v1, 32, v1
	v_mov_b32_e32 v3, v113
	v_subrev_nc_u32_e32 v4, 29, v1
	v_sub_nc_u32_e32 v1, 30, v1
	s_delay_alu instid0(VALU_DEP_2) | instskip(NEXT) | instid1(VALU_DEP_1)
	v_lshlrev_b64_e32 v[2:3], v4, v[2:3]
	v_and_b32_e32 v4, 3, v2
.LBB6_15555:                            ;   in Loop: Header=BB6_14192 Depth=3
	s_or_b32 exec_lo, exec_lo, s76
	v_lshlrev_b32_e32 v0, 16, v0
	s_delay_alu instid0(VALU_DEP_1) | instskip(NEXT) | instid1(VALU_DEP_1)
	v_and_b32_e32 v0, 0x80000000, v0
	v_lshl_add_u32 v0, v1, 23, v0
	s_delay_alu instid0(VALU_DEP_1) | instskip(NEXT) | instid1(VALU_DEP_1)
	v_lshl_or_b32 v0, v4, 21, v0
                                        ; implicit-def: $vgpr4
	v_add_nc_u32_e32 v3, 0x38000000, v0
                                        ; implicit-def: $vgpr0_vgpr1
.LBB6_15556:                            ;   in Loop: Header=BB6_14192 Depth=3
	s_and_not1_saveexec_b32 s76, s13
; %bb.15557:                            ;   in Loop: Header=BB6_14192 Depth=3
	v_cmp_lt_i16_e64 s13, -1, v0
	v_mov_b32_e32 v0, 0x7f800000
	v_cmp_eq_u32_e32 vcc_lo, 0, v4
	s_delay_alu instid0(VALU_DEP_2) | instskip(NEXT) | instid1(VALU_DEP_1)
	v_cndmask_b32_e64 v0, 0xff800000, v0, s13
	v_cndmask_b32_e32 v3, 0x7f800001, v0, vcc_lo
; %bb.15558:                            ;   in Loop: Header=BB6_14192 Depth=3
	s_or_b32 exec_lo, exec_lo, s76
.LBB6_15559:                            ;   in Loop: Header=BB6_14192 Depth=3
	s_delay_alu instid0(SALU_CYCLE_1)
	s_or_b32 exec_lo, exec_lo, s75
.LBB6_15560:                            ;   in Loop: Header=BB6_14192 Depth=3
	s_delay_alu instid0(SALU_CYCLE_1) | instskip(NEXT) | instid1(VALU_DEP_1)
	s_or_b32 exec_lo, exec_lo, s74
	v_dual_mul_f32 v2, s73, v3 :: v_dual_mov_b32 v5, v113
	v_mov_b32_e32 v1, v113
                                        ; implicit-def: $vgpr54
	s_mov_b32 s13, exec_lo
	s_delay_alu instid0(VALU_DEP_2) | instskip(SKIP_2) | instid1(VALU_DEP_3)
	v_and_b32_e32 v4, 0x7f800000, v2
	v_and_b32_e32 v0, 0x7fffff, v2
	v_lshrrev_b32_e32 v3, 24, v2
	v_cmpx_ne_u64_e32 0x7f800000, v[4:5]
	s_xor_b32 s74, exec_lo, s13
	s_cbranch_execz .LBB6_15574
; %bb.15561:                            ;   in Loop: Header=BB6_14192 Depth=3
	v_and_b32_e32 v4, 0x7fffffff, v2
	v_mov_b32_e32 v5, v113
                                        ; implicit-def: $vgpr54
	s_delay_alu instid0(VALU_DEP_1) | instskip(SKIP_2) | instid1(SALU_CYCLE_1)
	v_cmp_gt_u64_e32 vcc_lo, 0x47600001, v[4:5]
	v_and_b32_e32 v4, 0x80, v3
	s_and_saveexec_b32 s13, vcc_lo
	s_xor_b32 s75, exec_lo, s13
	s_cbranch_execz .LBB6_15571
; %bb.15562:                            ;   in Loop: Header=BB6_14192 Depth=3
	v_mov_b32_e32 v54, 0
	s_mov_b32 s76, exec_lo
	v_cmpx_ne_u32_e32 0, v2
	s_cbranch_execz .LBB6_15570
; %bb.15563:                            ;   in Loop: Header=BB6_14192 Depth=3
	v_bfe_u32 v5, v2, 23, 8
	v_or_b32_e32 v3, 0x800000, v0
	s_delay_alu instid0(VALU_DEP_2) | instskip(SKIP_2) | instid1(VALU_DEP_2)
	v_cmp_gt_u32_e64 s13, 0x72, v5
	v_sub_nc_u32_e32 v2, 0x71, v5
	v_cmp_eq_u32_e32 vcc_lo, 0, v5
	v_dual_cndmask_b32 v2, 0, v2, s13 :: v_dual_cndmask_b32 v0, v3, v0, vcc_lo
	s_delay_alu instid0(VALU_DEP_1) | instskip(NEXT) | instid1(VALU_DEP_1)
	v_cndmask_b32_e64 v8, v2, 0x70, vcc_lo
	v_dual_add_nc_u32 v2, 21, v8 :: v_dual_add_nc_u32 v9, 20, v8
	s_delay_alu instid0(VALU_DEP_1) | instskip(NEXT) | instid1(VALU_DEP_2)
	v_lshlrev_b64_e64 v[2:3], v2, -1
	v_lshlrev_b64_e64 v[12:13], v9, 1
	s_delay_alu instid0(VALU_DEP_2) | instskip(SKIP_1) | instid1(VALU_DEP_4)
	v_bfi_b32 v2, v2, 0, v0
	v_lshrrev_b64 v[0:1], v8, v[0:1]
	v_bfi_b32 v3, v3, 0, 0
	s_delay_alu instid0(VALU_DEP_1) | instskip(NEXT) | instid1(VALU_DEP_3)
	v_cmp_eq_u64_e64 s13, v[2:3], v[12:13]
	v_mov_b64_e32 v[2:3], v[0:1]
	s_and_saveexec_b32 s77, s13
; %bb.15564:                            ;   in Loop: Header=BB6_14192 Depth=3
	v_bfe_u32 v2, v0, 21, 1
	v_mov_b32_e32 v3, v113
	s_delay_alu instid0(VALU_DEP_1) | instskip(NEXT) | instid1(VALU_DEP_1)
	v_add_nc_u64_e32 v[2:3], v[0:1], v[2:3]
	v_add_nc_u64_e32 v[2:3], -1, v[2:3]
; %bb.15565:                            ;   in Loop: Header=BB6_14192 Depth=3
	s_or_b32 exec_lo, exec_lo, s77
	v_add_nc_u32_e32 v1, 0xffffff81, v5
	v_lshrrev_b32_e32 v3, 23, v0
	s_mov_b32 s13, exec_lo
	s_delay_alu instid0(VALU_DEP_2) | instskip(NEXT) | instid1(VALU_DEP_1)
	v_cndmask_b32_e64 v1, v1, 0xffffff82, vcc_lo
	v_add3_u32 v5, v8, v1, v3
	v_and_b32_e32 v1, 0x1fffff, v2
                                        ; implicit-def: $vgpr2
	s_delay_alu instid0(VALU_DEP_1) | instskip(SKIP_1) | instid1(VALU_DEP_2)
	v_dual_add_nc_u32 v3, 14, v5 :: v_dual_add_nc_u32 v0, v1, v0
	v_mov_b32_e32 v1, v113
	v_cmpx_ne_u32_e32 0, v3
	s_xor_b32 s13, exec_lo, s13
; %bb.15566:                            ;   in Loop: Header=BB6_14192 Depth=3
	s_delay_alu instid0(VALU_DEP_2) | instskip(SKIP_1) | instid1(VALU_DEP_1)
	v_cmp_lt_u64_e32 vcc_lo, 0xffffff, v[0:1]
	v_add_nc_u32_e32 v2, 15, v5
	v_cndmask_b32_e32 v2, v3, v2, vcc_lo
	v_cndmask_b32_e64 v3, 0, 1, vcc_lo
	s_delay_alu instid0(VALU_DEP_1)
	v_lshrrev_b64 v[0:1], v3, v[0:1]
; %bb.15567:                            ;   in Loop: Header=BB6_14192 Depth=3
	s_and_not1_saveexec_b32 s13, s13
; %bb.15568:                            ;   in Loop: Header=BB6_14192 Depth=3
	s_delay_alu instid0(VALU_DEP_1)
	v_bfe_u32 v2, v0, 23, 1
; %bb.15569:                            ;   in Loop: Header=BB6_14192 Depth=3
	s_or_b32 exec_lo, exec_lo, s13
	s_delay_alu instid0(VALU_DEP_2) | instskip(NEXT) | instid1(VALU_DEP_2)
	v_lshrrev_b64 v[0:1], 21, v[0:1]
	v_cmp_gt_i32_e32 vcc_lo, 32, v2
	v_min_i32_e32 v3, 31, v2
	v_cmp_eq_u32_e64 s13, 0, v2
	s_delay_alu instid0(VALU_DEP_2) | instskip(SKIP_1) | instid1(VALU_DEP_2)
	v_dual_cndmask_b32 v1, 0, v1, vcc_lo :: v_dual_lshlrev_b32 v3, 2, v3
	v_cndmask_b32_e32 v0, 3, v0, vcc_lo
	v_and_b32_e32 v3, 0xfc, v3
	s_delay_alu instid0(VALU_DEP_2) | instskip(NEXT) | instid1(VALU_DEP_2)
	v_cmp_eq_u64_e32 vcc_lo, 0, v[0:1]
	v_and_or_b32 v0, v0, 3, v3
	s_and_b32 s13, s13, vcc_lo
	s_delay_alu instid0(VALU_DEP_1) | instid1(SALU_CYCLE_1)
	v_cndmask_b32_e64 v0, v0, 0, s13
	s_delay_alu instid0(VALU_DEP_1)
	v_or_b32_e32 v54, v0, v4
.LBB6_15570:                            ;   in Loop: Header=BB6_14192 Depth=3
	s_or_b32 exec_lo, exec_lo, s76
                                        ; implicit-def: $vgpr4
.LBB6_15571:                            ;   in Loop: Header=BB6_14192 Depth=3
	s_and_not1_saveexec_b32 s13, s75
; %bb.15572:                            ;   in Loop: Header=BB6_14192 Depth=3
	v_or_b32_e32 v54, 0x7b, v4
; %bb.15573:                            ;   in Loop: Header=BB6_14192 Depth=3
	s_or_b32 exec_lo, exec_lo, s13
                                        ; implicit-def: $vgpr2
                                        ; implicit-def: $vgpr0_vgpr1
                                        ; implicit-def: $vgpr3
.LBB6_15574:                            ;   in Loop: Header=BB6_14192 Depth=3
	s_and_not1_saveexec_b32 s13, s74
	s_cbranch_execz .LBB6_15580
; %bb.15575:                            ;   in Loop: Header=BB6_14192 Depth=3
	s_mov_b32 s74, exec_lo
                                        ; implicit-def: $vgpr54
	v_cmpx_ne_u64_e32 0, v[0:1]
	s_xor_b32 s74, exec_lo, s74
; %bb.15576:                            ;   in Loop: Header=BB6_14192 Depth=3
	v_or_b32_e32 v54, 0x7f, v3
                                        ; implicit-def: $vgpr2
; %bb.15577:                            ;   in Loop: Header=BB6_14192 Depth=3
	s_and_not1_saveexec_b32 s74, s74
; %bb.15578:                            ;   in Loop: Header=BB6_14192 Depth=3
	v_cmp_lt_i32_e32 vcc_lo, -1, v2
	v_mov_b32_e32 v0, 0x7c
	s_delay_alu instid0(VALU_DEP_1)
	v_cndmask_b32_e32 v54, 0xfc, v0, vcc_lo
; %bb.15579:                            ;   in Loop: Header=BB6_14192 Depth=3
	s_or_b32 exec_lo, exec_lo, s74
.LBB6_15580:                            ;   in Loop: Header=BB6_14192 Depth=3
	s_delay_alu instid0(SALU_CYCLE_1) | instskip(SKIP_2) | instid1(VALU_DEP_1)
	s_or_b32 exec_lo, exec_lo, s13
	v_dual_mov_b32 v1, 0 :: v_dual_lshrrev_b32 v0, 16, v11
	s_mov_b32 s74, exec_lo
	v_and_b32_e32 v2, 0xff, v0
	s_delay_alu instid0(VALU_DEP_1)
	v_cmpx_ne_u16_e32 0, v2
	s_cbranch_execz .LBB6_15590
; %bb.15581:                            ;   in Loop: Header=BB6_14192 Depth=3
	v_bfrev_b32_e32 v1, 1
	s_mov_b32 s75, exec_lo
	v_cmpx_ne_u16_e32 0x80, v2
	s_cbranch_execz .LBB6_15589
; %bb.15582:                            ;   in Loop: Header=BB6_14192 Depth=3
	v_and_b32_e32 v1, 0x7c0000, v11
	v_bfe_u32 v2, v11, 16, 2
	s_delay_alu instid0(VALU_DEP_2) | instskip(SKIP_1) | instid1(SALU_CYCLE_1)
	v_cmp_ne_u32_e32 vcc_lo, 0x7c0000, v1
                                        ; implicit-def: $vgpr1
	s_and_saveexec_b32 s13, vcc_lo
	s_xor_b32 s13, exec_lo, s13
	s_cbranch_execz .LBB6_15586
; %bb.15583:                            ;   in Loop: Header=BB6_14192 Depth=3
	v_bfe_u32 v1, v11, 18, 5
	s_mov_b32 s76, exec_lo
	s_delay_alu instid0(VALU_DEP_1)
	v_cmpx_eq_u32_e32 0, v1
; %bb.15584:                            ;   in Loop: Header=BB6_14192 Depth=3
	v_clz_i32_u32_e32 v1, v2
	s_delay_alu instid0(VALU_DEP_1) | instskip(NEXT) | instid1(VALU_DEP_1)
	v_min_u32_e32 v1, 32, v1
	v_subrev_nc_u32_e32 v2, 29, v1
	s_delay_alu instid0(VALU_DEP_1) | instskip(NEXT) | instid1(VALU_DEP_1)
	v_lshlrev_b64_e32 v[2:3], v2, v[0:1]
	v_dual_sub_nc_u32 v1, 30, v1 :: v_dual_bitop2_b32 v2, 3, v2 bitop3:0x40
; %bb.15585:                            ;   in Loop: Header=BB6_14192 Depth=3
	s_or_b32 exec_lo, exec_lo, s76
	v_lshlrev_b32_e32 v0, 24, v0
	s_delay_alu instid0(VALU_DEP_1) | instskip(NEXT) | instid1(VALU_DEP_1)
	v_and_b32_e32 v0, 0x80000000, v0
	v_lshl_add_u32 v0, v1, 23, v0
	s_delay_alu instid0(VALU_DEP_1) | instskip(NEXT) | instid1(VALU_DEP_1)
	v_lshl_or_b32 v0, v2, 21, v0
                                        ; implicit-def: $vgpr2
	v_add_nc_u32_e32 v1, 0x38000000, v0
                                        ; implicit-def: $vgpr0
.LBB6_15586:                            ;   in Loop: Header=BB6_14192 Depth=3
	s_and_not1_saveexec_b32 s76, s13
; %bb.15587:                            ;   in Loop: Header=BB6_14192 Depth=3
	v_bfe_i32 v0, v0, 0, 8
	v_cmp_eq_u32_e32 vcc_lo, 0, v2
	s_delay_alu instid0(VALU_DEP_2) | instskip(SKIP_1) | instid1(VALU_DEP_1)
	v_cmp_lt_i16_e64 s13, -1, v0
	v_mov_b32_e32 v0, 0x7f800000
	v_cndmask_b32_e64 v0, 0xff800000, v0, s13
	s_delay_alu instid0(VALU_DEP_1)
	v_cndmask_b32_e32 v1, 0x7f800001, v0, vcc_lo
; %bb.15588:                            ;   in Loop: Header=BB6_14192 Depth=3
	s_or_b32 exec_lo, exec_lo, s76
.LBB6_15589:                            ;   in Loop: Header=BB6_14192 Depth=3
	s_delay_alu instid0(SALU_CYCLE_1)
	s_or_b32 exec_lo, exec_lo, s75
.LBB6_15590:                            ;   in Loop: Header=BB6_14192 Depth=3
	s_delay_alu instid0(SALU_CYCLE_1) | instskip(NEXT) | instid1(VALU_DEP_1)
	s_or_b32 exec_lo, exec_lo, s74
	v_dual_mul_f32 v2, s73, v1 :: v_dual_mov_b32 v5, v113
	v_mov_b32_e32 v1, v113
                                        ; implicit-def: $vgpr66
	s_mov_b32 s13, exec_lo
	s_delay_alu instid0(VALU_DEP_2) | instskip(SKIP_2) | instid1(VALU_DEP_3)
	v_and_b32_e32 v4, 0x7f800000, v2
	v_and_b32_e32 v0, 0x7fffff, v2
	v_lshrrev_b32_e32 v3, 24, v2
	v_cmpx_ne_u64_e32 0x7f800000, v[4:5]
	s_xor_b32 s74, exec_lo, s13
	s_cbranch_execz .LBB6_15604
; %bb.15591:                            ;   in Loop: Header=BB6_14192 Depth=3
	v_and_b32_e32 v4, 0x7fffffff, v2
	v_mov_b32_e32 v5, v113
                                        ; implicit-def: $vgpr66
	s_delay_alu instid0(VALU_DEP_1) | instskip(SKIP_2) | instid1(SALU_CYCLE_1)
	v_cmp_gt_u64_e32 vcc_lo, 0x47600001, v[4:5]
	v_and_b32_e32 v4, 0x80, v3
	s_and_saveexec_b32 s13, vcc_lo
	s_xor_b32 s75, exec_lo, s13
	s_cbranch_execz .LBB6_15601
; %bb.15592:                            ;   in Loop: Header=BB6_14192 Depth=3
	v_mov_b32_e32 v66, 0
	s_mov_b32 s76, exec_lo
	v_cmpx_ne_u32_e32 0, v2
	s_cbranch_execz .LBB6_15600
; %bb.15593:                            ;   in Loop: Header=BB6_14192 Depth=3
	v_bfe_u32 v5, v2, 23, 8
	v_or_b32_e32 v3, 0x800000, v0
	s_delay_alu instid0(VALU_DEP_2) | instskip(SKIP_2) | instid1(VALU_DEP_2)
	v_cmp_gt_u32_e64 s13, 0x72, v5
	v_sub_nc_u32_e32 v2, 0x71, v5
	v_cmp_eq_u32_e32 vcc_lo, 0, v5
	v_dual_cndmask_b32 v2, 0, v2, s13 :: v_dual_cndmask_b32 v0, v3, v0, vcc_lo
	s_delay_alu instid0(VALU_DEP_1) | instskip(NEXT) | instid1(VALU_DEP_1)
	v_cndmask_b32_e64 v8, v2, 0x70, vcc_lo
	v_dual_add_nc_u32 v2, 21, v8 :: v_dual_add_nc_u32 v9, 20, v8
	s_delay_alu instid0(VALU_DEP_1) | instskip(NEXT) | instid1(VALU_DEP_2)
	v_lshlrev_b64_e64 v[2:3], v2, -1
	v_lshlrev_b64_e64 v[12:13], v9, 1
	s_delay_alu instid0(VALU_DEP_2) | instskip(SKIP_1) | instid1(VALU_DEP_4)
	v_bfi_b32 v2, v2, 0, v0
	v_lshrrev_b64 v[0:1], v8, v[0:1]
	v_bfi_b32 v3, v3, 0, 0
	s_delay_alu instid0(VALU_DEP_1) | instskip(NEXT) | instid1(VALU_DEP_3)
	v_cmp_eq_u64_e64 s13, v[2:3], v[12:13]
	v_mov_b64_e32 v[2:3], v[0:1]
	s_and_saveexec_b32 s77, s13
; %bb.15594:                            ;   in Loop: Header=BB6_14192 Depth=3
	v_bfe_u32 v2, v0, 21, 1
	v_mov_b32_e32 v3, v113
	s_delay_alu instid0(VALU_DEP_1) | instskip(NEXT) | instid1(VALU_DEP_1)
	v_add_nc_u64_e32 v[2:3], v[0:1], v[2:3]
	v_add_nc_u64_e32 v[2:3], -1, v[2:3]
; %bb.15595:                            ;   in Loop: Header=BB6_14192 Depth=3
	s_or_b32 exec_lo, exec_lo, s77
	v_add_nc_u32_e32 v1, 0xffffff81, v5
	v_lshrrev_b32_e32 v3, 23, v0
	s_mov_b32 s13, exec_lo
	s_delay_alu instid0(VALU_DEP_2) | instskip(NEXT) | instid1(VALU_DEP_1)
	v_cndmask_b32_e64 v1, v1, 0xffffff82, vcc_lo
	v_add3_u32 v5, v8, v1, v3
	v_and_b32_e32 v1, 0x1fffff, v2
                                        ; implicit-def: $vgpr2
	s_delay_alu instid0(VALU_DEP_1) | instskip(SKIP_1) | instid1(VALU_DEP_2)
	v_dual_add_nc_u32 v3, 14, v5 :: v_dual_add_nc_u32 v0, v1, v0
	v_mov_b32_e32 v1, v113
	v_cmpx_ne_u32_e32 0, v3
	s_xor_b32 s13, exec_lo, s13
; %bb.15596:                            ;   in Loop: Header=BB6_14192 Depth=3
	s_delay_alu instid0(VALU_DEP_2) | instskip(SKIP_1) | instid1(VALU_DEP_1)
	v_cmp_lt_u64_e32 vcc_lo, 0xffffff, v[0:1]
	v_add_nc_u32_e32 v2, 15, v5
	v_cndmask_b32_e32 v2, v3, v2, vcc_lo
	v_cndmask_b32_e64 v3, 0, 1, vcc_lo
	s_delay_alu instid0(VALU_DEP_1)
	v_lshrrev_b64 v[0:1], v3, v[0:1]
; %bb.15597:                            ;   in Loop: Header=BB6_14192 Depth=3
	s_and_not1_saveexec_b32 s13, s13
; %bb.15598:                            ;   in Loop: Header=BB6_14192 Depth=3
	s_delay_alu instid0(VALU_DEP_1)
	v_bfe_u32 v2, v0, 23, 1
; %bb.15599:                            ;   in Loop: Header=BB6_14192 Depth=3
	s_or_b32 exec_lo, exec_lo, s13
	s_delay_alu instid0(VALU_DEP_2) | instskip(NEXT) | instid1(VALU_DEP_2)
	v_lshrrev_b64 v[0:1], 21, v[0:1]
	v_cmp_gt_i32_e32 vcc_lo, 32, v2
	v_min_i32_e32 v3, 31, v2
	v_cmp_eq_u32_e64 s13, 0, v2
	s_delay_alu instid0(VALU_DEP_2) | instskip(SKIP_1) | instid1(VALU_DEP_2)
	v_dual_cndmask_b32 v1, 0, v1, vcc_lo :: v_dual_lshlrev_b32 v3, 2, v3
	v_cndmask_b32_e32 v0, 3, v0, vcc_lo
	v_and_b32_e32 v3, 0xfc, v3
	s_delay_alu instid0(VALU_DEP_2) | instskip(NEXT) | instid1(VALU_DEP_2)
	v_cmp_eq_u64_e32 vcc_lo, 0, v[0:1]
	v_and_or_b32 v0, v0, 3, v3
	s_and_b32 s13, s13, vcc_lo
	s_delay_alu instid0(VALU_DEP_1) | instid1(SALU_CYCLE_1)
	v_cndmask_b32_e64 v0, v0, 0, s13
	s_delay_alu instid0(VALU_DEP_1)
	v_or_b32_e32 v66, v0, v4
.LBB6_15600:                            ;   in Loop: Header=BB6_14192 Depth=3
	s_or_b32 exec_lo, exec_lo, s76
                                        ; implicit-def: $vgpr4
.LBB6_15601:                            ;   in Loop: Header=BB6_14192 Depth=3
	s_and_not1_saveexec_b32 s13, s75
; %bb.15602:                            ;   in Loop: Header=BB6_14192 Depth=3
	v_or_b32_e32 v66, 0x7b, v4
; %bb.15603:                            ;   in Loop: Header=BB6_14192 Depth=3
	s_or_b32 exec_lo, exec_lo, s13
                                        ; implicit-def: $vgpr2
                                        ; implicit-def: $vgpr0_vgpr1
                                        ; implicit-def: $vgpr3
.LBB6_15604:                            ;   in Loop: Header=BB6_14192 Depth=3
	s_and_not1_saveexec_b32 s13, s74
	s_cbranch_execz .LBB6_15610
; %bb.15605:                            ;   in Loop: Header=BB6_14192 Depth=3
	s_mov_b32 s74, exec_lo
                                        ; implicit-def: $vgpr66
	v_cmpx_ne_u64_e32 0, v[0:1]
	s_xor_b32 s74, exec_lo, s74
; %bb.15606:                            ;   in Loop: Header=BB6_14192 Depth=3
	v_or_b32_e32 v66, 0x7f, v3
                                        ; implicit-def: $vgpr2
; %bb.15607:                            ;   in Loop: Header=BB6_14192 Depth=3
	s_and_not1_saveexec_b32 s74, s74
; %bb.15608:                            ;   in Loop: Header=BB6_14192 Depth=3
	v_cmp_lt_i32_e32 vcc_lo, -1, v2
	v_mov_b32_e32 v0, 0x7c
	s_delay_alu instid0(VALU_DEP_1)
	v_cndmask_b32_e32 v66, 0xfc, v0, vcc_lo
; %bb.15609:                            ;   in Loop: Header=BB6_14192 Depth=3
	s_or_b32 exec_lo, exec_lo, s74
.LBB6_15610:                            ;   in Loop: Header=BB6_14192 Depth=3
	s_delay_alu instid0(SALU_CYCLE_1)
	s_or_b32 exec_lo, exec_lo, s13
	v_mov_b32_e32 v1, 0
	s_mov_b32 s74, exec_lo
	v_cmpx_lt_u64_e64 s[22:23], v[10:11]
	s_cbranch_execz .LBB6_15620
; %bb.15611:                            ;   in Loop: Header=BB6_14192 Depth=3
	v_lshrrev_b32_e32 v0, 24, v11
	v_bfrev_b32_e32 v1, 1
	s_mov_b32 s75, exec_lo
	s_delay_alu instid0(VALU_DEP_2)
	v_cmpx_ne_u32_e32 0x80, v0
	s_cbranch_execz .LBB6_15619
; %bb.15612:                            ;   in Loop: Header=BB6_14192 Depth=3
	v_and_b32_e32 v1, 0x7c000000, v11
	v_bfe_u32 v2, v11, 24, 2
	s_delay_alu instid0(VALU_DEP_2) | instskip(SKIP_1) | instid1(SALU_CYCLE_1)
	v_cmp_ne_u32_e32 vcc_lo, 0x7c000000, v1
                                        ; implicit-def: $vgpr1
	s_and_saveexec_b32 s13, vcc_lo
	s_xor_b32 s13, exec_lo, s13
	s_cbranch_execz .LBB6_15616
; %bb.15613:                            ;   in Loop: Header=BB6_14192 Depth=3
	v_bfe_u32 v1, v11, 26, 5
	s_mov_b32 s76, exec_lo
	s_delay_alu instid0(VALU_DEP_1)
	v_cmpx_eq_u32_e32 0, v1
; %bb.15614:                            ;   in Loop: Header=BB6_14192 Depth=3
	v_clz_i32_u32_e32 v1, v2
	s_delay_alu instid0(VALU_DEP_1) | instskip(NEXT) | instid1(VALU_DEP_1)
	v_min_u32_e32 v2, 32, v1
	v_subrev_nc_u32_e32 v1, 29, v2
	s_delay_alu instid0(VALU_DEP_1) | instskip(NEXT) | instid1(VALU_DEP_1)
	v_lshlrev_b64_e32 v[0:1], v1, v[0:1]
	v_dual_sub_nc_u32 v1, 30, v2 :: v_dual_bitop2_b32 v2, 3, v0 bitop3:0x40
; %bb.15615:                            ;   in Loop: Header=BB6_14192 Depth=3
	s_or_b32 exec_lo, exec_lo, s76
	v_and_b32_e32 v0, 0x80000000, v11
                                        ; implicit-def: $vgpr10_vgpr11
	s_delay_alu instid0(VALU_DEP_1) | instskip(NEXT) | instid1(VALU_DEP_1)
	v_lshl_add_u32 v0, v1, 23, v0
	v_lshl_or_b32 v0, v2, 21, v0
                                        ; implicit-def: $vgpr2
	s_delay_alu instid0(VALU_DEP_1)
	v_add_nc_u32_e32 v1, 0x38000000, v0
.LBB6_15616:                            ;   in Loop: Header=BB6_14192 Depth=3
	s_and_not1_saveexec_b32 s76, s13
; %bb.15617:                            ;   in Loop: Header=BB6_14192 Depth=3
	v_cmp_lt_i64_e64 s13, -1, v[10:11]
	v_mov_b32_e32 v0, 0x7f800000
	v_cmp_eq_u32_e32 vcc_lo, 0, v2
	s_delay_alu instid0(VALU_DEP_2) | instskip(NEXT) | instid1(VALU_DEP_1)
	v_cndmask_b32_e64 v0, 0xff800000, v0, s13
	v_cndmask_b32_e32 v1, 0x7f800001, v0, vcc_lo
; %bb.15618:                            ;   in Loop: Header=BB6_14192 Depth=3
	s_or_b32 exec_lo, exec_lo, s76
.LBB6_15619:                            ;   in Loop: Header=BB6_14192 Depth=3
	s_delay_alu instid0(SALU_CYCLE_1)
	s_or_b32 exec_lo, exec_lo, s75
.LBB6_15620:                            ;   in Loop: Header=BB6_14192 Depth=3
	s_delay_alu instid0(SALU_CYCLE_1) | instskip(NEXT) | instid1(VALU_DEP_1)
	s_or_b32 exec_lo, exec_lo, s74
	v_dual_mul_f32 v2, s73, v1 :: v_dual_mov_b32 v5, v113
	v_mov_b32_e32 v1, v113
                                        ; implicit-def: $vgpr69
	s_mov_b32 s13, exec_lo
	s_delay_alu instid0(VALU_DEP_2) | instskip(SKIP_2) | instid1(VALU_DEP_3)
	v_and_b32_e32 v4, 0x7f800000, v2
	v_and_b32_e32 v0, 0x7fffff, v2
	v_lshrrev_b32_e32 v3, 24, v2
	v_cmpx_ne_u64_e32 0x7f800000, v[4:5]
	s_xor_b32 s74, exec_lo, s13
	s_cbranch_execz .LBB6_15634
; %bb.15621:                            ;   in Loop: Header=BB6_14192 Depth=3
	v_and_b32_e32 v4, 0x7fffffff, v2
	v_mov_b32_e32 v5, v113
                                        ; implicit-def: $vgpr69
	s_delay_alu instid0(VALU_DEP_1) | instskip(SKIP_2) | instid1(SALU_CYCLE_1)
	v_cmp_gt_u64_e32 vcc_lo, 0x47600001, v[4:5]
	v_and_b32_e32 v4, 0x80, v3
	s_and_saveexec_b32 s13, vcc_lo
	s_xor_b32 s75, exec_lo, s13
	s_cbranch_execz .LBB6_15631
; %bb.15622:                            ;   in Loop: Header=BB6_14192 Depth=3
	v_mov_b32_e32 v69, 0
	s_mov_b32 s76, exec_lo
	v_cmpx_ne_u32_e32 0, v2
	s_cbranch_execz .LBB6_15630
; %bb.15623:                            ;   in Loop: Header=BB6_14192 Depth=3
	v_bfe_u32 v5, v2, 23, 8
	v_or_b32_e32 v3, 0x800000, v0
	s_delay_alu instid0(VALU_DEP_2) | instskip(SKIP_2) | instid1(VALU_DEP_2)
	v_cmp_gt_u32_e64 s13, 0x72, v5
	v_sub_nc_u32_e32 v2, 0x71, v5
	v_cmp_eq_u32_e32 vcc_lo, 0, v5
	v_dual_cndmask_b32 v2, 0, v2, s13 :: v_dual_cndmask_b32 v0, v3, v0, vcc_lo
	s_delay_alu instid0(VALU_DEP_1) | instskip(NEXT) | instid1(VALU_DEP_1)
	v_cndmask_b32_e64 v8, v2, 0x70, vcc_lo
	v_dual_add_nc_u32 v2, 21, v8 :: v_dual_add_nc_u32 v9, 20, v8
	s_delay_alu instid0(VALU_DEP_1) | instskip(NEXT) | instid1(VALU_DEP_2)
	v_lshlrev_b64_e64 v[2:3], v2, -1
	v_lshlrev_b64_e64 v[10:11], v9, 1
	s_delay_alu instid0(VALU_DEP_2) | instskip(SKIP_1) | instid1(VALU_DEP_4)
	v_bfi_b32 v2, v2, 0, v0
	v_lshrrev_b64 v[0:1], v8, v[0:1]
	v_bfi_b32 v3, v3, 0, 0
	s_delay_alu instid0(VALU_DEP_1) | instskip(NEXT) | instid1(VALU_DEP_3)
	v_cmp_eq_u64_e64 s13, v[2:3], v[10:11]
	v_mov_b64_e32 v[2:3], v[0:1]
	s_and_saveexec_b32 s77, s13
; %bb.15624:                            ;   in Loop: Header=BB6_14192 Depth=3
	v_bfe_u32 v2, v0, 21, 1
	v_mov_b32_e32 v3, v113
	s_delay_alu instid0(VALU_DEP_1) | instskip(NEXT) | instid1(VALU_DEP_1)
	v_add_nc_u64_e32 v[2:3], v[0:1], v[2:3]
	v_add_nc_u64_e32 v[2:3], -1, v[2:3]
; %bb.15625:                            ;   in Loop: Header=BB6_14192 Depth=3
	s_or_b32 exec_lo, exec_lo, s77
	v_add_nc_u32_e32 v1, 0xffffff81, v5
	v_lshrrev_b32_e32 v3, 23, v0
	s_mov_b32 s13, exec_lo
	s_delay_alu instid0(VALU_DEP_2) | instskip(NEXT) | instid1(VALU_DEP_1)
	v_cndmask_b32_e64 v1, v1, 0xffffff82, vcc_lo
	v_add3_u32 v5, v8, v1, v3
	v_and_b32_e32 v1, 0x1fffff, v2
                                        ; implicit-def: $vgpr2
	s_delay_alu instid0(VALU_DEP_1) | instskip(SKIP_1) | instid1(VALU_DEP_2)
	v_dual_add_nc_u32 v3, 14, v5 :: v_dual_add_nc_u32 v0, v1, v0
	v_mov_b32_e32 v1, v113
	v_cmpx_ne_u32_e32 0, v3
	s_xor_b32 s13, exec_lo, s13
; %bb.15626:                            ;   in Loop: Header=BB6_14192 Depth=3
	s_delay_alu instid0(VALU_DEP_2) | instskip(SKIP_1) | instid1(VALU_DEP_1)
	v_cmp_lt_u64_e32 vcc_lo, 0xffffff, v[0:1]
	v_add_nc_u32_e32 v2, 15, v5
	v_cndmask_b32_e32 v2, v3, v2, vcc_lo
	v_cndmask_b32_e64 v3, 0, 1, vcc_lo
	s_delay_alu instid0(VALU_DEP_1)
	v_lshrrev_b64 v[0:1], v3, v[0:1]
; %bb.15627:                            ;   in Loop: Header=BB6_14192 Depth=3
	s_and_not1_saveexec_b32 s13, s13
; %bb.15628:                            ;   in Loop: Header=BB6_14192 Depth=3
	s_delay_alu instid0(VALU_DEP_1)
	v_bfe_u32 v2, v0, 23, 1
; %bb.15629:                            ;   in Loop: Header=BB6_14192 Depth=3
	s_or_b32 exec_lo, exec_lo, s13
	s_delay_alu instid0(VALU_DEP_2) | instskip(NEXT) | instid1(VALU_DEP_2)
	v_lshrrev_b64 v[0:1], 21, v[0:1]
	v_cmp_gt_i32_e32 vcc_lo, 32, v2
	v_min_i32_e32 v3, 31, v2
	v_cmp_eq_u32_e64 s13, 0, v2
	s_delay_alu instid0(VALU_DEP_2) | instskip(SKIP_1) | instid1(VALU_DEP_2)
	v_dual_cndmask_b32 v1, 0, v1, vcc_lo :: v_dual_lshlrev_b32 v3, 2, v3
	v_cndmask_b32_e32 v0, 3, v0, vcc_lo
	v_and_b32_e32 v3, 0xfc, v3
	s_delay_alu instid0(VALU_DEP_2) | instskip(NEXT) | instid1(VALU_DEP_2)
	v_cmp_eq_u64_e32 vcc_lo, 0, v[0:1]
	v_and_or_b32 v0, v0, 3, v3
	s_and_b32 s13, s13, vcc_lo
	s_delay_alu instid0(VALU_DEP_1) | instid1(SALU_CYCLE_1)
	v_cndmask_b32_e64 v0, v0, 0, s13
	s_delay_alu instid0(VALU_DEP_1)
	v_or_b32_e32 v69, v0, v4
.LBB6_15630:                            ;   in Loop: Header=BB6_14192 Depth=3
	s_or_b32 exec_lo, exec_lo, s76
                                        ; implicit-def: $vgpr4
.LBB6_15631:                            ;   in Loop: Header=BB6_14192 Depth=3
	s_and_not1_saveexec_b32 s13, s75
; %bb.15632:                            ;   in Loop: Header=BB6_14192 Depth=3
	v_or_b32_e32 v69, 0x7b, v4
; %bb.15633:                            ;   in Loop: Header=BB6_14192 Depth=3
	s_or_b32 exec_lo, exec_lo, s13
                                        ; implicit-def: $vgpr2
                                        ; implicit-def: $vgpr0_vgpr1
                                        ; implicit-def: $vgpr3
.LBB6_15634:                            ;   in Loop: Header=BB6_14192 Depth=3
	s_and_not1_saveexec_b32 s13, s74
	s_cbranch_execz .LBB6_15640
; %bb.15635:                            ;   in Loop: Header=BB6_14192 Depth=3
	s_mov_b32 s74, exec_lo
                                        ; implicit-def: $vgpr69
	v_cmpx_ne_u64_e32 0, v[0:1]
	s_xor_b32 s74, exec_lo, s74
; %bb.15636:                            ;   in Loop: Header=BB6_14192 Depth=3
	v_or_b32_e32 v69, 0x7f, v3
                                        ; implicit-def: $vgpr2
; %bb.15637:                            ;   in Loop: Header=BB6_14192 Depth=3
	s_and_not1_saveexec_b32 s74, s74
; %bb.15638:                            ;   in Loop: Header=BB6_14192 Depth=3
	v_cmp_lt_i32_e32 vcc_lo, -1, v2
	v_mov_b32_e32 v0, 0x7c
	s_delay_alu instid0(VALU_DEP_1)
	v_cndmask_b32_e32 v69, 0xfc, v0, vcc_lo
; %bb.15639:                            ;   in Loop: Header=BB6_14192 Depth=3
	s_or_b32 exec_lo, exec_lo, s74
.LBB6_15640:                            ;   in Loop: Header=BB6_14192 Depth=3
	s_delay_alu instid0(SALU_CYCLE_1) | instskip(SKIP_3) | instid1(VALU_DEP_1)
	s_or_b32 exec_lo, exec_lo, s13
	global_load_b128 v[8:11], v[62:63], off offset:1536 th:TH_LOAD_NT
	s_wait_loadcnt 0x0
	v_and_b32_e32 v0, 0xff, v8
	v_cmp_ne_u16_e32 vcc_lo, 0, v0
	v_mov_b32_e32 v0, 0
	s_wait_xcnt 0x0
	s_and_saveexec_b32 s74, vcc_lo
	s_cbranch_execz .LBB6_15650
; %bb.15641:                            ;   in Loop: Header=BB6_14192 Depth=3
	v_bfe_i32 v2, v8, 0, 8
	v_bfrev_b32_e32 v0, 1
	s_mov_b32 s75, exec_lo
	s_delay_alu instid0(VALU_DEP_2)
	v_cmpx_ne_u16_e32 0xff80, v2
	s_cbranch_execz .LBB6_15649
; %bb.15642:                            ;   in Loop: Header=BB6_14192 Depth=3
	v_and_b32_e32 v0, 0x7c, v8
	v_and_b32_e32 v1, 3, v8
	s_delay_alu instid0(VALU_DEP_2) | instskip(SKIP_1) | instid1(SALU_CYCLE_1)
	v_cmp_ne_u32_e32 vcc_lo, 0x7c, v0
                                        ; implicit-def: $vgpr0
	s_and_saveexec_b32 s13, vcc_lo
	s_xor_b32 s13, exec_lo, s13
	s_cbranch_execz .LBB6_15646
; %bb.15643:                            ;   in Loop: Header=BB6_14192 Depth=3
	v_bfe_u32 v0, v8, 2, 5
	s_mov_b32 s76, exec_lo
	s_delay_alu instid0(VALU_DEP_1)
	v_cmpx_eq_u32_e32 0, v0
; %bb.15644:                            ;   in Loop: Header=BB6_14192 Depth=3
	v_clz_i32_u32_e32 v0, v1
	s_delay_alu instid0(VALU_DEP_1) | instskip(NEXT) | instid1(VALU_DEP_1)
	v_min_u32_e32 v0, 32, v0
	v_subrev_nc_u32_e32 v1, 29, v0
	s_delay_alu instid0(VALU_DEP_1) | instskip(NEXT) | instid1(VALU_DEP_1)
	v_lshlrev_b64_e32 v[2:3], v1, v[8:9]
	v_dual_sub_nc_u32 v0, 30, v0 :: v_dual_bitop2_b32 v1, 3, v2 bitop3:0x40
; %bb.15645:                            ;   in Loop: Header=BB6_14192 Depth=3
	s_or_b32 exec_lo, exec_lo, s76
	v_lshlrev_b32_e32 v2, 24, v8
	s_delay_alu instid0(VALU_DEP_1) | instskip(NEXT) | instid1(VALU_DEP_1)
	v_and_b32_e32 v2, 0x80000000, v2
	v_lshl_add_u32 v0, v0, 23, v2
                                        ; implicit-def: $vgpr2
	s_delay_alu instid0(VALU_DEP_1) | instskip(NEXT) | instid1(VALU_DEP_1)
	v_lshl_or_b32 v0, v1, 21, v0
                                        ; implicit-def: $vgpr1
	v_add_nc_u32_e32 v0, 0x38000000, v0
.LBB6_15646:                            ;   in Loop: Header=BB6_14192 Depth=3
	s_and_not1_saveexec_b32 s76, s13
; %bb.15647:                            ;   in Loop: Header=BB6_14192 Depth=3
	v_cmp_lt_i16_e64 s13, -1, v2
	v_mov_b32_e32 v0, 0x7f800000
	v_cmp_eq_u32_e32 vcc_lo, 0, v1
	s_delay_alu instid0(VALU_DEP_2) | instskip(NEXT) | instid1(VALU_DEP_1)
	v_cndmask_b32_e64 v0, 0xff800000, v0, s13
	v_cndmask_b32_e32 v0, 0x7f800001, v0, vcc_lo
; %bb.15648:                            ;   in Loop: Header=BB6_14192 Depth=3
	s_or_b32 exec_lo, exec_lo, s76
.LBB6_15649:                            ;   in Loop: Header=BB6_14192 Depth=3
	s_delay_alu instid0(SALU_CYCLE_1)
	s_or_b32 exec_lo, exec_lo, s75
.LBB6_15650:                            ;   in Loop: Header=BB6_14192 Depth=3
	s_delay_alu instid0(SALU_CYCLE_1) | instskip(NEXT) | instid1(VALU_DEP_1)
	s_or_b32 exec_lo, exec_lo, s74
	v_dual_mul_f32 v2, s73, v0 :: v_dual_mov_b32 v5, v113
	v_mov_b32_e32 v1, v113
                                        ; implicit-def: $vgpr35
	s_mov_b32 s13, exec_lo
	s_delay_alu instid0(VALU_DEP_2) | instskip(SKIP_2) | instid1(VALU_DEP_3)
	v_and_b32_e32 v4, 0x7f800000, v2
	v_and_b32_e32 v0, 0x7fffff, v2
	v_lshrrev_b32_e32 v3, 24, v2
	v_cmpx_ne_u64_e32 0x7f800000, v[4:5]
	s_xor_b32 s74, exec_lo, s13
	s_cbranch_execz .LBB6_15664
; %bb.15651:                            ;   in Loop: Header=BB6_14192 Depth=3
	v_and_b32_e32 v4, 0x7fffffff, v2
	v_mov_b32_e32 v5, v113
                                        ; implicit-def: $vgpr35
	s_delay_alu instid0(VALU_DEP_1) | instskip(SKIP_2) | instid1(SALU_CYCLE_1)
	v_cmp_gt_u64_e32 vcc_lo, 0x47600001, v[4:5]
	v_and_b32_e32 v4, 0x80, v3
	s_and_saveexec_b32 s13, vcc_lo
	s_xor_b32 s75, exec_lo, s13
	s_cbranch_execz .LBB6_15661
; %bb.15652:                            ;   in Loop: Header=BB6_14192 Depth=3
	v_mov_b32_e32 v35, 0
	s_mov_b32 s76, exec_lo
	v_cmpx_ne_u32_e32 0, v2
	s_cbranch_execz .LBB6_15660
; %bb.15653:                            ;   in Loop: Header=BB6_14192 Depth=3
	v_bfe_u32 v5, v2, 23, 8
	v_or_b32_e32 v3, 0x800000, v0
	s_delay_alu instid0(VALU_DEP_2) | instskip(SKIP_2) | instid1(VALU_DEP_2)
	v_cmp_gt_u32_e64 s13, 0x72, v5
	v_sub_nc_u32_e32 v2, 0x71, v5
	v_cmp_eq_u32_e32 vcc_lo, 0, v5
	v_dual_cndmask_b32 v2, 0, v2, s13 :: v_dual_cndmask_b32 v0, v3, v0, vcc_lo
	s_delay_alu instid0(VALU_DEP_1) | instskip(NEXT) | instid1(VALU_DEP_1)
	v_cndmask_b32_e64 v12, v2, 0x70, vcc_lo
	v_dual_add_nc_u32 v2, 21, v12 :: v_dual_add_nc_u32 v13, 20, v12
	s_delay_alu instid0(VALU_DEP_1) | instskip(NEXT) | instid1(VALU_DEP_2)
	v_lshlrev_b64_e64 v[2:3], v2, -1
	v_lshlrev_b64_e64 v[14:15], v13, 1
	s_delay_alu instid0(VALU_DEP_2) | instskip(SKIP_1) | instid1(VALU_DEP_4)
	v_bfi_b32 v2, v2, 0, v0
	v_lshrrev_b64 v[0:1], v12, v[0:1]
	v_bfi_b32 v3, v3, 0, 0
	s_delay_alu instid0(VALU_DEP_1) | instskip(NEXT) | instid1(VALU_DEP_3)
	v_cmp_eq_u64_e64 s13, v[2:3], v[14:15]
	v_mov_b64_e32 v[2:3], v[0:1]
	s_and_saveexec_b32 s77, s13
; %bb.15654:                            ;   in Loop: Header=BB6_14192 Depth=3
	v_bfe_u32 v2, v0, 21, 1
	v_mov_b32_e32 v3, v113
	s_delay_alu instid0(VALU_DEP_1) | instskip(NEXT) | instid1(VALU_DEP_1)
	v_add_nc_u64_e32 v[2:3], v[0:1], v[2:3]
	v_add_nc_u64_e32 v[2:3], -1, v[2:3]
; %bb.15655:                            ;   in Loop: Header=BB6_14192 Depth=3
	s_or_b32 exec_lo, exec_lo, s77
	v_add_nc_u32_e32 v1, 0xffffff81, v5
	v_lshrrev_b32_e32 v3, 23, v0
	s_mov_b32 s13, exec_lo
	s_delay_alu instid0(VALU_DEP_2) | instskip(NEXT) | instid1(VALU_DEP_1)
	v_cndmask_b32_e64 v1, v1, 0xffffff82, vcc_lo
	v_add3_u32 v5, v12, v1, v3
	v_and_b32_e32 v1, 0x1fffff, v2
                                        ; implicit-def: $vgpr2
	s_delay_alu instid0(VALU_DEP_1) | instskip(SKIP_1) | instid1(VALU_DEP_2)
	v_dual_add_nc_u32 v3, 14, v5 :: v_dual_add_nc_u32 v0, v1, v0
	v_mov_b32_e32 v1, v113
	v_cmpx_ne_u32_e32 0, v3
	s_xor_b32 s13, exec_lo, s13
; %bb.15656:                            ;   in Loop: Header=BB6_14192 Depth=3
	s_delay_alu instid0(VALU_DEP_2) | instskip(SKIP_1) | instid1(VALU_DEP_1)
	v_cmp_lt_u64_e32 vcc_lo, 0xffffff, v[0:1]
	v_add_nc_u32_e32 v2, 15, v5
	v_cndmask_b32_e32 v2, v3, v2, vcc_lo
	v_cndmask_b32_e64 v3, 0, 1, vcc_lo
	s_delay_alu instid0(VALU_DEP_1)
	v_lshrrev_b64 v[0:1], v3, v[0:1]
; %bb.15657:                            ;   in Loop: Header=BB6_14192 Depth=3
	s_and_not1_saveexec_b32 s13, s13
; %bb.15658:                            ;   in Loop: Header=BB6_14192 Depth=3
	s_delay_alu instid0(VALU_DEP_1)
	v_bfe_u32 v2, v0, 23, 1
; %bb.15659:                            ;   in Loop: Header=BB6_14192 Depth=3
	s_or_b32 exec_lo, exec_lo, s13
	s_delay_alu instid0(VALU_DEP_2) | instskip(NEXT) | instid1(VALU_DEP_2)
	v_lshrrev_b64 v[0:1], 21, v[0:1]
	v_cmp_gt_i32_e32 vcc_lo, 32, v2
	v_min_i32_e32 v3, 31, v2
	v_cmp_eq_u32_e64 s13, 0, v2
	s_delay_alu instid0(VALU_DEP_2) | instskip(SKIP_1) | instid1(VALU_DEP_2)
	v_dual_cndmask_b32 v1, 0, v1, vcc_lo :: v_dual_lshlrev_b32 v3, 2, v3
	v_cndmask_b32_e32 v0, 3, v0, vcc_lo
	v_and_b32_e32 v3, 0xfc, v3
	s_delay_alu instid0(VALU_DEP_2) | instskip(NEXT) | instid1(VALU_DEP_2)
	v_cmp_eq_u64_e32 vcc_lo, 0, v[0:1]
	v_and_or_b32 v0, v0, 3, v3
	s_and_b32 s13, s13, vcc_lo
	s_delay_alu instid0(VALU_DEP_1) | instid1(SALU_CYCLE_1)
	v_cndmask_b32_e64 v0, v0, 0, s13
	s_delay_alu instid0(VALU_DEP_1)
	v_or_b32_e32 v35, v0, v4
.LBB6_15660:                            ;   in Loop: Header=BB6_14192 Depth=3
	s_or_b32 exec_lo, exec_lo, s76
                                        ; implicit-def: $vgpr4
.LBB6_15661:                            ;   in Loop: Header=BB6_14192 Depth=3
	s_and_not1_saveexec_b32 s13, s75
; %bb.15662:                            ;   in Loop: Header=BB6_14192 Depth=3
	v_or_b32_e32 v35, 0x7b, v4
; %bb.15663:                            ;   in Loop: Header=BB6_14192 Depth=3
	s_or_b32 exec_lo, exec_lo, s13
                                        ; implicit-def: $vgpr2
                                        ; implicit-def: $vgpr0_vgpr1
                                        ; implicit-def: $vgpr3
.LBB6_15664:                            ;   in Loop: Header=BB6_14192 Depth=3
	s_and_not1_saveexec_b32 s13, s74
	s_cbranch_execz .LBB6_15670
; %bb.15665:                            ;   in Loop: Header=BB6_14192 Depth=3
	s_mov_b32 s74, exec_lo
                                        ; implicit-def: $vgpr35
	v_cmpx_ne_u64_e32 0, v[0:1]
	s_xor_b32 s74, exec_lo, s74
; %bb.15666:                            ;   in Loop: Header=BB6_14192 Depth=3
	v_or_b32_e32 v35, 0x7f, v3
                                        ; implicit-def: $vgpr2
; %bb.15667:                            ;   in Loop: Header=BB6_14192 Depth=3
	s_and_not1_saveexec_b32 s74, s74
; %bb.15668:                            ;   in Loop: Header=BB6_14192 Depth=3
	v_cmp_lt_i32_e32 vcc_lo, -1, v2
	v_mov_b32_e32 v0, 0x7c
	s_delay_alu instid0(VALU_DEP_1)
	v_cndmask_b32_e32 v35, 0xfc, v0, vcc_lo
; %bb.15669:                            ;   in Loop: Header=BB6_14192 Depth=3
	s_or_b32 exec_lo, exec_lo, s74
.LBB6_15670:                            ;   in Loop: Header=BB6_14192 Depth=3
	s_delay_alu instid0(SALU_CYCLE_1) | instskip(SKIP_3) | instid1(VALU_DEP_2)
	s_or_b32 exec_lo, exec_lo, s13
	v_lshrrev_b16 v0, 8, v8
	v_mov_b32_e32 v1, 0
	s_mov_b32 s74, exec_lo
	v_cmpx_ne_u16_e32 0, v0
	s_cbranch_execz .LBB6_15680
; %bb.15671:                            ;   in Loop: Header=BB6_14192 Depth=3
	v_bfrev_b32_e32 v1, 1
	s_mov_b32 s75, exec_lo
	v_cmpx_ne_u16_e32 0x80, v0
	s_cbranch_execz .LBB6_15679
; %bb.15672:                            ;   in Loop: Header=BB6_14192 Depth=3
	v_and_b32_e32 v3, 0xffff, v0
	s_delay_alu instid0(VALU_DEP_1) | instskip(SKIP_1) | instid1(VALU_DEP_2)
	v_and_b32_e32 v1, 0x7c, v3
	v_and_b32_e32 v2, 3, v3
	v_cmp_ne_u32_e32 vcc_lo, 0x7c, v1
                                        ; implicit-def: $vgpr1
	s_and_saveexec_b32 s13, vcc_lo
	s_delay_alu instid0(SALU_CYCLE_1)
	s_xor_b32 s13, exec_lo, s13
	s_cbranch_execz .LBB6_15676
; %bb.15673:                            ;   in Loop: Header=BB6_14192 Depth=3
	v_bfe_u32 v1, v3, 2, 5
	s_mov_b32 s76, exec_lo
	s_delay_alu instid0(VALU_DEP_1)
	v_cmpx_eq_u32_e32 0, v1
; %bb.15674:                            ;   in Loop: Header=BB6_14192 Depth=3
	v_clz_i32_u32_e32 v1, v2
	s_delay_alu instid0(VALU_DEP_1) | instskip(SKIP_1) | instid1(VALU_DEP_2)
	v_min_u32_e32 v2, 32, v1
	v_mov_b32_e32 v1, v113
	v_subrev_nc_u32_e32 v3, 29, v2
	s_delay_alu instid0(VALU_DEP_1) | instskip(NEXT) | instid1(VALU_DEP_1)
	v_lshlrev_b64_e32 v[0:1], v3, v[0:1]
	v_dual_sub_nc_u32 v1, 30, v2 :: v_dual_bitop2_b32 v2, 3, v0 bitop3:0x40
; %bb.15675:                            ;   in Loop: Header=BB6_14192 Depth=3
	s_or_b32 exec_lo, exec_lo, s76
	v_lshlrev_b32_e32 v0, 16, v8
	s_delay_alu instid0(VALU_DEP_1) | instskip(NEXT) | instid1(VALU_DEP_1)
	v_and_b32_e32 v0, 0x80000000, v0
	v_lshl_add_u32 v0, v1, 23, v0
	s_delay_alu instid0(VALU_DEP_1) | instskip(NEXT) | instid1(VALU_DEP_1)
	v_lshl_or_b32 v0, v2, 21, v0
                                        ; implicit-def: $vgpr2
	v_add_nc_u32_e32 v1, 0x38000000, v0
.LBB6_15676:                            ;   in Loop: Header=BB6_14192 Depth=3
	s_and_not1_saveexec_b32 s76, s13
; %bb.15677:                            ;   in Loop: Header=BB6_14192 Depth=3
	v_cmp_lt_i16_e64 s13, -1, v8
	v_mov_b32_e32 v0, 0x7f800000
	v_cmp_eq_u32_e32 vcc_lo, 0, v2
	s_delay_alu instid0(VALU_DEP_2) | instskip(NEXT) | instid1(VALU_DEP_1)
	v_cndmask_b32_e64 v0, 0xff800000, v0, s13
	v_cndmask_b32_e32 v1, 0x7f800001, v0, vcc_lo
; %bb.15678:                            ;   in Loop: Header=BB6_14192 Depth=3
	s_or_b32 exec_lo, exec_lo, s76
.LBB6_15679:                            ;   in Loop: Header=BB6_14192 Depth=3
	s_delay_alu instid0(SALU_CYCLE_1)
	s_or_b32 exec_lo, exec_lo, s75
.LBB6_15680:                            ;   in Loop: Header=BB6_14192 Depth=3
	s_delay_alu instid0(SALU_CYCLE_1) | instskip(NEXT) | instid1(VALU_DEP_1)
	s_or_b32 exec_lo, exec_lo, s74
	v_dual_mul_f32 v2, s73, v1 :: v_dual_mov_b32 v5, v113
	v_mov_b32_e32 v1, v113
                                        ; implicit-def: $vgpr49
	s_mov_b32 s13, exec_lo
	s_delay_alu instid0(VALU_DEP_2) | instskip(SKIP_2) | instid1(VALU_DEP_3)
	v_and_b32_e32 v4, 0x7f800000, v2
	v_and_b32_e32 v0, 0x7fffff, v2
	v_lshrrev_b32_e32 v3, 24, v2
	v_cmpx_ne_u64_e32 0x7f800000, v[4:5]
	s_xor_b32 s74, exec_lo, s13
	s_cbranch_execz .LBB6_15694
; %bb.15681:                            ;   in Loop: Header=BB6_14192 Depth=3
	v_and_b32_e32 v4, 0x7fffffff, v2
	v_mov_b32_e32 v5, v113
                                        ; implicit-def: $vgpr49
	s_delay_alu instid0(VALU_DEP_1) | instskip(SKIP_2) | instid1(SALU_CYCLE_1)
	v_cmp_gt_u64_e32 vcc_lo, 0x47600001, v[4:5]
	v_and_b32_e32 v4, 0x80, v3
	s_and_saveexec_b32 s13, vcc_lo
	s_xor_b32 s75, exec_lo, s13
	s_cbranch_execz .LBB6_15691
; %bb.15682:                            ;   in Loop: Header=BB6_14192 Depth=3
	v_mov_b32_e32 v49, 0
	s_mov_b32 s76, exec_lo
	v_cmpx_ne_u32_e32 0, v2
	s_cbranch_execz .LBB6_15690
; %bb.15683:                            ;   in Loop: Header=BB6_14192 Depth=3
	v_bfe_u32 v5, v2, 23, 8
	v_or_b32_e32 v3, 0x800000, v0
	s_delay_alu instid0(VALU_DEP_2) | instskip(SKIP_2) | instid1(VALU_DEP_2)
	v_cmp_gt_u32_e64 s13, 0x72, v5
	v_sub_nc_u32_e32 v2, 0x71, v5
	v_cmp_eq_u32_e32 vcc_lo, 0, v5
	v_dual_cndmask_b32 v2, 0, v2, s13 :: v_dual_cndmask_b32 v0, v3, v0, vcc_lo
	s_delay_alu instid0(VALU_DEP_1) | instskip(NEXT) | instid1(VALU_DEP_1)
	v_cndmask_b32_e64 v12, v2, 0x70, vcc_lo
	v_dual_add_nc_u32 v2, 21, v12 :: v_dual_add_nc_u32 v13, 20, v12
	s_delay_alu instid0(VALU_DEP_1) | instskip(NEXT) | instid1(VALU_DEP_2)
	v_lshlrev_b64_e64 v[2:3], v2, -1
	v_lshlrev_b64_e64 v[14:15], v13, 1
	s_delay_alu instid0(VALU_DEP_2) | instskip(SKIP_1) | instid1(VALU_DEP_4)
	v_bfi_b32 v2, v2, 0, v0
	v_lshrrev_b64 v[0:1], v12, v[0:1]
	v_bfi_b32 v3, v3, 0, 0
	s_delay_alu instid0(VALU_DEP_1) | instskip(NEXT) | instid1(VALU_DEP_3)
	v_cmp_eq_u64_e64 s13, v[2:3], v[14:15]
	v_mov_b64_e32 v[2:3], v[0:1]
	s_and_saveexec_b32 s77, s13
; %bb.15684:                            ;   in Loop: Header=BB6_14192 Depth=3
	v_bfe_u32 v2, v0, 21, 1
	v_mov_b32_e32 v3, v113
	s_delay_alu instid0(VALU_DEP_1) | instskip(NEXT) | instid1(VALU_DEP_1)
	v_add_nc_u64_e32 v[2:3], v[0:1], v[2:3]
	v_add_nc_u64_e32 v[2:3], -1, v[2:3]
; %bb.15685:                            ;   in Loop: Header=BB6_14192 Depth=3
	s_or_b32 exec_lo, exec_lo, s77
	v_add_nc_u32_e32 v1, 0xffffff81, v5
	v_lshrrev_b32_e32 v3, 23, v0
	s_mov_b32 s13, exec_lo
	s_delay_alu instid0(VALU_DEP_2) | instskip(NEXT) | instid1(VALU_DEP_1)
	v_cndmask_b32_e64 v1, v1, 0xffffff82, vcc_lo
	v_add3_u32 v5, v12, v1, v3
	v_and_b32_e32 v1, 0x1fffff, v2
                                        ; implicit-def: $vgpr2
	s_delay_alu instid0(VALU_DEP_1) | instskip(SKIP_1) | instid1(VALU_DEP_2)
	v_dual_add_nc_u32 v3, 14, v5 :: v_dual_add_nc_u32 v0, v1, v0
	v_mov_b32_e32 v1, v113
	v_cmpx_ne_u32_e32 0, v3
	s_xor_b32 s13, exec_lo, s13
; %bb.15686:                            ;   in Loop: Header=BB6_14192 Depth=3
	s_delay_alu instid0(VALU_DEP_2) | instskip(SKIP_1) | instid1(VALU_DEP_1)
	v_cmp_lt_u64_e32 vcc_lo, 0xffffff, v[0:1]
	v_add_nc_u32_e32 v2, 15, v5
	v_cndmask_b32_e32 v2, v3, v2, vcc_lo
	v_cndmask_b32_e64 v3, 0, 1, vcc_lo
	s_delay_alu instid0(VALU_DEP_1)
	v_lshrrev_b64 v[0:1], v3, v[0:1]
; %bb.15687:                            ;   in Loop: Header=BB6_14192 Depth=3
	s_and_not1_saveexec_b32 s13, s13
; %bb.15688:                            ;   in Loop: Header=BB6_14192 Depth=3
	s_delay_alu instid0(VALU_DEP_1)
	v_bfe_u32 v2, v0, 23, 1
; %bb.15689:                            ;   in Loop: Header=BB6_14192 Depth=3
	s_or_b32 exec_lo, exec_lo, s13
	s_delay_alu instid0(VALU_DEP_2) | instskip(NEXT) | instid1(VALU_DEP_2)
	v_lshrrev_b64 v[0:1], 21, v[0:1]
	v_cmp_gt_i32_e32 vcc_lo, 32, v2
	v_min_i32_e32 v3, 31, v2
	v_cmp_eq_u32_e64 s13, 0, v2
	s_delay_alu instid0(VALU_DEP_2) | instskip(SKIP_1) | instid1(VALU_DEP_2)
	v_dual_cndmask_b32 v1, 0, v1, vcc_lo :: v_dual_lshlrev_b32 v3, 2, v3
	v_cndmask_b32_e32 v0, 3, v0, vcc_lo
	v_and_b32_e32 v3, 0xfc, v3
	s_delay_alu instid0(VALU_DEP_2) | instskip(NEXT) | instid1(VALU_DEP_2)
	v_cmp_eq_u64_e32 vcc_lo, 0, v[0:1]
	v_and_or_b32 v0, v0, 3, v3
	s_and_b32 s13, s13, vcc_lo
	s_delay_alu instid0(VALU_DEP_1) | instid1(SALU_CYCLE_1)
	v_cndmask_b32_e64 v0, v0, 0, s13
	s_delay_alu instid0(VALU_DEP_1)
	v_or_b32_e32 v49, v0, v4
.LBB6_15690:                            ;   in Loop: Header=BB6_14192 Depth=3
	s_or_b32 exec_lo, exec_lo, s76
                                        ; implicit-def: $vgpr4
.LBB6_15691:                            ;   in Loop: Header=BB6_14192 Depth=3
	s_and_not1_saveexec_b32 s13, s75
; %bb.15692:                            ;   in Loop: Header=BB6_14192 Depth=3
	v_or_b32_e32 v49, 0x7b, v4
; %bb.15693:                            ;   in Loop: Header=BB6_14192 Depth=3
	s_or_b32 exec_lo, exec_lo, s13
                                        ; implicit-def: $vgpr2
                                        ; implicit-def: $vgpr0_vgpr1
                                        ; implicit-def: $vgpr3
.LBB6_15694:                            ;   in Loop: Header=BB6_14192 Depth=3
	s_and_not1_saveexec_b32 s13, s74
	s_cbranch_execz .LBB6_15700
; %bb.15695:                            ;   in Loop: Header=BB6_14192 Depth=3
	s_mov_b32 s74, exec_lo
                                        ; implicit-def: $vgpr49
	v_cmpx_ne_u64_e32 0, v[0:1]
	s_xor_b32 s74, exec_lo, s74
; %bb.15696:                            ;   in Loop: Header=BB6_14192 Depth=3
	v_or_b32_e32 v49, 0x7f, v3
                                        ; implicit-def: $vgpr2
; %bb.15697:                            ;   in Loop: Header=BB6_14192 Depth=3
	s_and_not1_saveexec_b32 s74, s74
; %bb.15698:                            ;   in Loop: Header=BB6_14192 Depth=3
	v_cmp_lt_i32_e32 vcc_lo, -1, v2
	v_mov_b32_e32 v0, 0x7c
	s_delay_alu instid0(VALU_DEP_1)
	v_cndmask_b32_e32 v49, 0xfc, v0, vcc_lo
; %bb.15699:                            ;   in Loop: Header=BB6_14192 Depth=3
	s_or_b32 exec_lo, exec_lo, s74
.LBB6_15700:                            ;   in Loop: Header=BB6_14192 Depth=3
	s_delay_alu instid0(SALU_CYCLE_1) | instskip(SKIP_2) | instid1(VALU_DEP_1)
	s_or_b32 exec_lo, exec_lo, s13
	v_dual_mov_b32 v1, 0 :: v_dual_lshrrev_b32 v0, 16, v8
	s_mov_b32 s74, exec_lo
	v_and_b32_e32 v2, 0xff, v0
	s_delay_alu instid0(VALU_DEP_1)
	v_cmpx_ne_u16_e32 0, v2
	s_cbranch_execz .LBB6_15710
; %bb.15701:                            ;   in Loop: Header=BB6_14192 Depth=3
	v_bfrev_b32_e32 v1, 1
	s_mov_b32 s75, exec_lo
	v_cmpx_ne_u16_e32 0x80, v2
	s_cbranch_execz .LBB6_15709
; %bb.15702:                            ;   in Loop: Header=BB6_14192 Depth=3
	v_and_b32_e32 v1, 0x7c0000, v8
	v_bfe_u32 v2, v8, 16, 2
	s_delay_alu instid0(VALU_DEP_2) | instskip(SKIP_1) | instid1(SALU_CYCLE_1)
	v_cmp_ne_u32_e32 vcc_lo, 0x7c0000, v1
                                        ; implicit-def: $vgpr1
	s_and_saveexec_b32 s13, vcc_lo
	s_xor_b32 s13, exec_lo, s13
	s_cbranch_execz .LBB6_15706
; %bb.15703:                            ;   in Loop: Header=BB6_14192 Depth=3
	v_bfe_u32 v1, v8, 18, 5
	s_mov_b32 s76, exec_lo
	s_delay_alu instid0(VALU_DEP_1)
	v_cmpx_eq_u32_e32 0, v1
; %bb.15704:                            ;   in Loop: Header=BB6_14192 Depth=3
	v_clz_i32_u32_e32 v1, v2
	s_delay_alu instid0(VALU_DEP_1) | instskip(NEXT) | instid1(VALU_DEP_1)
	v_min_u32_e32 v1, 32, v1
	v_subrev_nc_u32_e32 v2, 29, v1
	s_delay_alu instid0(VALU_DEP_1) | instskip(NEXT) | instid1(VALU_DEP_1)
	v_lshlrev_b64_e32 v[2:3], v2, v[0:1]
	v_dual_sub_nc_u32 v1, 30, v1 :: v_dual_bitop2_b32 v2, 3, v2 bitop3:0x40
; %bb.15705:                            ;   in Loop: Header=BB6_14192 Depth=3
	s_or_b32 exec_lo, exec_lo, s76
	v_lshlrev_b32_e32 v0, 24, v0
	s_delay_alu instid0(VALU_DEP_1) | instskip(NEXT) | instid1(VALU_DEP_1)
	v_and_b32_e32 v0, 0x80000000, v0
	v_lshl_add_u32 v0, v1, 23, v0
	s_delay_alu instid0(VALU_DEP_1) | instskip(NEXT) | instid1(VALU_DEP_1)
	v_lshl_or_b32 v0, v2, 21, v0
                                        ; implicit-def: $vgpr2
	v_add_nc_u32_e32 v1, 0x38000000, v0
                                        ; implicit-def: $vgpr0
.LBB6_15706:                            ;   in Loop: Header=BB6_14192 Depth=3
	s_and_not1_saveexec_b32 s76, s13
; %bb.15707:                            ;   in Loop: Header=BB6_14192 Depth=3
	v_bfe_i32 v0, v0, 0, 8
	v_cmp_eq_u32_e32 vcc_lo, 0, v2
	s_delay_alu instid0(VALU_DEP_2) | instskip(SKIP_1) | instid1(VALU_DEP_1)
	v_cmp_lt_i16_e64 s13, -1, v0
	v_mov_b32_e32 v0, 0x7f800000
	v_cndmask_b32_e64 v0, 0xff800000, v0, s13
	s_delay_alu instid0(VALU_DEP_1)
	v_cndmask_b32_e32 v1, 0x7f800001, v0, vcc_lo
; %bb.15708:                            ;   in Loop: Header=BB6_14192 Depth=3
	s_or_b32 exec_lo, exec_lo, s76
.LBB6_15709:                            ;   in Loop: Header=BB6_14192 Depth=3
	s_delay_alu instid0(SALU_CYCLE_1)
	s_or_b32 exec_lo, exec_lo, s75
.LBB6_15710:                            ;   in Loop: Header=BB6_14192 Depth=3
	s_delay_alu instid0(SALU_CYCLE_1) | instskip(NEXT) | instid1(VALU_DEP_1)
	s_or_b32 exec_lo, exec_lo, s74
	v_dual_mul_f32 v2, s73, v1 :: v_dual_mov_b32 v5, v113
	v_mov_b32_e32 v1, v113
                                        ; implicit-def: $vgpr53
	s_mov_b32 s13, exec_lo
	s_delay_alu instid0(VALU_DEP_2) | instskip(SKIP_2) | instid1(VALU_DEP_3)
	v_and_b32_e32 v4, 0x7f800000, v2
	v_and_b32_e32 v0, 0x7fffff, v2
	v_lshrrev_b32_e32 v3, 24, v2
	v_cmpx_ne_u64_e32 0x7f800000, v[4:5]
	s_xor_b32 s74, exec_lo, s13
	s_cbranch_execz .LBB6_15724
; %bb.15711:                            ;   in Loop: Header=BB6_14192 Depth=3
	v_and_b32_e32 v4, 0x7fffffff, v2
	v_mov_b32_e32 v5, v113
                                        ; implicit-def: $vgpr53
	s_delay_alu instid0(VALU_DEP_1) | instskip(SKIP_2) | instid1(SALU_CYCLE_1)
	v_cmp_gt_u64_e32 vcc_lo, 0x47600001, v[4:5]
	v_and_b32_e32 v4, 0x80, v3
	s_and_saveexec_b32 s13, vcc_lo
	s_xor_b32 s75, exec_lo, s13
	s_cbranch_execz .LBB6_15721
; %bb.15712:                            ;   in Loop: Header=BB6_14192 Depth=3
	v_mov_b32_e32 v53, 0
	s_mov_b32 s76, exec_lo
	v_cmpx_ne_u32_e32 0, v2
	s_cbranch_execz .LBB6_15720
; %bb.15713:                            ;   in Loop: Header=BB6_14192 Depth=3
	v_bfe_u32 v5, v2, 23, 8
	v_or_b32_e32 v3, 0x800000, v0
	s_delay_alu instid0(VALU_DEP_2) | instskip(SKIP_2) | instid1(VALU_DEP_2)
	v_cmp_gt_u32_e64 s13, 0x72, v5
	v_sub_nc_u32_e32 v2, 0x71, v5
	v_cmp_eq_u32_e32 vcc_lo, 0, v5
	v_dual_cndmask_b32 v2, 0, v2, s13 :: v_dual_cndmask_b32 v0, v3, v0, vcc_lo
	s_delay_alu instid0(VALU_DEP_1) | instskip(NEXT) | instid1(VALU_DEP_1)
	v_cndmask_b32_e64 v12, v2, 0x70, vcc_lo
	v_dual_add_nc_u32 v2, 21, v12 :: v_dual_add_nc_u32 v13, 20, v12
	s_delay_alu instid0(VALU_DEP_1) | instskip(NEXT) | instid1(VALU_DEP_2)
	v_lshlrev_b64_e64 v[2:3], v2, -1
	v_lshlrev_b64_e64 v[14:15], v13, 1
	s_delay_alu instid0(VALU_DEP_2) | instskip(SKIP_1) | instid1(VALU_DEP_4)
	v_bfi_b32 v2, v2, 0, v0
	v_lshrrev_b64 v[0:1], v12, v[0:1]
	v_bfi_b32 v3, v3, 0, 0
	s_delay_alu instid0(VALU_DEP_1) | instskip(NEXT) | instid1(VALU_DEP_3)
	v_cmp_eq_u64_e64 s13, v[2:3], v[14:15]
	v_mov_b64_e32 v[2:3], v[0:1]
	s_and_saveexec_b32 s77, s13
; %bb.15714:                            ;   in Loop: Header=BB6_14192 Depth=3
	v_bfe_u32 v2, v0, 21, 1
	v_mov_b32_e32 v3, v113
	s_delay_alu instid0(VALU_DEP_1) | instskip(NEXT) | instid1(VALU_DEP_1)
	v_add_nc_u64_e32 v[2:3], v[0:1], v[2:3]
	v_add_nc_u64_e32 v[2:3], -1, v[2:3]
; %bb.15715:                            ;   in Loop: Header=BB6_14192 Depth=3
	s_or_b32 exec_lo, exec_lo, s77
	v_add_nc_u32_e32 v1, 0xffffff81, v5
	v_lshrrev_b32_e32 v3, 23, v0
	s_mov_b32 s13, exec_lo
	s_delay_alu instid0(VALU_DEP_2) | instskip(NEXT) | instid1(VALU_DEP_1)
	v_cndmask_b32_e64 v1, v1, 0xffffff82, vcc_lo
	v_add3_u32 v5, v12, v1, v3
	v_and_b32_e32 v1, 0x1fffff, v2
                                        ; implicit-def: $vgpr2
	s_delay_alu instid0(VALU_DEP_1) | instskip(SKIP_1) | instid1(VALU_DEP_2)
	v_dual_add_nc_u32 v3, 14, v5 :: v_dual_add_nc_u32 v0, v1, v0
	v_mov_b32_e32 v1, v113
	v_cmpx_ne_u32_e32 0, v3
	s_xor_b32 s13, exec_lo, s13
; %bb.15716:                            ;   in Loop: Header=BB6_14192 Depth=3
	s_delay_alu instid0(VALU_DEP_2) | instskip(SKIP_1) | instid1(VALU_DEP_1)
	v_cmp_lt_u64_e32 vcc_lo, 0xffffff, v[0:1]
	v_add_nc_u32_e32 v2, 15, v5
	v_cndmask_b32_e32 v2, v3, v2, vcc_lo
	v_cndmask_b32_e64 v3, 0, 1, vcc_lo
	s_delay_alu instid0(VALU_DEP_1)
	v_lshrrev_b64 v[0:1], v3, v[0:1]
; %bb.15717:                            ;   in Loop: Header=BB6_14192 Depth=3
	s_and_not1_saveexec_b32 s13, s13
; %bb.15718:                            ;   in Loop: Header=BB6_14192 Depth=3
	s_delay_alu instid0(VALU_DEP_1)
	v_bfe_u32 v2, v0, 23, 1
; %bb.15719:                            ;   in Loop: Header=BB6_14192 Depth=3
	s_or_b32 exec_lo, exec_lo, s13
	s_delay_alu instid0(VALU_DEP_2) | instskip(NEXT) | instid1(VALU_DEP_2)
	v_lshrrev_b64 v[0:1], 21, v[0:1]
	v_cmp_gt_i32_e32 vcc_lo, 32, v2
	v_min_i32_e32 v3, 31, v2
	v_cmp_eq_u32_e64 s13, 0, v2
	s_delay_alu instid0(VALU_DEP_2) | instskip(SKIP_1) | instid1(VALU_DEP_2)
	v_dual_cndmask_b32 v1, 0, v1, vcc_lo :: v_dual_lshlrev_b32 v3, 2, v3
	v_cndmask_b32_e32 v0, 3, v0, vcc_lo
	v_and_b32_e32 v3, 0xfc, v3
	s_delay_alu instid0(VALU_DEP_2) | instskip(NEXT) | instid1(VALU_DEP_2)
	v_cmp_eq_u64_e32 vcc_lo, 0, v[0:1]
	v_and_or_b32 v0, v0, 3, v3
	s_and_b32 s13, s13, vcc_lo
	s_delay_alu instid0(VALU_DEP_1) | instid1(SALU_CYCLE_1)
	v_cndmask_b32_e64 v0, v0, 0, s13
	s_delay_alu instid0(VALU_DEP_1)
	v_or_b32_e32 v53, v0, v4
.LBB6_15720:                            ;   in Loop: Header=BB6_14192 Depth=3
	s_or_b32 exec_lo, exec_lo, s76
                                        ; implicit-def: $vgpr4
.LBB6_15721:                            ;   in Loop: Header=BB6_14192 Depth=3
	s_and_not1_saveexec_b32 s13, s75
; %bb.15722:                            ;   in Loop: Header=BB6_14192 Depth=3
	v_or_b32_e32 v53, 0x7b, v4
; %bb.15723:                            ;   in Loop: Header=BB6_14192 Depth=3
	s_or_b32 exec_lo, exec_lo, s13
                                        ; implicit-def: $vgpr2
                                        ; implicit-def: $vgpr0_vgpr1
                                        ; implicit-def: $vgpr3
.LBB6_15724:                            ;   in Loop: Header=BB6_14192 Depth=3
	s_and_not1_saveexec_b32 s13, s74
	s_cbranch_execz .LBB6_15730
; %bb.15725:                            ;   in Loop: Header=BB6_14192 Depth=3
	s_mov_b32 s74, exec_lo
                                        ; implicit-def: $vgpr53
	v_cmpx_ne_u64_e32 0, v[0:1]
	s_xor_b32 s74, exec_lo, s74
; %bb.15726:                            ;   in Loop: Header=BB6_14192 Depth=3
	v_or_b32_e32 v53, 0x7f, v3
                                        ; implicit-def: $vgpr2
; %bb.15727:                            ;   in Loop: Header=BB6_14192 Depth=3
	s_and_not1_saveexec_b32 s74, s74
; %bb.15728:                            ;   in Loop: Header=BB6_14192 Depth=3
	v_cmp_lt_i32_e32 vcc_lo, -1, v2
	v_mov_b32_e32 v0, 0x7c
	s_delay_alu instid0(VALU_DEP_1)
	v_cndmask_b32_e32 v53, 0xfc, v0, vcc_lo
; %bb.15729:                            ;   in Loop: Header=BB6_14192 Depth=3
	s_or_b32 exec_lo, exec_lo, s74
.LBB6_15730:                            ;   in Loop: Header=BB6_14192 Depth=3
	s_delay_alu instid0(SALU_CYCLE_1)
	s_or_b32 exec_lo, exec_lo, s13
	v_mov_b32_e32 v1, 0
	s_mov_b32 s74, exec_lo
	v_cmpx_lt_u32_e32 0xffffff, v8
	s_cbranch_execz .LBB6_15740
; %bb.15731:                            ;   in Loop: Header=BB6_14192 Depth=3
	v_lshrrev_b32_e32 v0, 24, v8
	v_bfrev_b32_e32 v1, 1
	s_mov_b32 s75, exec_lo
	s_delay_alu instid0(VALU_DEP_2)
	v_cmpx_ne_u32_e32 0x80, v0
	s_cbranch_execz .LBB6_15739
; %bb.15732:                            ;   in Loop: Header=BB6_14192 Depth=3
	v_and_b32_e32 v1, 0x7c000000, v8
	v_bfe_u32 v2, v8, 24, 2
	s_delay_alu instid0(VALU_DEP_2) | instskip(SKIP_1) | instid1(SALU_CYCLE_1)
	v_cmp_ne_u32_e32 vcc_lo, 0x7c000000, v1
                                        ; implicit-def: $vgpr1
	s_and_saveexec_b32 s13, vcc_lo
	s_xor_b32 s13, exec_lo, s13
	s_cbranch_execz .LBB6_15736
; %bb.15733:                            ;   in Loop: Header=BB6_14192 Depth=3
	v_bfe_u32 v1, v8, 26, 5
	s_mov_b32 s76, exec_lo
	s_delay_alu instid0(VALU_DEP_1)
	v_cmpx_eq_u32_e32 0, v1
; %bb.15734:                            ;   in Loop: Header=BB6_14192 Depth=3
	v_clz_i32_u32_e32 v1, v2
	s_delay_alu instid0(VALU_DEP_1) | instskip(NEXT) | instid1(VALU_DEP_1)
	v_min_u32_e32 v2, 32, v1
	v_subrev_nc_u32_e32 v1, 29, v2
	s_delay_alu instid0(VALU_DEP_1) | instskip(NEXT) | instid1(VALU_DEP_1)
	v_lshlrev_b64_e32 v[0:1], v1, v[0:1]
	v_dual_sub_nc_u32 v1, 30, v2 :: v_dual_bitop2_b32 v2, 3, v0 bitop3:0x40
; %bb.15735:                            ;   in Loop: Header=BB6_14192 Depth=3
	s_or_b32 exec_lo, exec_lo, s76
	v_and_b32_e32 v0, 0x80000000, v8
	s_delay_alu instid0(VALU_DEP_1) | instskip(NEXT) | instid1(VALU_DEP_1)
	v_lshl_add_u32 v0, v1, 23, v0
	v_lshl_or_b32 v0, v2, 21, v0
                                        ; implicit-def: $vgpr2
	s_delay_alu instid0(VALU_DEP_1)
	v_add_nc_u32_e32 v1, 0x38000000, v0
.LBB6_15736:                            ;   in Loop: Header=BB6_14192 Depth=3
	s_and_not1_saveexec_b32 s76, s13
; %bb.15737:                            ;   in Loop: Header=BB6_14192 Depth=3
	v_cmp_lt_i32_e64 s13, -1, v8
	v_mov_b32_e32 v0, 0x7f800000
	v_cmp_eq_u32_e32 vcc_lo, 0, v2
	s_delay_alu instid0(VALU_DEP_2) | instskip(NEXT) | instid1(VALU_DEP_1)
	v_cndmask_b32_e64 v0, 0xff800000, v0, s13
	v_cndmask_b32_e32 v1, 0x7f800001, v0, vcc_lo
; %bb.15738:                            ;   in Loop: Header=BB6_14192 Depth=3
	s_or_b32 exec_lo, exec_lo, s76
.LBB6_15739:                            ;   in Loop: Header=BB6_14192 Depth=3
	s_delay_alu instid0(SALU_CYCLE_1)
	s_or_b32 exec_lo, exec_lo, s75
.LBB6_15740:                            ;   in Loop: Header=BB6_14192 Depth=3
	s_delay_alu instid0(SALU_CYCLE_1) | instskip(NEXT) | instid1(VALU_DEP_1)
	s_or_b32 exec_lo, exec_lo, s74
	v_dual_mul_f32 v2, s73, v1 :: v_dual_mov_b32 v5, v113
	v_mov_b32_e32 v1, v113
                                        ; implicit-def: $vgpr64
	s_mov_b32 s13, exec_lo
	s_delay_alu instid0(VALU_DEP_2) | instskip(SKIP_2) | instid1(VALU_DEP_3)
	v_and_b32_e32 v4, 0x7f800000, v2
	v_and_b32_e32 v0, 0x7fffff, v2
	v_lshrrev_b32_e32 v3, 24, v2
	v_cmpx_ne_u64_e32 0x7f800000, v[4:5]
	s_xor_b32 s74, exec_lo, s13
	s_cbranch_execz .LBB6_15754
; %bb.15741:                            ;   in Loop: Header=BB6_14192 Depth=3
	v_and_b32_e32 v4, 0x7fffffff, v2
	v_mov_b32_e32 v5, v113
                                        ; implicit-def: $vgpr64
	s_delay_alu instid0(VALU_DEP_1) | instskip(SKIP_2) | instid1(SALU_CYCLE_1)
	v_cmp_gt_u64_e32 vcc_lo, 0x47600001, v[4:5]
	v_and_b32_e32 v4, 0x80, v3
	s_and_saveexec_b32 s13, vcc_lo
	s_xor_b32 s75, exec_lo, s13
	s_cbranch_execz .LBB6_15751
; %bb.15742:                            ;   in Loop: Header=BB6_14192 Depth=3
	v_mov_b32_e32 v64, 0
	s_mov_b32 s76, exec_lo
	v_cmpx_ne_u32_e32 0, v2
	s_cbranch_execz .LBB6_15750
; %bb.15743:                            ;   in Loop: Header=BB6_14192 Depth=3
	v_bfe_u32 v5, v2, 23, 8
	v_or_b32_e32 v3, 0x800000, v0
	s_delay_alu instid0(VALU_DEP_2) | instskip(SKIP_2) | instid1(VALU_DEP_2)
	v_cmp_gt_u32_e64 s13, 0x72, v5
	v_sub_nc_u32_e32 v2, 0x71, v5
	v_cmp_eq_u32_e32 vcc_lo, 0, v5
	v_dual_cndmask_b32 v2, 0, v2, s13 :: v_dual_cndmask_b32 v0, v3, v0, vcc_lo
	s_delay_alu instid0(VALU_DEP_1) | instskip(NEXT) | instid1(VALU_DEP_1)
	v_cndmask_b32_e64 v12, v2, 0x70, vcc_lo
	v_dual_add_nc_u32 v2, 21, v12 :: v_dual_add_nc_u32 v13, 20, v12
	s_delay_alu instid0(VALU_DEP_1) | instskip(NEXT) | instid1(VALU_DEP_2)
	v_lshlrev_b64_e64 v[2:3], v2, -1
	v_lshlrev_b64_e64 v[14:15], v13, 1
	s_delay_alu instid0(VALU_DEP_2) | instskip(SKIP_1) | instid1(VALU_DEP_4)
	v_bfi_b32 v2, v2, 0, v0
	v_lshrrev_b64 v[0:1], v12, v[0:1]
	v_bfi_b32 v3, v3, 0, 0
	s_delay_alu instid0(VALU_DEP_1) | instskip(NEXT) | instid1(VALU_DEP_3)
	v_cmp_eq_u64_e64 s13, v[2:3], v[14:15]
	v_mov_b64_e32 v[2:3], v[0:1]
	s_and_saveexec_b32 s77, s13
; %bb.15744:                            ;   in Loop: Header=BB6_14192 Depth=3
	v_bfe_u32 v2, v0, 21, 1
	v_mov_b32_e32 v3, v113
	s_delay_alu instid0(VALU_DEP_1) | instskip(NEXT) | instid1(VALU_DEP_1)
	v_add_nc_u64_e32 v[2:3], v[0:1], v[2:3]
	v_add_nc_u64_e32 v[2:3], -1, v[2:3]
; %bb.15745:                            ;   in Loop: Header=BB6_14192 Depth=3
	s_or_b32 exec_lo, exec_lo, s77
	v_add_nc_u32_e32 v1, 0xffffff81, v5
	v_lshrrev_b32_e32 v3, 23, v0
	s_mov_b32 s13, exec_lo
	s_delay_alu instid0(VALU_DEP_2) | instskip(NEXT) | instid1(VALU_DEP_1)
	v_cndmask_b32_e64 v1, v1, 0xffffff82, vcc_lo
	v_add3_u32 v5, v12, v1, v3
	v_and_b32_e32 v1, 0x1fffff, v2
                                        ; implicit-def: $vgpr2
	s_delay_alu instid0(VALU_DEP_1) | instskip(SKIP_1) | instid1(VALU_DEP_2)
	v_dual_add_nc_u32 v3, 14, v5 :: v_dual_add_nc_u32 v0, v1, v0
	v_mov_b32_e32 v1, v113
	v_cmpx_ne_u32_e32 0, v3
	s_xor_b32 s13, exec_lo, s13
; %bb.15746:                            ;   in Loop: Header=BB6_14192 Depth=3
	s_delay_alu instid0(VALU_DEP_2) | instskip(SKIP_1) | instid1(VALU_DEP_1)
	v_cmp_lt_u64_e32 vcc_lo, 0xffffff, v[0:1]
	v_add_nc_u32_e32 v2, 15, v5
	v_cndmask_b32_e32 v2, v3, v2, vcc_lo
	v_cndmask_b32_e64 v3, 0, 1, vcc_lo
	s_delay_alu instid0(VALU_DEP_1)
	v_lshrrev_b64 v[0:1], v3, v[0:1]
; %bb.15747:                            ;   in Loop: Header=BB6_14192 Depth=3
	s_and_not1_saveexec_b32 s13, s13
; %bb.15748:                            ;   in Loop: Header=BB6_14192 Depth=3
	s_delay_alu instid0(VALU_DEP_1)
	v_bfe_u32 v2, v0, 23, 1
; %bb.15749:                            ;   in Loop: Header=BB6_14192 Depth=3
	s_or_b32 exec_lo, exec_lo, s13
	s_delay_alu instid0(VALU_DEP_2) | instskip(NEXT) | instid1(VALU_DEP_2)
	v_lshrrev_b64 v[0:1], 21, v[0:1]
	v_cmp_gt_i32_e32 vcc_lo, 32, v2
	v_min_i32_e32 v3, 31, v2
	v_cmp_eq_u32_e64 s13, 0, v2
	s_delay_alu instid0(VALU_DEP_2) | instskip(SKIP_1) | instid1(VALU_DEP_2)
	v_dual_cndmask_b32 v1, 0, v1, vcc_lo :: v_dual_lshlrev_b32 v3, 2, v3
	v_cndmask_b32_e32 v0, 3, v0, vcc_lo
	v_and_b32_e32 v3, 0xfc, v3
	s_delay_alu instid0(VALU_DEP_2) | instskip(NEXT) | instid1(VALU_DEP_2)
	v_cmp_eq_u64_e32 vcc_lo, 0, v[0:1]
	v_and_or_b32 v0, v0, 3, v3
	s_and_b32 s13, s13, vcc_lo
	s_delay_alu instid0(VALU_DEP_1) | instid1(SALU_CYCLE_1)
	v_cndmask_b32_e64 v0, v0, 0, s13
	s_delay_alu instid0(VALU_DEP_1)
	v_or_b32_e32 v64, v0, v4
.LBB6_15750:                            ;   in Loop: Header=BB6_14192 Depth=3
	s_or_b32 exec_lo, exec_lo, s76
                                        ; implicit-def: $vgpr4
.LBB6_15751:                            ;   in Loop: Header=BB6_14192 Depth=3
	s_and_not1_saveexec_b32 s13, s75
; %bb.15752:                            ;   in Loop: Header=BB6_14192 Depth=3
	v_or_b32_e32 v64, 0x7b, v4
; %bb.15753:                            ;   in Loop: Header=BB6_14192 Depth=3
	s_or_b32 exec_lo, exec_lo, s13
                                        ; implicit-def: $vgpr2
                                        ; implicit-def: $vgpr0_vgpr1
                                        ; implicit-def: $vgpr3
.LBB6_15754:                            ;   in Loop: Header=BB6_14192 Depth=3
	s_and_not1_saveexec_b32 s13, s74
	s_cbranch_execz .LBB6_15760
; %bb.15755:                            ;   in Loop: Header=BB6_14192 Depth=3
	s_mov_b32 s74, exec_lo
                                        ; implicit-def: $vgpr64
	v_cmpx_ne_u64_e32 0, v[0:1]
	s_xor_b32 s74, exec_lo, s74
; %bb.15756:                            ;   in Loop: Header=BB6_14192 Depth=3
	v_or_b32_e32 v64, 0x7f, v3
                                        ; implicit-def: $vgpr2
; %bb.15757:                            ;   in Loop: Header=BB6_14192 Depth=3
	s_and_not1_saveexec_b32 s74, s74
; %bb.15758:                            ;   in Loop: Header=BB6_14192 Depth=3
	v_cmp_lt_i32_e32 vcc_lo, -1, v2
	v_mov_b32_e32 v0, 0x7c
	s_delay_alu instid0(VALU_DEP_1)
	v_cndmask_b32_e32 v64, 0xfc, v0, vcc_lo
; %bb.15759:                            ;   in Loop: Header=BB6_14192 Depth=3
	s_or_b32 exec_lo, exec_lo, s74
.LBB6_15760:                            ;   in Loop: Header=BB6_14192 Depth=3
	s_delay_alu instid0(SALU_CYCLE_1) | instskip(SKIP_4) | instid1(VALU_DEP_3)
	s_or_b32 exec_lo, exec_lo, s13
	v_and_b32_e32 v3, 0xff, v9
	v_dual_mov_b32 v0, v9 :: v_dual_mov_b32 v1, v113
	v_mov_b32_e32 v2, 0
	s_mov_b32 s74, exec_lo
	v_cmpx_ne_u16_e32 0, v3
	s_cbranch_execz .LBB6_15770
; %bb.15761:                            ;   in Loop: Header=BB6_14192 Depth=3
	v_bfrev_b32_e32 v2, 1
	s_mov_b32 s75, exec_lo
	v_cmpx_ne_u16_e32 0x80, v3
	s_cbranch_execz .LBB6_15769
; %bb.15762:                            ;   in Loop: Header=BB6_14192 Depth=3
	v_and_b32_e32 v2, 0x7c, v9
	v_and_b32_e32 v3, 3, v9
	s_delay_alu instid0(VALU_DEP_2) | instskip(SKIP_1) | instid1(SALU_CYCLE_1)
	v_cmp_ne_u32_e32 vcc_lo, 0x7c, v2
                                        ; implicit-def: $vgpr2
	s_and_saveexec_b32 s13, vcc_lo
	s_xor_b32 s13, exec_lo, s13
	s_cbranch_execz .LBB6_15766
; %bb.15763:                            ;   in Loop: Header=BB6_14192 Depth=3
	v_bfe_u32 v2, v9, 2, 5
	s_mov_b32 s76, exec_lo
	s_delay_alu instid0(VALU_DEP_1)
	v_cmpx_eq_u32_e32 0, v2
; %bb.15764:                            ;   in Loop: Header=BB6_14192 Depth=3
	v_clz_i32_u32_e32 v2, v3
	s_delay_alu instid0(VALU_DEP_1) | instskip(NEXT) | instid1(VALU_DEP_1)
	v_min_u32_e32 v2, 32, v2
	v_subrev_nc_u32_e32 v3, 29, v2
	s_delay_alu instid0(VALU_DEP_1) | instskip(NEXT) | instid1(VALU_DEP_1)
	v_lshlrev_b64_e32 v[4:5], v3, v[0:1]
	v_dual_sub_nc_u32 v2, 30, v2 :: v_dual_bitop2_b32 v3, 3, v4 bitop3:0x40
; %bb.15765:                            ;   in Loop: Header=BB6_14192 Depth=3
	s_or_b32 exec_lo, exec_lo, s76
	v_lshlrev_b32_e32 v1, 24, v9
	s_delay_alu instid0(VALU_DEP_1) | instskip(NEXT) | instid1(VALU_DEP_1)
	v_and_b32_e32 v1, 0x80000000, v1
	v_lshl_add_u32 v1, v2, 23, v1
	s_delay_alu instid0(VALU_DEP_1) | instskip(NEXT) | instid1(VALU_DEP_1)
	v_lshl_or_b32 v1, v3, 21, v1
                                        ; implicit-def: $vgpr3
	v_add_nc_u32_e32 v2, 0x38000000, v1
.LBB6_15766:                            ;   in Loop: Header=BB6_14192 Depth=3
	s_and_not1_saveexec_b32 s76, s13
; %bb.15767:                            ;   in Loop: Header=BB6_14192 Depth=3
	v_bfe_i32 v1, v9, 0, 8
	v_cmp_eq_u32_e32 vcc_lo, 0, v3
	s_delay_alu instid0(VALU_DEP_2) | instskip(SKIP_1) | instid1(VALU_DEP_1)
	v_cmp_lt_i16_e64 s13, -1, v1
	v_mov_b32_e32 v1, 0x7f800000
	v_cndmask_b32_e64 v1, 0xff800000, v1, s13
	s_delay_alu instid0(VALU_DEP_1)
	v_cndmask_b32_e32 v2, 0x7f800001, v1, vcc_lo
; %bb.15768:                            ;   in Loop: Header=BB6_14192 Depth=3
	s_or_b32 exec_lo, exec_lo, s76
.LBB6_15769:                            ;   in Loop: Header=BB6_14192 Depth=3
	s_delay_alu instid0(SALU_CYCLE_1)
	s_or_b32 exec_lo, exec_lo, s75
.LBB6_15770:                            ;   in Loop: Header=BB6_14192 Depth=3
	s_delay_alu instid0(SALU_CYCLE_1) | instskip(NEXT) | instid1(VALU_DEP_1)
	s_or_b32 exec_lo, exec_lo, s74
	v_dual_mul_f32 v4, s73, v2 :: v_dual_mov_b32 v13, v113
	v_mov_b32_e32 v3, v113
                                        ; implicit-def: $vgpr30
	s_mov_b32 s13, exec_lo
	s_delay_alu instid0(VALU_DEP_2) | instskip(SKIP_2) | instid1(VALU_DEP_3)
	v_and_b32_e32 v12, 0x7f800000, v4
	v_and_b32_e32 v2, 0x7fffff, v4
	v_lshrrev_b32_e32 v1, 24, v4
	v_cmpx_ne_u64_e32 0x7f800000, v[12:13]
	s_xor_b32 s74, exec_lo, s13
	s_cbranch_execz .LBB6_15784
; %bb.15771:                            ;   in Loop: Header=BB6_14192 Depth=3
	v_and_b32_e32 v12, 0x7fffffff, v4
	v_mov_b32_e32 v13, v113
	v_and_b32_e32 v1, 0x80, v1
                                        ; implicit-def: $vgpr30
	s_mov_b32 s13, exec_lo
	s_delay_alu instid0(VALU_DEP_2)
	v_cmpx_gt_u64_e32 0x47600001, v[12:13]
	s_xor_b32 s75, exec_lo, s13
	s_cbranch_execz .LBB6_15781
; %bb.15772:                            ;   in Loop: Header=BB6_14192 Depth=3
	v_mov_b32_e32 v30, 0
	s_mov_b32 s76, exec_lo
	v_cmpx_ne_u32_e32 0, v4
	s_cbranch_execz .LBB6_15780
; %bb.15773:                            ;   in Loop: Header=BB6_14192 Depth=3
	v_bfe_u32 v12, v4, 23, 8
	v_or_b32_e32 v5, 0x800000, v2
	s_delay_alu instid0(VALU_DEP_2) | instskip(SKIP_2) | instid1(VALU_DEP_2)
	v_cmp_gt_u32_e64 s13, 0x72, v12
	v_sub_nc_u32_e32 v4, 0x71, v12
	v_cmp_eq_u32_e32 vcc_lo, 0, v12
	v_dual_cndmask_b32 v4, 0, v4, s13 :: v_dual_cndmask_b32 v2, v5, v2, vcc_lo
	s_delay_alu instid0(VALU_DEP_1) | instskip(NEXT) | instid1(VALU_DEP_1)
	v_cndmask_b32_e64 v13, v4, 0x70, vcc_lo
	v_dual_add_nc_u32 v4, 21, v13 :: v_dual_add_nc_u32 v14, 20, v13
	s_delay_alu instid0(VALU_DEP_1) | instskip(NEXT) | instid1(VALU_DEP_2)
	v_lshlrev_b64_e64 v[4:5], v4, -1
	v_lshlrev_b64_e64 v[14:15], v14, 1
	s_delay_alu instid0(VALU_DEP_2) | instskip(SKIP_1) | instid1(VALU_DEP_4)
	v_bfi_b32 v4, v4, 0, v2
	v_lshrrev_b64 v[2:3], v13, v[2:3]
	v_bfi_b32 v5, v5, 0, 0
	s_delay_alu instid0(VALU_DEP_1) | instskip(NEXT) | instid1(VALU_DEP_3)
	v_cmp_eq_u64_e64 s13, v[4:5], v[14:15]
	v_mov_b64_e32 v[4:5], v[2:3]
	s_and_saveexec_b32 s77, s13
; %bb.15774:                            ;   in Loop: Header=BB6_14192 Depth=3
	v_bfe_u32 v4, v2, 21, 1
	v_mov_b32_e32 v5, v113
	s_delay_alu instid0(VALU_DEP_1) | instskip(NEXT) | instid1(VALU_DEP_1)
	v_add_nc_u64_e32 v[4:5], v[2:3], v[4:5]
	v_add_nc_u64_e32 v[4:5], -1, v[4:5]
; %bb.15775:                            ;   in Loop: Header=BB6_14192 Depth=3
	s_or_b32 exec_lo, exec_lo, s77
	v_add_nc_u32_e32 v3, 0xffffff81, v12
	v_lshrrev_b32_e32 v5, 23, v2
	s_mov_b32 s13, exec_lo
	s_delay_alu instid0(VALU_DEP_2) | instskip(NEXT) | instid1(VALU_DEP_1)
	v_cndmask_b32_e64 v3, v3, 0xffffff82, vcc_lo
	v_add3_u32 v12, v13, v3, v5
	v_and_b32_e32 v3, 0x1fffff, v4
                                        ; implicit-def: $vgpr4
	s_delay_alu instid0(VALU_DEP_1) | instskip(SKIP_1) | instid1(VALU_DEP_2)
	v_dual_add_nc_u32 v5, 14, v12 :: v_dual_add_nc_u32 v2, v3, v2
	v_mov_b32_e32 v3, v113
	v_cmpx_ne_u32_e32 0, v5
	s_xor_b32 s13, exec_lo, s13
; %bb.15776:                            ;   in Loop: Header=BB6_14192 Depth=3
	s_delay_alu instid0(VALU_DEP_2) | instskip(SKIP_1) | instid1(VALU_DEP_1)
	v_cmp_lt_u64_e32 vcc_lo, 0xffffff, v[2:3]
	v_add_nc_u32_e32 v4, 15, v12
	v_cndmask_b32_e32 v4, v5, v4, vcc_lo
	v_cndmask_b32_e64 v5, 0, 1, vcc_lo
	s_delay_alu instid0(VALU_DEP_1)
	v_lshrrev_b64 v[2:3], v5, v[2:3]
; %bb.15777:                            ;   in Loop: Header=BB6_14192 Depth=3
	s_and_not1_saveexec_b32 s13, s13
; %bb.15778:                            ;   in Loop: Header=BB6_14192 Depth=3
	s_delay_alu instid0(VALU_DEP_1)
	v_bfe_u32 v4, v2, 23, 1
; %bb.15779:                            ;   in Loop: Header=BB6_14192 Depth=3
	s_or_b32 exec_lo, exec_lo, s13
	s_delay_alu instid0(VALU_DEP_2) | instskip(NEXT) | instid1(VALU_DEP_2)
	v_lshrrev_b64 v[2:3], 21, v[2:3]
	v_cmp_gt_i32_e32 vcc_lo, 32, v4
	v_min_i32_e32 v5, 31, v4
	v_cmp_eq_u32_e64 s13, 0, v4
	s_delay_alu instid0(VALU_DEP_2) | instskip(SKIP_1) | instid1(VALU_DEP_2)
	v_dual_cndmask_b32 v3, 0, v3, vcc_lo :: v_dual_lshlrev_b32 v5, 2, v5
	v_cndmask_b32_e32 v2, 3, v2, vcc_lo
	v_and_b32_e32 v5, 0xfc, v5
	s_delay_alu instid0(VALU_DEP_2) | instskip(NEXT) | instid1(VALU_DEP_2)
	v_cmp_eq_u64_e32 vcc_lo, 0, v[2:3]
	v_and_or_b32 v2, v2, 3, v5
	s_and_b32 s13, s13, vcc_lo
	s_delay_alu instid0(VALU_DEP_1) | instid1(SALU_CYCLE_1)
	v_cndmask_b32_e64 v2, v2, 0, s13
	s_delay_alu instid0(VALU_DEP_1)
	v_or_b32_e32 v30, v2, v1
.LBB6_15780:                            ;   in Loop: Header=BB6_14192 Depth=3
	s_or_b32 exec_lo, exec_lo, s76
                                        ; implicit-def: $vgpr1
.LBB6_15781:                            ;   in Loop: Header=BB6_14192 Depth=3
	s_and_not1_saveexec_b32 s13, s75
; %bb.15782:                            ;   in Loop: Header=BB6_14192 Depth=3
	v_or_b32_e32 v30, 0x7b, v1
; %bb.15783:                            ;   in Loop: Header=BB6_14192 Depth=3
	s_or_b32 exec_lo, exec_lo, s13
                                        ; implicit-def: $vgpr4
                                        ; implicit-def: $vgpr2_vgpr3
                                        ; implicit-def: $vgpr1
.LBB6_15784:                            ;   in Loop: Header=BB6_14192 Depth=3
	s_and_not1_saveexec_b32 s13, s74
	s_cbranch_execz .LBB6_15790
; %bb.15785:                            ;   in Loop: Header=BB6_14192 Depth=3
	s_mov_b32 s74, exec_lo
                                        ; implicit-def: $vgpr30
	v_cmpx_ne_u64_e32 0, v[2:3]
	s_xor_b32 s74, exec_lo, s74
; %bb.15786:                            ;   in Loop: Header=BB6_14192 Depth=3
	v_or_b32_e32 v30, 0x7f, v1
                                        ; implicit-def: $vgpr4
; %bb.15787:                            ;   in Loop: Header=BB6_14192 Depth=3
	s_and_not1_saveexec_b32 s74, s74
; %bb.15788:                            ;   in Loop: Header=BB6_14192 Depth=3
	v_cmp_lt_i32_e32 vcc_lo, -1, v4
	v_mov_b32_e32 v1, 0x7c
	s_delay_alu instid0(VALU_DEP_1)
	v_cndmask_b32_e32 v30, 0xfc, v1, vcc_lo
; %bb.15789:                            ;   in Loop: Header=BB6_14192 Depth=3
	s_or_b32 exec_lo, exec_lo, s74
.LBB6_15790:                            ;   in Loop: Header=BB6_14192 Depth=3
	s_delay_alu instid0(SALU_CYCLE_1) | instskip(SKIP_3) | instid1(VALU_DEP_2)
	s_or_b32 exec_lo, exec_lo, s13
	v_lshrrev_b16 v2, 8, v0
	v_mov_b32_e32 v3, 0
	s_mov_b32 s74, exec_lo
	v_cmpx_ne_u16_e32 0, v2
	s_cbranch_execz .LBB6_15800
; %bb.15791:                            ;   in Loop: Header=BB6_14192 Depth=3
	v_bfrev_b32_e32 v3, 1
	s_mov_b32 s75, exec_lo
	v_cmpx_ne_u16_e32 0x80, v2
	s_cbranch_execz .LBB6_15799
; %bb.15792:                            ;   in Loop: Header=BB6_14192 Depth=3
	v_and_b32_e32 v1, 0xffff, v2
	s_delay_alu instid0(VALU_DEP_1) | instskip(SKIP_1) | instid1(VALU_DEP_2)
	v_and_b32_e32 v3, 0x7c, v1
	v_and_b32_e32 v4, 3, v1
	v_cmp_ne_u32_e32 vcc_lo, 0x7c, v3
                                        ; implicit-def: $vgpr3
	s_and_saveexec_b32 s13, vcc_lo
	s_delay_alu instid0(SALU_CYCLE_1)
	s_xor_b32 s13, exec_lo, s13
	s_cbranch_execz .LBB6_15796
; %bb.15793:                            ;   in Loop: Header=BB6_14192 Depth=3
	v_bfe_u32 v1, v1, 2, 5
	s_mov_b32 s76, exec_lo
	s_delay_alu instid0(VALU_DEP_1)
	v_cmpx_eq_u32_e32 0, v1
	s_cbranch_execz .LBB6_15795
; %bb.15794:                            ;   in Loop: Header=BB6_14192 Depth=3
	v_clz_i32_u32_e32 v1, v4
	s_delay_alu instid0(VALU_DEP_1) | instskip(SKIP_1) | instid1(VALU_DEP_2)
	v_min_u32_e32 v1, 32, v1
	v_mov_b32_e32 v3, v113
	v_subrev_nc_u32_e32 v4, 29, v1
	v_sub_nc_u32_e32 v1, 30, v1
	s_delay_alu instid0(VALU_DEP_2) | instskip(NEXT) | instid1(VALU_DEP_1)
	v_lshlrev_b64_e32 v[2:3], v4, v[2:3]
	v_and_b32_e32 v4, 3, v2
.LBB6_15795:                            ;   in Loop: Header=BB6_14192 Depth=3
	s_or_b32 exec_lo, exec_lo, s76
	v_lshlrev_b32_e32 v0, 16, v0
	s_delay_alu instid0(VALU_DEP_1) | instskip(NEXT) | instid1(VALU_DEP_1)
	v_and_b32_e32 v0, 0x80000000, v0
	v_lshl_add_u32 v0, v1, 23, v0
	s_delay_alu instid0(VALU_DEP_1) | instskip(NEXT) | instid1(VALU_DEP_1)
	v_lshl_or_b32 v0, v4, 21, v0
                                        ; implicit-def: $vgpr4
	v_add_nc_u32_e32 v3, 0x38000000, v0
                                        ; implicit-def: $vgpr0_vgpr1
.LBB6_15796:                            ;   in Loop: Header=BB6_14192 Depth=3
	s_and_not1_saveexec_b32 s76, s13
; %bb.15797:                            ;   in Loop: Header=BB6_14192 Depth=3
	v_cmp_lt_i16_e64 s13, -1, v0
	v_mov_b32_e32 v0, 0x7f800000
	v_cmp_eq_u32_e32 vcc_lo, 0, v4
	s_delay_alu instid0(VALU_DEP_2) | instskip(NEXT) | instid1(VALU_DEP_1)
	v_cndmask_b32_e64 v0, 0xff800000, v0, s13
	v_cndmask_b32_e32 v3, 0x7f800001, v0, vcc_lo
; %bb.15798:                            ;   in Loop: Header=BB6_14192 Depth=3
	s_or_b32 exec_lo, exec_lo, s76
.LBB6_15799:                            ;   in Loop: Header=BB6_14192 Depth=3
	s_delay_alu instid0(SALU_CYCLE_1)
	s_or_b32 exec_lo, exec_lo, s75
.LBB6_15800:                            ;   in Loop: Header=BB6_14192 Depth=3
	s_delay_alu instid0(SALU_CYCLE_1) | instskip(NEXT) | instid1(VALU_DEP_1)
	s_or_b32 exec_lo, exec_lo, s74
	v_dual_mul_f32 v2, s73, v3 :: v_dual_mov_b32 v5, v113
	v_mov_b32_e32 v1, v113
                                        ; implicit-def: $vgpr37
	s_mov_b32 s13, exec_lo
	s_delay_alu instid0(VALU_DEP_2) | instskip(SKIP_2) | instid1(VALU_DEP_3)
	v_and_b32_e32 v4, 0x7f800000, v2
	v_and_b32_e32 v0, 0x7fffff, v2
	v_lshrrev_b32_e32 v3, 24, v2
	v_cmpx_ne_u64_e32 0x7f800000, v[4:5]
	s_xor_b32 s74, exec_lo, s13
	s_cbranch_execz .LBB6_15814
; %bb.15801:                            ;   in Loop: Header=BB6_14192 Depth=3
	v_and_b32_e32 v4, 0x7fffffff, v2
	v_mov_b32_e32 v5, v113
                                        ; implicit-def: $vgpr37
	s_delay_alu instid0(VALU_DEP_1) | instskip(SKIP_2) | instid1(SALU_CYCLE_1)
	v_cmp_gt_u64_e32 vcc_lo, 0x47600001, v[4:5]
	v_and_b32_e32 v4, 0x80, v3
	s_and_saveexec_b32 s13, vcc_lo
	s_xor_b32 s75, exec_lo, s13
	s_cbranch_execz .LBB6_15811
; %bb.15802:                            ;   in Loop: Header=BB6_14192 Depth=3
	v_mov_b32_e32 v37, 0
	s_mov_b32 s76, exec_lo
	v_cmpx_ne_u32_e32 0, v2
	s_cbranch_execz .LBB6_15810
; %bb.15803:                            ;   in Loop: Header=BB6_14192 Depth=3
	v_bfe_u32 v5, v2, 23, 8
	v_or_b32_e32 v3, 0x800000, v0
	s_delay_alu instid0(VALU_DEP_2) | instskip(SKIP_2) | instid1(VALU_DEP_2)
	v_cmp_gt_u32_e64 s13, 0x72, v5
	v_sub_nc_u32_e32 v2, 0x71, v5
	v_cmp_eq_u32_e32 vcc_lo, 0, v5
	v_dual_cndmask_b32 v2, 0, v2, s13 :: v_dual_cndmask_b32 v0, v3, v0, vcc_lo
	s_delay_alu instid0(VALU_DEP_1) | instskip(NEXT) | instid1(VALU_DEP_1)
	v_cndmask_b32_e64 v12, v2, 0x70, vcc_lo
	v_dual_add_nc_u32 v2, 21, v12 :: v_dual_add_nc_u32 v13, 20, v12
	s_delay_alu instid0(VALU_DEP_1) | instskip(NEXT) | instid1(VALU_DEP_2)
	v_lshlrev_b64_e64 v[2:3], v2, -1
	v_lshlrev_b64_e64 v[14:15], v13, 1
	s_delay_alu instid0(VALU_DEP_2) | instskip(SKIP_1) | instid1(VALU_DEP_4)
	v_bfi_b32 v2, v2, 0, v0
	v_lshrrev_b64 v[0:1], v12, v[0:1]
	v_bfi_b32 v3, v3, 0, 0
	s_delay_alu instid0(VALU_DEP_1) | instskip(NEXT) | instid1(VALU_DEP_3)
	v_cmp_eq_u64_e64 s13, v[2:3], v[14:15]
	v_mov_b64_e32 v[2:3], v[0:1]
	s_and_saveexec_b32 s77, s13
; %bb.15804:                            ;   in Loop: Header=BB6_14192 Depth=3
	v_bfe_u32 v2, v0, 21, 1
	v_mov_b32_e32 v3, v113
	s_delay_alu instid0(VALU_DEP_1) | instskip(NEXT) | instid1(VALU_DEP_1)
	v_add_nc_u64_e32 v[2:3], v[0:1], v[2:3]
	v_add_nc_u64_e32 v[2:3], -1, v[2:3]
; %bb.15805:                            ;   in Loop: Header=BB6_14192 Depth=3
	s_or_b32 exec_lo, exec_lo, s77
	v_add_nc_u32_e32 v1, 0xffffff81, v5
	v_lshrrev_b32_e32 v3, 23, v0
	s_mov_b32 s13, exec_lo
	s_delay_alu instid0(VALU_DEP_2) | instskip(NEXT) | instid1(VALU_DEP_1)
	v_cndmask_b32_e64 v1, v1, 0xffffff82, vcc_lo
	v_add3_u32 v5, v12, v1, v3
	v_and_b32_e32 v1, 0x1fffff, v2
                                        ; implicit-def: $vgpr2
	s_delay_alu instid0(VALU_DEP_1) | instskip(SKIP_1) | instid1(VALU_DEP_2)
	v_dual_add_nc_u32 v3, 14, v5 :: v_dual_add_nc_u32 v0, v1, v0
	v_mov_b32_e32 v1, v113
	v_cmpx_ne_u32_e32 0, v3
	s_xor_b32 s13, exec_lo, s13
; %bb.15806:                            ;   in Loop: Header=BB6_14192 Depth=3
	s_delay_alu instid0(VALU_DEP_2) | instskip(SKIP_1) | instid1(VALU_DEP_1)
	v_cmp_lt_u64_e32 vcc_lo, 0xffffff, v[0:1]
	v_add_nc_u32_e32 v2, 15, v5
	v_cndmask_b32_e32 v2, v3, v2, vcc_lo
	v_cndmask_b32_e64 v3, 0, 1, vcc_lo
	s_delay_alu instid0(VALU_DEP_1)
	v_lshrrev_b64 v[0:1], v3, v[0:1]
; %bb.15807:                            ;   in Loop: Header=BB6_14192 Depth=3
	s_and_not1_saveexec_b32 s13, s13
; %bb.15808:                            ;   in Loop: Header=BB6_14192 Depth=3
	s_delay_alu instid0(VALU_DEP_1)
	v_bfe_u32 v2, v0, 23, 1
; %bb.15809:                            ;   in Loop: Header=BB6_14192 Depth=3
	s_or_b32 exec_lo, exec_lo, s13
	s_delay_alu instid0(VALU_DEP_2) | instskip(NEXT) | instid1(VALU_DEP_2)
	v_lshrrev_b64 v[0:1], 21, v[0:1]
	v_cmp_gt_i32_e32 vcc_lo, 32, v2
	v_min_i32_e32 v3, 31, v2
	v_cmp_eq_u32_e64 s13, 0, v2
	s_delay_alu instid0(VALU_DEP_2) | instskip(SKIP_1) | instid1(VALU_DEP_2)
	v_dual_cndmask_b32 v1, 0, v1, vcc_lo :: v_dual_lshlrev_b32 v3, 2, v3
	v_cndmask_b32_e32 v0, 3, v0, vcc_lo
	v_and_b32_e32 v3, 0xfc, v3
	s_delay_alu instid0(VALU_DEP_2) | instskip(NEXT) | instid1(VALU_DEP_2)
	v_cmp_eq_u64_e32 vcc_lo, 0, v[0:1]
	v_and_or_b32 v0, v0, 3, v3
	s_and_b32 s13, s13, vcc_lo
	s_delay_alu instid0(VALU_DEP_1) | instid1(SALU_CYCLE_1)
	v_cndmask_b32_e64 v0, v0, 0, s13
	s_delay_alu instid0(VALU_DEP_1)
	v_or_b32_e32 v37, v0, v4
.LBB6_15810:                            ;   in Loop: Header=BB6_14192 Depth=3
	s_or_b32 exec_lo, exec_lo, s76
                                        ; implicit-def: $vgpr4
.LBB6_15811:                            ;   in Loop: Header=BB6_14192 Depth=3
	s_and_not1_saveexec_b32 s13, s75
; %bb.15812:                            ;   in Loop: Header=BB6_14192 Depth=3
	v_or_b32_e32 v37, 0x7b, v4
; %bb.15813:                            ;   in Loop: Header=BB6_14192 Depth=3
	s_or_b32 exec_lo, exec_lo, s13
                                        ; implicit-def: $vgpr2
                                        ; implicit-def: $vgpr0_vgpr1
                                        ; implicit-def: $vgpr3
.LBB6_15814:                            ;   in Loop: Header=BB6_14192 Depth=3
	s_and_not1_saveexec_b32 s13, s74
	s_cbranch_execz .LBB6_15820
; %bb.15815:                            ;   in Loop: Header=BB6_14192 Depth=3
	s_mov_b32 s74, exec_lo
                                        ; implicit-def: $vgpr37
	v_cmpx_ne_u64_e32 0, v[0:1]
	s_xor_b32 s74, exec_lo, s74
; %bb.15816:                            ;   in Loop: Header=BB6_14192 Depth=3
	v_or_b32_e32 v37, 0x7f, v3
                                        ; implicit-def: $vgpr2
; %bb.15817:                            ;   in Loop: Header=BB6_14192 Depth=3
	s_and_not1_saveexec_b32 s74, s74
; %bb.15818:                            ;   in Loop: Header=BB6_14192 Depth=3
	v_cmp_lt_i32_e32 vcc_lo, -1, v2
	v_mov_b32_e32 v0, 0x7c
	s_delay_alu instid0(VALU_DEP_1)
	v_cndmask_b32_e32 v37, 0xfc, v0, vcc_lo
; %bb.15819:                            ;   in Loop: Header=BB6_14192 Depth=3
	s_or_b32 exec_lo, exec_lo, s74
.LBB6_15820:                            ;   in Loop: Header=BB6_14192 Depth=3
	s_delay_alu instid0(SALU_CYCLE_1) | instskip(SKIP_2) | instid1(VALU_DEP_1)
	s_or_b32 exec_lo, exec_lo, s13
	v_dual_mov_b32 v1, 0 :: v_dual_lshrrev_b32 v0, 16, v9
	s_mov_b32 s74, exec_lo
	v_and_b32_e32 v2, 0xff, v0
	s_delay_alu instid0(VALU_DEP_1)
	v_cmpx_ne_u16_e32 0, v2
	s_cbranch_execz .LBB6_15830
; %bb.15821:                            ;   in Loop: Header=BB6_14192 Depth=3
	v_bfrev_b32_e32 v1, 1
	s_mov_b32 s75, exec_lo
	v_cmpx_ne_u16_e32 0x80, v2
	s_cbranch_execz .LBB6_15829
; %bb.15822:                            ;   in Loop: Header=BB6_14192 Depth=3
	v_and_b32_e32 v1, 0x7c0000, v9
	v_bfe_u32 v2, v9, 16, 2
	s_delay_alu instid0(VALU_DEP_2) | instskip(SKIP_1) | instid1(SALU_CYCLE_1)
	v_cmp_ne_u32_e32 vcc_lo, 0x7c0000, v1
                                        ; implicit-def: $vgpr1
	s_and_saveexec_b32 s13, vcc_lo
	s_xor_b32 s13, exec_lo, s13
	s_cbranch_execz .LBB6_15826
; %bb.15823:                            ;   in Loop: Header=BB6_14192 Depth=3
	v_bfe_u32 v1, v9, 18, 5
	s_mov_b32 s76, exec_lo
	s_delay_alu instid0(VALU_DEP_1)
	v_cmpx_eq_u32_e32 0, v1
; %bb.15824:                            ;   in Loop: Header=BB6_14192 Depth=3
	v_clz_i32_u32_e32 v1, v2
	s_delay_alu instid0(VALU_DEP_1) | instskip(NEXT) | instid1(VALU_DEP_1)
	v_min_u32_e32 v1, 32, v1
	v_subrev_nc_u32_e32 v2, 29, v1
	s_delay_alu instid0(VALU_DEP_1) | instskip(NEXT) | instid1(VALU_DEP_1)
	v_lshlrev_b64_e32 v[2:3], v2, v[0:1]
	v_dual_sub_nc_u32 v1, 30, v1 :: v_dual_bitop2_b32 v2, 3, v2 bitop3:0x40
; %bb.15825:                            ;   in Loop: Header=BB6_14192 Depth=3
	s_or_b32 exec_lo, exec_lo, s76
	v_lshlrev_b32_e32 v0, 24, v0
	s_delay_alu instid0(VALU_DEP_1) | instskip(NEXT) | instid1(VALU_DEP_1)
	v_and_b32_e32 v0, 0x80000000, v0
	v_lshl_add_u32 v0, v1, 23, v0
	s_delay_alu instid0(VALU_DEP_1) | instskip(NEXT) | instid1(VALU_DEP_1)
	v_lshl_or_b32 v0, v2, 21, v0
                                        ; implicit-def: $vgpr2
	v_add_nc_u32_e32 v1, 0x38000000, v0
                                        ; implicit-def: $vgpr0
.LBB6_15826:                            ;   in Loop: Header=BB6_14192 Depth=3
	s_and_not1_saveexec_b32 s76, s13
; %bb.15827:                            ;   in Loop: Header=BB6_14192 Depth=3
	v_bfe_i32 v0, v0, 0, 8
	v_cmp_eq_u32_e32 vcc_lo, 0, v2
	s_delay_alu instid0(VALU_DEP_2) | instskip(SKIP_1) | instid1(VALU_DEP_1)
	v_cmp_lt_i16_e64 s13, -1, v0
	v_mov_b32_e32 v0, 0x7f800000
	v_cndmask_b32_e64 v0, 0xff800000, v0, s13
	s_delay_alu instid0(VALU_DEP_1)
	v_cndmask_b32_e32 v1, 0x7f800001, v0, vcc_lo
; %bb.15828:                            ;   in Loop: Header=BB6_14192 Depth=3
	s_or_b32 exec_lo, exec_lo, s76
.LBB6_15829:                            ;   in Loop: Header=BB6_14192 Depth=3
	s_delay_alu instid0(SALU_CYCLE_1)
	s_or_b32 exec_lo, exec_lo, s75
.LBB6_15830:                            ;   in Loop: Header=BB6_14192 Depth=3
	s_delay_alu instid0(SALU_CYCLE_1) | instskip(NEXT) | instid1(VALU_DEP_1)
	s_or_b32 exec_lo, exec_lo, s74
	v_dual_mul_f32 v2, s73, v1 :: v_dual_mov_b32 v5, v113
	v_mov_b32_e32 v1, v113
                                        ; implicit-def: $vgpr48
	s_mov_b32 s13, exec_lo
	s_delay_alu instid0(VALU_DEP_2) | instskip(SKIP_2) | instid1(VALU_DEP_3)
	v_and_b32_e32 v4, 0x7f800000, v2
	v_and_b32_e32 v0, 0x7fffff, v2
	v_lshrrev_b32_e32 v3, 24, v2
	v_cmpx_ne_u64_e32 0x7f800000, v[4:5]
	s_xor_b32 s74, exec_lo, s13
	s_cbranch_execz .LBB6_15844
; %bb.15831:                            ;   in Loop: Header=BB6_14192 Depth=3
	v_and_b32_e32 v4, 0x7fffffff, v2
	v_mov_b32_e32 v5, v113
                                        ; implicit-def: $vgpr48
	s_delay_alu instid0(VALU_DEP_1) | instskip(SKIP_2) | instid1(SALU_CYCLE_1)
	v_cmp_gt_u64_e32 vcc_lo, 0x47600001, v[4:5]
	v_and_b32_e32 v4, 0x80, v3
	s_and_saveexec_b32 s13, vcc_lo
	s_xor_b32 s75, exec_lo, s13
	s_cbranch_execz .LBB6_15841
; %bb.15832:                            ;   in Loop: Header=BB6_14192 Depth=3
	v_mov_b32_e32 v48, 0
	s_mov_b32 s76, exec_lo
	v_cmpx_ne_u32_e32 0, v2
	s_cbranch_execz .LBB6_15840
; %bb.15833:                            ;   in Loop: Header=BB6_14192 Depth=3
	v_bfe_u32 v5, v2, 23, 8
	v_or_b32_e32 v3, 0x800000, v0
	s_delay_alu instid0(VALU_DEP_2) | instskip(SKIP_2) | instid1(VALU_DEP_2)
	v_cmp_gt_u32_e64 s13, 0x72, v5
	v_sub_nc_u32_e32 v2, 0x71, v5
	v_cmp_eq_u32_e32 vcc_lo, 0, v5
	v_dual_cndmask_b32 v2, 0, v2, s13 :: v_dual_cndmask_b32 v0, v3, v0, vcc_lo
	s_delay_alu instid0(VALU_DEP_1) | instskip(NEXT) | instid1(VALU_DEP_1)
	v_cndmask_b32_e64 v12, v2, 0x70, vcc_lo
	v_dual_add_nc_u32 v2, 21, v12 :: v_dual_add_nc_u32 v13, 20, v12
	s_delay_alu instid0(VALU_DEP_1) | instskip(NEXT) | instid1(VALU_DEP_2)
	v_lshlrev_b64_e64 v[2:3], v2, -1
	v_lshlrev_b64_e64 v[14:15], v13, 1
	s_delay_alu instid0(VALU_DEP_2) | instskip(SKIP_1) | instid1(VALU_DEP_4)
	v_bfi_b32 v2, v2, 0, v0
	v_lshrrev_b64 v[0:1], v12, v[0:1]
	v_bfi_b32 v3, v3, 0, 0
	s_delay_alu instid0(VALU_DEP_1) | instskip(NEXT) | instid1(VALU_DEP_3)
	v_cmp_eq_u64_e64 s13, v[2:3], v[14:15]
	v_mov_b64_e32 v[2:3], v[0:1]
	s_and_saveexec_b32 s77, s13
; %bb.15834:                            ;   in Loop: Header=BB6_14192 Depth=3
	v_bfe_u32 v2, v0, 21, 1
	v_mov_b32_e32 v3, v113
	s_delay_alu instid0(VALU_DEP_1) | instskip(NEXT) | instid1(VALU_DEP_1)
	v_add_nc_u64_e32 v[2:3], v[0:1], v[2:3]
	v_add_nc_u64_e32 v[2:3], -1, v[2:3]
; %bb.15835:                            ;   in Loop: Header=BB6_14192 Depth=3
	s_or_b32 exec_lo, exec_lo, s77
	v_add_nc_u32_e32 v1, 0xffffff81, v5
	v_lshrrev_b32_e32 v3, 23, v0
	s_mov_b32 s13, exec_lo
	s_delay_alu instid0(VALU_DEP_2) | instskip(NEXT) | instid1(VALU_DEP_1)
	v_cndmask_b32_e64 v1, v1, 0xffffff82, vcc_lo
	v_add3_u32 v5, v12, v1, v3
	v_and_b32_e32 v1, 0x1fffff, v2
                                        ; implicit-def: $vgpr2
	s_delay_alu instid0(VALU_DEP_1) | instskip(SKIP_1) | instid1(VALU_DEP_2)
	v_dual_add_nc_u32 v3, 14, v5 :: v_dual_add_nc_u32 v0, v1, v0
	v_mov_b32_e32 v1, v113
	v_cmpx_ne_u32_e32 0, v3
	s_xor_b32 s13, exec_lo, s13
; %bb.15836:                            ;   in Loop: Header=BB6_14192 Depth=3
	s_delay_alu instid0(VALU_DEP_2) | instskip(SKIP_1) | instid1(VALU_DEP_1)
	v_cmp_lt_u64_e32 vcc_lo, 0xffffff, v[0:1]
	v_add_nc_u32_e32 v2, 15, v5
	v_cndmask_b32_e32 v2, v3, v2, vcc_lo
	v_cndmask_b32_e64 v3, 0, 1, vcc_lo
	s_delay_alu instid0(VALU_DEP_1)
	v_lshrrev_b64 v[0:1], v3, v[0:1]
; %bb.15837:                            ;   in Loop: Header=BB6_14192 Depth=3
	s_and_not1_saveexec_b32 s13, s13
; %bb.15838:                            ;   in Loop: Header=BB6_14192 Depth=3
	s_delay_alu instid0(VALU_DEP_1)
	v_bfe_u32 v2, v0, 23, 1
; %bb.15839:                            ;   in Loop: Header=BB6_14192 Depth=3
	s_or_b32 exec_lo, exec_lo, s13
	s_delay_alu instid0(VALU_DEP_2) | instskip(NEXT) | instid1(VALU_DEP_2)
	v_lshrrev_b64 v[0:1], 21, v[0:1]
	v_cmp_gt_i32_e32 vcc_lo, 32, v2
	v_min_i32_e32 v3, 31, v2
	v_cmp_eq_u32_e64 s13, 0, v2
	s_delay_alu instid0(VALU_DEP_2) | instskip(SKIP_1) | instid1(VALU_DEP_2)
	v_dual_cndmask_b32 v1, 0, v1, vcc_lo :: v_dual_lshlrev_b32 v3, 2, v3
	v_cndmask_b32_e32 v0, 3, v0, vcc_lo
	v_and_b32_e32 v3, 0xfc, v3
	s_delay_alu instid0(VALU_DEP_2) | instskip(NEXT) | instid1(VALU_DEP_2)
	v_cmp_eq_u64_e32 vcc_lo, 0, v[0:1]
	v_and_or_b32 v0, v0, 3, v3
	s_and_b32 s13, s13, vcc_lo
	s_delay_alu instid0(VALU_DEP_1) | instid1(SALU_CYCLE_1)
	v_cndmask_b32_e64 v0, v0, 0, s13
	s_delay_alu instid0(VALU_DEP_1)
	v_or_b32_e32 v48, v0, v4
.LBB6_15840:                            ;   in Loop: Header=BB6_14192 Depth=3
	s_or_b32 exec_lo, exec_lo, s76
                                        ; implicit-def: $vgpr4
.LBB6_15841:                            ;   in Loop: Header=BB6_14192 Depth=3
	s_and_not1_saveexec_b32 s13, s75
; %bb.15842:                            ;   in Loop: Header=BB6_14192 Depth=3
	v_or_b32_e32 v48, 0x7b, v4
; %bb.15843:                            ;   in Loop: Header=BB6_14192 Depth=3
	s_or_b32 exec_lo, exec_lo, s13
                                        ; implicit-def: $vgpr2
                                        ; implicit-def: $vgpr0_vgpr1
                                        ; implicit-def: $vgpr3
.LBB6_15844:                            ;   in Loop: Header=BB6_14192 Depth=3
	s_and_not1_saveexec_b32 s13, s74
	s_cbranch_execz .LBB6_15850
; %bb.15845:                            ;   in Loop: Header=BB6_14192 Depth=3
	s_mov_b32 s74, exec_lo
                                        ; implicit-def: $vgpr48
	v_cmpx_ne_u64_e32 0, v[0:1]
	s_xor_b32 s74, exec_lo, s74
; %bb.15846:                            ;   in Loop: Header=BB6_14192 Depth=3
	v_or_b32_e32 v48, 0x7f, v3
                                        ; implicit-def: $vgpr2
; %bb.15847:                            ;   in Loop: Header=BB6_14192 Depth=3
	s_and_not1_saveexec_b32 s74, s74
; %bb.15848:                            ;   in Loop: Header=BB6_14192 Depth=3
	v_cmp_lt_i32_e32 vcc_lo, -1, v2
	v_mov_b32_e32 v0, 0x7c
	s_delay_alu instid0(VALU_DEP_1)
	v_cndmask_b32_e32 v48, 0xfc, v0, vcc_lo
; %bb.15849:                            ;   in Loop: Header=BB6_14192 Depth=3
	s_or_b32 exec_lo, exec_lo, s74
.LBB6_15850:                            ;   in Loop: Header=BB6_14192 Depth=3
	s_delay_alu instid0(SALU_CYCLE_1)
	s_or_b32 exec_lo, exec_lo, s13
	v_mov_b32_e32 v1, 0
	s_mov_b32 s74, exec_lo
	v_cmpx_lt_u64_e64 s[22:23], v[8:9]
	s_cbranch_execz .LBB6_15860
; %bb.15851:                            ;   in Loop: Header=BB6_14192 Depth=3
	v_lshrrev_b32_e32 v0, 24, v9
	v_bfrev_b32_e32 v1, 1
	s_mov_b32 s75, exec_lo
	s_delay_alu instid0(VALU_DEP_2)
	v_cmpx_ne_u32_e32 0x80, v0
	s_cbranch_execz .LBB6_15859
; %bb.15852:                            ;   in Loop: Header=BB6_14192 Depth=3
	v_and_b32_e32 v1, 0x7c000000, v9
	v_bfe_u32 v2, v9, 24, 2
	s_delay_alu instid0(VALU_DEP_2) | instskip(SKIP_1) | instid1(SALU_CYCLE_1)
	v_cmp_ne_u32_e32 vcc_lo, 0x7c000000, v1
                                        ; implicit-def: $vgpr1
	s_and_saveexec_b32 s13, vcc_lo
	s_xor_b32 s13, exec_lo, s13
	s_cbranch_execz .LBB6_15856
; %bb.15853:                            ;   in Loop: Header=BB6_14192 Depth=3
	v_bfe_u32 v1, v9, 26, 5
	s_mov_b32 s76, exec_lo
	s_delay_alu instid0(VALU_DEP_1)
	v_cmpx_eq_u32_e32 0, v1
; %bb.15854:                            ;   in Loop: Header=BB6_14192 Depth=3
	v_clz_i32_u32_e32 v1, v2
	s_delay_alu instid0(VALU_DEP_1) | instskip(NEXT) | instid1(VALU_DEP_1)
	v_min_u32_e32 v2, 32, v1
	v_subrev_nc_u32_e32 v1, 29, v2
	s_delay_alu instid0(VALU_DEP_1) | instskip(NEXT) | instid1(VALU_DEP_1)
	v_lshlrev_b64_e32 v[0:1], v1, v[0:1]
	v_dual_sub_nc_u32 v1, 30, v2 :: v_dual_bitop2_b32 v2, 3, v0 bitop3:0x40
; %bb.15855:                            ;   in Loop: Header=BB6_14192 Depth=3
	s_or_b32 exec_lo, exec_lo, s76
	v_and_b32_e32 v0, 0x80000000, v9
	s_delay_alu instid0(VALU_DEP_1) | instskip(NEXT) | instid1(VALU_DEP_1)
	v_lshl_add_u32 v0, v1, 23, v0
	v_lshl_or_b32 v0, v2, 21, v0
                                        ; implicit-def: $vgpr2
	s_delay_alu instid0(VALU_DEP_1)
	v_add_nc_u32_e32 v1, 0x38000000, v0
.LBB6_15856:                            ;   in Loop: Header=BB6_14192 Depth=3
	s_and_not1_saveexec_b32 s76, s13
; %bb.15857:                            ;   in Loop: Header=BB6_14192 Depth=3
	v_cmp_lt_i64_e64 s13, -1, v[8:9]
	v_mov_b32_e32 v0, 0x7f800000
	v_cmp_eq_u32_e32 vcc_lo, 0, v2
	s_delay_alu instid0(VALU_DEP_2) | instskip(NEXT) | instid1(VALU_DEP_1)
	v_cndmask_b32_e64 v0, 0xff800000, v0, s13
	v_cndmask_b32_e32 v1, 0x7f800001, v0, vcc_lo
; %bb.15858:                            ;   in Loop: Header=BB6_14192 Depth=3
	s_or_b32 exec_lo, exec_lo, s76
.LBB6_15859:                            ;   in Loop: Header=BB6_14192 Depth=3
	s_delay_alu instid0(SALU_CYCLE_1)
	s_or_b32 exec_lo, exec_lo, s75
.LBB6_15860:                            ;   in Loop: Header=BB6_14192 Depth=3
	s_delay_alu instid0(SALU_CYCLE_1) | instskip(NEXT) | instid1(VALU_DEP_1)
	s_or_b32 exec_lo, exec_lo, s74
	v_dual_mul_f32 v2, s73, v1 :: v_dual_mov_b32 v5, v113
	v_mov_b32_e32 v1, v113
                                        ; implicit-def: $vgpr51
	s_mov_b32 s13, exec_lo
	s_delay_alu instid0(VALU_DEP_2) | instskip(SKIP_2) | instid1(VALU_DEP_3)
	v_and_b32_e32 v4, 0x7f800000, v2
	v_and_b32_e32 v0, 0x7fffff, v2
	v_lshrrev_b32_e32 v3, 24, v2
	v_cmpx_ne_u64_e32 0x7f800000, v[4:5]
	s_xor_b32 s74, exec_lo, s13
	s_cbranch_execz .LBB6_15874
; %bb.15861:                            ;   in Loop: Header=BB6_14192 Depth=3
	v_and_b32_e32 v4, 0x7fffffff, v2
	v_mov_b32_e32 v5, v113
                                        ; implicit-def: $vgpr51
	s_delay_alu instid0(VALU_DEP_1) | instskip(SKIP_2) | instid1(SALU_CYCLE_1)
	v_cmp_gt_u64_e32 vcc_lo, 0x47600001, v[4:5]
	v_and_b32_e32 v4, 0x80, v3
	s_and_saveexec_b32 s13, vcc_lo
	s_xor_b32 s75, exec_lo, s13
	s_cbranch_execz .LBB6_15871
; %bb.15862:                            ;   in Loop: Header=BB6_14192 Depth=3
	v_mov_b32_e32 v51, 0
	s_mov_b32 s76, exec_lo
	v_cmpx_ne_u32_e32 0, v2
	s_cbranch_execz .LBB6_15870
; %bb.15863:                            ;   in Loop: Header=BB6_14192 Depth=3
	v_bfe_u32 v5, v2, 23, 8
	v_or_b32_e32 v3, 0x800000, v0
	s_delay_alu instid0(VALU_DEP_2) | instskip(SKIP_2) | instid1(VALU_DEP_2)
	v_cmp_gt_u32_e64 s13, 0x72, v5
	v_sub_nc_u32_e32 v2, 0x71, v5
	v_cmp_eq_u32_e32 vcc_lo, 0, v5
	v_dual_cndmask_b32 v2, 0, v2, s13 :: v_dual_cndmask_b32 v0, v3, v0, vcc_lo
	s_delay_alu instid0(VALU_DEP_1) | instskip(NEXT) | instid1(VALU_DEP_1)
	v_cndmask_b32_e64 v8, v2, 0x70, vcc_lo
	v_dual_add_nc_u32 v2, 21, v8 :: v_dual_add_nc_u32 v9, 20, v8
	s_delay_alu instid0(VALU_DEP_1) | instskip(NEXT) | instid1(VALU_DEP_2)
	v_lshlrev_b64_e64 v[2:3], v2, -1
	v_lshlrev_b64_e64 v[12:13], v9, 1
	s_delay_alu instid0(VALU_DEP_2) | instskip(SKIP_1) | instid1(VALU_DEP_4)
	v_bfi_b32 v2, v2, 0, v0
	v_lshrrev_b64 v[0:1], v8, v[0:1]
	v_bfi_b32 v3, v3, 0, 0
	s_delay_alu instid0(VALU_DEP_1) | instskip(NEXT) | instid1(VALU_DEP_3)
	v_cmp_eq_u64_e64 s13, v[2:3], v[12:13]
	v_mov_b64_e32 v[2:3], v[0:1]
	s_and_saveexec_b32 s77, s13
; %bb.15864:                            ;   in Loop: Header=BB6_14192 Depth=3
	v_bfe_u32 v2, v0, 21, 1
	v_mov_b32_e32 v3, v113
	s_delay_alu instid0(VALU_DEP_1) | instskip(NEXT) | instid1(VALU_DEP_1)
	v_add_nc_u64_e32 v[2:3], v[0:1], v[2:3]
	v_add_nc_u64_e32 v[2:3], -1, v[2:3]
; %bb.15865:                            ;   in Loop: Header=BB6_14192 Depth=3
	s_or_b32 exec_lo, exec_lo, s77
	v_add_nc_u32_e32 v1, 0xffffff81, v5
	v_lshrrev_b32_e32 v3, 23, v0
	s_mov_b32 s13, exec_lo
	s_delay_alu instid0(VALU_DEP_2) | instskip(NEXT) | instid1(VALU_DEP_1)
	v_cndmask_b32_e64 v1, v1, 0xffffff82, vcc_lo
	v_add3_u32 v5, v8, v1, v3
	v_and_b32_e32 v1, 0x1fffff, v2
                                        ; implicit-def: $vgpr2
	s_delay_alu instid0(VALU_DEP_1) | instskip(SKIP_1) | instid1(VALU_DEP_2)
	v_dual_add_nc_u32 v3, 14, v5 :: v_dual_add_nc_u32 v0, v1, v0
	v_mov_b32_e32 v1, v113
	v_cmpx_ne_u32_e32 0, v3
	s_xor_b32 s13, exec_lo, s13
; %bb.15866:                            ;   in Loop: Header=BB6_14192 Depth=3
	s_delay_alu instid0(VALU_DEP_2) | instskip(SKIP_1) | instid1(VALU_DEP_1)
	v_cmp_lt_u64_e32 vcc_lo, 0xffffff, v[0:1]
	v_add_nc_u32_e32 v2, 15, v5
	v_cndmask_b32_e32 v2, v3, v2, vcc_lo
	v_cndmask_b32_e64 v3, 0, 1, vcc_lo
	s_delay_alu instid0(VALU_DEP_1)
	v_lshrrev_b64 v[0:1], v3, v[0:1]
; %bb.15867:                            ;   in Loop: Header=BB6_14192 Depth=3
	s_and_not1_saveexec_b32 s13, s13
; %bb.15868:                            ;   in Loop: Header=BB6_14192 Depth=3
	s_delay_alu instid0(VALU_DEP_1)
	v_bfe_u32 v2, v0, 23, 1
; %bb.15869:                            ;   in Loop: Header=BB6_14192 Depth=3
	s_or_b32 exec_lo, exec_lo, s13
	s_delay_alu instid0(VALU_DEP_2) | instskip(NEXT) | instid1(VALU_DEP_2)
	v_lshrrev_b64 v[0:1], 21, v[0:1]
	v_cmp_gt_i32_e32 vcc_lo, 32, v2
	v_min_i32_e32 v3, 31, v2
	v_cmp_eq_u32_e64 s13, 0, v2
	s_delay_alu instid0(VALU_DEP_2) | instskip(SKIP_1) | instid1(VALU_DEP_2)
	v_dual_cndmask_b32 v1, 0, v1, vcc_lo :: v_dual_lshlrev_b32 v3, 2, v3
	v_cndmask_b32_e32 v0, 3, v0, vcc_lo
	v_and_b32_e32 v3, 0xfc, v3
	s_delay_alu instid0(VALU_DEP_2) | instskip(NEXT) | instid1(VALU_DEP_2)
	v_cmp_eq_u64_e32 vcc_lo, 0, v[0:1]
	v_and_or_b32 v0, v0, 3, v3
	s_and_b32 s13, s13, vcc_lo
	s_delay_alu instid0(VALU_DEP_1) | instid1(SALU_CYCLE_1)
	v_cndmask_b32_e64 v0, v0, 0, s13
	s_delay_alu instid0(VALU_DEP_1)
	v_or_b32_e32 v51, v0, v4
.LBB6_15870:                            ;   in Loop: Header=BB6_14192 Depth=3
	s_or_b32 exec_lo, exec_lo, s76
                                        ; implicit-def: $vgpr4
.LBB6_15871:                            ;   in Loop: Header=BB6_14192 Depth=3
	s_and_not1_saveexec_b32 s13, s75
; %bb.15872:                            ;   in Loop: Header=BB6_14192 Depth=3
	v_or_b32_e32 v51, 0x7b, v4
; %bb.15873:                            ;   in Loop: Header=BB6_14192 Depth=3
	s_or_b32 exec_lo, exec_lo, s13
                                        ; implicit-def: $vgpr2
                                        ; implicit-def: $vgpr0_vgpr1
                                        ; implicit-def: $vgpr3
.LBB6_15874:                            ;   in Loop: Header=BB6_14192 Depth=3
	s_and_not1_saveexec_b32 s13, s74
	s_cbranch_execz .LBB6_15880
; %bb.15875:                            ;   in Loop: Header=BB6_14192 Depth=3
	s_mov_b32 s74, exec_lo
                                        ; implicit-def: $vgpr51
	v_cmpx_ne_u64_e32 0, v[0:1]
	s_xor_b32 s74, exec_lo, s74
; %bb.15876:                            ;   in Loop: Header=BB6_14192 Depth=3
	v_or_b32_e32 v51, 0x7f, v3
                                        ; implicit-def: $vgpr2
; %bb.15877:                            ;   in Loop: Header=BB6_14192 Depth=3
	s_and_not1_saveexec_b32 s74, s74
; %bb.15878:                            ;   in Loop: Header=BB6_14192 Depth=3
	v_cmp_lt_i32_e32 vcc_lo, -1, v2
	v_mov_b32_e32 v0, 0x7c
	s_delay_alu instid0(VALU_DEP_1)
	v_cndmask_b32_e32 v51, 0xfc, v0, vcc_lo
; %bb.15879:                            ;   in Loop: Header=BB6_14192 Depth=3
	s_or_b32 exec_lo, exec_lo, s74
.LBB6_15880:                            ;   in Loop: Header=BB6_14192 Depth=3
	s_delay_alu instid0(SALU_CYCLE_1) | instskip(SKIP_1) | instid1(VALU_DEP_1)
	s_or_b32 exec_lo, exec_lo, s13
	v_and_b32_e32 v0, 0xff, v10
	v_cmp_ne_u16_e32 vcc_lo, 0, v0
	v_mov_b32_e32 v0, 0
	s_and_saveexec_b32 s74, vcc_lo
	s_cbranch_execz .LBB6_15890
; %bb.15881:                            ;   in Loop: Header=BB6_14192 Depth=3
	v_bfe_i32 v2, v10, 0, 8
	v_bfrev_b32_e32 v0, 1
	s_mov_b32 s75, exec_lo
	s_delay_alu instid0(VALU_DEP_2)
	v_cmpx_ne_u16_e32 0xff80, v2
	s_cbranch_execz .LBB6_15889
; %bb.15882:                            ;   in Loop: Header=BB6_14192 Depth=3
	v_and_b32_e32 v0, 0x7c, v10
	v_and_b32_e32 v1, 3, v10
	s_delay_alu instid0(VALU_DEP_2) | instskip(SKIP_1) | instid1(SALU_CYCLE_1)
	v_cmp_ne_u32_e32 vcc_lo, 0x7c, v0
                                        ; implicit-def: $vgpr0
	s_and_saveexec_b32 s13, vcc_lo
	s_xor_b32 s13, exec_lo, s13
	s_cbranch_execz .LBB6_15886
; %bb.15883:                            ;   in Loop: Header=BB6_14192 Depth=3
	v_bfe_u32 v0, v10, 2, 5
	s_mov_b32 s76, exec_lo
	s_delay_alu instid0(VALU_DEP_1)
	v_cmpx_eq_u32_e32 0, v0
; %bb.15884:                            ;   in Loop: Header=BB6_14192 Depth=3
	v_clz_i32_u32_e32 v0, v1
	s_delay_alu instid0(VALU_DEP_1) | instskip(NEXT) | instid1(VALU_DEP_1)
	v_min_u32_e32 v0, 32, v0
	v_subrev_nc_u32_e32 v1, 29, v0
	s_delay_alu instid0(VALU_DEP_1) | instskip(NEXT) | instid1(VALU_DEP_1)
	v_lshlrev_b64_e32 v[2:3], v1, v[10:11]
	v_dual_sub_nc_u32 v0, 30, v0 :: v_dual_bitop2_b32 v1, 3, v2 bitop3:0x40
; %bb.15885:                            ;   in Loop: Header=BB6_14192 Depth=3
	s_or_b32 exec_lo, exec_lo, s76
	v_lshlrev_b32_e32 v2, 24, v10
	s_delay_alu instid0(VALU_DEP_1) | instskip(NEXT) | instid1(VALU_DEP_1)
	v_and_b32_e32 v2, 0x80000000, v2
	v_lshl_add_u32 v0, v0, 23, v2
                                        ; implicit-def: $vgpr2
	s_delay_alu instid0(VALU_DEP_1) | instskip(NEXT) | instid1(VALU_DEP_1)
	v_lshl_or_b32 v0, v1, 21, v0
                                        ; implicit-def: $vgpr1
	v_add_nc_u32_e32 v0, 0x38000000, v0
.LBB6_15886:                            ;   in Loop: Header=BB6_14192 Depth=3
	s_and_not1_saveexec_b32 s76, s13
; %bb.15887:                            ;   in Loop: Header=BB6_14192 Depth=3
	v_cmp_lt_i16_e64 s13, -1, v2
	v_mov_b32_e32 v0, 0x7f800000
	v_cmp_eq_u32_e32 vcc_lo, 0, v1
	s_delay_alu instid0(VALU_DEP_2) | instskip(NEXT) | instid1(VALU_DEP_1)
	v_cndmask_b32_e64 v0, 0xff800000, v0, s13
	v_cndmask_b32_e32 v0, 0x7f800001, v0, vcc_lo
; %bb.15888:                            ;   in Loop: Header=BB6_14192 Depth=3
	s_or_b32 exec_lo, exec_lo, s76
.LBB6_15889:                            ;   in Loop: Header=BB6_14192 Depth=3
	s_delay_alu instid0(SALU_CYCLE_1)
	s_or_b32 exec_lo, exec_lo, s75
.LBB6_15890:                            ;   in Loop: Header=BB6_14192 Depth=3
	s_delay_alu instid0(SALU_CYCLE_1) | instskip(NEXT) | instid1(VALU_DEP_1)
	s_or_b32 exec_lo, exec_lo, s74
	v_dual_mul_f32 v2, s73, v0 :: v_dual_mov_b32 v5, v113
	v_mov_b32_e32 v1, v113
                                        ; implicit-def: $vgpr27
	s_mov_b32 s13, exec_lo
	s_delay_alu instid0(VALU_DEP_2) | instskip(SKIP_2) | instid1(VALU_DEP_3)
	v_and_b32_e32 v4, 0x7f800000, v2
	v_and_b32_e32 v0, 0x7fffff, v2
	v_lshrrev_b32_e32 v3, 24, v2
	v_cmpx_ne_u64_e32 0x7f800000, v[4:5]
	s_xor_b32 s74, exec_lo, s13
	s_cbranch_execz .LBB6_15904
; %bb.15891:                            ;   in Loop: Header=BB6_14192 Depth=3
	v_and_b32_e32 v4, 0x7fffffff, v2
	v_mov_b32_e32 v5, v113
                                        ; implicit-def: $vgpr27
	s_delay_alu instid0(VALU_DEP_1) | instskip(SKIP_2) | instid1(SALU_CYCLE_1)
	v_cmp_gt_u64_e32 vcc_lo, 0x47600001, v[4:5]
	v_and_b32_e32 v4, 0x80, v3
	s_and_saveexec_b32 s13, vcc_lo
	s_xor_b32 s75, exec_lo, s13
	s_cbranch_execz .LBB6_15901
; %bb.15892:                            ;   in Loop: Header=BB6_14192 Depth=3
	v_mov_b32_e32 v27, 0
	s_mov_b32 s76, exec_lo
	v_cmpx_ne_u32_e32 0, v2
	s_cbranch_execz .LBB6_15900
; %bb.15893:                            ;   in Loop: Header=BB6_14192 Depth=3
	v_bfe_u32 v5, v2, 23, 8
	v_or_b32_e32 v3, 0x800000, v0
	s_delay_alu instid0(VALU_DEP_2) | instskip(SKIP_2) | instid1(VALU_DEP_2)
	v_cmp_gt_u32_e64 s13, 0x72, v5
	v_sub_nc_u32_e32 v2, 0x71, v5
	v_cmp_eq_u32_e32 vcc_lo, 0, v5
	v_dual_cndmask_b32 v2, 0, v2, s13 :: v_dual_cndmask_b32 v0, v3, v0, vcc_lo
	s_delay_alu instid0(VALU_DEP_1) | instskip(NEXT) | instid1(VALU_DEP_1)
	v_cndmask_b32_e64 v8, v2, 0x70, vcc_lo
	v_dual_add_nc_u32 v2, 21, v8 :: v_dual_add_nc_u32 v9, 20, v8
	s_delay_alu instid0(VALU_DEP_1) | instskip(NEXT) | instid1(VALU_DEP_2)
	v_lshlrev_b64_e64 v[2:3], v2, -1
	v_lshlrev_b64_e64 v[12:13], v9, 1
	s_delay_alu instid0(VALU_DEP_2) | instskip(SKIP_1) | instid1(VALU_DEP_4)
	v_bfi_b32 v2, v2, 0, v0
	v_lshrrev_b64 v[0:1], v8, v[0:1]
	v_bfi_b32 v3, v3, 0, 0
	s_delay_alu instid0(VALU_DEP_1) | instskip(NEXT) | instid1(VALU_DEP_3)
	v_cmp_eq_u64_e64 s13, v[2:3], v[12:13]
	v_mov_b64_e32 v[2:3], v[0:1]
	s_and_saveexec_b32 s77, s13
; %bb.15894:                            ;   in Loop: Header=BB6_14192 Depth=3
	v_bfe_u32 v2, v0, 21, 1
	v_mov_b32_e32 v3, v113
	s_delay_alu instid0(VALU_DEP_1) | instskip(NEXT) | instid1(VALU_DEP_1)
	v_add_nc_u64_e32 v[2:3], v[0:1], v[2:3]
	v_add_nc_u64_e32 v[2:3], -1, v[2:3]
; %bb.15895:                            ;   in Loop: Header=BB6_14192 Depth=3
	s_or_b32 exec_lo, exec_lo, s77
	v_add_nc_u32_e32 v1, 0xffffff81, v5
	v_lshrrev_b32_e32 v3, 23, v0
	s_mov_b32 s13, exec_lo
	s_delay_alu instid0(VALU_DEP_2) | instskip(NEXT) | instid1(VALU_DEP_1)
	v_cndmask_b32_e64 v1, v1, 0xffffff82, vcc_lo
	v_add3_u32 v5, v8, v1, v3
	v_and_b32_e32 v1, 0x1fffff, v2
                                        ; implicit-def: $vgpr2
	s_delay_alu instid0(VALU_DEP_1) | instskip(SKIP_1) | instid1(VALU_DEP_2)
	v_dual_add_nc_u32 v3, 14, v5 :: v_dual_add_nc_u32 v0, v1, v0
	v_mov_b32_e32 v1, v113
	v_cmpx_ne_u32_e32 0, v3
	s_xor_b32 s13, exec_lo, s13
; %bb.15896:                            ;   in Loop: Header=BB6_14192 Depth=3
	s_delay_alu instid0(VALU_DEP_2) | instskip(SKIP_1) | instid1(VALU_DEP_1)
	v_cmp_lt_u64_e32 vcc_lo, 0xffffff, v[0:1]
	v_add_nc_u32_e32 v2, 15, v5
	v_cndmask_b32_e32 v2, v3, v2, vcc_lo
	v_cndmask_b32_e64 v3, 0, 1, vcc_lo
	s_delay_alu instid0(VALU_DEP_1)
	v_lshrrev_b64 v[0:1], v3, v[0:1]
; %bb.15897:                            ;   in Loop: Header=BB6_14192 Depth=3
	s_and_not1_saveexec_b32 s13, s13
; %bb.15898:                            ;   in Loop: Header=BB6_14192 Depth=3
	s_delay_alu instid0(VALU_DEP_1)
	v_bfe_u32 v2, v0, 23, 1
; %bb.15899:                            ;   in Loop: Header=BB6_14192 Depth=3
	s_or_b32 exec_lo, exec_lo, s13
	s_delay_alu instid0(VALU_DEP_2) | instskip(NEXT) | instid1(VALU_DEP_2)
	v_lshrrev_b64 v[0:1], 21, v[0:1]
	v_cmp_gt_i32_e32 vcc_lo, 32, v2
	v_min_i32_e32 v3, 31, v2
	v_cmp_eq_u32_e64 s13, 0, v2
	s_delay_alu instid0(VALU_DEP_2) | instskip(SKIP_1) | instid1(VALU_DEP_2)
	v_dual_cndmask_b32 v1, 0, v1, vcc_lo :: v_dual_lshlrev_b32 v3, 2, v3
	v_cndmask_b32_e32 v0, 3, v0, vcc_lo
	v_and_b32_e32 v3, 0xfc, v3
	s_delay_alu instid0(VALU_DEP_2) | instskip(NEXT) | instid1(VALU_DEP_2)
	v_cmp_eq_u64_e32 vcc_lo, 0, v[0:1]
	v_and_or_b32 v0, v0, 3, v3
	s_and_b32 s13, s13, vcc_lo
	s_delay_alu instid0(VALU_DEP_1) | instid1(SALU_CYCLE_1)
	v_cndmask_b32_e64 v0, v0, 0, s13
	s_delay_alu instid0(VALU_DEP_1)
	v_or_b32_e32 v27, v0, v4
.LBB6_15900:                            ;   in Loop: Header=BB6_14192 Depth=3
	s_or_b32 exec_lo, exec_lo, s76
                                        ; implicit-def: $vgpr4
.LBB6_15901:                            ;   in Loop: Header=BB6_14192 Depth=3
	s_and_not1_saveexec_b32 s13, s75
; %bb.15902:                            ;   in Loop: Header=BB6_14192 Depth=3
	v_or_b32_e32 v27, 0x7b, v4
; %bb.15903:                            ;   in Loop: Header=BB6_14192 Depth=3
	s_or_b32 exec_lo, exec_lo, s13
                                        ; implicit-def: $vgpr2
                                        ; implicit-def: $vgpr0_vgpr1
                                        ; implicit-def: $vgpr3
.LBB6_15904:                            ;   in Loop: Header=BB6_14192 Depth=3
	s_and_not1_saveexec_b32 s13, s74
	s_cbranch_execz .LBB6_15910
; %bb.15905:                            ;   in Loop: Header=BB6_14192 Depth=3
	s_mov_b32 s74, exec_lo
                                        ; implicit-def: $vgpr27
	v_cmpx_ne_u64_e32 0, v[0:1]
	s_xor_b32 s74, exec_lo, s74
; %bb.15906:                            ;   in Loop: Header=BB6_14192 Depth=3
	v_or_b32_e32 v27, 0x7f, v3
                                        ; implicit-def: $vgpr2
; %bb.15907:                            ;   in Loop: Header=BB6_14192 Depth=3
	s_and_not1_saveexec_b32 s74, s74
; %bb.15908:                            ;   in Loop: Header=BB6_14192 Depth=3
	v_cmp_lt_i32_e32 vcc_lo, -1, v2
	v_mov_b32_e32 v0, 0x7c
	s_delay_alu instid0(VALU_DEP_1)
	v_cndmask_b32_e32 v27, 0xfc, v0, vcc_lo
; %bb.15909:                            ;   in Loop: Header=BB6_14192 Depth=3
	s_or_b32 exec_lo, exec_lo, s74
.LBB6_15910:                            ;   in Loop: Header=BB6_14192 Depth=3
	s_delay_alu instid0(SALU_CYCLE_1) | instskip(SKIP_3) | instid1(VALU_DEP_2)
	s_or_b32 exec_lo, exec_lo, s13
	v_lshrrev_b16 v0, 8, v10
	v_mov_b32_e32 v1, 0
	s_mov_b32 s74, exec_lo
	v_cmpx_ne_u16_e32 0, v0
	s_cbranch_execz .LBB6_15920
; %bb.15911:                            ;   in Loop: Header=BB6_14192 Depth=3
	v_bfrev_b32_e32 v1, 1
	s_mov_b32 s75, exec_lo
	v_cmpx_ne_u16_e32 0x80, v0
	s_cbranch_execz .LBB6_15919
; %bb.15912:                            ;   in Loop: Header=BB6_14192 Depth=3
	v_and_b32_e32 v3, 0xffff, v0
	s_delay_alu instid0(VALU_DEP_1) | instskip(SKIP_1) | instid1(VALU_DEP_2)
	v_and_b32_e32 v1, 0x7c, v3
	v_and_b32_e32 v2, 3, v3
	v_cmp_ne_u32_e32 vcc_lo, 0x7c, v1
                                        ; implicit-def: $vgpr1
	s_and_saveexec_b32 s13, vcc_lo
	s_delay_alu instid0(SALU_CYCLE_1)
	s_xor_b32 s13, exec_lo, s13
	s_cbranch_execz .LBB6_15916
; %bb.15913:                            ;   in Loop: Header=BB6_14192 Depth=3
	v_bfe_u32 v1, v3, 2, 5
	s_mov_b32 s76, exec_lo
	s_delay_alu instid0(VALU_DEP_1)
	v_cmpx_eq_u32_e32 0, v1
; %bb.15914:                            ;   in Loop: Header=BB6_14192 Depth=3
	v_clz_i32_u32_e32 v1, v2
	s_delay_alu instid0(VALU_DEP_1) | instskip(SKIP_1) | instid1(VALU_DEP_2)
	v_min_u32_e32 v2, 32, v1
	v_mov_b32_e32 v1, v113
	v_subrev_nc_u32_e32 v3, 29, v2
	s_delay_alu instid0(VALU_DEP_1) | instskip(NEXT) | instid1(VALU_DEP_1)
	v_lshlrev_b64_e32 v[0:1], v3, v[0:1]
	v_dual_sub_nc_u32 v1, 30, v2 :: v_dual_bitop2_b32 v2, 3, v0 bitop3:0x40
; %bb.15915:                            ;   in Loop: Header=BB6_14192 Depth=3
	s_or_b32 exec_lo, exec_lo, s76
	v_lshlrev_b32_e32 v0, 16, v10
	s_delay_alu instid0(VALU_DEP_1) | instskip(NEXT) | instid1(VALU_DEP_1)
	v_and_b32_e32 v0, 0x80000000, v0
	v_lshl_add_u32 v0, v1, 23, v0
	s_delay_alu instid0(VALU_DEP_1) | instskip(NEXT) | instid1(VALU_DEP_1)
	v_lshl_or_b32 v0, v2, 21, v0
                                        ; implicit-def: $vgpr2
	v_add_nc_u32_e32 v1, 0x38000000, v0
.LBB6_15916:                            ;   in Loop: Header=BB6_14192 Depth=3
	s_and_not1_saveexec_b32 s76, s13
; %bb.15917:                            ;   in Loop: Header=BB6_14192 Depth=3
	v_cmp_lt_i16_e64 s13, -1, v10
	v_mov_b32_e32 v0, 0x7f800000
	v_cmp_eq_u32_e32 vcc_lo, 0, v2
	s_delay_alu instid0(VALU_DEP_2) | instskip(NEXT) | instid1(VALU_DEP_1)
	v_cndmask_b32_e64 v0, 0xff800000, v0, s13
	v_cndmask_b32_e32 v1, 0x7f800001, v0, vcc_lo
; %bb.15918:                            ;   in Loop: Header=BB6_14192 Depth=3
	s_or_b32 exec_lo, exec_lo, s76
.LBB6_15919:                            ;   in Loop: Header=BB6_14192 Depth=3
	s_delay_alu instid0(SALU_CYCLE_1)
	s_or_b32 exec_lo, exec_lo, s75
.LBB6_15920:                            ;   in Loop: Header=BB6_14192 Depth=3
	s_delay_alu instid0(SALU_CYCLE_1) | instskip(NEXT) | instid1(VALU_DEP_1)
	s_or_b32 exec_lo, exec_lo, s74
	v_dual_mul_f32 v2, s73, v1 :: v_dual_mov_b32 v5, v113
	v_mov_b32_e32 v1, v113
                                        ; implicit-def: $vgpr32
	s_mov_b32 s13, exec_lo
	s_delay_alu instid0(VALU_DEP_2) | instskip(SKIP_2) | instid1(VALU_DEP_3)
	v_and_b32_e32 v4, 0x7f800000, v2
	v_and_b32_e32 v0, 0x7fffff, v2
	v_lshrrev_b32_e32 v3, 24, v2
	v_cmpx_ne_u64_e32 0x7f800000, v[4:5]
	s_xor_b32 s74, exec_lo, s13
	s_cbranch_execz .LBB6_15934
; %bb.15921:                            ;   in Loop: Header=BB6_14192 Depth=3
	v_and_b32_e32 v4, 0x7fffffff, v2
	v_mov_b32_e32 v5, v113
                                        ; implicit-def: $vgpr32
	s_delay_alu instid0(VALU_DEP_1) | instskip(SKIP_2) | instid1(SALU_CYCLE_1)
	v_cmp_gt_u64_e32 vcc_lo, 0x47600001, v[4:5]
	v_and_b32_e32 v4, 0x80, v3
	s_and_saveexec_b32 s13, vcc_lo
	s_xor_b32 s75, exec_lo, s13
	s_cbranch_execz .LBB6_15931
; %bb.15922:                            ;   in Loop: Header=BB6_14192 Depth=3
	v_mov_b32_e32 v32, 0
	s_mov_b32 s76, exec_lo
	v_cmpx_ne_u32_e32 0, v2
	s_cbranch_execz .LBB6_15930
; %bb.15923:                            ;   in Loop: Header=BB6_14192 Depth=3
	v_bfe_u32 v5, v2, 23, 8
	v_or_b32_e32 v3, 0x800000, v0
	s_delay_alu instid0(VALU_DEP_2) | instskip(SKIP_2) | instid1(VALU_DEP_2)
	v_cmp_gt_u32_e64 s13, 0x72, v5
	v_sub_nc_u32_e32 v2, 0x71, v5
	v_cmp_eq_u32_e32 vcc_lo, 0, v5
	v_dual_cndmask_b32 v2, 0, v2, s13 :: v_dual_cndmask_b32 v0, v3, v0, vcc_lo
	s_delay_alu instid0(VALU_DEP_1) | instskip(NEXT) | instid1(VALU_DEP_1)
	v_cndmask_b32_e64 v8, v2, 0x70, vcc_lo
	v_dual_add_nc_u32 v2, 21, v8 :: v_dual_add_nc_u32 v9, 20, v8
	s_delay_alu instid0(VALU_DEP_1) | instskip(NEXT) | instid1(VALU_DEP_2)
	v_lshlrev_b64_e64 v[2:3], v2, -1
	v_lshlrev_b64_e64 v[12:13], v9, 1
	s_delay_alu instid0(VALU_DEP_2) | instskip(SKIP_1) | instid1(VALU_DEP_4)
	v_bfi_b32 v2, v2, 0, v0
	v_lshrrev_b64 v[0:1], v8, v[0:1]
	v_bfi_b32 v3, v3, 0, 0
	s_delay_alu instid0(VALU_DEP_1) | instskip(NEXT) | instid1(VALU_DEP_3)
	v_cmp_eq_u64_e64 s13, v[2:3], v[12:13]
	v_mov_b64_e32 v[2:3], v[0:1]
	s_and_saveexec_b32 s77, s13
; %bb.15924:                            ;   in Loop: Header=BB6_14192 Depth=3
	v_bfe_u32 v2, v0, 21, 1
	v_mov_b32_e32 v3, v113
	s_delay_alu instid0(VALU_DEP_1) | instskip(NEXT) | instid1(VALU_DEP_1)
	v_add_nc_u64_e32 v[2:3], v[0:1], v[2:3]
	v_add_nc_u64_e32 v[2:3], -1, v[2:3]
; %bb.15925:                            ;   in Loop: Header=BB6_14192 Depth=3
	s_or_b32 exec_lo, exec_lo, s77
	v_add_nc_u32_e32 v1, 0xffffff81, v5
	v_lshrrev_b32_e32 v3, 23, v0
	s_mov_b32 s13, exec_lo
	s_delay_alu instid0(VALU_DEP_2) | instskip(NEXT) | instid1(VALU_DEP_1)
	v_cndmask_b32_e64 v1, v1, 0xffffff82, vcc_lo
	v_add3_u32 v5, v8, v1, v3
	v_and_b32_e32 v1, 0x1fffff, v2
                                        ; implicit-def: $vgpr2
	s_delay_alu instid0(VALU_DEP_1) | instskip(SKIP_1) | instid1(VALU_DEP_2)
	v_dual_add_nc_u32 v3, 14, v5 :: v_dual_add_nc_u32 v0, v1, v0
	v_mov_b32_e32 v1, v113
	v_cmpx_ne_u32_e32 0, v3
	s_xor_b32 s13, exec_lo, s13
; %bb.15926:                            ;   in Loop: Header=BB6_14192 Depth=3
	s_delay_alu instid0(VALU_DEP_2) | instskip(SKIP_1) | instid1(VALU_DEP_1)
	v_cmp_lt_u64_e32 vcc_lo, 0xffffff, v[0:1]
	v_add_nc_u32_e32 v2, 15, v5
	v_cndmask_b32_e32 v2, v3, v2, vcc_lo
	v_cndmask_b32_e64 v3, 0, 1, vcc_lo
	s_delay_alu instid0(VALU_DEP_1)
	v_lshrrev_b64 v[0:1], v3, v[0:1]
; %bb.15927:                            ;   in Loop: Header=BB6_14192 Depth=3
	s_and_not1_saveexec_b32 s13, s13
; %bb.15928:                            ;   in Loop: Header=BB6_14192 Depth=3
	s_delay_alu instid0(VALU_DEP_1)
	v_bfe_u32 v2, v0, 23, 1
; %bb.15929:                            ;   in Loop: Header=BB6_14192 Depth=3
	s_or_b32 exec_lo, exec_lo, s13
	s_delay_alu instid0(VALU_DEP_2) | instskip(NEXT) | instid1(VALU_DEP_2)
	v_lshrrev_b64 v[0:1], 21, v[0:1]
	v_cmp_gt_i32_e32 vcc_lo, 32, v2
	v_min_i32_e32 v3, 31, v2
	v_cmp_eq_u32_e64 s13, 0, v2
	s_delay_alu instid0(VALU_DEP_2) | instskip(SKIP_1) | instid1(VALU_DEP_2)
	v_dual_cndmask_b32 v1, 0, v1, vcc_lo :: v_dual_lshlrev_b32 v3, 2, v3
	v_cndmask_b32_e32 v0, 3, v0, vcc_lo
	v_and_b32_e32 v3, 0xfc, v3
	s_delay_alu instid0(VALU_DEP_2) | instskip(NEXT) | instid1(VALU_DEP_2)
	v_cmp_eq_u64_e32 vcc_lo, 0, v[0:1]
	v_and_or_b32 v0, v0, 3, v3
	s_and_b32 s13, s13, vcc_lo
	s_delay_alu instid0(VALU_DEP_1) | instid1(SALU_CYCLE_1)
	v_cndmask_b32_e64 v0, v0, 0, s13
	s_delay_alu instid0(VALU_DEP_1)
	v_or_b32_e32 v32, v0, v4
.LBB6_15930:                            ;   in Loop: Header=BB6_14192 Depth=3
	s_or_b32 exec_lo, exec_lo, s76
                                        ; implicit-def: $vgpr4
.LBB6_15931:                            ;   in Loop: Header=BB6_14192 Depth=3
	s_and_not1_saveexec_b32 s13, s75
; %bb.15932:                            ;   in Loop: Header=BB6_14192 Depth=3
	v_or_b32_e32 v32, 0x7b, v4
; %bb.15933:                            ;   in Loop: Header=BB6_14192 Depth=3
	s_or_b32 exec_lo, exec_lo, s13
                                        ; implicit-def: $vgpr2
                                        ; implicit-def: $vgpr0_vgpr1
                                        ; implicit-def: $vgpr3
.LBB6_15934:                            ;   in Loop: Header=BB6_14192 Depth=3
	s_and_not1_saveexec_b32 s13, s74
	s_cbranch_execz .LBB6_15940
; %bb.15935:                            ;   in Loop: Header=BB6_14192 Depth=3
	s_mov_b32 s74, exec_lo
                                        ; implicit-def: $vgpr32
	v_cmpx_ne_u64_e32 0, v[0:1]
	s_xor_b32 s74, exec_lo, s74
; %bb.15936:                            ;   in Loop: Header=BB6_14192 Depth=3
	v_or_b32_e32 v32, 0x7f, v3
                                        ; implicit-def: $vgpr2
; %bb.15937:                            ;   in Loop: Header=BB6_14192 Depth=3
	s_and_not1_saveexec_b32 s74, s74
; %bb.15938:                            ;   in Loop: Header=BB6_14192 Depth=3
	v_cmp_lt_i32_e32 vcc_lo, -1, v2
	v_mov_b32_e32 v0, 0x7c
	s_delay_alu instid0(VALU_DEP_1)
	v_cndmask_b32_e32 v32, 0xfc, v0, vcc_lo
; %bb.15939:                            ;   in Loop: Header=BB6_14192 Depth=3
	s_or_b32 exec_lo, exec_lo, s74
.LBB6_15940:                            ;   in Loop: Header=BB6_14192 Depth=3
	s_delay_alu instid0(SALU_CYCLE_1) | instskip(SKIP_2) | instid1(VALU_DEP_1)
	s_or_b32 exec_lo, exec_lo, s13
	v_dual_mov_b32 v1, 0 :: v_dual_lshrrev_b32 v0, 16, v10
	s_mov_b32 s74, exec_lo
	v_and_b32_e32 v2, 0xff, v0
	s_delay_alu instid0(VALU_DEP_1)
	v_cmpx_ne_u16_e32 0, v2
	s_cbranch_execz .LBB6_15950
; %bb.15941:                            ;   in Loop: Header=BB6_14192 Depth=3
	v_bfrev_b32_e32 v1, 1
	s_mov_b32 s75, exec_lo
	v_cmpx_ne_u16_e32 0x80, v2
	s_cbranch_execz .LBB6_15949
; %bb.15942:                            ;   in Loop: Header=BB6_14192 Depth=3
	v_and_b32_e32 v1, 0x7c0000, v10
	v_bfe_u32 v2, v10, 16, 2
	s_delay_alu instid0(VALU_DEP_2) | instskip(SKIP_1) | instid1(SALU_CYCLE_1)
	v_cmp_ne_u32_e32 vcc_lo, 0x7c0000, v1
                                        ; implicit-def: $vgpr1
	s_and_saveexec_b32 s13, vcc_lo
	s_xor_b32 s13, exec_lo, s13
	s_cbranch_execz .LBB6_15946
; %bb.15943:                            ;   in Loop: Header=BB6_14192 Depth=3
	v_bfe_u32 v1, v10, 18, 5
	s_mov_b32 s76, exec_lo
	s_delay_alu instid0(VALU_DEP_1)
	v_cmpx_eq_u32_e32 0, v1
; %bb.15944:                            ;   in Loop: Header=BB6_14192 Depth=3
	v_clz_i32_u32_e32 v1, v2
	s_delay_alu instid0(VALU_DEP_1) | instskip(NEXT) | instid1(VALU_DEP_1)
	v_min_u32_e32 v1, 32, v1
	v_subrev_nc_u32_e32 v2, 29, v1
	s_delay_alu instid0(VALU_DEP_1) | instskip(NEXT) | instid1(VALU_DEP_1)
	v_lshlrev_b64_e32 v[2:3], v2, v[0:1]
	v_dual_sub_nc_u32 v1, 30, v1 :: v_dual_bitop2_b32 v2, 3, v2 bitop3:0x40
; %bb.15945:                            ;   in Loop: Header=BB6_14192 Depth=3
	s_or_b32 exec_lo, exec_lo, s76
	v_lshlrev_b32_e32 v0, 24, v0
	s_delay_alu instid0(VALU_DEP_1) | instskip(NEXT) | instid1(VALU_DEP_1)
	v_and_b32_e32 v0, 0x80000000, v0
	v_lshl_add_u32 v0, v1, 23, v0
	s_delay_alu instid0(VALU_DEP_1) | instskip(NEXT) | instid1(VALU_DEP_1)
	v_lshl_or_b32 v0, v2, 21, v0
                                        ; implicit-def: $vgpr2
	v_add_nc_u32_e32 v1, 0x38000000, v0
                                        ; implicit-def: $vgpr0
.LBB6_15946:                            ;   in Loop: Header=BB6_14192 Depth=3
	s_and_not1_saveexec_b32 s76, s13
; %bb.15947:                            ;   in Loop: Header=BB6_14192 Depth=3
	v_bfe_i32 v0, v0, 0, 8
	v_cmp_eq_u32_e32 vcc_lo, 0, v2
	s_delay_alu instid0(VALU_DEP_2) | instskip(SKIP_1) | instid1(VALU_DEP_1)
	v_cmp_lt_i16_e64 s13, -1, v0
	v_mov_b32_e32 v0, 0x7f800000
	v_cndmask_b32_e64 v0, 0xff800000, v0, s13
	s_delay_alu instid0(VALU_DEP_1)
	v_cndmask_b32_e32 v1, 0x7f800001, v0, vcc_lo
; %bb.15948:                            ;   in Loop: Header=BB6_14192 Depth=3
	s_or_b32 exec_lo, exec_lo, s76
.LBB6_15949:                            ;   in Loop: Header=BB6_14192 Depth=3
	s_delay_alu instid0(SALU_CYCLE_1)
	s_or_b32 exec_lo, exec_lo, s75
.LBB6_15950:                            ;   in Loop: Header=BB6_14192 Depth=3
	s_delay_alu instid0(SALU_CYCLE_1) | instskip(NEXT) | instid1(VALU_DEP_1)
	s_or_b32 exec_lo, exec_lo, s74
	v_dual_mul_f32 v2, s73, v1 :: v_dual_mov_b32 v5, v113
	v_mov_b32_e32 v1, v113
                                        ; implicit-def: $vgpr36
	s_mov_b32 s13, exec_lo
	s_delay_alu instid0(VALU_DEP_2) | instskip(SKIP_2) | instid1(VALU_DEP_3)
	v_and_b32_e32 v4, 0x7f800000, v2
	v_and_b32_e32 v0, 0x7fffff, v2
	v_lshrrev_b32_e32 v3, 24, v2
	v_cmpx_ne_u64_e32 0x7f800000, v[4:5]
	s_xor_b32 s74, exec_lo, s13
	s_cbranch_execz .LBB6_15964
; %bb.15951:                            ;   in Loop: Header=BB6_14192 Depth=3
	v_and_b32_e32 v4, 0x7fffffff, v2
	v_mov_b32_e32 v5, v113
                                        ; implicit-def: $vgpr36
	s_delay_alu instid0(VALU_DEP_1) | instskip(SKIP_2) | instid1(SALU_CYCLE_1)
	v_cmp_gt_u64_e32 vcc_lo, 0x47600001, v[4:5]
	v_and_b32_e32 v4, 0x80, v3
	s_and_saveexec_b32 s13, vcc_lo
	s_xor_b32 s75, exec_lo, s13
	s_cbranch_execz .LBB6_15961
; %bb.15952:                            ;   in Loop: Header=BB6_14192 Depth=3
	v_mov_b32_e32 v36, 0
	s_mov_b32 s76, exec_lo
	v_cmpx_ne_u32_e32 0, v2
	s_cbranch_execz .LBB6_15960
; %bb.15953:                            ;   in Loop: Header=BB6_14192 Depth=3
	v_bfe_u32 v5, v2, 23, 8
	v_or_b32_e32 v3, 0x800000, v0
	s_delay_alu instid0(VALU_DEP_2) | instskip(SKIP_2) | instid1(VALU_DEP_2)
	v_cmp_gt_u32_e64 s13, 0x72, v5
	v_sub_nc_u32_e32 v2, 0x71, v5
	v_cmp_eq_u32_e32 vcc_lo, 0, v5
	v_dual_cndmask_b32 v2, 0, v2, s13 :: v_dual_cndmask_b32 v0, v3, v0, vcc_lo
	s_delay_alu instid0(VALU_DEP_1) | instskip(NEXT) | instid1(VALU_DEP_1)
	v_cndmask_b32_e64 v8, v2, 0x70, vcc_lo
	v_dual_add_nc_u32 v2, 21, v8 :: v_dual_add_nc_u32 v9, 20, v8
	s_delay_alu instid0(VALU_DEP_1) | instskip(NEXT) | instid1(VALU_DEP_2)
	v_lshlrev_b64_e64 v[2:3], v2, -1
	v_lshlrev_b64_e64 v[12:13], v9, 1
	s_delay_alu instid0(VALU_DEP_2) | instskip(SKIP_1) | instid1(VALU_DEP_4)
	v_bfi_b32 v2, v2, 0, v0
	v_lshrrev_b64 v[0:1], v8, v[0:1]
	v_bfi_b32 v3, v3, 0, 0
	s_delay_alu instid0(VALU_DEP_1) | instskip(NEXT) | instid1(VALU_DEP_3)
	v_cmp_eq_u64_e64 s13, v[2:3], v[12:13]
	v_mov_b64_e32 v[2:3], v[0:1]
	s_and_saveexec_b32 s77, s13
; %bb.15954:                            ;   in Loop: Header=BB6_14192 Depth=3
	v_bfe_u32 v2, v0, 21, 1
	v_mov_b32_e32 v3, v113
	s_delay_alu instid0(VALU_DEP_1) | instskip(NEXT) | instid1(VALU_DEP_1)
	v_add_nc_u64_e32 v[2:3], v[0:1], v[2:3]
	v_add_nc_u64_e32 v[2:3], -1, v[2:3]
; %bb.15955:                            ;   in Loop: Header=BB6_14192 Depth=3
	s_or_b32 exec_lo, exec_lo, s77
	v_add_nc_u32_e32 v1, 0xffffff81, v5
	v_lshrrev_b32_e32 v3, 23, v0
	s_mov_b32 s13, exec_lo
	s_delay_alu instid0(VALU_DEP_2) | instskip(NEXT) | instid1(VALU_DEP_1)
	v_cndmask_b32_e64 v1, v1, 0xffffff82, vcc_lo
	v_add3_u32 v5, v8, v1, v3
	v_and_b32_e32 v1, 0x1fffff, v2
                                        ; implicit-def: $vgpr2
	s_delay_alu instid0(VALU_DEP_1) | instskip(SKIP_1) | instid1(VALU_DEP_2)
	v_dual_add_nc_u32 v3, 14, v5 :: v_dual_add_nc_u32 v0, v1, v0
	v_mov_b32_e32 v1, v113
	v_cmpx_ne_u32_e32 0, v3
	s_xor_b32 s13, exec_lo, s13
; %bb.15956:                            ;   in Loop: Header=BB6_14192 Depth=3
	s_delay_alu instid0(VALU_DEP_2) | instskip(SKIP_1) | instid1(VALU_DEP_1)
	v_cmp_lt_u64_e32 vcc_lo, 0xffffff, v[0:1]
	v_add_nc_u32_e32 v2, 15, v5
	v_cndmask_b32_e32 v2, v3, v2, vcc_lo
	v_cndmask_b32_e64 v3, 0, 1, vcc_lo
	s_delay_alu instid0(VALU_DEP_1)
	v_lshrrev_b64 v[0:1], v3, v[0:1]
; %bb.15957:                            ;   in Loop: Header=BB6_14192 Depth=3
	s_and_not1_saveexec_b32 s13, s13
; %bb.15958:                            ;   in Loop: Header=BB6_14192 Depth=3
	s_delay_alu instid0(VALU_DEP_1)
	v_bfe_u32 v2, v0, 23, 1
; %bb.15959:                            ;   in Loop: Header=BB6_14192 Depth=3
	s_or_b32 exec_lo, exec_lo, s13
	s_delay_alu instid0(VALU_DEP_2) | instskip(NEXT) | instid1(VALU_DEP_2)
	v_lshrrev_b64 v[0:1], 21, v[0:1]
	v_cmp_gt_i32_e32 vcc_lo, 32, v2
	v_min_i32_e32 v3, 31, v2
	v_cmp_eq_u32_e64 s13, 0, v2
	s_delay_alu instid0(VALU_DEP_2) | instskip(SKIP_1) | instid1(VALU_DEP_2)
	v_dual_cndmask_b32 v1, 0, v1, vcc_lo :: v_dual_lshlrev_b32 v3, 2, v3
	v_cndmask_b32_e32 v0, 3, v0, vcc_lo
	v_and_b32_e32 v3, 0xfc, v3
	s_delay_alu instid0(VALU_DEP_2) | instskip(NEXT) | instid1(VALU_DEP_2)
	v_cmp_eq_u64_e32 vcc_lo, 0, v[0:1]
	v_and_or_b32 v0, v0, 3, v3
	s_and_b32 s13, s13, vcc_lo
	s_delay_alu instid0(VALU_DEP_1) | instid1(SALU_CYCLE_1)
	v_cndmask_b32_e64 v0, v0, 0, s13
	s_delay_alu instid0(VALU_DEP_1)
	v_or_b32_e32 v36, v0, v4
.LBB6_15960:                            ;   in Loop: Header=BB6_14192 Depth=3
	s_or_b32 exec_lo, exec_lo, s76
                                        ; implicit-def: $vgpr4
.LBB6_15961:                            ;   in Loop: Header=BB6_14192 Depth=3
	s_and_not1_saveexec_b32 s13, s75
; %bb.15962:                            ;   in Loop: Header=BB6_14192 Depth=3
	v_or_b32_e32 v36, 0x7b, v4
; %bb.15963:                            ;   in Loop: Header=BB6_14192 Depth=3
	s_or_b32 exec_lo, exec_lo, s13
                                        ; implicit-def: $vgpr2
                                        ; implicit-def: $vgpr0_vgpr1
                                        ; implicit-def: $vgpr3
.LBB6_15964:                            ;   in Loop: Header=BB6_14192 Depth=3
	s_and_not1_saveexec_b32 s13, s74
	s_cbranch_execz .LBB6_15970
; %bb.15965:                            ;   in Loop: Header=BB6_14192 Depth=3
	s_mov_b32 s74, exec_lo
                                        ; implicit-def: $vgpr36
	v_cmpx_ne_u64_e32 0, v[0:1]
	s_xor_b32 s74, exec_lo, s74
; %bb.15966:                            ;   in Loop: Header=BB6_14192 Depth=3
	v_or_b32_e32 v36, 0x7f, v3
                                        ; implicit-def: $vgpr2
; %bb.15967:                            ;   in Loop: Header=BB6_14192 Depth=3
	s_and_not1_saveexec_b32 s74, s74
; %bb.15968:                            ;   in Loop: Header=BB6_14192 Depth=3
	v_cmp_lt_i32_e32 vcc_lo, -1, v2
	v_mov_b32_e32 v0, 0x7c
	s_delay_alu instid0(VALU_DEP_1)
	v_cndmask_b32_e32 v36, 0xfc, v0, vcc_lo
; %bb.15969:                            ;   in Loop: Header=BB6_14192 Depth=3
	s_or_b32 exec_lo, exec_lo, s74
.LBB6_15970:                            ;   in Loop: Header=BB6_14192 Depth=3
	s_delay_alu instid0(SALU_CYCLE_1)
	s_or_b32 exec_lo, exec_lo, s13
	v_mov_b32_e32 v1, 0
	s_mov_b32 s74, exec_lo
	v_cmpx_lt_u32_e32 0xffffff, v10
	s_cbranch_execz .LBB6_15980
; %bb.15971:                            ;   in Loop: Header=BB6_14192 Depth=3
	v_lshrrev_b32_e32 v0, 24, v10
	v_bfrev_b32_e32 v1, 1
	s_mov_b32 s75, exec_lo
	s_delay_alu instid0(VALU_DEP_2)
	v_cmpx_ne_u32_e32 0x80, v0
	s_cbranch_execz .LBB6_15979
; %bb.15972:                            ;   in Loop: Header=BB6_14192 Depth=3
	v_and_b32_e32 v1, 0x7c000000, v10
	v_bfe_u32 v2, v10, 24, 2
	s_delay_alu instid0(VALU_DEP_2) | instskip(SKIP_1) | instid1(SALU_CYCLE_1)
	v_cmp_ne_u32_e32 vcc_lo, 0x7c000000, v1
                                        ; implicit-def: $vgpr1
	s_and_saveexec_b32 s13, vcc_lo
	s_xor_b32 s13, exec_lo, s13
	s_cbranch_execz .LBB6_15976
; %bb.15973:                            ;   in Loop: Header=BB6_14192 Depth=3
	v_bfe_u32 v1, v10, 26, 5
	s_mov_b32 s76, exec_lo
	s_delay_alu instid0(VALU_DEP_1)
	v_cmpx_eq_u32_e32 0, v1
; %bb.15974:                            ;   in Loop: Header=BB6_14192 Depth=3
	v_clz_i32_u32_e32 v1, v2
	s_delay_alu instid0(VALU_DEP_1) | instskip(NEXT) | instid1(VALU_DEP_1)
	v_min_u32_e32 v2, 32, v1
	v_subrev_nc_u32_e32 v1, 29, v2
	s_delay_alu instid0(VALU_DEP_1) | instskip(NEXT) | instid1(VALU_DEP_1)
	v_lshlrev_b64_e32 v[0:1], v1, v[0:1]
	v_dual_sub_nc_u32 v1, 30, v2 :: v_dual_bitop2_b32 v2, 3, v0 bitop3:0x40
; %bb.15975:                            ;   in Loop: Header=BB6_14192 Depth=3
	s_or_b32 exec_lo, exec_lo, s76
	v_and_b32_e32 v0, 0x80000000, v10
	s_delay_alu instid0(VALU_DEP_1) | instskip(NEXT) | instid1(VALU_DEP_1)
	v_lshl_add_u32 v0, v1, 23, v0
	v_lshl_or_b32 v0, v2, 21, v0
                                        ; implicit-def: $vgpr2
	s_delay_alu instid0(VALU_DEP_1)
	v_add_nc_u32_e32 v1, 0x38000000, v0
.LBB6_15976:                            ;   in Loop: Header=BB6_14192 Depth=3
	s_and_not1_saveexec_b32 s76, s13
; %bb.15977:                            ;   in Loop: Header=BB6_14192 Depth=3
	v_cmp_lt_i32_e64 s13, -1, v10
	v_mov_b32_e32 v0, 0x7f800000
	v_cmp_eq_u32_e32 vcc_lo, 0, v2
	s_delay_alu instid0(VALU_DEP_2) | instskip(NEXT) | instid1(VALU_DEP_1)
	v_cndmask_b32_e64 v0, 0xff800000, v0, s13
	v_cndmask_b32_e32 v1, 0x7f800001, v0, vcc_lo
; %bb.15978:                            ;   in Loop: Header=BB6_14192 Depth=3
	s_or_b32 exec_lo, exec_lo, s76
.LBB6_15979:                            ;   in Loop: Header=BB6_14192 Depth=3
	s_delay_alu instid0(SALU_CYCLE_1)
	s_or_b32 exec_lo, exec_lo, s75
.LBB6_15980:                            ;   in Loop: Header=BB6_14192 Depth=3
	s_delay_alu instid0(SALU_CYCLE_1) | instskip(NEXT) | instid1(VALU_DEP_1)
	s_or_b32 exec_lo, exec_lo, s74
	v_dual_mul_f32 v2, s73, v1 :: v_dual_mov_b32 v5, v113
	v_mov_b32_e32 v1, v113
                                        ; implicit-def: $vgpr38
	s_mov_b32 s13, exec_lo
	s_delay_alu instid0(VALU_DEP_2) | instskip(SKIP_2) | instid1(VALU_DEP_3)
	v_and_b32_e32 v4, 0x7f800000, v2
	v_and_b32_e32 v0, 0x7fffff, v2
	v_lshrrev_b32_e32 v3, 24, v2
	v_cmpx_ne_u64_e32 0x7f800000, v[4:5]
	s_xor_b32 s74, exec_lo, s13
	s_cbranch_execz .LBB6_15994
; %bb.15981:                            ;   in Loop: Header=BB6_14192 Depth=3
	v_and_b32_e32 v4, 0x7fffffff, v2
	v_mov_b32_e32 v5, v113
                                        ; implicit-def: $vgpr38
	s_delay_alu instid0(VALU_DEP_1) | instskip(SKIP_2) | instid1(SALU_CYCLE_1)
	v_cmp_gt_u64_e32 vcc_lo, 0x47600001, v[4:5]
	v_and_b32_e32 v4, 0x80, v3
	s_and_saveexec_b32 s13, vcc_lo
	s_xor_b32 s75, exec_lo, s13
	s_cbranch_execz .LBB6_15991
; %bb.15982:                            ;   in Loop: Header=BB6_14192 Depth=3
	v_mov_b32_e32 v38, 0
	s_mov_b32 s76, exec_lo
	v_cmpx_ne_u32_e32 0, v2
	s_cbranch_execz .LBB6_15990
; %bb.15983:                            ;   in Loop: Header=BB6_14192 Depth=3
	v_bfe_u32 v5, v2, 23, 8
	v_or_b32_e32 v3, 0x800000, v0
	s_delay_alu instid0(VALU_DEP_2) | instskip(SKIP_2) | instid1(VALU_DEP_2)
	v_cmp_gt_u32_e64 s13, 0x72, v5
	v_sub_nc_u32_e32 v2, 0x71, v5
	v_cmp_eq_u32_e32 vcc_lo, 0, v5
	v_dual_cndmask_b32 v2, 0, v2, s13 :: v_dual_cndmask_b32 v0, v3, v0, vcc_lo
	s_delay_alu instid0(VALU_DEP_1) | instskip(NEXT) | instid1(VALU_DEP_1)
	v_cndmask_b32_e64 v8, v2, 0x70, vcc_lo
	v_dual_add_nc_u32 v2, 21, v8 :: v_dual_add_nc_u32 v9, 20, v8
	s_delay_alu instid0(VALU_DEP_1) | instskip(NEXT) | instid1(VALU_DEP_2)
	v_lshlrev_b64_e64 v[2:3], v2, -1
	v_lshlrev_b64_e64 v[12:13], v9, 1
	s_delay_alu instid0(VALU_DEP_2) | instskip(SKIP_1) | instid1(VALU_DEP_4)
	v_bfi_b32 v2, v2, 0, v0
	v_lshrrev_b64 v[0:1], v8, v[0:1]
	v_bfi_b32 v3, v3, 0, 0
	s_delay_alu instid0(VALU_DEP_1) | instskip(NEXT) | instid1(VALU_DEP_3)
	v_cmp_eq_u64_e64 s13, v[2:3], v[12:13]
	v_mov_b64_e32 v[2:3], v[0:1]
	s_and_saveexec_b32 s77, s13
; %bb.15984:                            ;   in Loop: Header=BB6_14192 Depth=3
	v_bfe_u32 v2, v0, 21, 1
	v_mov_b32_e32 v3, v113
	s_delay_alu instid0(VALU_DEP_1) | instskip(NEXT) | instid1(VALU_DEP_1)
	v_add_nc_u64_e32 v[2:3], v[0:1], v[2:3]
	v_add_nc_u64_e32 v[2:3], -1, v[2:3]
; %bb.15985:                            ;   in Loop: Header=BB6_14192 Depth=3
	s_or_b32 exec_lo, exec_lo, s77
	v_add_nc_u32_e32 v1, 0xffffff81, v5
	v_lshrrev_b32_e32 v3, 23, v0
	s_mov_b32 s13, exec_lo
	s_delay_alu instid0(VALU_DEP_2) | instskip(NEXT) | instid1(VALU_DEP_1)
	v_cndmask_b32_e64 v1, v1, 0xffffff82, vcc_lo
	v_add3_u32 v5, v8, v1, v3
	v_and_b32_e32 v1, 0x1fffff, v2
                                        ; implicit-def: $vgpr2
	s_delay_alu instid0(VALU_DEP_1) | instskip(SKIP_1) | instid1(VALU_DEP_2)
	v_dual_add_nc_u32 v3, 14, v5 :: v_dual_add_nc_u32 v0, v1, v0
	v_mov_b32_e32 v1, v113
	v_cmpx_ne_u32_e32 0, v3
	s_xor_b32 s13, exec_lo, s13
; %bb.15986:                            ;   in Loop: Header=BB6_14192 Depth=3
	s_delay_alu instid0(VALU_DEP_2) | instskip(SKIP_1) | instid1(VALU_DEP_1)
	v_cmp_lt_u64_e32 vcc_lo, 0xffffff, v[0:1]
	v_add_nc_u32_e32 v2, 15, v5
	v_cndmask_b32_e32 v2, v3, v2, vcc_lo
	v_cndmask_b32_e64 v3, 0, 1, vcc_lo
	s_delay_alu instid0(VALU_DEP_1)
	v_lshrrev_b64 v[0:1], v3, v[0:1]
; %bb.15987:                            ;   in Loop: Header=BB6_14192 Depth=3
	s_and_not1_saveexec_b32 s13, s13
; %bb.15988:                            ;   in Loop: Header=BB6_14192 Depth=3
	s_delay_alu instid0(VALU_DEP_1)
	v_bfe_u32 v2, v0, 23, 1
; %bb.15989:                            ;   in Loop: Header=BB6_14192 Depth=3
	s_or_b32 exec_lo, exec_lo, s13
	s_delay_alu instid0(VALU_DEP_2) | instskip(NEXT) | instid1(VALU_DEP_2)
	v_lshrrev_b64 v[0:1], 21, v[0:1]
	v_cmp_gt_i32_e32 vcc_lo, 32, v2
	v_min_i32_e32 v3, 31, v2
	v_cmp_eq_u32_e64 s13, 0, v2
	s_delay_alu instid0(VALU_DEP_2) | instskip(SKIP_1) | instid1(VALU_DEP_2)
	v_dual_cndmask_b32 v1, 0, v1, vcc_lo :: v_dual_lshlrev_b32 v3, 2, v3
	v_cndmask_b32_e32 v0, 3, v0, vcc_lo
	v_and_b32_e32 v3, 0xfc, v3
	s_delay_alu instid0(VALU_DEP_2) | instskip(NEXT) | instid1(VALU_DEP_2)
	v_cmp_eq_u64_e32 vcc_lo, 0, v[0:1]
	v_and_or_b32 v0, v0, 3, v3
	s_and_b32 s13, s13, vcc_lo
	s_delay_alu instid0(VALU_DEP_1) | instid1(SALU_CYCLE_1)
	v_cndmask_b32_e64 v0, v0, 0, s13
	s_delay_alu instid0(VALU_DEP_1)
	v_or_b32_e32 v38, v0, v4
.LBB6_15990:                            ;   in Loop: Header=BB6_14192 Depth=3
	s_or_b32 exec_lo, exec_lo, s76
                                        ; implicit-def: $vgpr4
.LBB6_15991:                            ;   in Loop: Header=BB6_14192 Depth=3
	s_and_not1_saveexec_b32 s13, s75
; %bb.15992:                            ;   in Loop: Header=BB6_14192 Depth=3
	v_or_b32_e32 v38, 0x7b, v4
; %bb.15993:                            ;   in Loop: Header=BB6_14192 Depth=3
	s_or_b32 exec_lo, exec_lo, s13
                                        ; implicit-def: $vgpr2
                                        ; implicit-def: $vgpr0_vgpr1
                                        ; implicit-def: $vgpr3
.LBB6_15994:                            ;   in Loop: Header=BB6_14192 Depth=3
	s_and_not1_saveexec_b32 s13, s74
	s_cbranch_execz .LBB6_16000
; %bb.15995:                            ;   in Loop: Header=BB6_14192 Depth=3
	s_mov_b32 s74, exec_lo
                                        ; implicit-def: $vgpr38
	v_cmpx_ne_u64_e32 0, v[0:1]
	s_xor_b32 s74, exec_lo, s74
; %bb.15996:                            ;   in Loop: Header=BB6_14192 Depth=3
	v_or_b32_e32 v38, 0x7f, v3
                                        ; implicit-def: $vgpr2
; %bb.15997:                            ;   in Loop: Header=BB6_14192 Depth=3
	s_and_not1_saveexec_b32 s74, s74
; %bb.15998:                            ;   in Loop: Header=BB6_14192 Depth=3
	v_cmp_lt_i32_e32 vcc_lo, -1, v2
	v_mov_b32_e32 v0, 0x7c
	s_delay_alu instid0(VALU_DEP_1)
	v_cndmask_b32_e32 v38, 0xfc, v0, vcc_lo
; %bb.15999:                            ;   in Loop: Header=BB6_14192 Depth=3
	s_or_b32 exec_lo, exec_lo, s74
.LBB6_16000:                            ;   in Loop: Header=BB6_14192 Depth=3
	s_delay_alu instid0(SALU_CYCLE_1) | instskip(SKIP_4) | instid1(VALU_DEP_3)
	s_or_b32 exec_lo, exec_lo, s13
	v_and_b32_e32 v3, 0xff, v11
	v_dual_mov_b32 v0, v11 :: v_dual_mov_b32 v1, v113
	v_mov_b32_e32 v2, 0
	s_mov_b32 s74, exec_lo
	v_cmpx_ne_u16_e32 0, v3
	s_cbranch_execz .LBB6_16010
; %bb.16001:                            ;   in Loop: Header=BB6_14192 Depth=3
	v_bfrev_b32_e32 v2, 1
	s_mov_b32 s75, exec_lo
	v_cmpx_ne_u16_e32 0x80, v3
	s_cbranch_execz .LBB6_16009
; %bb.16002:                            ;   in Loop: Header=BB6_14192 Depth=3
	v_and_b32_e32 v2, 0x7c, v11
	v_and_b32_e32 v3, 3, v11
	s_delay_alu instid0(VALU_DEP_2) | instskip(SKIP_1) | instid1(SALU_CYCLE_1)
	v_cmp_ne_u32_e32 vcc_lo, 0x7c, v2
                                        ; implicit-def: $vgpr2
	s_and_saveexec_b32 s13, vcc_lo
	s_xor_b32 s13, exec_lo, s13
	s_cbranch_execz .LBB6_16006
; %bb.16003:                            ;   in Loop: Header=BB6_14192 Depth=3
	v_bfe_u32 v2, v11, 2, 5
	s_mov_b32 s76, exec_lo
	s_delay_alu instid0(VALU_DEP_1)
	v_cmpx_eq_u32_e32 0, v2
; %bb.16004:                            ;   in Loop: Header=BB6_14192 Depth=3
	v_clz_i32_u32_e32 v2, v3
	s_delay_alu instid0(VALU_DEP_1) | instskip(NEXT) | instid1(VALU_DEP_1)
	v_min_u32_e32 v2, 32, v2
	v_subrev_nc_u32_e32 v3, 29, v2
	s_delay_alu instid0(VALU_DEP_1) | instskip(NEXT) | instid1(VALU_DEP_1)
	v_lshlrev_b64_e32 v[4:5], v3, v[0:1]
	v_dual_sub_nc_u32 v2, 30, v2 :: v_dual_bitop2_b32 v3, 3, v4 bitop3:0x40
; %bb.16005:                            ;   in Loop: Header=BB6_14192 Depth=3
	s_or_b32 exec_lo, exec_lo, s76
	v_lshlrev_b32_e32 v1, 24, v11
	s_delay_alu instid0(VALU_DEP_1) | instskip(NEXT) | instid1(VALU_DEP_1)
	v_and_b32_e32 v1, 0x80000000, v1
	v_lshl_add_u32 v1, v2, 23, v1
	s_delay_alu instid0(VALU_DEP_1) | instskip(NEXT) | instid1(VALU_DEP_1)
	v_lshl_or_b32 v1, v3, 21, v1
                                        ; implicit-def: $vgpr3
	v_add_nc_u32_e32 v2, 0x38000000, v1
.LBB6_16006:                            ;   in Loop: Header=BB6_14192 Depth=3
	s_and_not1_saveexec_b32 s76, s13
; %bb.16007:                            ;   in Loop: Header=BB6_14192 Depth=3
	v_bfe_i32 v1, v11, 0, 8
	v_cmp_eq_u32_e32 vcc_lo, 0, v3
	s_delay_alu instid0(VALU_DEP_2) | instskip(SKIP_1) | instid1(VALU_DEP_1)
	v_cmp_lt_i16_e64 s13, -1, v1
	v_mov_b32_e32 v1, 0x7f800000
	v_cndmask_b32_e64 v1, 0xff800000, v1, s13
	s_delay_alu instid0(VALU_DEP_1)
	v_cndmask_b32_e32 v2, 0x7f800001, v1, vcc_lo
; %bb.16008:                            ;   in Loop: Header=BB6_14192 Depth=3
	s_or_b32 exec_lo, exec_lo, s76
.LBB6_16009:                            ;   in Loop: Header=BB6_14192 Depth=3
	s_delay_alu instid0(SALU_CYCLE_1)
	s_or_b32 exec_lo, exec_lo, s75
.LBB6_16010:                            ;   in Loop: Header=BB6_14192 Depth=3
	s_delay_alu instid0(SALU_CYCLE_1) | instskip(NEXT) | instid1(VALU_DEP_1)
	s_or_b32 exec_lo, exec_lo, s74
	v_dual_mul_f32 v4, s73, v2 :: v_dual_mov_b32 v9, v113
	v_mov_b32_e32 v3, v113
                                        ; implicit-def: $vgpr25
	s_mov_b32 s13, exec_lo
	s_delay_alu instid0(VALU_DEP_2) | instskip(SKIP_2) | instid1(VALU_DEP_3)
	v_and_b32_e32 v8, 0x7f800000, v4
	v_and_b32_e32 v2, 0x7fffff, v4
	v_lshrrev_b32_e32 v1, 24, v4
	v_cmpx_ne_u64_e32 0x7f800000, v[8:9]
	s_xor_b32 s74, exec_lo, s13
	s_cbranch_execz .LBB6_16024
; %bb.16011:                            ;   in Loop: Header=BB6_14192 Depth=3
	v_and_b32_e32 v8, 0x7fffffff, v4
	v_mov_b32_e32 v9, v113
	v_and_b32_e32 v1, 0x80, v1
                                        ; implicit-def: $vgpr25
	s_mov_b32 s13, exec_lo
	s_delay_alu instid0(VALU_DEP_2)
	v_cmpx_gt_u64_e32 0x47600001, v[8:9]
	s_xor_b32 s75, exec_lo, s13
	s_cbranch_execz .LBB6_16021
; %bb.16012:                            ;   in Loop: Header=BB6_14192 Depth=3
	v_mov_b32_e32 v25, 0
	s_mov_b32 s76, exec_lo
	v_cmpx_ne_u32_e32 0, v4
	s_cbranch_execz .LBB6_16020
; %bb.16013:                            ;   in Loop: Header=BB6_14192 Depth=3
	v_bfe_u32 v8, v4, 23, 8
	v_or_b32_e32 v5, 0x800000, v2
	s_delay_alu instid0(VALU_DEP_2) | instskip(SKIP_2) | instid1(VALU_DEP_2)
	v_cmp_gt_u32_e64 s13, 0x72, v8
	v_sub_nc_u32_e32 v4, 0x71, v8
	v_cmp_eq_u32_e32 vcc_lo, 0, v8
	v_dual_cndmask_b32 v4, 0, v4, s13 :: v_dual_cndmask_b32 v2, v5, v2, vcc_lo
	s_delay_alu instid0(VALU_DEP_1) | instskip(NEXT) | instid1(VALU_DEP_1)
	v_cndmask_b32_e64 v9, v4, 0x70, vcc_lo
	v_dual_add_nc_u32 v4, 21, v9 :: v_dual_add_nc_u32 v12, 20, v9
	s_delay_alu instid0(VALU_DEP_1) | instskip(NEXT) | instid1(VALU_DEP_2)
	v_lshlrev_b64_e64 v[4:5], v4, -1
	v_lshlrev_b64_e64 v[12:13], v12, 1
	s_delay_alu instid0(VALU_DEP_2) | instskip(SKIP_1) | instid1(VALU_DEP_4)
	v_bfi_b32 v4, v4, 0, v2
	v_lshrrev_b64 v[2:3], v9, v[2:3]
	v_bfi_b32 v5, v5, 0, 0
	s_delay_alu instid0(VALU_DEP_1) | instskip(NEXT) | instid1(VALU_DEP_3)
	v_cmp_eq_u64_e64 s13, v[4:5], v[12:13]
	v_mov_b64_e32 v[4:5], v[2:3]
	s_and_saveexec_b32 s77, s13
; %bb.16014:                            ;   in Loop: Header=BB6_14192 Depth=3
	v_bfe_u32 v4, v2, 21, 1
	v_mov_b32_e32 v5, v113
	s_delay_alu instid0(VALU_DEP_1) | instskip(NEXT) | instid1(VALU_DEP_1)
	v_add_nc_u64_e32 v[4:5], v[2:3], v[4:5]
	v_add_nc_u64_e32 v[4:5], -1, v[4:5]
; %bb.16015:                            ;   in Loop: Header=BB6_14192 Depth=3
	s_or_b32 exec_lo, exec_lo, s77
	v_add_nc_u32_e32 v3, 0xffffff81, v8
	v_lshrrev_b32_e32 v5, 23, v2
	s_mov_b32 s13, exec_lo
	s_delay_alu instid0(VALU_DEP_2) | instskip(NEXT) | instid1(VALU_DEP_1)
	v_cndmask_b32_e64 v3, v3, 0xffffff82, vcc_lo
	v_add3_u32 v8, v9, v3, v5
	v_and_b32_e32 v3, 0x1fffff, v4
                                        ; implicit-def: $vgpr4
	s_delay_alu instid0(VALU_DEP_1) | instskip(SKIP_1) | instid1(VALU_DEP_2)
	v_dual_add_nc_u32 v5, 14, v8 :: v_dual_add_nc_u32 v2, v3, v2
	v_mov_b32_e32 v3, v113
	v_cmpx_ne_u32_e32 0, v5
	s_xor_b32 s13, exec_lo, s13
; %bb.16016:                            ;   in Loop: Header=BB6_14192 Depth=3
	s_delay_alu instid0(VALU_DEP_2) | instskip(SKIP_1) | instid1(VALU_DEP_1)
	v_cmp_lt_u64_e32 vcc_lo, 0xffffff, v[2:3]
	v_add_nc_u32_e32 v4, 15, v8
	v_cndmask_b32_e32 v4, v5, v4, vcc_lo
	v_cndmask_b32_e64 v5, 0, 1, vcc_lo
	s_delay_alu instid0(VALU_DEP_1)
	v_lshrrev_b64 v[2:3], v5, v[2:3]
; %bb.16017:                            ;   in Loop: Header=BB6_14192 Depth=3
	s_and_not1_saveexec_b32 s13, s13
; %bb.16018:                            ;   in Loop: Header=BB6_14192 Depth=3
	s_delay_alu instid0(VALU_DEP_1)
	v_bfe_u32 v4, v2, 23, 1
; %bb.16019:                            ;   in Loop: Header=BB6_14192 Depth=3
	s_or_b32 exec_lo, exec_lo, s13
	s_delay_alu instid0(VALU_DEP_2) | instskip(NEXT) | instid1(VALU_DEP_2)
	v_lshrrev_b64 v[2:3], 21, v[2:3]
	v_cmp_gt_i32_e32 vcc_lo, 32, v4
	v_min_i32_e32 v5, 31, v4
	v_cmp_eq_u32_e64 s13, 0, v4
	s_delay_alu instid0(VALU_DEP_2) | instskip(SKIP_1) | instid1(VALU_DEP_2)
	v_dual_cndmask_b32 v3, 0, v3, vcc_lo :: v_dual_lshlrev_b32 v5, 2, v5
	v_cndmask_b32_e32 v2, 3, v2, vcc_lo
	v_and_b32_e32 v5, 0xfc, v5
	s_delay_alu instid0(VALU_DEP_2) | instskip(NEXT) | instid1(VALU_DEP_2)
	v_cmp_eq_u64_e32 vcc_lo, 0, v[2:3]
	v_and_or_b32 v2, v2, 3, v5
	s_and_b32 s13, s13, vcc_lo
	s_delay_alu instid0(VALU_DEP_1) | instid1(SALU_CYCLE_1)
	v_cndmask_b32_e64 v2, v2, 0, s13
	s_delay_alu instid0(VALU_DEP_1)
	v_or_b32_e32 v25, v2, v1
.LBB6_16020:                            ;   in Loop: Header=BB6_14192 Depth=3
	s_or_b32 exec_lo, exec_lo, s76
                                        ; implicit-def: $vgpr1
.LBB6_16021:                            ;   in Loop: Header=BB6_14192 Depth=3
	s_and_not1_saveexec_b32 s13, s75
; %bb.16022:                            ;   in Loop: Header=BB6_14192 Depth=3
	v_or_b32_e32 v25, 0x7b, v1
; %bb.16023:                            ;   in Loop: Header=BB6_14192 Depth=3
	s_or_b32 exec_lo, exec_lo, s13
                                        ; implicit-def: $vgpr4
                                        ; implicit-def: $vgpr2_vgpr3
                                        ; implicit-def: $vgpr1
.LBB6_16024:                            ;   in Loop: Header=BB6_14192 Depth=3
	s_and_not1_saveexec_b32 s13, s74
	s_cbranch_execz .LBB6_16030
; %bb.16025:                            ;   in Loop: Header=BB6_14192 Depth=3
	s_mov_b32 s74, exec_lo
                                        ; implicit-def: $vgpr25
	v_cmpx_ne_u64_e32 0, v[2:3]
	s_xor_b32 s74, exec_lo, s74
; %bb.16026:                            ;   in Loop: Header=BB6_14192 Depth=3
	v_or_b32_e32 v25, 0x7f, v1
                                        ; implicit-def: $vgpr4
; %bb.16027:                            ;   in Loop: Header=BB6_14192 Depth=3
	s_and_not1_saveexec_b32 s74, s74
; %bb.16028:                            ;   in Loop: Header=BB6_14192 Depth=3
	v_cmp_lt_i32_e32 vcc_lo, -1, v4
	v_mov_b32_e32 v1, 0x7c
	s_delay_alu instid0(VALU_DEP_1)
	v_cndmask_b32_e32 v25, 0xfc, v1, vcc_lo
; %bb.16029:                            ;   in Loop: Header=BB6_14192 Depth=3
	s_or_b32 exec_lo, exec_lo, s74
.LBB6_16030:                            ;   in Loop: Header=BB6_14192 Depth=3
	s_delay_alu instid0(SALU_CYCLE_1) | instskip(SKIP_3) | instid1(VALU_DEP_2)
	s_or_b32 exec_lo, exec_lo, s13
	v_lshrrev_b16 v2, 8, v0
	v_mov_b32_e32 v3, 0
	s_mov_b32 s74, exec_lo
	v_cmpx_ne_u16_e32 0, v2
	s_cbranch_execz .LBB6_16040
; %bb.16031:                            ;   in Loop: Header=BB6_14192 Depth=3
	v_bfrev_b32_e32 v3, 1
	s_mov_b32 s75, exec_lo
	v_cmpx_ne_u16_e32 0x80, v2
	s_cbranch_execz .LBB6_16039
; %bb.16032:                            ;   in Loop: Header=BB6_14192 Depth=3
	v_and_b32_e32 v1, 0xffff, v2
	s_delay_alu instid0(VALU_DEP_1) | instskip(SKIP_1) | instid1(VALU_DEP_2)
	v_and_b32_e32 v3, 0x7c, v1
	v_and_b32_e32 v4, 3, v1
	v_cmp_ne_u32_e32 vcc_lo, 0x7c, v3
                                        ; implicit-def: $vgpr3
	s_and_saveexec_b32 s13, vcc_lo
	s_delay_alu instid0(SALU_CYCLE_1)
	s_xor_b32 s13, exec_lo, s13
	s_cbranch_execz .LBB6_16036
; %bb.16033:                            ;   in Loop: Header=BB6_14192 Depth=3
	v_bfe_u32 v1, v1, 2, 5
	s_mov_b32 s76, exec_lo
	s_delay_alu instid0(VALU_DEP_1)
	v_cmpx_eq_u32_e32 0, v1
	s_cbranch_execz .LBB6_16035
; %bb.16034:                            ;   in Loop: Header=BB6_14192 Depth=3
	v_clz_i32_u32_e32 v1, v4
	s_delay_alu instid0(VALU_DEP_1) | instskip(SKIP_1) | instid1(VALU_DEP_2)
	v_min_u32_e32 v1, 32, v1
	v_mov_b32_e32 v3, v113
	v_subrev_nc_u32_e32 v4, 29, v1
	v_sub_nc_u32_e32 v1, 30, v1
	s_delay_alu instid0(VALU_DEP_2) | instskip(NEXT) | instid1(VALU_DEP_1)
	v_lshlrev_b64_e32 v[2:3], v4, v[2:3]
	v_and_b32_e32 v4, 3, v2
.LBB6_16035:                            ;   in Loop: Header=BB6_14192 Depth=3
	s_or_b32 exec_lo, exec_lo, s76
	v_lshlrev_b32_e32 v0, 16, v0
	s_delay_alu instid0(VALU_DEP_1) | instskip(NEXT) | instid1(VALU_DEP_1)
	v_and_b32_e32 v0, 0x80000000, v0
	v_lshl_add_u32 v0, v1, 23, v0
	s_delay_alu instid0(VALU_DEP_1) | instskip(NEXT) | instid1(VALU_DEP_1)
	v_lshl_or_b32 v0, v4, 21, v0
                                        ; implicit-def: $vgpr4
	v_add_nc_u32_e32 v3, 0x38000000, v0
                                        ; implicit-def: $vgpr0_vgpr1
.LBB6_16036:                            ;   in Loop: Header=BB6_14192 Depth=3
	s_and_not1_saveexec_b32 s76, s13
; %bb.16037:                            ;   in Loop: Header=BB6_14192 Depth=3
	v_cmp_lt_i16_e64 s13, -1, v0
	v_mov_b32_e32 v0, 0x7f800000
	v_cmp_eq_u32_e32 vcc_lo, 0, v4
	s_delay_alu instid0(VALU_DEP_2) | instskip(NEXT) | instid1(VALU_DEP_1)
	v_cndmask_b32_e64 v0, 0xff800000, v0, s13
	v_cndmask_b32_e32 v3, 0x7f800001, v0, vcc_lo
; %bb.16038:                            ;   in Loop: Header=BB6_14192 Depth=3
	s_or_b32 exec_lo, exec_lo, s76
.LBB6_16039:                            ;   in Loop: Header=BB6_14192 Depth=3
	s_delay_alu instid0(SALU_CYCLE_1)
	s_or_b32 exec_lo, exec_lo, s75
.LBB6_16040:                            ;   in Loop: Header=BB6_14192 Depth=3
	s_delay_alu instid0(SALU_CYCLE_1) | instskip(NEXT) | instid1(VALU_DEP_1)
	s_or_b32 exec_lo, exec_lo, s74
	v_dual_mul_f32 v2, s73, v3 :: v_dual_mov_b32 v5, v113
	v_mov_b32_e32 v1, v113
                                        ; implicit-def: $vgpr28
	s_mov_b32 s13, exec_lo
	s_delay_alu instid0(VALU_DEP_2) | instskip(SKIP_2) | instid1(VALU_DEP_3)
	v_and_b32_e32 v4, 0x7f800000, v2
	v_and_b32_e32 v0, 0x7fffff, v2
	v_lshrrev_b32_e32 v3, 24, v2
	v_cmpx_ne_u64_e32 0x7f800000, v[4:5]
	s_xor_b32 s74, exec_lo, s13
	s_cbranch_execz .LBB6_16054
; %bb.16041:                            ;   in Loop: Header=BB6_14192 Depth=3
	v_and_b32_e32 v4, 0x7fffffff, v2
	v_mov_b32_e32 v5, v113
                                        ; implicit-def: $vgpr28
	s_delay_alu instid0(VALU_DEP_1) | instskip(SKIP_2) | instid1(SALU_CYCLE_1)
	v_cmp_gt_u64_e32 vcc_lo, 0x47600001, v[4:5]
	v_and_b32_e32 v4, 0x80, v3
	s_and_saveexec_b32 s13, vcc_lo
	s_xor_b32 s75, exec_lo, s13
	s_cbranch_execz .LBB6_16051
; %bb.16042:                            ;   in Loop: Header=BB6_14192 Depth=3
	v_mov_b32_e32 v28, 0
	s_mov_b32 s76, exec_lo
	v_cmpx_ne_u32_e32 0, v2
	s_cbranch_execz .LBB6_16050
; %bb.16043:                            ;   in Loop: Header=BB6_14192 Depth=3
	v_bfe_u32 v5, v2, 23, 8
	v_or_b32_e32 v3, 0x800000, v0
	s_delay_alu instid0(VALU_DEP_2) | instskip(SKIP_2) | instid1(VALU_DEP_2)
	v_cmp_gt_u32_e64 s13, 0x72, v5
	v_sub_nc_u32_e32 v2, 0x71, v5
	v_cmp_eq_u32_e32 vcc_lo, 0, v5
	v_dual_cndmask_b32 v2, 0, v2, s13 :: v_dual_cndmask_b32 v0, v3, v0, vcc_lo
	s_delay_alu instid0(VALU_DEP_1) | instskip(NEXT) | instid1(VALU_DEP_1)
	v_cndmask_b32_e64 v8, v2, 0x70, vcc_lo
	v_dual_add_nc_u32 v2, 21, v8 :: v_dual_add_nc_u32 v9, 20, v8
	s_delay_alu instid0(VALU_DEP_1) | instskip(NEXT) | instid1(VALU_DEP_2)
	v_lshlrev_b64_e64 v[2:3], v2, -1
	v_lshlrev_b64_e64 v[12:13], v9, 1
	s_delay_alu instid0(VALU_DEP_2) | instskip(SKIP_1) | instid1(VALU_DEP_4)
	v_bfi_b32 v2, v2, 0, v0
	v_lshrrev_b64 v[0:1], v8, v[0:1]
	v_bfi_b32 v3, v3, 0, 0
	s_delay_alu instid0(VALU_DEP_1) | instskip(NEXT) | instid1(VALU_DEP_3)
	v_cmp_eq_u64_e64 s13, v[2:3], v[12:13]
	v_mov_b64_e32 v[2:3], v[0:1]
	s_and_saveexec_b32 s77, s13
; %bb.16044:                            ;   in Loop: Header=BB6_14192 Depth=3
	v_bfe_u32 v2, v0, 21, 1
	v_mov_b32_e32 v3, v113
	s_delay_alu instid0(VALU_DEP_1) | instskip(NEXT) | instid1(VALU_DEP_1)
	v_add_nc_u64_e32 v[2:3], v[0:1], v[2:3]
	v_add_nc_u64_e32 v[2:3], -1, v[2:3]
; %bb.16045:                            ;   in Loop: Header=BB6_14192 Depth=3
	s_or_b32 exec_lo, exec_lo, s77
	v_add_nc_u32_e32 v1, 0xffffff81, v5
	v_lshrrev_b32_e32 v3, 23, v0
	s_mov_b32 s13, exec_lo
	s_delay_alu instid0(VALU_DEP_2) | instskip(NEXT) | instid1(VALU_DEP_1)
	v_cndmask_b32_e64 v1, v1, 0xffffff82, vcc_lo
	v_add3_u32 v5, v8, v1, v3
	v_and_b32_e32 v1, 0x1fffff, v2
                                        ; implicit-def: $vgpr2
	s_delay_alu instid0(VALU_DEP_1) | instskip(SKIP_1) | instid1(VALU_DEP_2)
	v_dual_add_nc_u32 v3, 14, v5 :: v_dual_add_nc_u32 v0, v1, v0
	v_mov_b32_e32 v1, v113
	v_cmpx_ne_u32_e32 0, v3
	s_xor_b32 s13, exec_lo, s13
; %bb.16046:                            ;   in Loop: Header=BB6_14192 Depth=3
	s_delay_alu instid0(VALU_DEP_2) | instskip(SKIP_1) | instid1(VALU_DEP_1)
	v_cmp_lt_u64_e32 vcc_lo, 0xffffff, v[0:1]
	v_add_nc_u32_e32 v2, 15, v5
	v_cndmask_b32_e32 v2, v3, v2, vcc_lo
	v_cndmask_b32_e64 v3, 0, 1, vcc_lo
	s_delay_alu instid0(VALU_DEP_1)
	v_lshrrev_b64 v[0:1], v3, v[0:1]
; %bb.16047:                            ;   in Loop: Header=BB6_14192 Depth=3
	s_and_not1_saveexec_b32 s13, s13
; %bb.16048:                            ;   in Loop: Header=BB6_14192 Depth=3
	s_delay_alu instid0(VALU_DEP_1)
	v_bfe_u32 v2, v0, 23, 1
; %bb.16049:                            ;   in Loop: Header=BB6_14192 Depth=3
	s_or_b32 exec_lo, exec_lo, s13
	s_delay_alu instid0(VALU_DEP_2) | instskip(NEXT) | instid1(VALU_DEP_2)
	v_lshrrev_b64 v[0:1], 21, v[0:1]
	v_cmp_gt_i32_e32 vcc_lo, 32, v2
	v_min_i32_e32 v3, 31, v2
	v_cmp_eq_u32_e64 s13, 0, v2
	s_delay_alu instid0(VALU_DEP_2) | instskip(SKIP_1) | instid1(VALU_DEP_2)
	v_dual_cndmask_b32 v1, 0, v1, vcc_lo :: v_dual_lshlrev_b32 v3, 2, v3
	v_cndmask_b32_e32 v0, 3, v0, vcc_lo
	v_and_b32_e32 v3, 0xfc, v3
	s_delay_alu instid0(VALU_DEP_2) | instskip(NEXT) | instid1(VALU_DEP_2)
	v_cmp_eq_u64_e32 vcc_lo, 0, v[0:1]
	v_and_or_b32 v0, v0, 3, v3
	s_and_b32 s13, s13, vcc_lo
	s_delay_alu instid0(VALU_DEP_1) | instid1(SALU_CYCLE_1)
	v_cndmask_b32_e64 v0, v0, 0, s13
	s_delay_alu instid0(VALU_DEP_1)
	v_or_b32_e32 v28, v0, v4
.LBB6_16050:                            ;   in Loop: Header=BB6_14192 Depth=3
	s_or_b32 exec_lo, exec_lo, s76
                                        ; implicit-def: $vgpr4
.LBB6_16051:                            ;   in Loop: Header=BB6_14192 Depth=3
	s_and_not1_saveexec_b32 s13, s75
; %bb.16052:                            ;   in Loop: Header=BB6_14192 Depth=3
	v_or_b32_e32 v28, 0x7b, v4
; %bb.16053:                            ;   in Loop: Header=BB6_14192 Depth=3
	s_or_b32 exec_lo, exec_lo, s13
                                        ; implicit-def: $vgpr2
                                        ; implicit-def: $vgpr0_vgpr1
                                        ; implicit-def: $vgpr3
.LBB6_16054:                            ;   in Loop: Header=BB6_14192 Depth=3
	s_and_not1_saveexec_b32 s13, s74
	s_cbranch_execz .LBB6_16060
; %bb.16055:                            ;   in Loop: Header=BB6_14192 Depth=3
	s_mov_b32 s74, exec_lo
                                        ; implicit-def: $vgpr28
	v_cmpx_ne_u64_e32 0, v[0:1]
	s_xor_b32 s74, exec_lo, s74
; %bb.16056:                            ;   in Loop: Header=BB6_14192 Depth=3
	v_or_b32_e32 v28, 0x7f, v3
                                        ; implicit-def: $vgpr2
; %bb.16057:                            ;   in Loop: Header=BB6_14192 Depth=3
	s_and_not1_saveexec_b32 s74, s74
; %bb.16058:                            ;   in Loop: Header=BB6_14192 Depth=3
	v_cmp_lt_i32_e32 vcc_lo, -1, v2
	v_mov_b32_e32 v0, 0x7c
	s_delay_alu instid0(VALU_DEP_1)
	v_cndmask_b32_e32 v28, 0xfc, v0, vcc_lo
; %bb.16059:                            ;   in Loop: Header=BB6_14192 Depth=3
	s_or_b32 exec_lo, exec_lo, s74
.LBB6_16060:                            ;   in Loop: Header=BB6_14192 Depth=3
	s_delay_alu instid0(SALU_CYCLE_1) | instskip(SKIP_2) | instid1(VALU_DEP_1)
	s_or_b32 exec_lo, exec_lo, s13
	v_dual_mov_b32 v1, 0 :: v_dual_lshrrev_b32 v0, 16, v11
	s_mov_b32 s74, exec_lo
	v_and_b32_e32 v2, 0xff, v0
	s_delay_alu instid0(VALU_DEP_1)
	v_cmpx_ne_u16_e32 0, v2
	s_cbranch_execz .LBB6_16070
; %bb.16061:                            ;   in Loop: Header=BB6_14192 Depth=3
	v_bfrev_b32_e32 v1, 1
	s_mov_b32 s75, exec_lo
	v_cmpx_ne_u16_e32 0x80, v2
	s_cbranch_execz .LBB6_16069
; %bb.16062:                            ;   in Loop: Header=BB6_14192 Depth=3
	v_and_b32_e32 v1, 0x7c0000, v11
	v_bfe_u32 v2, v11, 16, 2
	s_delay_alu instid0(VALU_DEP_2) | instskip(SKIP_1) | instid1(SALU_CYCLE_1)
	v_cmp_ne_u32_e32 vcc_lo, 0x7c0000, v1
                                        ; implicit-def: $vgpr1
	s_and_saveexec_b32 s13, vcc_lo
	s_xor_b32 s13, exec_lo, s13
	s_cbranch_execz .LBB6_16066
; %bb.16063:                            ;   in Loop: Header=BB6_14192 Depth=3
	v_bfe_u32 v1, v11, 18, 5
	s_mov_b32 s76, exec_lo
	s_delay_alu instid0(VALU_DEP_1)
	v_cmpx_eq_u32_e32 0, v1
; %bb.16064:                            ;   in Loop: Header=BB6_14192 Depth=3
	v_clz_i32_u32_e32 v1, v2
	s_delay_alu instid0(VALU_DEP_1) | instskip(NEXT) | instid1(VALU_DEP_1)
	v_min_u32_e32 v1, 32, v1
	v_subrev_nc_u32_e32 v2, 29, v1
	s_delay_alu instid0(VALU_DEP_1) | instskip(NEXT) | instid1(VALU_DEP_1)
	v_lshlrev_b64_e32 v[2:3], v2, v[0:1]
	v_dual_sub_nc_u32 v1, 30, v1 :: v_dual_bitop2_b32 v2, 3, v2 bitop3:0x40
; %bb.16065:                            ;   in Loop: Header=BB6_14192 Depth=3
	s_or_b32 exec_lo, exec_lo, s76
	v_lshlrev_b32_e32 v0, 24, v0
	s_delay_alu instid0(VALU_DEP_1) | instskip(NEXT) | instid1(VALU_DEP_1)
	v_and_b32_e32 v0, 0x80000000, v0
	v_lshl_add_u32 v0, v1, 23, v0
	s_delay_alu instid0(VALU_DEP_1) | instskip(NEXT) | instid1(VALU_DEP_1)
	v_lshl_or_b32 v0, v2, 21, v0
                                        ; implicit-def: $vgpr2
	v_add_nc_u32_e32 v1, 0x38000000, v0
                                        ; implicit-def: $vgpr0
.LBB6_16066:                            ;   in Loop: Header=BB6_14192 Depth=3
	s_and_not1_saveexec_b32 s76, s13
; %bb.16067:                            ;   in Loop: Header=BB6_14192 Depth=3
	v_bfe_i32 v0, v0, 0, 8
	v_cmp_eq_u32_e32 vcc_lo, 0, v2
	s_delay_alu instid0(VALU_DEP_2) | instskip(SKIP_1) | instid1(VALU_DEP_1)
	v_cmp_lt_i16_e64 s13, -1, v0
	v_mov_b32_e32 v0, 0x7f800000
	v_cndmask_b32_e64 v0, 0xff800000, v0, s13
	s_delay_alu instid0(VALU_DEP_1)
	v_cndmask_b32_e32 v1, 0x7f800001, v0, vcc_lo
; %bb.16068:                            ;   in Loop: Header=BB6_14192 Depth=3
	s_or_b32 exec_lo, exec_lo, s76
.LBB6_16069:                            ;   in Loop: Header=BB6_14192 Depth=3
	s_delay_alu instid0(SALU_CYCLE_1)
	s_or_b32 exec_lo, exec_lo, s75
.LBB6_16070:                            ;   in Loop: Header=BB6_14192 Depth=3
	s_delay_alu instid0(SALU_CYCLE_1) | instskip(NEXT) | instid1(VALU_DEP_1)
	s_or_b32 exec_lo, exec_lo, s74
	v_dual_mul_f32 v2, s73, v1 :: v_dual_mov_b32 v5, v113
	v_mov_b32_e32 v1, v113
                                        ; implicit-def: $vgpr31
	s_mov_b32 s13, exec_lo
	s_delay_alu instid0(VALU_DEP_2) | instskip(SKIP_2) | instid1(VALU_DEP_3)
	v_and_b32_e32 v4, 0x7f800000, v2
	v_and_b32_e32 v0, 0x7fffff, v2
	v_lshrrev_b32_e32 v3, 24, v2
	v_cmpx_ne_u64_e32 0x7f800000, v[4:5]
	s_xor_b32 s74, exec_lo, s13
	s_cbranch_execz .LBB6_16084
; %bb.16071:                            ;   in Loop: Header=BB6_14192 Depth=3
	v_and_b32_e32 v4, 0x7fffffff, v2
	v_mov_b32_e32 v5, v113
                                        ; implicit-def: $vgpr31
	s_delay_alu instid0(VALU_DEP_1) | instskip(SKIP_2) | instid1(SALU_CYCLE_1)
	v_cmp_gt_u64_e32 vcc_lo, 0x47600001, v[4:5]
	v_and_b32_e32 v4, 0x80, v3
	s_and_saveexec_b32 s13, vcc_lo
	s_xor_b32 s75, exec_lo, s13
	s_cbranch_execz .LBB6_16081
; %bb.16072:                            ;   in Loop: Header=BB6_14192 Depth=3
	v_mov_b32_e32 v31, 0
	s_mov_b32 s76, exec_lo
	v_cmpx_ne_u32_e32 0, v2
	s_cbranch_execz .LBB6_16080
; %bb.16073:                            ;   in Loop: Header=BB6_14192 Depth=3
	v_bfe_u32 v5, v2, 23, 8
	v_or_b32_e32 v3, 0x800000, v0
	s_delay_alu instid0(VALU_DEP_2) | instskip(SKIP_2) | instid1(VALU_DEP_2)
	v_cmp_gt_u32_e64 s13, 0x72, v5
	v_sub_nc_u32_e32 v2, 0x71, v5
	v_cmp_eq_u32_e32 vcc_lo, 0, v5
	v_dual_cndmask_b32 v2, 0, v2, s13 :: v_dual_cndmask_b32 v0, v3, v0, vcc_lo
	s_delay_alu instid0(VALU_DEP_1) | instskip(NEXT) | instid1(VALU_DEP_1)
	v_cndmask_b32_e64 v8, v2, 0x70, vcc_lo
	v_dual_add_nc_u32 v2, 21, v8 :: v_dual_add_nc_u32 v9, 20, v8
	s_delay_alu instid0(VALU_DEP_1) | instskip(NEXT) | instid1(VALU_DEP_2)
	v_lshlrev_b64_e64 v[2:3], v2, -1
	v_lshlrev_b64_e64 v[12:13], v9, 1
	s_delay_alu instid0(VALU_DEP_2) | instskip(SKIP_1) | instid1(VALU_DEP_4)
	v_bfi_b32 v2, v2, 0, v0
	v_lshrrev_b64 v[0:1], v8, v[0:1]
	v_bfi_b32 v3, v3, 0, 0
	s_delay_alu instid0(VALU_DEP_1) | instskip(NEXT) | instid1(VALU_DEP_3)
	v_cmp_eq_u64_e64 s13, v[2:3], v[12:13]
	v_mov_b64_e32 v[2:3], v[0:1]
	s_and_saveexec_b32 s77, s13
; %bb.16074:                            ;   in Loop: Header=BB6_14192 Depth=3
	v_bfe_u32 v2, v0, 21, 1
	v_mov_b32_e32 v3, v113
	s_delay_alu instid0(VALU_DEP_1) | instskip(NEXT) | instid1(VALU_DEP_1)
	v_add_nc_u64_e32 v[2:3], v[0:1], v[2:3]
	v_add_nc_u64_e32 v[2:3], -1, v[2:3]
; %bb.16075:                            ;   in Loop: Header=BB6_14192 Depth=3
	s_or_b32 exec_lo, exec_lo, s77
	v_add_nc_u32_e32 v1, 0xffffff81, v5
	v_lshrrev_b32_e32 v3, 23, v0
	s_mov_b32 s13, exec_lo
	s_delay_alu instid0(VALU_DEP_2) | instskip(NEXT) | instid1(VALU_DEP_1)
	v_cndmask_b32_e64 v1, v1, 0xffffff82, vcc_lo
	v_add3_u32 v5, v8, v1, v3
	v_and_b32_e32 v1, 0x1fffff, v2
                                        ; implicit-def: $vgpr2
	s_delay_alu instid0(VALU_DEP_1) | instskip(SKIP_1) | instid1(VALU_DEP_2)
	v_dual_add_nc_u32 v3, 14, v5 :: v_dual_add_nc_u32 v0, v1, v0
	v_mov_b32_e32 v1, v113
	v_cmpx_ne_u32_e32 0, v3
	s_xor_b32 s13, exec_lo, s13
; %bb.16076:                            ;   in Loop: Header=BB6_14192 Depth=3
	s_delay_alu instid0(VALU_DEP_2) | instskip(SKIP_1) | instid1(VALU_DEP_1)
	v_cmp_lt_u64_e32 vcc_lo, 0xffffff, v[0:1]
	v_add_nc_u32_e32 v2, 15, v5
	v_cndmask_b32_e32 v2, v3, v2, vcc_lo
	v_cndmask_b32_e64 v3, 0, 1, vcc_lo
	s_delay_alu instid0(VALU_DEP_1)
	v_lshrrev_b64 v[0:1], v3, v[0:1]
; %bb.16077:                            ;   in Loop: Header=BB6_14192 Depth=3
	s_and_not1_saveexec_b32 s13, s13
; %bb.16078:                            ;   in Loop: Header=BB6_14192 Depth=3
	s_delay_alu instid0(VALU_DEP_1)
	v_bfe_u32 v2, v0, 23, 1
; %bb.16079:                            ;   in Loop: Header=BB6_14192 Depth=3
	s_or_b32 exec_lo, exec_lo, s13
	s_delay_alu instid0(VALU_DEP_2) | instskip(NEXT) | instid1(VALU_DEP_2)
	v_lshrrev_b64 v[0:1], 21, v[0:1]
	v_cmp_gt_i32_e32 vcc_lo, 32, v2
	v_min_i32_e32 v3, 31, v2
	v_cmp_eq_u32_e64 s13, 0, v2
	s_delay_alu instid0(VALU_DEP_2) | instskip(SKIP_1) | instid1(VALU_DEP_2)
	v_dual_cndmask_b32 v1, 0, v1, vcc_lo :: v_dual_lshlrev_b32 v3, 2, v3
	v_cndmask_b32_e32 v0, 3, v0, vcc_lo
	v_and_b32_e32 v3, 0xfc, v3
	s_delay_alu instid0(VALU_DEP_2) | instskip(NEXT) | instid1(VALU_DEP_2)
	v_cmp_eq_u64_e32 vcc_lo, 0, v[0:1]
	v_and_or_b32 v0, v0, 3, v3
	s_and_b32 s13, s13, vcc_lo
	s_delay_alu instid0(VALU_DEP_1) | instid1(SALU_CYCLE_1)
	v_cndmask_b32_e64 v0, v0, 0, s13
	s_delay_alu instid0(VALU_DEP_1)
	v_or_b32_e32 v31, v0, v4
.LBB6_16080:                            ;   in Loop: Header=BB6_14192 Depth=3
	s_or_b32 exec_lo, exec_lo, s76
                                        ; implicit-def: $vgpr4
.LBB6_16081:                            ;   in Loop: Header=BB6_14192 Depth=3
	s_and_not1_saveexec_b32 s13, s75
; %bb.16082:                            ;   in Loop: Header=BB6_14192 Depth=3
	v_or_b32_e32 v31, 0x7b, v4
; %bb.16083:                            ;   in Loop: Header=BB6_14192 Depth=3
	s_or_b32 exec_lo, exec_lo, s13
                                        ; implicit-def: $vgpr2
                                        ; implicit-def: $vgpr0_vgpr1
                                        ; implicit-def: $vgpr3
.LBB6_16084:                            ;   in Loop: Header=BB6_14192 Depth=3
	s_and_not1_saveexec_b32 s13, s74
	s_cbranch_execz .LBB6_16090
; %bb.16085:                            ;   in Loop: Header=BB6_14192 Depth=3
	s_mov_b32 s74, exec_lo
                                        ; implicit-def: $vgpr31
	v_cmpx_ne_u64_e32 0, v[0:1]
	s_xor_b32 s74, exec_lo, s74
; %bb.16086:                            ;   in Loop: Header=BB6_14192 Depth=3
	v_or_b32_e32 v31, 0x7f, v3
                                        ; implicit-def: $vgpr2
; %bb.16087:                            ;   in Loop: Header=BB6_14192 Depth=3
	s_and_not1_saveexec_b32 s74, s74
; %bb.16088:                            ;   in Loop: Header=BB6_14192 Depth=3
	v_cmp_lt_i32_e32 vcc_lo, -1, v2
	v_mov_b32_e32 v0, 0x7c
	s_delay_alu instid0(VALU_DEP_1)
	v_cndmask_b32_e32 v31, 0xfc, v0, vcc_lo
; %bb.16089:                            ;   in Loop: Header=BB6_14192 Depth=3
	s_or_b32 exec_lo, exec_lo, s74
.LBB6_16090:                            ;   in Loop: Header=BB6_14192 Depth=3
	s_delay_alu instid0(SALU_CYCLE_1)
	s_or_b32 exec_lo, exec_lo, s13
	v_mov_b32_e32 v1, 0
	s_mov_b32 s74, exec_lo
	v_cmpx_lt_u64_e64 s[22:23], v[10:11]
	s_cbranch_execz .LBB6_16100
; %bb.16091:                            ;   in Loop: Header=BB6_14192 Depth=3
	v_lshrrev_b32_e32 v0, 24, v11
	v_bfrev_b32_e32 v1, 1
	s_mov_b32 s75, exec_lo
	s_delay_alu instid0(VALU_DEP_2)
	v_cmpx_ne_u32_e32 0x80, v0
	s_cbranch_execz .LBB6_16099
; %bb.16092:                            ;   in Loop: Header=BB6_14192 Depth=3
	v_and_b32_e32 v1, 0x7c000000, v11
	v_bfe_u32 v2, v11, 24, 2
	s_delay_alu instid0(VALU_DEP_2) | instskip(SKIP_1) | instid1(SALU_CYCLE_1)
	v_cmp_ne_u32_e32 vcc_lo, 0x7c000000, v1
                                        ; implicit-def: $vgpr1
	s_and_saveexec_b32 s13, vcc_lo
	s_xor_b32 s13, exec_lo, s13
	s_cbranch_execz .LBB6_16096
; %bb.16093:                            ;   in Loop: Header=BB6_14192 Depth=3
	v_bfe_u32 v1, v11, 26, 5
	s_mov_b32 s76, exec_lo
	s_delay_alu instid0(VALU_DEP_1)
	v_cmpx_eq_u32_e32 0, v1
; %bb.16094:                            ;   in Loop: Header=BB6_14192 Depth=3
	v_clz_i32_u32_e32 v1, v2
	s_delay_alu instid0(VALU_DEP_1) | instskip(NEXT) | instid1(VALU_DEP_1)
	v_min_u32_e32 v2, 32, v1
	v_subrev_nc_u32_e32 v1, 29, v2
	s_delay_alu instid0(VALU_DEP_1) | instskip(NEXT) | instid1(VALU_DEP_1)
	v_lshlrev_b64_e32 v[0:1], v1, v[0:1]
	v_dual_sub_nc_u32 v1, 30, v2 :: v_dual_bitop2_b32 v2, 3, v0 bitop3:0x40
; %bb.16095:                            ;   in Loop: Header=BB6_14192 Depth=3
	s_or_b32 exec_lo, exec_lo, s76
	v_and_b32_e32 v0, 0x80000000, v11
                                        ; implicit-def: $vgpr10_vgpr11
	s_delay_alu instid0(VALU_DEP_1) | instskip(NEXT) | instid1(VALU_DEP_1)
	v_lshl_add_u32 v0, v1, 23, v0
	v_lshl_or_b32 v0, v2, 21, v0
                                        ; implicit-def: $vgpr2
	s_delay_alu instid0(VALU_DEP_1)
	v_add_nc_u32_e32 v1, 0x38000000, v0
.LBB6_16096:                            ;   in Loop: Header=BB6_14192 Depth=3
	s_and_not1_saveexec_b32 s76, s13
; %bb.16097:                            ;   in Loop: Header=BB6_14192 Depth=3
	v_cmp_lt_i64_e64 s13, -1, v[10:11]
	v_mov_b32_e32 v0, 0x7f800000
	v_cmp_eq_u32_e32 vcc_lo, 0, v2
	s_delay_alu instid0(VALU_DEP_2) | instskip(NEXT) | instid1(VALU_DEP_1)
	v_cndmask_b32_e64 v0, 0xff800000, v0, s13
	v_cndmask_b32_e32 v1, 0x7f800001, v0, vcc_lo
; %bb.16098:                            ;   in Loop: Header=BB6_14192 Depth=3
	s_or_b32 exec_lo, exec_lo, s76
.LBB6_16099:                            ;   in Loop: Header=BB6_14192 Depth=3
	s_delay_alu instid0(SALU_CYCLE_1)
	s_or_b32 exec_lo, exec_lo, s75
.LBB6_16100:                            ;   in Loop: Header=BB6_14192 Depth=3
	s_delay_alu instid0(SALU_CYCLE_1) | instskip(NEXT) | instid1(VALU_DEP_1)
	s_or_b32 exec_lo, exec_lo, s74
	v_dual_mul_f32 v2, s73, v1 :: v_dual_mov_b32 v5, v113
	v_mov_b32_e32 v1, v113
                                        ; implicit-def: $vgpr34
	s_mov_b32 s13, exec_lo
	s_delay_alu instid0(VALU_DEP_2) | instskip(SKIP_2) | instid1(VALU_DEP_3)
	v_and_b32_e32 v4, 0x7f800000, v2
	v_and_b32_e32 v0, 0x7fffff, v2
	v_lshrrev_b32_e32 v3, 24, v2
	v_cmpx_ne_u64_e32 0x7f800000, v[4:5]
	s_xor_b32 s73, exec_lo, s13
	s_cbranch_execz .LBB6_16114
; %bb.16101:                            ;   in Loop: Header=BB6_14192 Depth=3
	v_and_b32_e32 v4, 0x7fffffff, v2
	v_mov_b32_e32 v5, v113
                                        ; implicit-def: $vgpr34
	s_delay_alu instid0(VALU_DEP_1) | instskip(SKIP_2) | instid1(SALU_CYCLE_1)
	v_cmp_gt_u64_e32 vcc_lo, 0x47600001, v[4:5]
	v_and_b32_e32 v4, 0x80, v3
	s_and_saveexec_b32 s13, vcc_lo
	s_xor_b32 s74, exec_lo, s13
	s_cbranch_execz .LBB6_16111
; %bb.16102:                            ;   in Loop: Header=BB6_14192 Depth=3
	v_mov_b32_e32 v34, 0
	s_mov_b32 s75, exec_lo
	v_cmpx_ne_u32_e32 0, v2
	s_cbranch_execz .LBB6_16110
; %bb.16103:                            ;   in Loop: Header=BB6_14192 Depth=3
	v_bfe_u32 v5, v2, 23, 8
	v_or_b32_e32 v3, 0x800000, v0
	s_delay_alu instid0(VALU_DEP_2) | instskip(SKIP_2) | instid1(VALU_DEP_2)
	v_cmp_gt_u32_e64 s13, 0x72, v5
	v_sub_nc_u32_e32 v2, 0x71, v5
	v_cmp_eq_u32_e32 vcc_lo, 0, v5
	v_dual_cndmask_b32 v2, 0, v2, s13 :: v_dual_cndmask_b32 v0, v3, v0, vcc_lo
	s_delay_alu instid0(VALU_DEP_1) | instskip(NEXT) | instid1(VALU_DEP_1)
	v_cndmask_b32_e64 v8, v2, 0x70, vcc_lo
	v_dual_add_nc_u32 v2, 21, v8 :: v_dual_add_nc_u32 v9, 20, v8
	s_delay_alu instid0(VALU_DEP_1) | instskip(NEXT) | instid1(VALU_DEP_2)
	v_lshlrev_b64_e64 v[2:3], v2, -1
	v_lshlrev_b64_e64 v[10:11], v9, 1
	s_delay_alu instid0(VALU_DEP_2) | instskip(SKIP_1) | instid1(VALU_DEP_4)
	v_bfi_b32 v2, v2, 0, v0
	v_lshrrev_b64 v[0:1], v8, v[0:1]
	v_bfi_b32 v3, v3, 0, 0
	s_delay_alu instid0(VALU_DEP_1) | instskip(NEXT) | instid1(VALU_DEP_3)
	v_cmp_eq_u64_e64 s13, v[2:3], v[10:11]
	v_mov_b64_e32 v[2:3], v[0:1]
	s_and_saveexec_b32 s76, s13
; %bb.16104:                            ;   in Loop: Header=BB6_14192 Depth=3
	v_bfe_u32 v2, v0, 21, 1
	v_mov_b32_e32 v3, v113
	s_delay_alu instid0(VALU_DEP_1) | instskip(NEXT) | instid1(VALU_DEP_1)
	v_add_nc_u64_e32 v[2:3], v[0:1], v[2:3]
	v_add_nc_u64_e32 v[2:3], -1, v[2:3]
; %bb.16105:                            ;   in Loop: Header=BB6_14192 Depth=3
	s_or_b32 exec_lo, exec_lo, s76
	v_add_nc_u32_e32 v1, 0xffffff81, v5
	v_lshrrev_b32_e32 v3, 23, v0
	s_mov_b32 s13, exec_lo
	s_delay_alu instid0(VALU_DEP_2) | instskip(NEXT) | instid1(VALU_DEP_1)
	v_cndmask_b32_e64 v1, v1, 0xffffff82, vcc_lo
	v_add3_u32 v5, v8, v1, v3
	v_and_b32_e32 v1, 0x1fffff, v2
                                        ; implicit-def: $vgpr2
	s_delay_alu instid0(VALU_DEP_1) | instskip(SKIP_1) | instid1(VALU_DEP_2)
	v_dual_add_nc_u32 v3, 14, v5 :: v_dual_add_nc_u32 v0, v1, v0
	v_mov_b32_e32 v1, v113
	v_cmpx_ne_u32_e32 0, v3
	s_xor_b32 s13, exec_lo, s13
; %bb.16106:                            ;   in Loop: Header=BB6_14192 Depth=3
	s_delay_alu instid0(VALU_DEP_2) | instskip(SKIP_1) | instid1(VALU_DEP_1)
	v_cmp_lt_u64_e32 vcc_lo, 0xffffff, v[0:1]
	v_add_nc_u32_e32 v2, 15, v5
	v_cndmask_b32_e32 v2, v3, v2, vcc_lo
	v_cndmask_b32_e64 v3, 0, 1, vcc_lo
	s_delay_alu instid0(VALU_DEP_1)
	v_lshrrev_b64 v[0:1], v3, v[0:1]
; %bb.16107:                            ;   in Loop: Header=BB6_14192 Depth=3
	s_and_not1_saveexec_b32 s13, s13
; %bb.16108:                            ;   in Loop: Header=BB6_14192 Depth=3
	s_delay_alu instid0(VALU_DEP_1)
	v_bfe_u32 v2, v0, 23, 1
; %bb.16109:                            ;   in Loop: Header=BB6_14192 Depth=3
	s_or_b32 exec_lo, exec_lo, s13
	s_delay_alu instid0(VALU_DEP_2) | instskip(NEXT) | instid1(VALU_DEP_2)
	v_lshrrev_b64 v[0:1], 21, v[0:1]
	v_cmp_gt_i32_e32 vcc_lo, 32, v2
	v_min_i32_e32 v3, 31, v2
	v_cmp_eq_u32_e64 s13, 0, v2
	s_delay_alu instid0(VALU_DEP_2) | instskip(SKIP_1) | instid1(VALU_DEP_2)
	v_dual_cndmask_b32 v1, 0, v1, vcc_lo :: v_dual_lshlrev_b32 v3, 2, v3
	v_cndmask_b32_e32 v0, 3, v0, vcc_lo
	v_and_b32_e32 v3, 0xfc, v3
	s_delay_alu instid0(VALU_DEP_2) | instskip(NEXT) | instid1(VALU_DEP_2)
	v_cmp_eq_u64_e32 vcc_lo, 0, v[0:1]
	v_and_or_b32 v0, v0, 3, v3
	s_and_b32 s13, s13, vcc_lo
	s_delay_alu instid0(VALU_DEP_1) | instid1(SALU_CYCLE_1)
	v_cndmask_b32_e64 v0, v0, 0, s13
	s_delay_alu instid0(VALU_DEP_1)
	v_or_b32_e32 v34, v0, v4
.LBB6_16110:                            ;   in Loop: Header=BB6_14192 Depth=3
	s_or_b32 exec_lo, exec_lo, s75
                                        ; implicit-def: $vgpr4
.LBB6_16111:                            ;   in Loop: Header=BB6_14192 Depth=3
	s_and_not1_saveexec_b32 s13, s74
; %bb.16112:                            ;   in Loop: Header=BB6_14192 Depth=3
	v_or_b32_e32 v34, 0x7b, v4
; %bb.16113:                            ;   in Loop: Header=BB6_14192 Depth=3
	s_or_b32 exec_lo, exec_lo, s13
                                        ; implicit-def: $vgpr2
                                        ; implicit-def: $vgpr0_vgpr1
                                        ; implicit-def: $vgpr3
.LBB6_16114:                            ;   in Loop: Header=BB6_14192 Depth=3
	s_and_not1_saveexec_b32 s13, s73
	s_cbranch_execz .LBB6_16120
; %bb.16115:                            ;   in Loop: Header=BB6_14192 Depth=3
	s_mov_b32 s73, exec_lo
                                        ; implicit-def: $vgpr34
	v_cmpx_ne_u64_e32 0, v[0:1]
	s_xor_b32 s73, exec_lo, s73
; %bb.16116:                            ;   in Loop: Header=BB6_14192 Depth=3
	v_or_b32_e32 v34, 0x7f, v3
                                        ; implicit-def: $vgpr2
; %bb.16117:                            ;   in Loop: Header=BB6_14192 Depth=3
	s_and_not1_saveexec_b32 s73, s73
; %bb.16118:                            ;   in Loop: Header=BB6_14192 Depth=3
	v_cmp_lt_i32_e32 vcc_lo, -1, v2
	v_mov_b32_e32 v0, 0x7c
	s_delay_alu instid0(VALU_DEP_1)
	v_cndmask_b32_e32 v34, 0xfc, v0, vcc_lo
; %bb.16119:                            ;   in Loop: Header=BB6_14192 Depth=3
	s_or_b32 exec_lo, exec_lo, s73
.LBB6_16120:                            ;   in Loop: Header=BB6_14192 Depth=3
	s_delay_alu instid0(SALU_CYCLE_1)
	s_or_b32 exec_lo, exec_lo, s13
	s_clause 0x3
	global_load_b128 v[20:23], v[76:77], off th:TH_LOAD_NT
	global_load_b128 v[16:19], v[76:77], off offset:512 th:TH_LOAD_NT
	global_load_b128 v[12:15], v[76:77], off offset:1024 th:TH_LOAD_NT
	;; [unrolled: 1-line block ×3, first 2 shown]
	v_lshl_or_b32 v26, v26, 8, v24
	v_lshlrev_b32_e32 v0, 16, v29
	v_dual_mov_b32 v2, 0 :: v_dual_lshlrev_b32 v1, 24, v33
	v_mov_b32_e32 v3, 0
	s_mov_b32 s73, exec_lo
	s_delay_alu instid0(VALU_DEP_2)
	v_or3_b32 v0, v0, v1, v26
	v_mov_b32_e32 v1, v113
	s_wait_xcnt 0x0
	v_cmpx_ne_u32_e32 0, v24
	s_cbranch_execz .LBB6_16130
; %bb.16121:                            ;   in Loop: Header=BB6_14192 Depth=3
	v_bfrev_b32_e32 v3, 1
	s_mov_b32 s74, exec_lo
	v_cmpx_ne_u32_e32 0x80, v24
	s_cbranch_execz .LBB6_16129
; %bb.16122:                            ;   in Loop: Header=BB6_14192 Depth=3
	v_and_b32_e32 v3, 0x7c, v24
	v_and_b32_e32 v4, 3, v24
	s_delay_alu instid0(VALU_DEP_2) | instskip(SKIP_1) | instid1(SALU_CYCLE_1)
	v_cmp_ne_u32_e32 vcc_lo, 0x7c, v3
                                        ; implicit-def: $vgpr3
	s_and_saveexec_b32 s13, vcc_lo
	s_xor_b32 s13, exec_lo, s13
	s_cbranch_execz .LBB6_16126
; %bb.16123:                            ;   in Loop: Header=BB6_14192 Depth=3
	v_bfe_u32 v3, v24, 2, 5
	s_mov_b32 s75, exec_lo
	s_delay_alu instid0(VALU_DEP_1)
	v_cmpx_eq_u32_e32 0, v3
; %bb.16124:                            ;   in Loop: Header=BB6_14192 Depth=3
	v_clz_i32_u32_e32 v3, v4
	s_delay_alu instid0(VALU_DEP_1) | instskip(NEXT) | instid1(VALU_DEP_1)
	v_min_u32_e32 v3, 32, v3
	v_subrev_nc_u32_e32 v4, 29, v3
	s_delay_alu instid0(VALU_DEP_1) | instskip(NEXT) | instid1(VALU_DEP_1)
	v_lshlrev_b64_e32 v[4:5], v4, v[0:1]
	v_dual_sub_nc_u32 v3, 30, v3 :: v_dual_bitop2_b32 v4, 3, v4 bitop3:0x40
; %bb.16125:                            ;   in Loop: Header=BB6_14192 Depth=3
	s_or_b32 exec_lo, exec_lo, s75
	v_lshlrev_b32_e32 v1, 24, v24
                                        ; implicit-def: $vgpr24
	s_delay_alu instid0(VALU_DEP_1) | instskip(NEXT) | instid1(VALU_DEP_1)
	v_and_b32_e32 v1, 0x80000000, v1
	v_lshl_add_u32 v1, v3, 23, v1
	s_delay_alu instid0(VALU_DEP_1) | instskip(NEXT) | instid1(VALU_DEP_1)
	v_lshl_or_b32 v1, v4, 21, v1
                                        ; implicit-def: $vgpr4
	v_add_nc_u32_e32 v3, 0x38000000, v1
.LBB6_16126:                            ;   in Loop: Header=BB6_14192 Depth=3
	s_and_not1_saveexec_b32 s75, s13
; %bb.16127:                            ;   in Loop: Header=BB6_14192 Depth=3
	v_and_b32_e32 v1, 0x80, v24
	v_cmp_eq_u32_e32 vcc_lo, 0, v4
	s_delay_alu instid0(VALU_DEP_2) | instskip(SKIP_1) | instid1(VALU_DEP_1)
	v_cmp_eq_u32_e64 s13, 0, v1
	v_mov_b32_e32 v1, 0x7f800000
	v_cndmask_b32_e64 v1, 0xff800000, v1, s13
	s_delay_alu instid0(VALU_DEP_1)
	v_cndmask_b32_e32 v3, 0x7f800001, v1, vcc_lo
; %bb.16128:                            ;   in Loop: Header=BB6_14192 Depth=3
	s_or_b32 exec_lo, exec_lo, s75
.LBB6_16129:                            ;   in Loop: Header=BB6_14192 Depth=3
	s_delay_alu instid0(SALU_CYCLE_1)
	s_or_b32 exec_lo, exec_lo, s74
.LBB6_16130:                            ;   in Loop: Header=BB6_14192 Depth=3
	s_delay_alu instid0(SALU_CYCLE_1) | instskip(SKIP_3) | instid1(VALU_DEP_1)
	s_or_b32 exec_lo, exec_lo, s73
	s_wait_loadcnt 0x3
	v_and_b32_e32 v1, 0xff, v20
	s_mov_b32 s73, exec_lo
	v_cmpx_ne_u16_e32 0, v1
	s_cbranch_execz .LBB6_16140
; %bb.16131:                            ;   in Loop: Header=BB6_14192 Depth=3
	v_bfe_i32 v4, v20, 0, 8
	v_bfrev_b32_e32 v2, 1
	s_mov_b32 s74, exec_lo
	s_delay_alu instid0(VALU_DEP_2)
	v_cmpx_ne_u16_e32 0xff80, v4
	s_cbranch_execz .LBB6_16139
; %bb.16132:                            ;   in Loop: Header=BB6_14192 Depth=3
	v_and_b32_e32 v2, 0x7c, v20
	v_and_b32_e32 v1, 3, v20
	s_delay_alu instid0(VALU_DEP_2) | instskip(SKIP_1) | instid1(SALU_CYCLE_1)
	v_cmp_ne_u32_e32 vcc_lo, 0x7c, v2
                                        ; implicit-def: $vgpr2
	s_and_saveexec_b32 s13, vcc_lo
	s_xor_b32 s13, exec_lo, s13
	s_cbranch_execz .LBB6_16136
; %bb.16133:                            ;   in Loop: Header=BB6_14192 Depth=3
	v_bfe_u32 v2, v20, 2, 5
	s_mov_b32 s75, exec_lo
	s_delay_alu instid0(VALU_DEP_1)
	v_cmpx_eq_u32_e32 0, v2
; %bb.16134:                            ;   in Loop: Header=BB6_14192 Depth=3
	v_clz_i32_u32_e32 v1, v1
	s_delay_alu instid0(VALU_DEP_1) | instskip(NEXT) | instid1(VALU_DEP_1)
	v_min_u32_e32 v1, 32, v1
	v_subrev_nc_u32_e32 v2, 29, v1
	s_delay_alu instid0(VALU_DEP_1) | instskip(NEXT) | instid1(VALU_DEP_1)
	v_lshlrev_b64_e32 v[4:5], v2, v[20:21]
	v_dual_sub_nc_u32 v2, 30, v1 :: v_dual_bitop2_b32 v1, 3, v4 bitop3:0x40
; %bb.16135:                            ;   in Loop: Header=BB6_14192 Depth=3
	s_or_b32 exec_lo, exec_lo, s75
	v_lshlrev_b32_e32 v4, 24, v20
	s_delay_alu instid0(VALU_DEP_1) | instskip(NEXT) | instid1(VALU_DEP_1)
	v_and_b32_e32 v4, 0x80000000, v4
	v_lshl_add_u32 v2, v2, 23, v4
                                        ; implicit-def: $vgpr4
	s_delay_alu instid0(VALU_DEP_1) | instskip(NEXT) | instid1(VALU_DEP_1)
	v_lshl_or_b32 v1, v1, 21, v2
	v_add_nc_u32_e32 v2, 0x38000000, v1
                                        ; implicit-def: $vgpr1
.LBB6_16136:                            ;   in Loop: Header=BB6_14192 Depth=3
	s_and_not1_saveexec_b32 s75, s13
; %bb.16137:                            ;   in Loop: Header=BB6_14192 Depth=3
	v_cmp_eq_u32_e32 vcc_lo, 0, v1
	v_cmp_lt_i16_e64 s13, -1, v4
	v_mov_b32_e32 v1, 0x7f800000
	s_delay_alu instid0(VALU_DEP_1) | instskip(NEXT) | instid1(VALU_DEP_1)
	v_cndmask_b32_e64 v1, 0xff800000, v1, s13
	v_cndmask_b32_e32 v2, 0x7f800001, v1, vcc_lo
; %bb.16138:                            ;   in Loop: Header=BB6_14192 Depth=3
	s_or_b32 exec_lo, exec_lo, s75
.LBB6_16139:                            ;   in Loop: Header=BB6_14192 Depth=3
	s_delay_alu instid0(SALU_CYCLE_1)
	s_or_b32 exec_lo, exec_lo, s74
.LBB6_16140:                            ;   in Loop: Header=BB6_14192 Depth=3
	s_delay_alu instid0(SALU_CYCLE_1) | instskip(NEXT) | instid1(VALU_DEP_1)
	s_or_b32 exec_lo, exec_lo, s73
	v_dual_add_f32 v4, v3, v2 :: v_dual_mov_b32 v59, v113
	v_mov_b32_e32 v3, v113
                                        ; implicit-def: $vgpr24
	s_mov_b32 s13, exec_lo
	s_delay_alu instid0(VALU_DEP_2) | instskip(SKIP_2) | instid1(VALU_DEP_3)
	v_and_b32_e32 v58, 0x7f800000, v4
	v_and_b32_e32 v2, 0x7fffff, v4
	v_lshrrev_b32_e32 v1, 24, v4
	v_cmpx_ne_u64_e32 0x7f800000, v[58:59]
	s_xor_b32 s73, exec_lo, s13
	s_cbranch_execz .LBB6_16154
; %bb.16141:                            ;   in Loop: Header=BB6_14192 Depth=3
	v_and_b32_e32 v58, 0x7fffffff, v4
	v_mov_b32_e32 v59, v113
	v_and_b32_e32 v1, 0x80, v1
                                        ; implicit-def: $vgpr24
	s_mov_b32 s13, exec_lo
	s_delay_alu instid0(VALU_DEP_2)
	v_cmpx_gt_u64_e32 0x47600001, v[58:59]
	s_xor_b32 s74, exec_lo, s13
	s_cbranch_execz .LBB6_16151
; %bb.16142:                            ;   in Loop: Header=BB6_14192 Depth=3
	v_mov_b32_e32 v24, 0
	s_mov_b32 s75, exec_lo
	v_cmpx_ne_u32_e32 0, v4
	s_cbranch_execz .LBB6_16150
; %bb.16143:                            ;   in Loop: Header=BB6_14192 Depth=3
	v_bfe_u32 v24, v4, 23, 8
	v_or_b32_e32 v5, 0x800000, v2
	s_delay_alu instid0(VALU_DEP_2) | instskip(SKIP_2) | instid1(VALU_DEP_2)
	v_cmp_gt_u32_e64 s13, 0x72, v24
	v_sub_nc_u32_e32 v4, 0x71, v24
	v_cmp_eq_u32_e32 vcc_lo, 0, v24
	v_dual_cndmask_b32 v4, 0, v4, s13 :: v_dual_cndmask_b32 v2, v5, v2, vcc_lo
	s_delay_alu instid0(VALU_DEP_1) | instskip(NEXT) | instid1(VALU_DEP_1)
	v_cndmask_b32_e64 v29, v4, 0x70, vcc_lo
	v_dual_add_nc_u32 v4, 21, v29 :: v_dual_add_nc_u32 v33, 20, v29
	s_delay_alu instid0(VALU_DEP_1) | instskip(NEXT) | instid1(VALU_DEP_2)
	v_lshlrev_b64_e64 v[4:5], v4, -1
	v_lshlrev_b64_e64 v[58:59], v33, 1
	s_delay_alu instid0(VALU_DEP_2) | instskip(SKIP_1) | instid1(VALU_DEP_4)
	v_bfi_b32 v4, v4, 0, v2
	v_lshrrev_b64 v[2:3], v29, v[2:3]
	v_bfi_b32 v5, v5, 0, 0
	s_delay_alu instid0(VALU_DEP_1) | instskip(NEXT) | instid1(VALU_DEP_3)
	v_cmp_eq_u64_e64 s13, v[4:5], v[58:59]
	v_mov_b64_e32 v[4:5], v[2:3]
	s_and_saveexec_b32 s76, s13
; %bb.16144:                            ;   in Loop: Header=BB6_14192 Depth=3
	v_bfe_u32 v4, v2, 21, 1
	v_mov_b32_e32 v5, v113
	s_delay_alu instid0(VALU_DEP_1) | instskip(NEXT) | instid1(VALU_DEP_1)
	v_add_nc_u64_e32 v[4:5], v[2:3], v[4:5]
	v_add_nc_u64_e32 v[4:5], -1, v[4:5]
; %bb.16145:                            ;   in Loop: Header=BB6_14192 Depth=3
	s_or_b32 exec_lo, exec_lo, s76
	v_add_nc_u32_e32 v3, 0xffffff81, v24
	v_lshrrev_b32_e32 v5, 23, v2
	s_mov_b32 s13, exec_lo
	s_delay_alu instid0(VALU_DEP_2) | instskip(NEXT) | instid1(VALU_DEP_1)
	v_cndmask_b32_e64 v3, v3, 0xffffff82, vcc_lo
	v_add3_u32 v24, v29, v3, v5
	v_and_b32_e32 v3, 0x1fffff, v4
                                        ; implicit-def: $vgpr4
	s_delay_alu instid0(VALU_DEP_1) | instskip(SKIP_1) | instid1(VALU_DEP_2)
	v_dual_add_nc_u32 v5, 14, v24 :: v_dual_add_nc_u32 v2, v3, v2
	v_mov_b32_e32 v3, v113
	v_cmpx_ne_u32_e32 0, v5
	s_xor_b32 s13, exec_lo, s13
; %bb.16146:                            ;   in Loop: Header=BB6_14192 Depth=3
	s_delay_alu instid0(VALU_DEP_2) | instskip(SKIP_1) | instid1(VALU_DEP_1)
	v_cmp_lt_u64_e32 vcc_lo, 0xffffff, v[2:3]
	v_add_nc_u32_e32 v4, 15, v24
	v_cndmask_b32_e32 v4, v5, v4, vcc_lo
	v_cndmask_b32_e64 v5, 0, 1, vcc_lo
	s_delay_alu instid0(VALU_DEP_1)
	v_lshrrev_b64 v[2:3], v5, v[2:3]
; %bb.16147:                            ;   in Loop: Header=BB6_14192 Depth=3
	s_and_not1_saveexec_b32 s13, s13
; %bb.16148:                            ;   in Loop: Header=BB6_14192 Depth=3
	s_delay_alu instid0(VALU_DEP_1)
	v_bfe_u32 v4, v2, 23, 1
; %bb.16149:                            ;   in Loop: Header=BB6_14192 Depth=3
	s_or_b32 exec_lo, exec_lo, s13
	s_delay_alu instid0(VALU_DEP_2) | instskip(NEXT) | instid1(VALU_DEP_2)
	v_lshrrev_b64 v[2:3], 21, v[2:3]
	v_cmp_gt_i32_e32 vcc_lo, 32, v4
	v_min_i32_e32 v5, 31, v4
	v_cmp_eq_u32_e64 s13, 0, v4
	s_delay_alu instid0(VALU_DEP_2) | instskip(SKIP_1) | instid1(VALU_DEP_2)
	v_dual_cndmask_b32 v3, 0, v3, vcc_lo :: v_dual_lshlrev_b32 v5, 2, v5
	v_cndmask_b32_e32 v2, 3, v2, vcc_lo
	v_and_b32_e32 v5, 0xfc, v5
	s_delay_alu instid0(VALU_DEP_2) | instskip(NEXT) | instid1(VALU_DEP_2)
	v_cmp_eq_u64_e32 vcc_lo, 0, v[2:3]
	v_and_or_b32 v2, v2, 3, v5
	s_and_b32 s13, s13, vcc_lo
	s_delay_alu instid0(VALU_DEP_1) | instid1(SALU_CYCLE_1)
	v_cndmask_b32_e64 v2, v2, 0, s13
	s_delay_alu instid0(VALU_DEP_1)
	v_or_b32_e32 v24, v2, v1
.LBB6_16150:                            ;   in Loop: Header=BB6_14192 Depth=3
	s_or_b32 exec_lo, exec_lo, s75
                                        ; implicit-def: $vgpr1
.LBB6_16151:                            ;   in Loop: Header=BB6_14192 Depth=3
	s_and_not1_saveexec_b32 s13, s74
; %bb.16152:                            ;   in Loop: Header=BB6_14192 Depth=3
	v_or_b32_e32 v24, 0x7b, v1
; %bb.16153:                            ;   in Loop: Header=BB6_14192 Depth=3
	s_or_b32 exec_lo, exec_lo, s13
                                        ; implicit-def: $vgpr4
                                        ; implicit-def: $vgpr2_vgpr3
                                        ; implicit-def: $vgpr1
.LBB6_16154:                            ;   in Loop: Header=BB6_14192 Depth=3
	s_and_not1_saveexec_b32 s13, s73
	s_cbranch_execz .LBB6_16160
; %bb.16155:                            ;   in Loop: Header=BB6_14192 Depth=3
	s_mov_b32 s73, exec_lo
                                        ; implicit-def: $vgpr24
	v_cmpx_ne_u64_e32 0, v[2:3]
	s_xor_b32 s73, exec_lo, s73
; %bb.16156:                            ;   in Loop: Header=BB6_14192 Depth=3
	v_or_b32_e32 v24, 0x7f, v1
                                        ; implicit-def: $vgpr4
; %bb.16157:                            ;   in Loop: Header=BB6_14192 Depth=3
	s_and_not1_saveexec_b32 s73, s73
; %bb.16158:                            ;   in Loop: Header=BB6_14192 Depth=3
	v_cmp_lt_i32_e32 vcc_lo, -1, v4
	v_mov_b32_e32 v1, 0x7c
	s_delay_alu instid0(VALU_DEP_1)
	v_cndmask_b32_e32 v24, 0xfc, v1, vcc_lo
; %bb.16159:                            ;   in Loop: Header=BB6_14192 Depth=3
	s_or_b32 exec_lo, exec_lo, s73
.LBB6_16160:                            ;   in Loop: Header=BB6_14192 Depth=3
	s_delay_alu instid0(SALU_CYCLE_1) | instskip(SKIP_3) | instid1(VALU_DEP_2)
	s_or_b32 exec_lo, exec_lo, s13
	v_lshrrev_b16 v2, 8, v26
	v_dual_mov_b32 v1, 0 :: v_dual_mov_b32 v4, 0
	s_mov_b32 s73, exec_lo
	v_cmpx_ne_u16_e32 0, v2
	s_cbranch_execz .LBB6_16170
; %bb.16161:                            ;   in Loop: Header=BB6_14192 Depth=3
	v_bfrev_b32_e32 v4, 1
	s_mov_b32 s74, exec_lo
	v_cmpx_ne_u16_e32 0x80, v2
	s_cbranch_execz .LBB6_16169
; %bb.16162:                            ;   in Loop: Header=BB6_14192 Depth=3
	v_and_b32_e32 v5, 0xffff, v2
	s_delay_alu instid0(VALU_DEP_1) | instskip(SKIP_1) | instid1(VALU_DEP_2)
	v_and_b32_e32 v4, 0x7c, v5
	v_and_b32_e32 v3, 3, v5
	v_cmp_ne_u32_e32 vcc_lo, 0x7c, v4
                                        ; implicit-def: $vgpr4
	s_and_saveexec_b32 s13, vcc_lo
	s_delay_alu instid0(SALU_CYCLE_1)
	s_xor_b32 s13, exec_lo, s13
	s_cbranch_execz .LBB6_16166
; %bb.16163:                            ;   in Loop: Header=BB6_14192 Depth=3
	v_bfe_u32 v4, v5, 2, 5
	s_mov_b32 s75, exec_lo
	s_delay_alu instid0(VALU_DEP_1)
	v_cmpx_eq_u32_e32 0, v4
	s_cbranch_execz .LBB6_16165
; %bb.16164:                            ;   in Loop: Header=BB6_14192 Depth=3
	v_clz_i32_u32_e32 v3, v3
	s_delay_alu instid0(VALU_DEP_1) | instskip(SKIP_1) | instid1(VALU_DEP_2)
	v_min_u32_e32 v4, 32, v3
	v_mov_b32_e32 v3, v113
	v_subrev_nc_u32_e32 v5, 29, v4
	v_sub_nc_u32_e32 v4, 30, v4
	s_delay_alu instid0(VALU_DEP_2) | instskip(NEXT) | instid1(VALU_DEP_1)
	v_lshlrev_b64_e32 v[2:3], v5, v[2:3]
	v_and_b32_e32 v3, 3, v2
.LBB6_16165:                            ;   in Loop: Header=BB6_14192 Depth=3
	s_or_b32 exec_lo, exec_lo, s75
	v_lshlrev_b32_e32 v2, 16, v26
                                        ; implicit-def: $vgpr26
	s_delay_alu instid0(VALU_DEP_1) | instskip(NEXT) | instid1(VALU_DEP_1)
	v_and_b32_e32 v2, 0x80000000, v2
	v_lshl_add_u32 v2, v4, 23, v2
	s_delay_alu instid0(VALU_DEP_1) | instskip(NEXT) | instid1(VALU_DEP_1)
	v_lshl_or_b32 v2, v3, 21, v2
                                        ; implicit-def: $vgpr3
	v_add_nc_u32_e32 v4, 0x38000000, v2
.LBB6_16166:                            ;   in Loop: Header=BB6_14192 Depth=3
	s_and_not1_saveexec_b32 s75, s13
; %bb.16167:                            ;   in Loop: Header=BB6_14192 Depth=3
	v_cmp_lt_i16_e64 s13, -1, v26
	v_mov_b32_e32 v2, 0x7f800000
	v_cmp_eq_u32_e32 vcc_lo, 0, v3
	s_delay_alu instid0(VALU_DEP_2) | instskip(NEXT) | instid1(VALU_DEP_1)
	v_cndmask_b32_e64 v2, 0xff800000, v2, s13
	v_cndmask_b32_e32 v4, 0x7f800001, v2, vcc_lo
; %bb.16168:                            ;   in Loop: Header=BB6_14192 Depth=3
	s_or_b32 exec_lo, exec_lo, s75
.LBB6_16169:                            ;   in Loop: Header=BB6_14192 Depth=3
	s_delay_alu instid0(SALU_CYCLE_1)
	s_or_b32 exec_lo, exec_lo, s74
.LBB6_16170:                            ;   in Loop: Header=BB6_14192 Depth=3
	s_delay_alu instid0(SALU_CYCLE_1) | instskip(SKIP_2) | instid1(VALU_DEP_1)
	s_or_b32 exec_lo, exec_lo, s73
	v_lshrrev_b16 v2, 8, v20
	s_mov_b32 s73, exec_lo
	v_cmpx_ne_u16_e32 0, v2
	s_cbranch_execz .LBB6_16180
; %bb.16171:                            ;   in Loop: Header=BB6_14192 Depth=3
	v_bfrev_b32_e32 v1, 1
	s_mov_b32 s74, exec_lo
	v_cmpx_ne_u16_e32 0x80, v2
	s_cbranch_execz .LBB6_16179
; %bb.16172:                            ;   in Loop: Header=BB6_14192 Depth=3
	v_and_b32_e32 v5, 0xffff, v2
	s_delay_alu instid0(VALU_DEP_1) | instskip(SKIP_1) | instid1(VALU_DEP_2)
	v_and_b32_e32 v1, 0x7c, v5
	v_and_b32_e32 v3, 3, v5
	v_cmp_ne_u32_e32 vcc_lo, 0x7c, v1
                                        ; implicit-def: $vgpr1
	s_and_saveexec_b32 s13, vcc_lo
	s_delay_alu instid0(SALU_CYCLE_1)
	s_xor_b32 s13, exec_lo, s13
	s_cbranch_execz .LBB6_16176
; %bb.16173:                            ;   in Loop: Header=BB6_14192 Depth=3
	v_bfe_u32 v1, v5, 2, 5
	s_mov_b32 s75, exec_lo
	s_delay_alu instid0(VALU_DEP_1)
	v_cmpx_eq_u32_e32 0, v1
	s_cbranch_execz .LBB6_16175
; %bb.16174:                            ;   in Loop: Header=BB6_14192 Depth=3
	v_clz_i32_u32_e32 v1, v3
	s_delay_alu instid0(VALU_DEP_1) | instskip(SKIP_1) | instid1(VALU_DEP_2)
	v_min_u32_e32 v1, 32, v1
	v_mov_b32_e32 v3, v113
	v_subrev_nc_u32_e32 v5, 29, v1
	v_sub_nc_u32_e32 v1, 30, v1
	s_delay_alu instid0(VALU_DEP_2) | instskip(NEXT) | instid1(VALU_DEP_1)
	v_lshlrev_b64_e32 v[2:3], v5, v[2:3]
	v_and_b32_e32 v3, 3, v2
.LBB6_16175:                            ;   in Loop: Header=BB6_14192 Depth=3
	s_or_b32 exec_lo, exec_lo, s75
	v_lshlrev_b32_e32 v2, 16, v20
	s_delay_alu instid0(VALU_DEP_1) | instskip(NEXT) | instid1(VALU_DEP_1)
	v_and_b32_e32 v2, 0x80000000, v2
	v_lshl_add_u32 v1, v1, 23, v2
	s_delay_alu instid0(VALU_DEP_1) | instskip(NEXT) | instid1(VALU_DEP_1)
	v_lshl_or_b32 v1, v3, 21, v1
                                        ; implicit-def: $vgpr3
	v_add_nc_u32_e32 v1, 0x38000000, v1
.LBB6_16176:                            ;   in Loop: Header=BB6_14192 Depth=3
	s_and_not1_saveexec_b32 s75, s13
; %bb.16177:                            ;   in Loop: Header=BB6_14192 Depth=3
	v_cmp_lt_i16_e64 s13, -1, v20
	v_mov_b32_e32 v1, 0x7f800000
	v_cmp_eq_u32_e32 vcc_lo, 0, v3
	s_delay_alu instid0(VALU_DEP_2) | instskip(NEXT) | instid1(VALU_DEP_1)
	v_cndmask_b32_e64 v1, 0xff800000, v1, s13
	v_cndmask_b32_e32 v1, 0x7f800001, v1, vcc_lo
; %bb.16178:                            ;   in Loop: Header=BB6_14192 Depth=3
	s_or_b32 exec_lo, exec_lo, s75
.LBB6_16179:                            ;   in Loop: Header=BB6_14192 Depth=3
	s_delay_alu instid0(SALU_CYCLE_1)
	s_or_b32 exec_lo, exec_lo, s74
.LBB6_16180:                            ;   in Loop: Header=BB6_14192 Depth=3
	s_delay_alu instid0(SALU_CYCLE_1) | instskip(NEXT) | instid1(VALU_DEP_1)
	s_or_b32 exec_lo, exec_lo, s73
	v_dual_add_f32 v4, v4, v1 :: v_dual_mov_b32 v59, v113
	v_mov_b32_e32 v3, v113
                                        ; implicit-def: $vgpr26
	s_mov_b32 s13, exec_lo
	s_delay_alu instid0(VALU_DEP_2) | instskip(SKIP_2) | instid1(VALU_DEP_3)
	v_and_b32_e32 v58, 0x7f800000, v4
	v_and_b32_e32 v2, 0x7fffff, v4
	v_lshrrev_b32_e32 v1, 24, v4
	v_cmpx_ne_u64_e32 0x7f800000, v[58:59]
	s_xor_b32 s73, exec_lo, s13
	s_cbranch_execz .LBB6_16194
; %bb.16181:                            ;   in Loop: Header=BB6_14192 Depth=3
	v_and_b32_e32 v58, 0x7fffffff, v4
	v_mov_b32_e32 v59, v113
	v_and_b32_e32 v1, 0x80, v1
                                        ; implicit-def: $vgpr26
	s_mov_b32 s13, exec_lo
	s_delay_alu instid0(VALU_DEP_2)
	v_cmpx_gt_u64_e32 0x47600001, v[58:59]
	s_xor_b32 s74, exec_lo, s13
	s_cbranch_execz .LBB6_16191
; %bb.16182:                            ;   in Loop: Header=BB6_14192 Depth=3
	v_mov_b32_e32 v26, 0
	s_mov_b32 s75, exec_lo
	v_cmpx_ne_u32_e32 0, v4
	s_cbranch_execz .LBB6_16190
; %bb.16183:                            ;   in Loop: Header=BB6_14192 Depth=3
	v_bfe_u32 v26, v4, 23, 8
	v_or_b32_e32 v5, 0x800000, v2
	s_delay_alu instid0(VALU_DEP_2) | instskip(SKIP_2) | instid1(VALU_DEP_2)
	v_cmp_gt_u32_e64 s13, 0x72, v26
	v_sub_nc_u32_e32 v4, 0x71, v26
	v_cmp_eq_u32_e32 vcc_lo, 0, v26
	v_dual_cndmask_b32 v4, 0, v4, s13 :: v_dual_cndmask_b32 v2, v5, v2, vcc_lo
	s_delay_alu instid0(VALU_DEP_1) | instskip(NEXT) | instid1(VALU_DEP_1)
	v_cndmask_b32_e64 v29, v4, 0x70, vcc_lo
	v_dual_add_nc_u32 v4, 21, v29 :: v_dual_add_nc_u32 v33, 20, v29
	s_delay_alu instid0(VALU_DEP_1) | instskip(NEXT) | instid1(VALU_DEP_2)
	v_lshlrev_b64_e64 v[4:5], v4, -1
	v_lshlrev_b64_e64 v[58:59], v33, 1
	s_delay_alu instid0(VALU_DEP_2) | instskip(SKIP_1) | instid1(VALU_DEP_4)
	v_bfi_b32 v4, v4, 0, v2
	v_lshrrev_b64 v[2:3], v29, v[2:3]
	v_bfi_b32 v5, v5, 0, 0
	s_delay_alu instid0(VALU_DEP_1) | instskip(NEXT) | instid1(VALU_DEP_3)
	v_cmp_eq_u64_e64 s13, v[4:5], v[58:59]
	v_mov_b64_e32 v[4:5], v[2:3]
	s_and_saveexec_b32 s76, s13
; %bb.16184:                            ;   in Loop: Header=BB6_14192 Depth=3
	v_bfe_u32 v4, v2, 21, 1
	v_mov_b32_e32 v5, v113
	s_delay_alu instid0(VALU_DEP_1) | instskip(NEXT) | instid1(VALU_DEP_1)
	v_add_nc_u64_e32 v[4:5], v[2:3], v[4:5]
	v_add_nc_u64_e32 v[4:5], -1, v[4:5]
; %bb.16185:                            ;   in Loop: Header=BB6_14192 Depth=3
	s_or_b32 exec_lo, exec_lo, s76
	v_add_nc_u32_e32 v3, 0xffffff81, v26
	v_lshrrev_b32_e32 v5, 23, v2
	s_mov_b32 s13, exec_lo
	s_delay_alu instid0(VALU_DEP_2) | instskip(NEXT) | instid1(VALU_DEP_1)
	v_cndmask_b32_e64 v3, v3, 0xffffff82, vcc_lo
	v_add3_u32 v26, v29, v3, v5
	v_and_b32_e32 v3, 0x1fffff, v4
                                        ; implicit-def: $vgpr4
	s_delay_alu instid0(VALU_DEP_2) | instskip(NEXT) | instid1(VALU_DEP_2)
	v_add_nc_u32_e32 v5, 14, v26
	v_dual_mov_b32 v3, v113 :: v_dual_add_nc_u32 v2, v3, v2
	s_delay_alu instid0(VALU_DEP_2)
	v_cmpx_ne_u32_e32 0, v5
	s_xor_b32 s13, exec_lo, s13
; %bb.16186:                            ;   in Loop: Header=BB6_14192 Depth=3
	s_delay_alu instid0(VALU_DEP_2) | instskip(SKIP_1) | instid1(VALU_DEP_1)
	v_cmp_lt_u64_e32 vcc_lo, 0xffffff, v[2:3]
	v_add_nc_u32_e32 v4, 15, v26
	v_cndmask_b32_e32 v4, v5, v4, vcc_lo
	v_cndmask_b32_e64 v5, 0, 1, vcc_lo
	s_delay_alu instid0(VALU_DEP_1)
	v_lshrrev_b64 v[2:3], v5, v[2:3]
; %bb.16187:                            ;   in Loop: Header=BB6_14192 Depth=3
	s_and_not1_saveexec_b32 s13, s13
; %bb.16188:                            ;   in Loop: Header=BB6_14192 Depth=3
	s_delay_alu instid0(VALU_DEP_1)
	v_bfe_u32 v4, v2, 23, 1
; %bb.16189:                            ;   in Loop: Header=BB6_14192 Depth=3
	s_or_b32 exec_lo, exec_lo, s13
	s_delay_alu instid0(VALU_DEP_2) | instskip(NEXT) | instid1(VALU_DEP_2)
	v_lshrrev_b64 v[2:3], 21, v[2:3]
	v_cmp_gt_i32_e32 vcc_lo, 32, v4
	v_min_i32_e32 v5, 31, v4
	v_cmp_eq_u32_e64 s13, 0, v4
	s_delay_alu instid0(VALU_DEP_2) | instskip(SKIP_1) | instid1(VALU_DEP_2)
	v_dual_cndmask_b32 v3, 0, v3, vcc_lo :: v_dual_lshlrev_b32 v5, 2, v5
	v_cndmask_b32_e32 v2, 3, v2, vcc_lo
	v_and_b32_e32 v5, 0xfc, v5
	s_delay_alu instid0(VALU_DEP_2) | instskip(NEXT) | instid1(VALU_DEP_2)
	v_cmp_eq_u64_e32 vcc_lo, 0, v[2:3]
	v_and_or_b32 v2, v2, 3, v5
	s_and_b32 s13, s13, vcc_lo
	s_delay_alu instid0(VALU_DEP_1) | instid1(SALU_CYCLE_1)
	v_cndmask_b32_e64 v2, v2, 0, s13
	s_delay_alu instid0(VALU_DEP_1)
	v_or_b32_e32 v26, v2, v1
.LBB6_16190:                            ;   in Loop: Header=BB6_14192 Depth=3
	s_or_b32 exec_lo, exec_lo, s75
                                        ; implicit-def: $vgpr1
.LBB6_16191:                            ;   in Loop: Header=BB6_14192 Depth=3
	s_and_not1_saveexec_b32 s13, s74
; %bb.16192:                            ;   in Loop: Header=BB6_14192 Depth=3
	v_or_b32_e32 v26, 0x7b, v1
; %bb.16193:                            ;   in Loop: Header=BB6_14192 Depth=3
	s_or_b32 exec_lo, exec_lo, s13
                                        ; implicit-def: $vgpr4
                                        ; implicit-def: $vgpr2_vgpr3
                                        ; implicit-def: $vgpr1
.LBB6_16194:                            ;   in Loop: Header=BB6_14192 Depth=3
	s_and_not1_saveexec_b32 s13, s73
	s_cbranch_execz .LBB6_16200
; %bb.16195:                            ;   in Loop: Header=BB6_14192 Depth=3
	s_mov_b32 s73, exec_lo
                                        ; implicit-def: $vgpr26
	v_cmpx_ne_u64_e32 0, v[2:3]
	s_xor_b32 s73, exec_lo, s73
; %bb.16196:                            ;   in Loop: Header=BB6_14192 Depth=3
	v_or_b32_e32 v26, 0x7f, v1
                                        ; implicit-def: $vgpr4
; %bb.16197:                            ;   in Loop: Header=BB6_14192 Depth=3
	s_and_not1_saveexec_b32 s73, s73
; %bb.16198:                            ;   in Loop: Header=BB6_14192 Depth=3
	v_cmp_lt_i32_e32 vcc_lo, -1, v4
	v_mov_b32_e32 v1, 0x7c
	s_delay_alu instid0(VALU_DEP_1)
	v_cndmask_b32_e32 v26, 0xfc, v1, vcc_lo
; %bb.16199:                            ;   in Loop: Header=BB6_14192 Depth=3
	s_or_b32 exec_lo, exec_lo, s73
.LBB6_16200:                            ;   in Loop: Header=BB6_14192 Depth=3
	s_delay_alu instid0(SALU_CYCLE_1) | instskip(SKIP_3) | instid1(VALU_DEP_2)
	s_or_b32 exec_lo, exec_lo, s13
	v_dual_mov_b32 v1, 0 :: v_dual_lshrrev_b32 v2, 16, v0
	v_mov_b32_e32 v3, 0
	s_mov_b32 s73, exec_lo
	v_and_b32_e32 v4, 0xff, v2
	s_delay_alu instid0(VALU_DEP_1)
	v_cmpx_ne_u16_e32 0, v4
	s_cbranch_execz .LBB6_16210
; %bb.16201:                            ;   in Loop: Header=BB6_14192 Depth=3
	v_bfrev_b32_e32 v3, 1
	s_mov_b32 s74, exec_lo
	v_cmpx_ne_u16_e32 0x80, v4
	s_cbranch_execz .LBB6_16209
; %bb.16202:                            ;   in Loop: Header=BB6_14192 Depth=3
	v_and_b32_e32 v3, 0x7c0000, v0
	v_bfe_u32 v4, v0, 16, 2
	s_delay_alu instid0(VALU_DEP_2) | instskip(SKIP_1) | instid1(SALU_CYCLE_1)
	v_cmp_ne_u32_e32 vcc_lo, 0x7c0000, v3
                                        ; implicit-def: $vgpr3
	s_and_saveexec_b32 s13, vcc_lo
	s_xor_b32 s13, exec_lo, s13
	s_cbranch_execz .LBB6_16206
; %bb.16203:                            ;   in Loop: Header=BB6_14192 Depth=3
	v_bfe_u32 v3, v0, 18, 5
	s_mov_b32 s75, exec_lo
	s_delay_alu instid0(VALU_DEP_1)
	v_cmpx_eq_u32_e32 0, v3
; %bb.16204:                            ;   in Loop: Header=BB6_14192 Depth=3
	v_clz_i32_u32_e32 v3, v4
	s_delay_alu instid0(VALU_DEP_1) | instskip(NEXT) | instid1(VALU_DEP_1)
	v_min_u32_e32 v3, 32, v3
	v_subrev_nc_u32_e32 v4, 29, v3
	s_delay_alu instid0(VALU_DEP_1) | instskip(NEXT) | instid1(VALU_DEP_1)
	v_lshlrev_b64_e32 v[4:5], v4, v[2:3]
	v_dual_sub_nc_u32 v3, 30, v3 :: v_dual_bitop2_b32 v4, 3, v4 bitop3:0x40
; %bb.16205:                            ;   in Loop: Header=BB6_14192 Depth=3
	s_or_b32 exec_lo, exec_lo, s75
	v_lshlrev_b32_e32 v2, 24, v2
	s_delay_alu instid0(VALU_DEP_1) | instskip(NEXT) | instid1(VALU_DEP_1)
	v_and_b32_e32 v2, 0x80000000, v2
	v_lshl_add_u32 v2, v3, 23, v2
	s_delay_alu instid0(VALU_DEP_1) | instskip(NEXT) | instid1(VALU_DEP_1)
	v_lshl_or_b32 v2, v4, 21, v2
                                        ; implicit-def: $vgpr4
	v_add_nc_u32_e32 v3, 0x38000000, v2
                                        ; implicit-def: $vgpr2
.LBB6_16206:                            ;   in Loop: Header=BB6_14192 Depth=3
	s_and_not1_saveexec_b32 s75, s13
; %bb.16207:                            ;   in Loop: Header=BB6_14192 Depth=3
	v_bfe_i32 v2, v2, 0, 8
	v_cmp_eq_u32_e32 vcc_lo, 0, v4
	s_delay_alu instid0(VALU_DEP_2) | instskip(SKIP_1) | instid1(VALU_DEP_1)
	v_cmp_lt_i16_e64 s13, -1, v2
	v_mov_b32_e32 v2, 0x7f800000
	v_cndmask_b32_e64 v2, 0xff800000, v2, s13
	s_delay_alu instid0(VALU_DEP_1)
	v_cndmask_b32_e32 v3, 0x7f800001, v2, vcc_lo
; %bb.16208:                            ;   in Loop: Header=BB6_14192 Depth=3
	s_or_b32 exec_lo, exec_lo, s75
.LBB6_16209:                            ;   in Loop: Header=BB6_14192 Depth=3
	s_delay_alu instid0(SALU_CYCLE_1)
	s_or_b32 exec_lo, exec_lo, s74
.LBB6_16210:                            ;   in Loop: Header=BB6_14192 Depth=3
	s_delay_alu instid0(SALU_CYCLE_1) | instskip(SKIP_2) | instid1(VALU_DEP_1)
	s_or_b32 exec_lo, exec_lo, s73
	v_lshrrev_b32_e32 v2, 16, v20
	s_mov_b32 s73, exec_lo
	v_and_b32_e32 v4, 0xff, v2
	s_delay_alu instid0(VALU_DEP_1)
	v_cmpx_ne_u16_e32 0, v4
	s_cbranch_execz .LBB6_16220
; %bb.16211:                            ;   in Loop: Header=BB6_14192 Depth=3
	v_bfrev_b32_e32 v1, 1
	s_mov_b32 s74, exec_lo
	v_cmpx_ne_u16_e32 0x80, v4
	s_cbranch_execz .LBB6_16219
; %bb.16212:                            ;   in Loop: Header=BB6_14192 Depth=3
	v_and_b32_e32 v1, 0x7c0000, v20
	v_bfe_u32 v4, v20, 16, 2
	s_delay_alu instid0(VALU_DEP_2) | instskip(SKIP_1) | instid1(SALU_CYCLE_1)
	v_cmp_ne_u32_e32 vcc_lo, 0x7c0000, v1
                                        ; implicit-def: $vgpr1
	s_and_saveexec_b32 s13, vcc_lo
	s_xor_b32 s13, exec_lo, s13
	s_cbranch_execz .LBB6_16216
; %bb.16213:                            ;   in Loop: Header=BB6_14192 Depth=3
	v_bfe_u32 v1, v20, 18, 5
	s_mov_b32 s75, exec_lo
	s_delay_alu instid0(VALU_DEP_1)
	v_cmpx_eq_u32_e32 0, v1
; %bb.16214:                            ;   in Loop: Header=BB6_14192 Depth=3
	v_clz_i32_u32_e32 v1, v4
	s_delay_alu instid0(VALU_DEP_1) | instskip(NEXT) | instid1(VALU_DEP_1)
	v_min_u32_e32 v1, 32, v1
	v_subrev_nc_u32_e32 v4, 29, v1
	s_delay_alu instid0(VALU_DEP_1) | instskip(NEXT) | instid1(VALU_DEP_1)
	v_lshlrev_b64_e32 v[4:5], v4, v[2:3]
	v_dual_sub_nc_u32 v1, 30, v1 :: v_dual_bitop2_b32 v4, 3, v4 bitop3:0x40
; %bb.16215:                            ;   in Loop: Header=BB6_14192 Depth=3
	s_or_b32 exec_lo, exec_lo, s75
	v_lshlrev_b32_e32 v2, 24, v2
	s_delay_alu instid0(VALU_DEP_1) | instskip(NEXT) | instid1(VALU_DEP_1)
	v_and_b32_e32 v2, 0x80000000, v2
	v_lshl_add_u32 v1, v1, 23, v2
                                        ; implicit-def: $vgpr2
	s_delay_alu instid0(VALU_DEP_1) | instskip(NEXT) | instid1(VALU_DEP_1)
	v_lshl_or_b32 v1, v4, 21, v1
                                        ; implicit-def: $vgpr4
	v_add_nc_u32_e32 v1, 0x38000000, v1
.LBB6_16216:                            ;   in Loop: Header=BB6_14192 Depth=3
	s_and_not1_saveexec_b32 s75, s13
; %bb.16217:                            ;   in Loop: Header=BB6_14192 Depth=3
	v_bfe_i32 v1, v2, 0, 8
	v_cmp_eq_u32_e32 vcc_lo, 0, v4
	s_delay_alu instid0(VALU_DEP_2) | instskip(SKIP_1) | instid1(VALU_DEP_1)
	v_cmp_lt_i16_e64 s13, -1, v1
	v_mov_b32_e32 v1, 0x7f800000
	v_cndmask_b32_e64 v1, 0xff800000, v1, s13
	s_delay_alu instid0(VALU_DEP_1)
	v_cndmask_b32_e32 v1, 0x7f800001, v1, vcc_lo
; %bb.16218:                            ;   in Loop: Header=BB6_14192 Depth=3
	s_or_b32 exec_lo, exec_lo, s75
.LBB6_16219:                            ;   in Loop: Header=BB6_14192 Depth=3
	s_delay_alu instid0(SALU_CYCLE_1)
	s_or_b32 exec_lo, exec_lo, s74
.LBB6_16220:                            ;   in Loop: Header=BB6_14192 Depth=3
	s_delay_alu instid0(SALU_CYCLE_1) | instskip(NEXT) | instid1(VALU_DEP_1)
	s_or_b32 exec_lo, exec_lo, s73
	v_dual_add_f32 v4, v3, v1 :: v_dual_mov_b32 v59, v113
	v_mov_b32_e32 v3, v113
                                        ; implicit-def: $vgpr29
	s_mov_b32 s13, exec_lo
	s_delay_alu instid0(VALU_DEP_2) | instskip(SKIP_2) | instid1(VALU_DEP_3)
	v_and_b32_e32 v58, 0x7f800000, v4
	v_and_b32_e32 v2, 0x7fffff, v4
	v_lshrrev_b32_e32 v1, 24, v4
	v_cmpx_ne_u64_e32 0x7f800000, v[58:59]
	s_xor_b32 s73, exec_lo, s13
	s_cbranch_execz .LBB6_16234
; %bb.16221:                            ;   in Loop: Header=BB6_14192 Depth=3
	v_and_b32_e32 v58, 0x7fffffff, v4
	v_mov_b32_e32 v59, v113
	v_and_b32_e32 v1, 0x80, v1
                                        ; implicit-def: $vgpr29
	s_mov_b32 s13, exec_lo
	s_delay_alu instid0(VALU_DEP_2)
	v_cmpx_gt_u64_e32 0x47600001, v[58:59]
	s_xor_b32 s74, exec_lo, s13
	s_cbranch_execz .LBB6_16231
; %bb.16222:                            ;   in Loop: Header=BB6_14192 Depth=3
	v_mov_b32_e32 v29, 0
	s_mov_b32 s75, exec_lo
	v_cmpx_ne_u32_e32 0, v4
	s_cbranch_execz .LBB6_16230
; %bb.16223:                            ;   in Loop: Header=BB6_14192 Depth=3
	v_bfe_u32 v29, v4, 23, 8
	v_or_b32_e32 v5, 0x800000, v2
	s_delay_alu instid0(VALU_DEP_2) | instskip(SKIP_2) | instid1(VALU_DEP_2)
	v_cmp_gt_u32_e64 s13, 0x72, v29
	v_sub_nc_u32_e32 v4, 0x71, v29
	v_cmp_eq_u32_e32 vcc_lo, 0, v29
	v_dual_cndmask_b32 v4, 0, v4, s13 :: v_dual_cndmask_b32 v2, v5, v2, vcc_lo
	s_delay_alu instid0(VALU_DEP_1) | instskip(NEXT) | instid1(VALU_DEP_1)
	v_cndmask_b32_e64 v33, v4, 0x70, vcc_lo
	v_dual_add_nc_u32 v4, 21, v33 :: v_dual_add_nc_u32 v57, 20, v33
	s_delay_alu instid0(VALU_DEP_1) | instskip(NEXT) | instid1(VALU_DEP_2)
	v_lshlrev_b64_e64 v[4:5], v4, -1
	v_lshlrev_b64_e64 v[58:59], v57, 1
	s_delay_alu instid0(VALU_DEP_2) | instskip(SKIP_1) | instid1(VALU_DEP_4)
	v_bfi_b32 v4, v4, 0, v2
	v_lshrrev_b64 v[2:3], v33, v[2:3]
	v_bfi_b32 v5, v5, 0, 0
	s_delay_alu instid0(VALU_DEP_1) | instskip(NEXT) | instid1(VALU_DEP_3)
	v_cmp_eq_u64_e64 s13, v[4:5], v[58:59]
	v_mov_b64_e32 v[4:5], v[2:3]
	s_and_saveexec_b32 s76, s13
; %bb.16224:                            ;   in Loop: Header=BB6_14192 Depth=3
	v_bfe_u32 v4, v2, 21, 1
	v_mov_b32_e32 v5, v113
	s_delay_alu instid0(VALU_DEP_1) | instskip(NEXT) | instid1(VALU_DEP_1)
	v_add_nc_u64_e32 v[4:5], v[2:3], v[4:5]
	v_add_nc_u64_e32 v[4:5], -1, v[4:5]
; %bb.16225:                            ;   in Loop: Header=BB6_14192 Depth=3
	s_or_b32 exec_lo, exec_lo, s76
	v_add_nc_u32_e32 v3, 0xffffff81, v29
	v_lshrrev_b32_e32 v5, 23, v2
	s_mov_b32 s13, exec_lo
	s_delay_alu instid0(VALU_DEP_2) | instskip(NEXT) | instid1(VALU_DEP_1)
	v_cndmask_b32_e64 v3, v3, 0xffffff82, vcc_lo
	v_add3_u32 v29, v33, v3, v5
	v_and_b32_e32 v3, 0x1fffff, v4
                                        ; implicit-def: $vgpr4
	s_delay_alu instid0(VALU_DEP_1) | instskip(SKIP_1) | instid1(VALU_DEP_2)
	v_dual_add_nc_u32 v5, 14, v29 :: v_dual_add_nc_u32 v2, v3, v2
	v_mov_b32_e32 v3, v113
	v_cmpx_ne_u32_e32 0, v5
	s_xor_b32 s13, exec_lo, s13
; %bb.16226:                            ;   in Loop: Header=BB6_14192 Depth=3
	s_delay_alu instid0(VALU_DEP_2) | instskip(SKIP_1) | instid1(VALU_DEP_1)
	v_cmp_lt_u64_e32 vcc_lo, 0xffffff, v[2:3]
	v_add_nc_u32_e32 v4, 15, v29
	v_cndmask_b32_e32 v4, v5, v4, vcc_lo
	v_cndmask_b32_e64 v5, 0, 1, vcc_lo
	s_delay_alu instid0(VALU_DEP_1)
	v_lshrrev_b64 v[2:3], v5, v[2:3]
; %bb.16227:                            ;   in Loop: Header=BB6_14192 Depth=3
	s_and_not1_saveexec_b32 s13, s13
; %bb.16228:                            ;   in Loop: Header=BB6_14192 Depth=3
	s_delay_alu instid0(VALU_DEP_1)
	v_bfe_u32 v4, v2, 23, 1
; %bb.16229:                            ;   in Loop: Header=BB6_14192 Depth=3
	s_or_b32 exec_lo, exec_lo, s13
	s_delay_alu instid0(VALU_DEP_2) | instskip(NEXT) | instid1(VALU_DEP_2)
	v_lshrrev_b64 v[2:3], 21, v[2:3]
	v_cmp_gt_i32_e32 vcc_lo, 32, v4
	v_min_i32_e32 v5, 31, v4
	v_cmp_eq_u32_e64 s13, 0, v4
	s_delay_alu instid0(VALU_DEP_2) | instskip(SKIP_1) | instid1(VALU_DEP_2)
	v_dual_cndmask_b32 v3, 0, v3, vcc_lo :: v_dual_lshlrev_b32 v5, 2, v5
	v_cndmask_b32_e32 v2, 3, v2, vcc_lo
	v_and_b32_e32 v5, 0xfc, v5
	s_delay_alu instid0(VALU_DEP_2) | instskip(NEXT) | instid1(VALU_DEP_2)
	v_cmp_eq_u64_e32 vcc_lo, 0, v[2:3]
	v_and_or_b32 v2, v2, 3, v5
	s_and_b32 s13, s13, vcc_lo
	s_delay_alu instid0(VALU_DEP_1) | instid1(SALU_CYCLE_1)
	v_cndmask_b32_e64 v2, v2, 0, s13
	s_delay_alu instid0(VALU_DEP_1)
	v_or_b32_e32 v29, v2, v1
.LBB6_16230:                            ;   in Loop: Header=BB6_14192 Depth=3
	s_or_b32 exec_lo, exec_lo, s75
                                        ; implicit-def: $vgpr1
.LBB6_16231:                            ;   in Loop: Header=BB6_14192 Depth=3
	s_and_not1_saveexec_b32 s13, s74
; %bb.16232:                            ;   in Loop: Header=BB6_14192 Depth=3
	v_or_b32_e32 v29, 0x7b, v1
; %bb.16233:                            ;   in Loop: Header=BB6_14192 Depth=3
	s_or_b32 exec_lo, exec_lo, s13
                                        ; implicit-def: $vgpr4
                                        ; implicit-def: $vgpr2_vgpr3
                                        ; implicit-def: $vgpr1
.LBB6_16234:                            ;   in Loop: Header=BB6_14192 Depth=3
	s_and_not1_saveexec_b32 s13, s73
	s_cbranch_execz .LBB6_16240
; %bb.16235:                            ;   in Loop: Header=BB6_14192 Depth=3
	s_mov_b32 s73, exec_lo
                                        ; implicit-def: $vgpr29
	v_cmpx_ne_u64_e32 0, v[2:3]
	s_xor_b32 s73, exec_lo, s73
; %bb.16236:                            ;   in Loop: Header=BB6_14192 Depth=3
	v_or_b32_e32 v29, 0x7f, v1
                                        ; implicit-def: $vgpr4
; %bb.16237:                            ;   in Loop: Header=BB6_14192 Depth=3
	s_and_not1_saveexec_b32 s73, s73
; %bb.16238:                            ;   in Loop: Header=BB6_14192 Depth=3
	v_cmp_lt_i32_e32 vcc_lo, -1, v4
	v_mov_b32_e32 v1, 0x7c
	s_delay_alu instid0(VALU_DEP_1)
	v_cndmask_b32_e32 v29, 0xfc, v1, vcc_lo
; %bb.16239:                            ;   in Loop: Header=BB6_14192 Depth=3
	s_or_b32 exec_lo, exec_lo, s73
.LBB6_16240:                            ;   in Loop: Header=BB6_14192 Depth=3
	s_delay_alu instid0(SALU_CYCLE_1)
	s_or_b32 exec_lo, exec_lo, s13
	v_dual_mov_b32 v3, 0 :: v_dual_mov_b32 v4, 0
	s_mov_b32 s73, exec_lo
	v_cmpx_lt_u32_e32 0xffffff, v0
	s_cbranch_execz .LBB6_16250
; %bb.16241:                            ;   in Loop: Header=BB6_14192 Depth=3
	v_lshrrev_b32_e32 v2, 24, v0
	v_bfrev_b32_e32 v4, 1
	s_mov_b32 s74, exec_lo
	s_delay_alu instid0(VALU_DEP_2)
	v_cmpx_ne_u32_e32 0x80, v2
	s_cbranch_execz .LBB6_16249
; %bb.16242:                            ;   in Loop: Header=BB6_14192 Depth=3
	v_and_b32_e32 v1, 0x7c000000, v0
	v_bfe_u32 v5, v0, 24, 2
	s_mov_b32 s13, exec_lo
                                        ; implicit-def: $vgpr4
	s_delay_alu instid0(VALU_DEP_2)
	v_cmpx_ne_u32_e32 0x7c000000, v1
	s_xor_b32 s13, exec_lo, s13
	s_cbranch_execz .LBB6_16246
; %bb.16243:                            ;   in Loop: Header=BB6_14192 Depth=3
	v_bfe_u32 v1, v0, 26, 5
	s_mov_b32 s75, exec_lo
	s_delay_alu instid0(VALU_DEP_1)
	v_cmpx_eq_u32_e32 0, v1
; %bb.16244:                            ;   in Loop: Header=BB6_14192 Depth=3
	v_clz_i32_u32_e32 v1, v5
	s_delay_alu instid0(VALU_DEP_1) | instskip(NEXT) | instid1(VALU_DEP_1)
	v_min_u32_e32 v1, 32, v1
	v_subrev_nc_u32_e32 v4, 29, v1
	s_delay_alu instid0(VALU_DEP_1) | instskip(NEXT) | instid1(VALU_DEP_1)
	v_lshlrev_b64_e32 v[4:5], v4, v[2:3]
	v_dual_sub_nc_u32 v1, 30, v1 :: v_dual_bitop2_b32 v5, 3, v4 bitop3:0x40
; %bb.16245:                            ;   in Loop: Header=BB6_14192 Depth=3
	s_or_b32 exec_lo, exec_lo, s75
	v_and_b32_e32 v0, 0x80000000, v0
	s_delay_alu instid0(VALU_DEP_1) | instskip(NEXT) | instid1(VALU_DEP_1)
	v_lshl_add_u32 v0, v1, 23, v0
	v_lshl_or_b32 v0, v5, 21, v0
                                        ; implicit-def: $vgpr5
	s_delay_alu instid0(VALU_DEP_1)
	v_add_nc_u32_e32 v4, 0x38000000, v0
                                        ; implicit-def: $vgpr0_vgpr1
.LBB6_16246:                            ;   in Loop: Header=BB6_14192 Depth=3
	s_and_not1_saveexec_b32 s75, s13
; %bb.16247:                            ;   in Loop: Header=BB6_14192 Depth=3
	v_cmp_lt_i32_e64 s13, -1, v0
	v_mov_b32_e32 v0, 0x7f800000
	v_cmp_eq_u32_e32 vcc_lo, 0, v5
	s_delay_alu instid0(VALU_DEP_2) | instskip(NEXT) | instid1(VALU_DEP_1)
	v_cndmask_b32_e64 v0, 0xff800000, v0, s13
	v_cndmask_b32_e32 v4, 0x7f800001, v0, vcc_lo
; %bb.16248:                            ;   in Loop: Header=BB6_14192 Depth=3
	s_or_b32 exec_lo, exec_lo, s75
.LBB6_16249:                            ;   in Loop: Header=BB6_14192 Depth=3
	s_delay_alu instid0(SALU_CYCLE_1)
	s_or_b32 exec_lo, exec_lo, s74
.LBB6_16250:                            ;   in Loop: Header=BB6_14192 Depth=3
	s_delay_alu instid0(SALU_CYCLE_1) | instskip(NEXT) | instid1(SALU_CYCLE_1)
	s_or_b32 exec_lo, exec_lo, s73
	s_mov_b32 s73, exec_lo
	v_cmpx_lt_u32_e32 0xffffff, v20
	s_cbranch_execz .LBB6_16260
; %bb.16251:                            ;   in Loop: Header=BB6_14192 Depth=3
	v_lshrrev_b32_e32 v0, 24, v20
	v_bfrev_b32_e32 v3, 1
	s_mov_b32 s74, exec_lo
	s_delay_alu instid0(VALU_DEP_2)
	v_cmpx_ne_u32_e32 0x80, v0
	s_cbranch_execz .LBB6_16259
; %bb.16252:                            ;   in Loop: Header=BB6_14192 Depth=3
	v_and_b32_e32 v2, 0x7c000000, v20
	v_bfe_u32 v1, v20, 24, 2
	s_mov_b32 s13, exec_lo
                                        ; implicit-def: $vgpr3
	s_delay_alu instid0(VALU_DEP_2)
	v_cmpx_ne_u32_e32 0x7c000000, v2
	s_xor_b32 s13, exec_lo, s13
	s_cbranch_execz .LBB6_16256
; %bb.16253:                            ;   in Loop: Header=BB6_14192 Depth=3
	v_bfe_u32 v2, v20, 26, 5
	s_mov_b32 s75, exec_lo
	s_delay_alu instid0(VALU_DEP_1)
	v_cmpx_eq_u32_e32 0, v2
; %bb.16254:                            ;   in Loop: Header=BB6_14192 Depth=3
	v_clz_i32_u32_e32 v1, v1
	s_delay_alu instid0(VALU_DEP_1) | instskip(NEXT) | instid1(VALU_DEP_1)
	v_min_u32_e32 v2, 32, v1
	v_subrev_nc_u32_e32 v1, 29, v2
	s_delay_alu instid0(VALU_DEP_1) | instskip(NEXT) | instid1(VALU_DEP_1)
	v_lshlrev_b64_e32 v[0:1], v1, v[0:1]
	v_dual_sub_nc_u32 v2, 30, v2 :: v_dual_bitop2_b32 v1, 3, v0 bitop3:0x40
; %bb.16255:                            ;   in Loop: Header=BB6_14192 Depth=3
	s_or_b32 exec_lo, exec_lo, s75
	v_and_b32_e32 v0, 0x80000000, v20
	s_delay_alu instid0(VALU_DEP_1) | instskip(NEXT) | instid1(VALU_DEP_1)
	v_lshl_add_u32 v0, v2, 23, v0
	v_lshl_or_b32 v0, v1, 21, v0
                                        ; implicit-def: $vgpr1
	s_delay_alu instid0(VALU_DEP_1)
	v_add_nc_u32_e32 v3, 0x38000000, v0
.LBB6_16256:                            ;   in Loop: Header=BB6_14192 Depth=3
	s_and_not1_saveexec_b32 s75, s13
; %bb.16257:                            ;   in Loop: Header=BB6_14192 Depth=3
	v_cmp_lt_i32_e64 s13, -1, v20
	v_mov_b32_e32 v0, 0x7f800000
	v_cmp_eq_u32_e32 vcc_lo, 0, v1
	s_delay_alu instid0(VALU_DEP_2) | instskip(NEXT) | instid1(VALU_DEP_1)
	v_cndmask_b32_e64 v0, 0xff800000, v0, s13
	v_cndmask_b32_e32 v3, 0x7f800001, v0, vcc_lo
; %bb.16258:                            ;   in Loop: Header=BB6_14192 Depth=3
	s_or_b32 exec_lo, exec_lo, s75
.LBB6_16259:                            ;   in Loop: Header=BB6_14192 Depth=3
	s_delay_alu instid0(SALU_CYCLE_1)
	s_or_b32 exec_lo, exec_lo, s74
.LBB6_16260:                            ;   in Loop: Header=BB6_14192 Depth=3
	s_delay_alu instid0(SALU_CYCLE_1) | instskip(NEXT) | instid1(VALU_DEP_1)
	s_or_b32 exec_lo, exec_lo, s73
	v_dual_add_f32 v2, v4, v3 :: v_dual_mov_b32 v5, v113
	v_mov_b32_e32 v1, v113
                                        ; implicit-def: $vgpr33
	s_mov_b32 s13, exec_lo
	s_delay_alu instid0(VALU_DEP_2) | instskip(SKIP_2) | instid1(VALU_DEP_3)
	v_and_b32_e32 v4, 0x7f800000, v2
	v_and_b32_e32 v0, 0x7fffff, v2
	v_lshrrev_b32_e32 v3, 24, v2
	v_cmpx_ne_u64_e32 0x7f800000, v[4:5]
	s_xor_b32 s73, exec_lo, s13
	s_cbranch_execz .LBB6_16274
; %bb.16261:                            ;   in Loop: Header=BB6_14192 Depth=3
	v_and_b32_e32 v4, 0x7fffffff, v2
	v_mov_b32_e32 v5, v113
                                        ; implicit-def: $vgpr33
	s_delay_alu instid0(VALU_DEP_1) | instskip(SKIP_2) | instid1(SALU_CYCLE_1)
	v_cmp_gt_u64_e32 vcc_lo, 0x47600001, v[4:5]
	v_and_b32_e32 v4, 0x80, v3
	s_and_saveexec_b32 s13, vcc_lo
	s_xor_b32 s74, exec_lo, s13
	s_cbranch_execz .LBB6_16271
; %bb.16262:                            ;   in Loop: Header=BB6_14192 Depth=3
	v_mov_b32_e32 v33, 0
	s_mov_b32 s75, exec_lo
	v_cmpx_ne_u32_e32 0, v2
	s_cbranch_execz .LBB6_16270
; %bb.16263:                            ;   in Loop: Header=BB6_14192 Depth=3
	v_bfe_u32 v5, v2, 23, 8
	v_or_b32_e32 v3, 0x800000, v0
	s_delay_alu instid0(VALU_DEP_2) | instskip(SKIP_2) | instid1(VALU_DEP_2)
	v_cmp_gt_u32_e64 s13, 0x72, v5
	v_sub_nc_u32_e32 v2, 0x71, v5
	v_cmp_eq_u32_e32 vcc_lo, 0, v5
	v_dual_cndmask_b32 v2, 0, v2, s13 :: v_dual_cndmask_b32 v0, v3, v0, vcc_lo
	s_delay_alu instid0(VALU_DEP_1) | instskip(NEXT) | instid1(VALU_DEP_1)
	v_cndmask_b32_e64 v33, v2, 0x70, vcc_lo
	v_dual_add_nc_u32 v2, 21, v33 :: v_dual_add_nc_u32 v57, 20, v33
	s_delay_alu instid0(VALU_DEP_1) | instskip(NEXT) | instid1(VALU_DEP_2)
	v_lshlrev_b64_e64 v[2:3], v2, -1
	v_lshlrev_b64_e64 v[58:59], v57, 1
	s_delay_alu instid0(VALU_DEP_2) | instskip(SKIP_1) | instid1(VALU_DEP_4)
	v_bfi_b32 v2, v2, 0, v0
	v_lshrrev_b64 v[0:1], v33, v[0:1]
	v_bfi_b32 v3, v3, 0, 0
	s_delay_alu instid0(VALU_DEP_1) | instskip(NEXT) | instid1(VALU_DEP_3)
	v_cmp_eq_u64_e64 s13, v[2:3], v[58:59]
	v_mov_b64_e32 v[2:3], v[0:1]
	s_and_saveexec_b32 s76, s13
; %bb.16264:                            ;   in Loop: Header=BB6_14192 Depth=3
	v_bfe_u32 v2, v0, 21, 1
	v_mov_b32_e32 v3, v113
	s_delay_alu instid0(VALU_DEP_1) | instskip(NEXT) | instid1(VALU_DEP_1)
	v_add_nc_u64_e32 v[2:3], v[0:1], v[2:3]
	v_add_nc_u64_e32 v[2:3], -1, v[2:3]
; %bb.16265:                            ;   in Loop: Header=BB6_14192 Depth=3
	s_or_b32 exec_lo, exec_lo, s76
	v_add_nc_u32_e32 v1, 0xffffff81, v5
	v_lshrrev_b32_e32 v3, 23, v0
	s_mov_b32 s13, exec_lo
	s_delay_alu instid0(VALU_DEP_2) | instskip(NEXT) | instid1(VALU_DEP_1)
	v_cndmask_b32_e64 v1, v1, 0xffffff82, vcc_lo
	v_add3_u32 v5, v33, v1, v3
	v_and_b32_e32 v1, 0x1fffff, v2
                                        ; implicit-def: $vgpr2
	s_delay_alu instid0(VALU_DEP_1) | instskip(SKIP_1) | instid1(VALU_DEP_2)
	v_dual_add_nc_u32 v3, 14, v5 :: v_dual_add_nc_u32 v0, v1, v0
	v_mov_b32_e32 v1, v113
	v_cmpx_ne_u32_e32 0, v3
	s_xor_b32 s13, exec_lo, s13
; %bb.16266:                            ;   in Loop: Header=BB6_14192 Depth=3
	s_delay_alu instid0(VALU_DEP_2) | instskip(SKIP_1) | instid1(VALU_DEP_1)
	v_cmp_lt_u64_e32 vcc_lo, 0xffffff, v[0:1]
	v_add_nc_u32_e32 v2, 15, v5
	v_cndmask_b32_e32 v2, v3, v2, vcc_lo
	v_cndmask_b32_e64 v3, 0, 1, vcc_lo
	s_delay_alu instid0(VALU_DEP_1)
	v_lshrrev_b64 v[0:1], v3, v[0:1]
; %bb.16267:                            ;   in Loop: Header=BB6_14192 Depth=3
	s_and_not1_saveexec_b32 s13, s13
; %bb.16268:                            ;   in Loop: Header=BB6_14192 Depth=3
	s_delay_alu instid0(VALU_DEP_1)
	v_bfe_u32 v2, v0, 23, 1
; %bb.16269:                            ;   in Loop: Header=BB6_14192 Depth=3
	s_or_b32 exec_lo, exec_lo, s13
	s_delay_alu instid0(VALU_DEP_2) | instskip(NEXT) | instid1(VALU_DEP_2)
	v_lshrrev_b64 v[0:1], 21, v[0:1]
	v_cmp_gt_i32_e32 vcc_lo, 32, v2
	v_min_i32_e32 v3, 31, v2
	v_cmp_eq_u32_e64 s13, 0, v2
	s_delay_alu instid0(VALU_DEP_2) | instskip(SKIP_1) | instid1(VALU_DEP_2)
	v_dual_cndmask_b32 v1, 0, v1, vcc_lo :: v_dual_lshlrev_b32 v3, 2, v3
	v_cndmask_b32_e32 v0, 3, v0, vcc_lo
	v_and_b32_e32 v3, 0xfc, v3
	s_delay_alu instid0(VALU_DEP_2) | instskip(NEXT) | instid1(VALU_DEP_2)
	v_cmp_eq_u64_e32 vcc_lo, 0, v[0:1]
	v_and_or_b32 v0, v0, 3, v3
	s_and_b32 s13, s13, vcc_lo
	s_delay_alu instid0(VALU_DEP_1) | instid1(SALU_CYCLE_1)
	v_cndmask_b32_e64 v0, v0, 0, s13
	s_delay_alu instid0(VALU_DEP_1)
	v_or_b32_e32 v33, v0, v4
.LBB6_16270:                            ;   in Loop: Header=BB6_14192 Depth=3
	s_or_b32 exec_lo, exec_lo, s75
                                        ; implicit-def: $vgpr4
.LBB6_16271:                            ;   in Loop: Header=BB6_14192 Depth=3
	s_and_not1_saveexec_b32 s13, s74
; %bb.16272:                            ;   in Loop: Header=BB6_14192 Depth=3
	v_or_b32_e32 v33, 0x7b, v4
; %bb.16273:                            ;   in Loop: Header=BB6_14192 Depth=3
	s_or_b32 exec_lo, exec_lo, s13
                                        ; implicit-def: $vgpr2
                                        ; implicit-def: $vgpr0_vgpr1
                                        ; implicit-def: $vgpr3
.LBB6_16274:                            ;   in Loop: Header=BB6_14192 Depth=3
	s_and_not1_saveexec_b32 s13, s73
	s_cbranch_execz .LBB6_16280
; %bb.16275:                            ;   in Loop: Header=BB6_14192 Depth=3
	s_mov_b32 s73, exec_lo
                                        ; implicit-def: $vgpr33
	v_cmpx_ne_u64_e32 0, v[0:1]
	s_xor_b32 s73, exec_lo, s73
; %bb.16276:                            ;   in Loop: Header=BB6_14192 Depth=3
	v_or_b32_e32 v33, 0x7f, v3
                                        ; implicit-def: $vgpr2
; %bb.16277:                            ;   in Loop: Header=BB6_14192 Depth=3
	s_and_not1_saveexec_b32 s73, s73
; %bb.16278:                            ;   in Loop: Header=BB6_14192 Depth=3
	v_cmp_lt_i32_e32 vcc_lo, -1, v2
	v_mov_b32_e32 v0, 0x7c
	s_delay_alu instid0(VALU_DEP_1)
	v_cndmask_b32_e32 v33, 0xfc, v0, vcc_lo
; %bb.16279:                            ;   in Loop: Header=BB6_14192 Depth=3
	s_or_b32 exec_lo, exec_lo, s73
.LBB6_16280:                            ;   in Loop: Header=BB6_14192 Depth=3
	s_delay_alu instid0(SALU_CYCLE_1) | instskip(SKIP_4) | instid1(VALU_DEP_1)
	s_or_b32 exec_lo, exec_lo, s13
	v_lshl_or_b32 v55, v55, 8, v50
	v_dual_mov_b32 v1, v113 :: v_dual_lshlrev_b32 v0, 16, v68
	v_dual_mov_b32 v3, 0 :: v_dual_lshlrev_b32 v2, 24, v56
	s_mov_b32 s73, exec_lo
	v_or3_b32 v0, v0, v2, v55
	v_mov_b32_e32 v2, 0
	v_cmpx_ne_u32_e32 0, v50
	s_cbranch_execz .LBB6_16290
; %bb.16281:                            ;   in Loop: Header=BB6_14192 Depth=3
	v_bfrev_b32_e32 v2, 1
	s_mov_b32 s74, exec_lo
	v_cmpx_ne_u32_e32 0x80, v50
	s_cbranch_execz .LBB6_16289
; %bb.16282:                            ;   in Loop: Header=BB6_14192 Depth=3
	v_and_b32_e32 v2, 0x7c, v50
	v_and_b32_e32 v4, 3, v50
	s_delay_alu instid0(VALU_DEP_2) | instskip(SKIP_1) | instid1(SALU_CYCLE_1)
	v_cmp_ne_u32_e32 vcc_lo, 0x7c, v2
                                        ; implicit-def: $vgpr2
	s_and_saveexec_b32 s13, vcc_lo
	s_xor_b32 s13, exec_lo, s13
	s_cbranch_execz .LBB6_16286
; %bb.16283:                            ;   in Loop: Header=BB6_14192 Depth=3
	v_bfe_u32 v2, v50, 2, 5
	s_mov_b32 s75, exec_lo
	s_delay_alu instid0(VALU_DEP_1)
	v_cmpx_eq_u32_e32 0, v2
; %bb.16284:                            ;   in Loop: Header=BB6_14192 Depth=3
	v_clz_i32_u32_e32 v2, v4
	s_delay_alu instid0(VALU_DEP_1) | instskip(NEXT) | instid1(VALU_DEP_1)
	v_min_u32_e32 v2, 32, v2
	v_subrev_nc_u32_e32 v4, 29, v2
	s_delay_alu instid0(VALU_DEP_1) | instskip(NEXT) | instid1(VALU_DEP_1)
	v_lshlrev_b64_e32 v[4:5], v4, v[0:1]
	v_dual_sub_nc_u32 v2, 30, v2 :: v_dual_bitop2_b32 v4, 3, v4 bitop3:0x40
; %bb.16285:                            ;   in Loop: Header=BB6_14192 Depth=3
	s_or_b32 exec_lo, exec_lo, s75
	v_lshlrev_b32_e32 v1, 24, v50
                                        ; implicit-def: $vgpr50
	s_delay_alu instid0(VALU_DEP_1) | instskip(NEXT) | instid1(VALU_DEP_1)
	v_and_b32_e32 v1, 0x80000000, v1
	v_lshl_add_u32 v1, v2, 23, v1
	s_delay_alu instid0(VALU_DEP_1) | instskip(NEXT) | instid1(VALU_DEP_1)
	v_lshl_or_b32 v1, v4, 21, v1
                                        ; implicit-def: $vgpr4
	v_add_nc_u32_e32 v2, 0x38000000, v1
.LBB6_16286:                            ;   in Loop: Header=BB6_14192 Depth=3
	s_and_not1_saveexec_b32 s75, s13
; %bb.16287:                            ;   in Loop: Header=BB6_14192 Depth=3
	v_and_b32_e32 v1, 0x80, v50
	v_cmp_eq_u32_e32 vcc_lo, 0, v4
	s_delay_alu instid0(VALU_DEP_2) | instskip(SKIP_1) | instid1(VALU_DEP_1)
	v_cmp_eq_u32_e64 s13, 0, v1
	v_mov_b32_e32 v1, 0x7f800000
	v_cndmask_b32_e64 v1, 0xff800000, v1, s13
	s_delay_alu instid0(VALU_DEP_1)
	v_cndmask_b32_e32 v2, 0x7f800001, v1, vcc_lo
; %bb.16288:                            ;   in Loop: Header=BB6_14192 Depth=3
	s_or_b32 exec_lo, exec_lo, s75
.LBB6_16289:                            ;   in Loop: Header=BB6_14192 Depth=3
	s_delay_alu instid0(SALU_CYCLE_1)
	s_or_b32 exec_lo, exec_lo, s74
.LBB6_16290:                            ;   in Loop: Header=BB6_14192 Depth=3
	s_delay_alu instid0(SALU_CYCLE_1) | instskip(SKIP_2) | instid1(VALU_DEP_1)
	s_or_b32 exec_lo, exec_lo, s73
	v_and_b32_e32 v1, 0xff, v21
	s_mov_b32 s73, exec_lo
	v_cmpx_ne_u16_e32 0, v1
	s_cbranch_execz .LBB6_16300
; %bb.16291:                            ;   in Loop: Header=BB6_14192 Depth=3
	v_bfrev_b32_e32 v3, 1
	s_mov_b32 s74, exec_lo
	v_cmpx_ne_u16_e32 0x80, v1
	s_cbranch_execz .LBB6_16299
; %bb.16292:                            ;   in Loop: Header=BB6_14192 Depth=3
	v_and_b32_e32 v3, 0x7c, v21
	v_and_b32_e32 v1, 3, v21
	s_delay_alu instid0(VALU_DEP_2) | instskip(SKIP_1) | instid1(SALU_CYCLE_1)
	v_cmp_ne_u32_e32 vcc_lo, 0x7c, v3
                                        ; implicit-def: $vgpr3
	s_and_saveexec_b32 s13, vcc_lo
	s_xor_b32 s13, exec_lo, s13
	s_cbranch_execz .LBB6_16296
; %bb.16293:                            ;   in Loop: Header=BB6_14192 Depth=3
	v_bfe_u32 v3, v21, 2, 5
	s_mov_b32 s75, exec_lo
	s_delay_alu instid0(VALU_DEP_1)
	v_cmpx_eq_u32_e32 0, v3
; %bb.16294:                            ;   in Loop: Header=BB6_14192 Depth=3
	v_clz_i32_u32_e32 v1, v1
	v_dual_mov_b32 v4, v21 :: v_dual_mov_b32 v5, v113
	s_delay_alu instid0(VALU_DEP_2) | instskip(NEXT) | instid1(VALU_DEP_1)
	v_min_u32_e32 v1, 32, v1
	v_subrev_nc_u32_e32 v3, 29, v1
	s_delay_alu instid0(VALU_DEP_1) | instskip(NEXT) | instid1(VALU_DEP_1)
	v_lshlrev_b64_e32 v[4:5], v3, v[4:5]
	v_dual_sub_nc_u32 v3, 30, v1 :: v_dual_bitop2_b32 v1, 3, v4 bitop3:0x40
; %bb.16295:                            ;   in Loop: Header=BB6_14192 Depth=3
	s_or_b32 exec_lo, exec_lo, s75
	v_lshlrev_b32_e32 v4, 24, v21
	s_delay_alu instid0(VALU_DEP_1) | instskip(NEXT) | instid1(VALU_DEP_1)
	v_and_b32_e32 v4, 0x80000000, v4
	v_lshl_add_u32 v3, v3, 23, v4
	s_delay_alu instid0(VALU_DEP_1) | instskip(NEXT) | instid1(VALU_DEP_1)
	v_lshl_or_b32 v1, v1, 21, v3
	v_add_nc_u32_e32 v3, 0x38000000, v1
                                        ; implicit-def: $vgpr1
.LBB6_16296:                            ;   in Loop: Header=BB6_14192 Depth=3
	s_and_not1_saveexec_b32 s75, s13
; %bb.16297:                            ;   in Loop: Header=BB6_14192 Depth=3
	v_bfe_i32 v3, v21, 0, 8
	v_cmp_eq_u32_e32 vcc_lo, 0, v1
	v_mov_b32_e32 v1, 0x7f800000
	s_delay_alu instid0(VALU_DEP_3) | instskip(NEXT) | instid1(VALU_DEP_1)
	v_cmp_lt_i16_e64 s13, -1, v3
	v_cndmask_b32_e64 v1, 0xff800000, v1, s13
	s_delay_alu instid0(VALU_DEP_1)
	v_cndmask_b32_e32 v3, 0x7f800001, v1, vcc_lo
; %bb.16298:                            ;   in Loop: Header=BB6_14192 Depth=3
	s_or_b32 exec_lo, exec_lo, s75
.LBB6_16299:                            ;   in Loop: Header=BB6_14192 Depth=3
	s_delay_alu instid0(SALU_CYCLE_1)
	s_or_b32 exec_lo, exec_lo, s74
.LBB6_16300:                            ;   in Loop: Header=BB6_14192 Depth=3
	s_delay_alu instid0(SALU_CYCLE_1) | instskip(NEXT) | instid1(VALU_DEP_1)
	s_or_b32 exec_lo, exec_lo, s73
	v_dual_add_f32 v4, v2, v3 :: v_dual_mov_b32 v57, v113
	v_mov_b32_e32 v3, v113
                                        ; implicit-def: $vgpr50
	s_mov_b32 s13, exec_lo
	s_delay_alu instid0(VALU_DEP_2) | instskip(SKIP_2) | instid1(VALU_DEP_3)
	v_and_b32_e32 v56, 0x7f800000, v4
	v_and_b32_e32 v2, 0x7fffff, v4
	v_lshrrev_b32_e32 v1, 24, v4
	v_cmpx_ne_u64_e32 0x7f800000, v[56:57]
	s_xor_b32 s73, exec_lo, s13
	s_cbranch_execz .LBB6_16314
; %bb.16301:                            ;   in Loop: Header=BB6_14192 Depth=3
	v_and_b32_e32 v56, 0x7fffffff, v4
	v_mov_b32_e32 v57, v113
	v_and_b32_e32 v1, 0x80, v1
                                        ; implicit-def: $vgpr50
	s_mov_b32 s13, exec_lo
	s_delay_alu instid0(VALU_DEP_2)
	v_cmpx_gt_u64_e32 0x47600001, v[56:57]
	s_xor_b32 s74, exec_lo, s13
	s_cbranch_execz .LBB6_16311
; %bb.16302:                            ;   in Loop: Header=BB6_14192 Depth=3
	v_mov_b32_e32 v50, 0
	s_mov_b32 s75, exec_lo
	v_cmpx_ne_u32_e32 0, v4
	s_cbranch_execz .LBB6_16310
; %bb.16303:                            ;   in Loop: Header=BB6_14192 Depth=3
	v_bfe_u32 v50, v4, 23, 8
	v_or_b32_e32 v5, 0x800000, v2
	s_delay_alu instid0(VALU_DEP_2) | instskip(SKIP_2) | instid1(VALU_DEP_2)
	v_cmp_gt_u32_e64 s13, 0x72, v50
	v_sub_nc_u32_e32 v4, 0x71, v50
	v_cmp_eq_u32_e32 vcc_lo, 0, v50
	v_dual_cndmask_b32 v4, 0, v4, s13 :: v_dual_cndmask_b32 v2, v5, v2, vcc_lo
	s_delay_alu instid0(VALU_DEP_1) | instskip(NEXT) | instid1(VALU_DEP_1)
	v_cndmask_b32_e64 v68, v4, 0x70, vcc_lo
	v_dual_add_nc_u32 v4, 21, v68 :: v_dual_add_nc_u32 v56, 20, v68
	s_delay_alu instid0(VALU_DEP_1) | instskip(NEXT) | instid1(VALU_DEP_2)
	v_lshlrev_b64_e64 v[4:5], v4, -1
	v_lshlrev_b64_e64 v[56:57], v56, 1
	s_delay_alu instid0(VALU_DEP_2) | instskip(SKIP_1) | instid1(VALU_DEP_4)
	v_bfi_b32 v4, v4, 0, v2
	v_lshrrev_b64 v[2:3], v68, v[2:3]
	v_bfi_b32 v5, v5, 0, 0
	s_delay_alu instid0(VALU_DEP_1) | instskip(NEXT) | instid1(VALU_DEP_3)
	v_cmp_eq_u64_e64 s13, v[4:5], v[56:57]
	v_mov_b64_e32 v[4:5], v[2:3]
	s_and_saveexec_b32 s76, s13
; %bb.16304:                            ;   in Loop: Header=BB6_14192 Depth=3
	v_bfe_u32 v4, v2, 21, 1
	v_mov_b32_e32 v5, v113
	s_delay_alu instid0(VALU_DEP_1) | instskip(NEXT) | instid1(VALU_DEP_1)
	v_add_nc_u64_e32 v[4:5], v[2:3], v[4:5]
	v_add_nc_u64_e32 v[4:5], -1, v[4:5]
; %bb.16305:                            ;   in Loop: Header=BB6_14192 Depth=3
	s_or_b32 exec_lo, exec_lo, s76
	v_add_nc_u32_e32 v3, 0xffffff81, v50
	v_lshrrev_b32_e32 v5, 23, v2
	s_mov_b32 s13, exec_lo
	s_delay_alu instid0(VALU_DEP_2) | instskip(NEXT) | instid1(VALU_DEP_1)
	v_cndmask_b32_e64 v3, v3, 0xffffff82, vcc_lo
	v_add3_u32 v50, v68, v3, v5
	v_and_b32_e32 v3, 0x1fffff, v4
                                        ; implicit-def: $vgpr4
	s_delay_alu instid0(VALU_DEP_2) | instskip(NEXT) | instid1(VALU_DEP_2)
	v_add_nc_u32_e32 v5, 14, v50
	v_dual_mov_b32 v3, v113 :: v_dual_add_nc_u32 v2, v3, v2
	s_delay_alu instid0(VALU_DEP_2)
	v_cmpx_ne_u32_e32 0, v5
	s_xor_b32 s13, exec_lo, s13
; %bb.16306:                            ;   in Loop: Header=BB6_14192 Depth=3
	s_delay_alu instid0(VALU_DEP_2) | instskip(SKIP_1) | instid1(VALU_DEP_1)
	v_cmp_lt_u64_e32 vcc_lo, 0xffffff, v[2:3]
	v_add_nc_u32_e32 v4, 15, v50
	v_cndmask_b32_e32 v4, v5, v4, vcc_lo
	v_cndmask_b32_e64 v5, 0, 1, vcc_lo
	s_delay_alu instid0(VALU_DEP_1)
	v_lshrrev_b64 v[2:3], v5, v[2:3]
; %bb.16307:                            ;   in Loop: Header=BB6_14192 Depth=3
	s_and_not1_saveexec_b32 s13, s13
; %bb.16308:                            ;   in Loop: Header=BB6_14192 Depth=3
	s_delay_alu instid0(VALU_DEP_1)
	v_bfe_u32 v4, v2, 23, 1
; %bb.16309:                            ;   in Loop: Header=BB6_14192 Depth=3
	s_or_b32 exec_lo, exec_lo, s13
	s_delay_alu instid0(VALU_DEP_2) | instskip(NEXT) | instid1(VALU_DEP_2)
	v_lshrrev_b64 v[2:3], 21, v[2:3]
	v_cmp_gt_i32_e32 vcc_lo, 32, v4
	v_min_i32_e32 v5, 31, v4
	v_cmp_eq_u32_e64 s13, 0, v4
	s_delay_alu instid0(VALU_DEP_2) | instskip(SKIP_1) | instid1(VALU_DEP_2)
	v_dual_cndmask_b32 v3, 0, v3, vcc_lo :: v_dual_lshlrev_b32 v5, 2, v5
	v_cndmask_b32_e32 v2, 3, v2, vcc_lo
	v_and_b32_e32 v5, 0xfc, v5
	s_delay_alu instid0(VALU_DEP_2) | instskip(NEXT) | instid1(VALU_DEP_2)
	v_cmp_eq_u64_e32 vcc_lo, 0, v[2:3]
	v_and_or_b32 v2, v2, 3, v5
	s_and_b32 s13, s13, vcc_lo
	s_delay_alu instid0(VALU_DEP_1) | instid1(SALU_CYCLE_1)
	v_cndmask_b32_e64 v2, v2, 0, s13
	s_delay_alu instid0(VALU_DEP_1)
	v_or_b32_e32 v50, v2, v1
.LBB6_16310:                            ;   in Loop: Header=BB6_14192 Depth=3
	s_or_b32 exec_lo, exec_lo, s75
                                        ; implicit-def: $vgpr1
.LBB6_16311:                            ;   in Loop: Header=BB6_14192 Depth=3
	s_and_not1_saveexec_b32 s13, s74
; %bb.16312:                            ;   in Loop: Header=BB6_14192 Depth=3
	v_or_b32_e32 v50, 0x7b, v1
; %bb.16313:                            ;   in Loop: Header=BB6_14192 Depth=3
	s_or_b32 exec_lo, exec_lo, s13
                                        ; implicit-def: $vgpr4
                                        ; implicit-def: $vgpr2_vgpr3
                                        ; implicit-def: $vgpr1
.LBB6_16314:                            ;   in Loop: Header=BB6_14192 Depth=3
	s_and_not1_saveexec_b32 s13, s73
	s_cbranch_execz .LBB6_16320
; %bb.16315:                            ;   in Loop: Header=BB6_14192 Depth=3
	s_mov_b32 s73, exec_lo
                                        ; implicit-def: $vgpr50
	v_cmpx_ne_u64_e32 0, v[2:3]
	s_xor_b32 s73, exec_lo, s73
; %bb.16316:                            ;   in Loop: Header=BB6_14192 Depth=3
	v_or_b32_e32 v50, 0x7f, v1
                                        ; implicit-def: $vgpr4
; %bb.16317:                            ;   in Loop: Header=BB6_14192 Depth=3
	s_and_not1_saveexec_b32 s73, s73
; %bb.16318:                            ;   in Loop: Header=BB6_14192 Depth=3
	v_cmp_lt_i32_e32 vcc_lo, -1, v4
	v_mov_b32_e32 v1, 0x7c
	s_delay_alu instid0(VALU_DEP_1)
	v_cndmask_b32_e32 v50, 0xfc, v1, vcc_lo
; %bb.16319:                            ;   in Loop: Header=BB6_14192 Depth=3
	s_or_b32 exec_lo, exec_lo, s73
.LBB6_16320:                            ;   in Loop: Header=BB6_14192 Depth=3
	s_delay_alu instid0(SALU_CYCLE_1) | instskip(SKIP_3) | instid1(VALU_DEP_2)
	s_or_b32 exec_lo, exec_lo, s13
	v_lshrrev_b16 v2, 8, v55
	v_dual_mov_b32 v1, 0 :: v_dual_mov_b32 v4, 0
	s_mov_b32 s73, exec_lo
	v_cmpx_ne_u16_e32 0, v2
	s_cbranch_execz .LBB6_16330
; %bb.16321:                            ;   in Loop: Header=BB6_14192 Depth=3
	v_bfrev_b32_e32 v4, 1
	s_mov_b32 s74, exec_lo
	v_cmpx_ne_u16_e32 0x80, v2
	s_cbranch_execz .LBB6_16329
; %bb.16322:                            ;   in Loop: Header=BB6_14192 Depth=3
	v_and_b32_e32 v5, 0xffff, v2
	s_delay_alu instid0(VALU_DEP_1) | instskip(SKIP_1) | instid1(VALU_DEP_2)
	v_and_b32_e32 v4, 0x7c, v5
	v_and_b32_e32 v3, 3, v5
	v_cmp_ne_u32_e32 vcc_lo, 0x7c, v4
                                        ; implicit-def: $vgpr4
	s_and_saveexec_b32 s13, vcc_lo
	s_delay_alu instid0(SALU_CYCLE_1)
	s_xor_b32 s13, exec_lo, s13
	s_cbranch_execz .LBB6_16326
; %bb.16323:                            ;   in Loop: Header=BB6_14192 Depth=3
	v_bfe_u32 v4, v5, 2, 5
	s_mov_b32 s75, exec_lo
	s_delay_alu instid0(VALU_DEP_1)
	v_cmpx_eq_u32_e32 0, v4
	s_cbranch_execz .LBB6_16325
; %bb.16324:                            ;   in Loop: Header=BB6_14192 Depth=3
	v_clz_i32_u32_e32 v3, v3
	s_delay_alu instid0(VALU_DEP_1) | instskip(SKIP_1) | instid1(VALU_DEP_2)
	v_min_u32_e32 v4, 32, v3
	v_mov_b32_e32 v3, v113
	v_subrev_nc_u32_e32 v5, 29, v4
	v_sub_nc_u32_e32 v4, 30, v4
	s_delay_alu instid0(VALU_DEP_2) | instskip(NEXT) | instid1(VALU_DEP_1)
	v_lshlrev_b64_e32 v[2:3], v5, v[2:3]
	v_and_b32_e32 v3, 3, v2
.LBB6_16325:                            ;   in Loop: Header=BB6_14192 Depth=3
	s_or_b32 exec_lo, exec_lo, s75
	v_lshlrev_b32_e32 v2, 16, v55
                                        ; implicit-def: $vgpr55
	s_delay_alu instid0(VALU_DEP_1) | instskip(NEXT) | instid1(VALU_DEP_1)
	v_and_b32_e32 v2, 0x80000000, v2
	v_lshl_add_u32 v2, v4, 23, v2
	s_delay_alu instid0(VALU_DEP_1) | instskip(NEXT) | instid1(VALU_DEP_1)
	v_lshl_or_b32 v2, v3, 21, v2
                                        ; implicit-def: $vgpr3
	v_add_nc_u32_e32 v4, 0x38000000, v2
.LBB6_16326:                            ;   in Loop: Header=BB6_14192 Depth=3
	s_and_not1_saveexec_b32 s75, s13
; %bb.16327:                            ;   in Loop: Header=BB6_14192 Depth=3
	v_cmp_lt_i16_e64 s13, -1, v55
	v_mov_b32_e32 v2, 0x7f800000
	v_cmp_eq_u32_e32 vcc_lo, 0, v3
	s_delay_alu instid0(VALU_DEP_2) | instskip(NEXT) | instid1(VALU_DEP_1)
	v_cndmask_b32_e64 v2, 0xff800000, v2, s13
	v_cndmask_b32_e32 v4, 0x7f800001, v2, vcc_lo
; %bb.16328:                            ;   in Loop: Header=BB6_14192 Depth=3
	s_or_b32 exec_lo, exec_lo, s75
.LBB6_16329:                            ;   in Loop: Header=BB6_14192 Depth=3
	s_delay_alu instid0(SALU_CYCLE_1)
	s_or_b32 exec_lo, exec_lo, s74
.LBB6_16330:                            ;   in Loop: Header=BB6_14192 Depth=3
	s_delay_alu instid0(SALU_CYCLE_1) | instskip(SKIP_2) | instid1(VALU_DEP_1)
	s_or_b32 exec_lo, exec_lo, s73
	v_lshrrev_b16 v2, 8, v21
	s_mov_b32 s73, exec_lo
	v_cmpx_ne_u16_e32 0, v2
	s_cbranch_execz .LBB6_16340
; %bb.16331:                            ;   in Loop: Header=BB6_14192 Depth=3
	v_bfrev_b32_e32 v1, 1
	s_mov_b32 s74, exec_lo
	v_cmpx_ne_u16_e32 0x80, v2
	s_cbranch_execz .LBB6_16339
; %bb.16332:                            ;   in Loop: Header=BB6_14192 Depth=3
	v_and_b32_e32 v5, 0xffff, v2
	s_delay_alu instid0(VALU_DEP_1) | instskip(SKIP_1) | instid1(VALU_DEP_2)
	v_and_b32_e32 v1, 0x7c, v5
	v_and_b32_e32 v3, 3, v5
	v_cmp_ne_u32_e32 vcc_lo, 0x7c, v1
                                        ; implicit-def: $vgpr1
	s_and_saveexec_b32 s13, vcc_lo
	s_delay_alu instid0(SALU_CYCLE_1)
	s_xor_b32 s13, exec_lo, s13
	s_cbranch_execz .LBB6_16336
; %bb.16333:                            ;   in Loop: Header=BB6_14192 Depth=3
	v_bfe_u32 v1, v5, 2, 5
	s_mov_b32 s75, exec_lo
	s_delay_alu instid0(VALU_DEP_1)
	v_cmpx_eq_u32_e32 0, v1
	s_cbranch_execz .LBB6_16335
; %bb.16334:                            ;   in Loop: Header=BB6_14192 Depth=3
	v_clz_i32_u32_e32 v1, v3
	s_delay_alu instid0(VALU_DEP_1) | instskip(SKIP_1) | instid1(VALU_DEP_2)
	v_min_u32_e32 v1, 32, v1
	v_mov_b32_e32 v3, v113
	v_subrev_nc_u32_e32 v5, 29, v1
	v_sub_nc_u32_e32 v1, 30, v1
	s_delay_alu instid0(VALU_DEP_2) | instskip(NEXT) | instid1(VALU_DEP_1)
	v_lshlrev_b64_e32 v[2:3], v5, v[2:3]
	v_and_b32_e32 v3, 3, v2
.LBB6_16335:                            ;   in Loop: Header=BB6_14192 Depth=3
	s_or_b32 exec_lo, exec_lo, s75
	v_lshlrev_b32_e32 v2, 16, v21
	s_delay_alu instid0(VALU_DEP_1) | instskip(NEXT) | instid1(VALU_DEP_1)
	v_and_b32_e32 v2, 0x80000000, v2
	v_lshl_add_u32 v1, v1, 23, v2
	s_delay_alu instid0(VALU_DEP_1) | instskip(NEXT) | instid1(VALU_DEP_1)
	v_lshl_or_b32 v1, v3, 21, v1
                                        ; implicit-def: $vgpr3
	v_add_nc_u32_e32 v1, 0x38000000, v1
.LBB6_16336:                            ;   in Loop: Header=BB6_14192 Depth=3
	s_and_not1_saveexec_b32 s75, s13
; %bb.16337:                            ;   in Loop: Header=BB6_14192 Depth=3
	v_cmp_lt_i16_e64 s13, -1, v21
	v_mov_b32_e32 v1, 0x7f800000
	v_cmp_eq_u32_e32 vcc_lo, 0, v3
	s_delay_alu instid0(VALU_DEP_2) | instskip(NEXT) | instid1(VALU_DEP_1)
	v_cndmask_b32_e64 v1, 0xff800000, v1, s13
	v_cndmask_b32_e32 v1, 0x7f800001, v1, vcc_lo
; %bb.16338:                            ;   in Loop: Header=BB6_14192 Depth=3
	s_or_b32 exec_lo, exec_lo, s75
.LBB6_16339:                            ;   in Loop: Header=BB6_14192 Depth=3
	s_delay_alu instid0(SALU_CYCLE_1)
	s_or_b32 exec_lo, exec_lo, s74
.LBB6_16340:                            ;   in Loop: Header=BB6_14192 Depth=3
	s_delay_alu instid0(SALU_CYCLE_1) | instskip(NEXT) | instid1(VALU_DEP_1)
	s_or_b32 exec_lo, exec_lo, s73
	v_dual_add_f32 v4, v4, v1 :: v_dual_mov_b32 v57, v113
	v_mov_b32_e32 v3, v113
                                        ; implicit-def: $vgpr55
	s_mov_b32 s13, exec_lo
	s_delay_alu instid0(VALU_DEP_2) | instskip(SKIP_2) | instid1(VALU_DEP_3)
	v_and_b32_e32 v56, 0x7f800000, v4
	v_and_b32_e32 v2, 0x7fffff, v4
	v_lshrrev_b32_e32 v1, 24, v4
	v_cmpx_ne_u64_e32 0x7f800000, v[56:57]
	s_xor_b32 s73, exec_lo, s13
	s_cbranch_execz .LBB6_16354
; %bb.16341:                            ;   in Loop: Header=BB6_14192 Depth=3
	v_and_b32_e32 v56, 0x7fffffff, v4
	v_mov_b32_e32 v57, v113
	v_and_b32_e32 v1, 0x80, v1
                                        ; implicit-def: $vgpr55
	s_mov_b32 s13, exec_lo
	s_delay_alu instid0(VALU_DEP_2)
	v_cmpx_gt_u64_e32 0x47600001, v[56:57]
	s_xor_b32 s74, exec_lo, s13
	s_cbranch_execz .LBB6_16351
; %bb.16342:                            ;   in Loop: Header=BB6_14192 Depth=3
	v_mov_b32_e32 v55, 0
	s_mov_b32 s75, exec_lo
	v_cmpx_ne_u32_e32 0, v4
	s_cbranch_execz .LBB6_16350
; %bb.16343:                            ;   in Loop: Header=BB6_14192 Depth=3
	v_bfe_u32 v55, v4, 23, 8
	v_or_b32_e32 v5, 0x800000, v2
	s_delay_alu instid0(VALU_DEP_2) | instskip(SKIP_2) | instid1(VALU_DEP_2)
	v_cmp_gt_u32_e64 s13, 0x72, v55
	v_sub_nc_u32_e32 v4, 0x71, v55
	v_cmp_eq_u32_e32 vcc_lo, 0, v55
	v_dual_cndmask_b32 v4, 0, v4, s13 :: v_dual_cndmask_b32 v2, v5, v2, vcc_lo
	s_delay_alu instid0(VALU_DEP_1) | instskip(NEXT) | instid1(VALU_DEP_1)
	v_cndmask_b32_e64 v68, v4, 0x70, vcc_lo
	v_dual_add_nc_u32 v4, 21, v68 :: v_dual_add_nc_u32 v56, 20, v68
	s_delay_alu instid0(VALU_DEP_1) | instskip(NEXT) | instid1(VALU_DEP_2)
	v_lshlrev_b64_e64 v[4:5], v4, -1
	v_lshlrev_b64_e64 v[56:57], v56, 1
	s_delay_alu instid0(VALU_DEP_2) | instskip(SKIP_1) | instid1(VALU_DEP_4)
	v_bfi_b32 v4, v4, 0, v2
	v_lshrrev_b64 v[2:3], v68, v[2:3]
	v_bfi_b32 v5, v5, 0, 0
	s_delay_alu instid0(VALU_DEP_1) | instskip(NEXT) | instid1(VALU_DEP_3)
	v_cmp_eq_u64_e64 s13, v[4:5], v[56:57]
	v_mov_b64_e32 v[4:5], v[2:3]
	s_and_saveexec_b32 s76, s13
; %bb.16344:                            ;   in Loop: Header=BB6_14192 Depth=3
	v_bfe_u32 v4, v2, 21, 1
	v_mov_b32_e32 v5, v113
	s_delay_alu instid0(VALU_DEP_1) | instskip(NEXT) | instid1(VALU_DEP_1)
	v_add_nc_u64_e32 v[4:5], v[2:3], v[4:5]
	v_add_nc_u64_e32 v[4:5], -1, v[4:5]
; %bb.16345:                            ;   in Loop: Header=BB6_14192 Depth=3
	s_or_b32 exec_lo, exec_lo, s76
	v_add_nc_u32_e32 v3, 0xffffff81, v55
	v_lshrrev_b32_e32 v5, 23, v2
	s_mov_b32 s13, exec_lo
	s_delay_alu instid0(VALU_DEP_2) | instskip(NEXT) | instid1(VALU_DEP_1)
	v_cndmask_b32_e64 v3, v3, 0xffffff82, vcc_lo
	v_add3_u32 v55, v68, v3, v5
	v_and_b32_e32 v3, 0x1fffff, v4
                                        ; implicit-def: $vgpr4
	s_delay_alu instid0(VALU_DEP_1) | instskip(SKIP_1) | instid1(VALU_DEP_2)
	v_dual_add_nc_u32 v5, 14, v55 :: v_dual_add_nc_u32 v2, v3, v2
	v_mov_b32_e32 v3, v113
	v_cmpx_ne_u32_e32 0, v5
	s_xor_b32 s13, exec_lo, s13
; %bb.16346:                            ;   in Loop: Header=BB6_14192 Depth=3
	s_delay_alu instid0(VALU_DEP_2) | instskip(SKIP_1) | instid1(VALU_DEP_1)
	v_cmp_lt_u64_e32 vcc_lo, 0xffffff, v[2:3]
	v_add_nc_u32_e32 v4, 15, v55
	v_cndmask_b32_e32 v4, v5, v4, vcc_lo
	v_cndmask_b32_e64 v5, 0, 1, vcc_lo
	s_delay_alu instid0(VALU_DEP_1)
	v_lshrrev_b64 v[2:3], v5, v[2:3]
; %bb.16347:                            ;   in Loop: Header=BB6_14192 Depth=3
	s_and_not1_saveexec_b32 s13, s13
; %bb.16348:                            ;   in Loop: Header=BB6_14192 Depth=3
	s_delay_alu instid0(VALU_DEP_1)
	v_bfe_u32 v4, v2, 23, 1
; %bb.16349:                            ;   in Loop: Header=BB6_14192 Depth=3
	s_or_b32 exec_lo, exec_lo, s13
	s_delay_alu instid0(VALU_DEP_2) | instskip(NEXT) | instid1(VALU_DEP_2)
	v_lshrrev_b64 v[2:3], 21, v[2:3]
	v_cmp_gt_i32_e32 vcc_lo, 32, v4
	v_min_i32_e32 v5, 31, v4
	v_cmp_eq_u32_e64 s13, 0, v4
	s_delay_alu instid0(VALU_DEP_2) | instskip(SKIP_1) | instid1(VALU_DEP_2)
	v_dual_cndmask_b32 v3, 0, v3, vcc_lo :: v_dual_lshlrev_b32 v5, 2, v5
	v_cndmask_b32_e32 v2, 3, v2, vcc_lo
	v_and_b32_e32 v5, 0xfc, v5
	s_delay_alu instid0(VALU_DEP_2) | instskip(NEXT) | instid1(VALU_DEP_2)
	v_cmp_eq_u64_e32 vcc_lo, 0, v[2:3]
	v_and_or_b32 v2, v2, 3, v5
	s_and_b32 s13, s13, vcc_lo
	s_delay_alu instid0(VALU_DEP_1) | instid1(SALU_CYCLE_1)
	v_cndmask_b32_e64 v2, v2, 0, s13
	s_delay_alu instid0(VALU_DEP_1)
	v_or_b32_e32 v55, v2, v1
.LBB6_16350:                            ;   in Loop: Header=BB6_14192 Depth=3
	s_or_b32 exec_lo, exec_lo, s75
                                        ; implicit-def: $vgpr1
.LBB6_16351:                            ;   in Loop: Header=BB6_14192 Depth=3
	s_and_not1_saveexec_b32 s13, s74
; %bb.16352:                            ;   in Loop: Header=BB6_14192 Depth=3
	v_or_b32_e32 v55, 0x7b, v1
; %bb.16353:                            ;   in Loop: Header=BB6_14192 Depth=3
	s_or_b32 exec_lo, exec_lo, s13
                                        ; implicit-def: $vgpr4
                                        ; implicit-def: $vgpr2_vgpr3
                                        ; implicit-def: $vgpr1
.LBB6_16354:                            ;   in Loop: Header=BB6_14192 Depth=3
	s_and_not1_saveexec_b32 s13, s73
	s_cbranch_execz .LBB6_16360
; %bb.16355:                            ;   in Loop: Header=BB6_14192 Depth=3
	s_mov_b32 s73, exec_lo
                                        ; implicit-def: $vgpr55
	v_cmpx_ne_u64_e32 0, v[2:3]
	s_xor_b32 s73, exec_lo, s73
; %bb.16356:                            ;   in Loop: Header=BB6_14192 Depth=3
	v_or_b32_e32 v55, 0x7f, v1
                                        ; implicit-def: $vgpr4
; %bb.16357:                            ;   in Loop: Header=BB6_14192 Depth=3
	s_and_not1_saveexec_b32 s73, s73
; %bb.16358:                            ;   in Loop: Header=BB6_14192 Depth=3
	v_cmp_lt_i32_e32 vcc_lo, -1, v4
	v_mov_b32_e32 v1, 0x7c
	s_delay_alu instid0(VALU_DEP_1)
	v_cndmask_b32_e32 v55, 0xfc, v1, vcc_lo
; %bb.16359:                            ;   in Loop: Header=BB6_14192 Depth=3
	s_or_b32 exec_lo, exec_lo, s73
.LBB6_16360:                            ;   in Loop: Header=BB6_14192 Depth=3
	s_delay_alu instid0(SALU_CYCLE_1) | instskip(SKIP_3) | instid1(VALU_DEP_2)
	s_or_b32 exec_lo, exec_lo, s13
	v_dual_mov_b32 v1, 0 :: v_dual_lshrrev_b32 v2, 16, v0
	v_mov_b32_e32 v3, 0
	s_mov_b32 s73, exec_lo
	v_and_b32_e32 v4, 0xff, v2
	s_delay_alu instid0(VALU_DEP_1)
	v_cmpx_ne_u16_e32 0, v4
	s_cbranch_execz .LBB6_16370
; %bb.16361:                            ;   in Loop: Header=BB6_14192 Depth=3
	v_bfrev_b32_e32 v3, 1
	s_mov_b32 s74, exec_lo
	v_cmpx_ne_u16_e32 0x80, v4
	s_cbranch_execz .LBB6_16369
; %bb.16362:                            ;   in Loop: Header=BB6_14192 Depth=3
	v_and_b32_e32 v3, 0x7c0000, v0
	v_bfe_u32 v4, v0, 16, 2
	s_delay_alu instid0(VALU_DEP_2) | instskip(SKIP_1) | instid1(SALU_CYCLE_1)
	v_cmp_ne_u32_e32 vcc_lo, 0x7c0000, v3
                                        ; implicit-def: $vgpr3
	s_and_saveexec_b32 s13, vcc_lo
	s_xor_b32 s13, exec_lo, s13
	s_cbranch_execz .LBB6_16366
; %bb.16363:                            ;   in Loop: Header=BB6_14192 Depth=3
	v_bfe_u32 v3, v0, 18, 5
	s_mov_b32 s75, exec_lo
	s_delay_alu instid0(VALU_DEP_1)
	v_cmpx_eq_u32_e32 0, v3
; %bb.16364:                            ;   in Loop: Header=BB6_14192 Depth=3
	v_clz_i32_u32_e32 v3, v4
	s_delay_alu instid0(VALU_DEP_1) | instskip(NEXT) | instid1(VALU_DEP_1)
	v_min_u32_e32 v3, 32, v3
	v_subrev_nc_u32_e32 v4, 29, v3
	s_delay_alu instid0(VALU_DEP_1) | instskip(NEXT) | instid1(VALU_DEP_1)
	v_lshlrev_b64_e32 v[4:5], v4, v[2:3]
	v_dual_sub_nc_u32 v3, 30, v3 :: v_dual_bitop2_b32 v4, 3, v4 bitop3:0x40
; %bb.16365:                            ;   in Loop: Header=BB6_14192 Depth=3
	s_or_b32 exec_lo, exec_lo, s75
	v_lshlrev_b32_e32 v2, 24, v2
	s_delay_alu instid0(VALU_DEP_1) | instskip(NEXT) | instid1(VALU_DEP_1)
	v_and_b32_e32 v2, 0x80000000, v2
	v_lshl_add_u32 v2, v3, 23, v2
	s_delay_alu instid0(VALU_DEP_1) | instskip(NEXT) | instid1(VALU_DEP_1)
	v_lshl_or_b32 v2, v4, 21, v2
                                        ; implicit-def: $vgpr4
	v_add_nc_u32_e32 v3, 0x38000000, v2
                                        ; implicit-def: $vgpr2
.LBB6_16366:                            ;   in Loop: Header=BB6_14192 Depth=3
	s_and_not1_saveexec_b32 s75, s13
; %bb.16367:                            ;   in Loop: Header=BB6_14192 Depth=3
	v_bfe_i32 v2, v2, 0, 8
	v_cmp_eq_u32_e32 vcc_lo, 0, v4
	s_delay_alu instid0(VALU_DEP_2) | instskip(SKIP_1) | instid1(VALU_DEP_1)
	v_cmp_lt_i16_e64 s13, -1, v2
	v_mov_b32_e32 v2, 0x7f800000
	v_cndmask_b32_e64 v2, 0xff800000, v2, s13
	s_delay_alu instid0(VALU_DEP_1)
	v_cndmask_b32_e32 v3, 0x7f800001, v2, vcc_lo
; %bb.16368:                            ;   in Loop: Header=BB6_14192 Depth=3
	s_or_b32 exec_lo, exec_lo, s75
.LBB6_16369:                            ;   in Loop: Header=BB6_14192 Depth=3
	s_delay_alu instid0(SALU_CYCLE_1)
	s_or_b32 exec_lo, exec_lo, s74
.LBB6_16370:                            ;   in Loop: Header=BB6_14192 Depth=3
	s_delay_alu instid0(SALU_CYCLE_1) | instskip(SKIP_2) | instid1(VALU_DEP_1)
	s_or_b32 exec_lo, exec_lo, s73
	v_lshrrev_b32_e32 v2, 16, v21
	s_mov_b32 s73, exec_lo
	v_and_b32_e32 v4, 0xff, v2
	s_delay_alu instid0(VALU_DEP_1)
	v_cmpx_ne_u16_e32 0, v4
	s_cbranch_execz .LBB6_16380
; %bb.16371:                            ;   in Loop: Header=BB6_14192 Depth=3
	v_bfrev_b32_e32 v1, 1
	s_mov_b32 s74, exec_lo
	v_cmpx_ne_u16_e32 0x80, v4
	s_cbranch_execz .LBB6_16379
; %bb.16372:                            ;   in Loop: Header=BB6_14192 Depth=3
	v_and_b32_e32 v1, 0x7c0000, v21
	v_bfe_u32 v4, v21, 16, 2
	s_delay_alu instid0(VALU_DEP_2) | instskip(SKIP_1) | instid1(SALU_CYCLE_1)
	v_cmp_ne_u32_e32 vcc_lo, 0x7c0000, v1
                                        ; implicit-def: $vgpr1
	s_and_saveexec_b32 s13, vcc_lo
	s_xor_b32 s13, exec_lo, s13
	s_cbranch_execz .LBB6_16376
; %bb.16373:                            ;   in Loop: Header=BB6_14192 Depth=3
	v_bfe_u32 v1, v21, 18, 5
	s_mov_b32 s75, exec_lo
	s_delay_alu instid0(VALU_DEP_1)
	v_cmpx_eq_u32_e32 0, v1
; %bb.16374:                            ;   in Loop: Header=BB6_14192 Depth=3
	v_clz_i32_u32_e32 v1, v4
	s_delay_alu instid0(VALU_DEP_1) | instskip(NEXT) | instid1(VALU_DEP_1)
	v_min_u32_e32 v1, 32, v1
	v_subrev_nc_u32_e32 v4, 29, v1
	s_delay_alu instid0(VALU_DEP_1) | instskip(NEXT) | instid1(VALU_DEP_1)
	v_lshlrev_b64_e32 v[4:5], v4, v[2:3]
	v_dual_sub_nc_u32 v1, 30, v1 :: v_dual_bitop2_b32 v4, 3, v4 bitop3:0x40
; %bb.16375:                            ;   in Loop: Header=BB6_14192 Depth=3
	s_or_b32 exec_lo, exec_lo, s75
	v_lshlrev_b32_e32 v2, 24, v2
	s_delay_alu instid0(VALU_DEP_1) | instskip(NEXT) | instid1(VALU_DEP_1)
	v_and_b32_e32 v2, 0x80000000, v2
	v_lshl_add_u32 v1, v1, 23, v2
                                        ; implicit-def: $vgpr2
	s_delay_alu instid0(VALU_DEP_1) | instskip(NEXT) | instid1(VALU_DEP_1)
	v_lshl_or_b32 v1, v4, 21, v1
                                        ; implicit-def: $vgpr4
	v_add_nc_u32_e32 v1, 0x38000000, v1
.LBB6_16376:                            ;   in Loop: Header=BB6_14192 Depth=3
	s_and_not1_saveexec_b32 s75, s13
; %bb.16377:                            ;   in Loop: Header=BB6_14192 Depth=3
	v_bfe_i32 v1, v2, 0, 8
	v_cmp_eq_u32_e32 vcc_lo, 0, v4
	s_delay_alu instid0(VALU_DEP_2) | instskip(SKIP_1) | instid1(VALU_DEP_1)
	v_cmp_lt_i16_e64 s13, -1, v1
	v_mov_b32_e32 v1, 0x7f800000
	v_cndmask_b32_e64 v1, 0xff800000, v1, s13
	s_delay_alu instid0(VALU_DEP_1)
	v_cndmask_b32_e32 v1, 0x7f800001, v1, vcc_lo
; %bb.16378:                            ;   in Loop: Header=BB6_14192 Depth=3
	s_or_b32 exec_lo, exec_lo, s75
.LBB6_16379:                            ;   in Loop: Header=BB6_14192 Depth=3
	s_delay_alu instid0(SALU_CYCLE_1)
	s_or_b32 exec_lo, exec_lo, s74
.LBB6_16380:                            ;   in Loop: Header=BB6_14192 Depth=3
	s_delay_alu instid0(SALU_CYCLE_1) | instskip(NEXT) | instid1(VALU_DEP_1)
	s_or_b32 exec_lo, exec_lo, s73
	v_dual_add_f32 v4, v3, v1 :: v_dual_mov_b32 v57, v113
	v_mov_b32_e32 v3, v113
                                        ; implicit-def: $vgpr68
	s_mov_b32 s13, exec_lo
	s_delay_alu instid0(VALU_DEP_2) | instskip(SKIP_2) | instid1(VALU_DEP_3)
	v_and_b32_e32 v56, 0x7f800000, v4
	v_and_b32_e32 v2, 0x7fffff, v4
	v_lshrrev_b32_e32 v1, 24, v4
	v_cmpx_ne_u64_e32 0x7f800000, v[56:57]
	s_xor_b32 s73, exec_lo, s13
	s_cbranch_execz .LBB6_16394
; %bb.16381:                            ;   in Loop: Header=BB6_14192 Depth=3
	v_and_b32_e32 v56, 0x7fffffff, v4
	v_mov_b32_e32 v57, v113
	v_and_b32_e32 v1, 0x80, v1
                                        ; implicit-def: $vgpr68
	s_mov_b32 s13, exec_lo
	s_delay_alu instid0(VALU_DEP_2)
	v_cmpx_gt_u64_e32 0x47600001, v[56:57]
	s_xor_b32 s74, exec_lo, s13
	s_cbranch_execz .LBB6_16391
; %bb.16382:                            ;   in Loop: Header=BB6_14192 Depth=3
	v_mov_b32_e32 v68, 0
	s_mov_b32 s75, exec_lo
	v_cmpx_ne_u32_e32 0, v4
	s_cbranch_execz .LBB6_16390
; %bb.16383:                            ;   in Loop: Header=BB6_14192 Depth=3
	v_bfe_u32 v68, v4, 23, 8
	v_or_b32_e32 v5, 0x800000, v2
	s_delay_alu instid0(VALU_DEP_2) | instskip(SKIP_2) | instid1(VALU_DEP_2)
	v_cmp_gt_u32_e64 s13, 0x72, v68
	v_sub_nc_u32_e32 v4, 0x71, v68
	v_cmp_eq_u32_e32 vcc_lo, 0, v68
	v_dual_cndmask_b32 v4, 0, v4, s13 :: v_dual_cndmask_b32 v2, v5, v2, vcc_lo
	s_delay_alu instid0(VALU_DEP_1) | instskip(NEXT) | instid1(VALU_DEP_1)
	v_cndmask_b32_e64 v56, v4, 0x70, vcc_lo
	v_dual_add_nc_u32 v4, 21, v56 :: v_dual_add_nc_u32 v57, 20, v56
	s_delay_alu instid0(VALU_DEP_1) | instskip(NEXT) | instid1(VALU_DEP_2)
	v_lshlrev_b64_e64 v[4:5], v4, -1
	v_lshlrev_b64_e64 v[58:59], v57, 1
	s_delay_alu instid0(VALU_DEP_2) | instskip(SKIP_1) | instid1(VALU_DEP_4)
	v_bfi_b32 v4, v4, 0, v2
	v_lshrrev_b64 v[2:3], v56, v[2:3]
	v_bfi_b32 v5, v5, 0, 0
	s_delay_alu instid0(VALU_DEP_1) | instskip(NEXT) | instid1(VALU_DEP_3)
	v_cmp_eq_u64_e64 s13, v[4:5], v[58:59]
	v_mov_b64_e32 v[4:5], v[2:3]
	s_and_saveexec_b32 s76, s13
; %bb.16384:                            ;   in Loop: Header=BB6_14192 Depth=3
	v_bfe_u32 v4, v2, 21, 1
	v_mov_b32_e32 v5, v113
	s_delay_alu instid0(VALU_DEP_1) | instskip(NEXT) | instid1(VALU_DEP_1)
	v_add_nc_u64_e32 v[4:5], v[2:3], v[4:5]
	v_add_nc_u64_e32 v[4:5], -1, v[4:5]
; %bb.16385:                            ;   in Loop: Header=BB6_14192 Depth=3
	s_or_b32 exec_lo, exec_lo, s76
	v_add_nc_u32_e32 v3, 0xffffff81, v68
	v_lshrrev_b32_e32 v5, 23, v2
	s_mov_b32 s13, exec_lo
	s_delay_alu instid0(VALU_DEP_2) | instskip(NEXT) | instid1(VALU_DEP_1)
	v_cndmask_b32_e64 v3, v3, 0xffffff82, vcc_lo
	v_add3_u32 v68, v56, v3, v5
	v_and_b32_e32 v3, 0x1fffff, v4
                                        ; implicit-def: $vgpr4
	s_delay_alu instid0(VALU_DEP_1) | instskip(SKIP_1) | instid1(VALU_DEP_2)
	v_dual_add_nc_u32 v5, 14, v68 :: v_dual_add_nc_u32 v2, v3, v2
	v_mov_b32_e32 v3, v113
	v_cmpx_ne_u32_e32 0, v5
	s_xor_b32 s13, exec_lo, s13
; %bb.16386:                            ;   in Loop: Header=BB6_14192 Depth=3
	s_delay_alu instid0(VALU_DEP_2) | instskip(SKIP_1) | instid1(VALU_DEP_1)
	v_cmp_lt_u64_e32 vcc_lo, 0xffffff, v[2:3]
	v_add_nc_u32_e32 v4, 15, v68
	v_cndmask_b32_e32 v4, v5, v4, vcc_lo
	v_cndmask_b32_e64 v5, 0, 1, vcc_lo
	s_delay_alu instid0(VALU_DEP_1)
	v_lshrrev_b64 v[2:3], v5, v[2:3]
; %bb.16387:                            ;   in Loop: Header=BB6_14192 Depth=3
	s_and_not1_saveexec_b32 s13, s13
; %bb.16388:                            ;   in Loop: Header=BB6_14192 Depth=3
	s_delay_alu instid0(VALU_DEP_1)
	v_bfe_u32 v4, v2, 23, 1
; %bb.16389:                            ;   in Loop: Header=BB6_14192 Depth=3
	s_or_b32 exec_lo, exec_lo, s13
	s_delay_alu instid0(VALU_DEP_2) | instskip(NEXT) | instid1(VALU_DEP_2)
	v_lshrrev_b64 v[2:3], 21, v[2:3]
	v_cmp_gt_i32_e32 vcc_lo, 32, v4
	v_min_i32_e32 v5, 31, v4
	v_cmp_eq_u32_e64 s13, 0, v4
	s_delay_alu instid0(VALU_DEP_2) | instskip(SKIP_1) | instid1(VALU_DEP_2)
	v_dual_cndmask_b32 v3, 0, v3, vcc_lo :: v_dual_lshlrev_b32 v5, 2, v5
	v_cndmask_b32_e32 v2, 3, v2, vcc_lo
	v_and_b32_e32 v5, 0xfc, v5
	s_delay_alu instid0(VALU_DEP_2) | instskip(NEXT) | instid1(VALU_DEP_2)
	v_cmp_eq_u64_e32 vcc_lo, 0, v[2:3]
	v_and_or_b32 v2, v2, 3, v5
	s_and_b32 s13, s13, vcc_lo
	s_delay_alu instid0(VALU_DEP_1) | instid1(SALU_CYCLE_1)
	v_cndmask_b32_e64 v2, v2, 0, s13
	s_delay_alu instid0(VALU_DEP_1)
	v_or_b32_e32 v68, v2, v1
.LBB6_16390:                            ;   in Loop: Header=BB6_14192 Depth=3
	s_or_b32 exec_lo, exec_lo, s75
                                        ; implicit-def: $vgpr1
.LBB6_16391:                            ;   in Loop: Header=BB6_14192 Depth=3
	s_and_not1_saveexec_b32 s13, s74
; %bb.16392:                            ;   in Loop: Header=BB6_14192 Depth=3
	v_or_b32_e32 v68, 0x7b, v1
; %bb.16393:                            ;   in Loop: Header=BB6_14192 Depth=3
	s_or_b32 exec_lo, exec_lo, s13
                                        ; implicit-def: $vgpr4
                                        ; implicit-def: $vgpr2_vgpr3
                                        ; implicit-def: $vgpr1
.LBB6_16394:                            ;   in Loop: Header=BB6_14192 Depth=3
	s_and_not1_saveexec_b32 s13, s73
	s_cbranch_execz .LBB6_16400
; %bb.16395:                            ;   in Loop: Header=BB6_14192 Depth=3
	s_mov_b32 s73, exec_lo
                                        ; implicit-def: $vgpr68
	v_cmpx_ne_u64_e32 0, v[2:3]
	s_xor_b32 s73, exec_lo, s73
; %bb.16396:                            ;   in Loop: Header=BB6_14192 Depth=3
	v_or_b32_e32 v68, 0x7f, v1
                                        ; implicit-def: $vgpr4
; %bb.16397:                            ;   in Loop: Header=BB6_14192 Depth=3
	s_and_not1_saveexec_b32 s73, s73
; %bb.16398:                            ;   in Loop: Header=BB6_14192 Depth=3
	v_cmp_lt_i32_e32 vcc_lo, -1, v4
	v_mov_b32_e32 v1, 0x7c
	s_delay_alu instid0(VALU_DEP_1)
	v_cndmask_b32_e32 v68, 0xfc, v1, vcc_lo
; %bb.16399:                            ;   in Loop: Header=BB6_14192 Depth=3
	s_or_b32 exec_lo, exec_lo, s73
.LBB6_16400:                            ;   in Loop: Header=BB6_14192 Depth=3
	s_delay_alu instid0(SALU_CYCLE_1)
	s_or_b32 exec_lo, exec_lo, s13
	v_dual_mov_b32 v3, 0 :: v_dual_mov_b32 v4, 0
	s_mov_b32 s73, exec_lo
	v_cmpx_lt_u32_e32 0xffffff, v0
	s_cbranch_execz .LBB6_16410
; %bb.16401:                            ;   in Loop: Header=BB6_14192 Depth=3
	v_lshrrev_b32_e32 v2, 24, v0
	v_bfrev_b32_e32 v4, 1
	s_mov_b32 s74, exec_lo
	s_delay_alu instid0(VALU_DEP_2)
	v_cmpx_ne_u32_e32 0x80, v2
	s_cbranch_execz .LBB6_16409
; %bb.16402:                            ;   in Loop: Header=BB6_14192 Depth=3
	v_and_b32_e32 v1, 0x7c000000, v0
	v_bfe_u32 v5, v0, 24, 2
	s_mov_b32 s13, exec_lo
                                        ; implicit-def: $vgpr4
	s_delay_alu instid0(VALU_DEP_2)
	v_cmpx_ne_u32_e32 0x7c000000, v1
	s_xor_b32 s13, exec_lo, s13
	s_cbranch_execz .LBB6_16406
; %bb.16403:                            ;   in Loop: Header=BB6_14192 Depth=3
	v_bfe_u32 v1, v0, 26, 5
	s_mov_b32 s75, exec_lo
	s_delay_alu instid0(VALU_DEP_1)
	v_cmpx_eq_u32_e32 0, v1
; %bb.16404:                            ;   in Loop: Header=BB6_14192 Depth=3
	v_clz_i32_u32_e32 v1, v5
	s_delay_alu instid0(VALU_DEP_1) | instskip(NEXT) | instid1(VALU_DEP_1)
	v_min_u32_e32 v1, 32, v1
	v_subrev_nc_u32_e32 v4, 29, v1
	s_delay_alu instid0(VALU_DEP_1) | instskip(NEXT) | instid1(VALU_DEP_1)
	v_lshlrev_b64_e32 v[4:5], v4, v[2:3]
	v_dual_sub_nc_u32 v1, 30, v1 :: v_dual_bitop2_b32 v5, 3, v4 bitop3:0x40
; %bb.16405:                            ;   in Loop: Header=BB6_14192 Depth=3
	s_or_b32 exec_lo, exec_lo, s75
	v_and_b32_e32 v0, 0x80000000, v0
	s_delay_alu instid0(VALU_DEP_1) | instskip(NEXT) | instid1(VALU_DEP_1)
	v_lshl_add_u32 v0, v1, 23, v0
	v_lshl_or_b32 v0, v5, 21, v0
                                        ; implicit-def: $vgpr5
	s_delay_alu instid0(VALU_DEP_1)
	v_add_nc_u32_e32 v4, 0x38000000, v0
                                        ; implicit-def: $vgpr0_vgpr1
.LBB6_16406:                            ;   in Loop: Header=BB6_14192 Depth=3
	s_and_not1_saveexec_b32 s75, s13
; %bb.16407:                            ;   in Loop: Header=BB6_14192 Depth=3
	v_cmp_lt_i32_e64 s13, -1, v0
	v_mov_b32_e32 v0, 0x7f800000
	v_cmp_eq_u32_e32 vcc_lo, 0, v5
	s_delay_alu instid0(VALU_DEP_2) | instskip(NEXT) | instid1(VALU_DEP_1)
	v_cndmask_b32_e64 v0, 0xff800000, v0, s13
	v_cndmask_b32_e32 v4, 0x7f800001, v0, vcc_lo
; %bb.16408:                            ;   in Loop: Header=BB6_14192 Depth=3
	s_or_b32 exec_lo, exec_lo, s75
.LBB6_16409:                            ;   in Loop: Header=BB6_14192 Depth=3
	s_delay_alu instid0(SALU_CYCLE_1)
	s_or_b32 exec_lo, exec_lo, s74
.LBB6_16410:                            ;   in Loop: Header=BB6_14192 Depth=3
	s_delay_alu instid0(SALU_CYCLE_1) | instskip(NEXT) | instid1(SALU_CYCLE_1)
	s_or_b32 exec_lo, exec_lo, s73
	s_mov_b32 s73, exec_lo
	v_cmpx_lt_u64_e64 s[22:23], v[20:21]
	s_cbranch_execz .LBB6_16420
; %bb.16411:                            ;   in Loop: Header=BB6_14192 Depth=3
	v_lshrrev_b32_e32 v0, 24, v21
	v_bfrev_b32_e32 v3, 1
	s_mov_b32 s74, exec_lo
	s_delay_alu instid0(VALU_DEP_2)
	v_cmpx_ne_u32_e32 0x80, v0
	s_cbranch_execz .LBB6_16419
; %bb.16412:                            ;   in Loop: Header=BB6_14192 Depth=3
	v_and_b32_e32 v2, 0x7c000000, v21
	v_bfe_u32 v1, v21, 24, 2
	s_mov_b32 s13, exec_lo
                                        ; implicit-def: $vgpr3
	s_delay_alu instid0(VALU_DEP_2)
	v_cmpx_ne_u32_e32 0x7c000000, v2
	s_xor_b32 s13, exec_lo, s13
	s_cbranch_execz .LBB6_16416
; %bb.16413:                            ;   in Loop: Header=BB6_14192 Depth=3
	v_bfe_u32 v2, v21, 26, 5
	s_mov_b32 s75, exec_lo
	s_delay_alu instid0(VALU_DEP_1)
	v_cmpx_eq_u32_e32 0, v2
; %bb.16414:                            ;   in Loop: Header=BB6_14192 Depth=3
	v_clz_i32_u32_e32 v1, v1
	s_delay_alu instid0(VALU_DEP_1) | instskip(NEXT) | instid1(VALU_DEP_1)
	v_min_u32_e32 v2, 32, v1
	v_subrev_nc_u32_e32 v1, 29, v2
	s_delay_alu instid0(VALU_DEP_1) | instskip(NEXT) | instid1(VALU_DEP_1)
	v_lshlrev_b64_e32 v[0:1], v1, v[0:1]
	v_dual_sub_nc_u32 v2, 30, v2 :: v_dual_bitop2_b32 v1, 3, v0 bitop3:0x40
; %bb.16415:                            ;   in Loop: Header=BB6_14192 Depth=3
	s_or_b32 exec_lo, exec_lo, s75
	v_and_b32_e32 v0, 0x80000000, v21
	s_delay_alu instid0(VALU_DEP_1) | instskip(NEXT) | instid1(VALU_DEP_1)
	v_lshl_add_u32 v0, v2, 23, v0
	v_lshl_or_b32 v0, v1, 21, v0
                                        ; implicit-def: $vgpr1
	s_delay_alu instid0(VALU_DEP_1)
	v_add_nc_u32_e32 v3, 0x38000000, v0
.LBB6_16416:                            ;   in Loop: Header=BB6_14192 Depth=3
	s_and_not1_saveexec_b32 s75, s13
; %bb.16417:                            ;   in Loop: Header=BB6_14192 Depth=3
	v_cmp_lt_i64_e64 s13, -1, v[20:21]
	v_mov_b32_e32 v0, 0x7f800000
	v_cmp_eq_u32_e32 vcc_lo, 0, v1
	s_delay_alu instid0(VALU_DEP_2) | instskip(NEXT) | instid1(VALU_DEP_1)
	v_cndmask_b32_e64 v0, 0xff800000, v0, s13
	v_cndmask_b32_e32 v3, 0x7f800001, v0, vcc_lo
; %bb.16418:                            ;   in Loop: Header=BB6_14192 Depth=3
	s_or_b32 exec_lo, exec_lo, s75
.LBB6_16419:                            ;   in Loop: Header=BB6_14192 Depth=3
	s_delay_alu instid0(SALU_CYCLE_1)
	s_or_b32 exec_lo, exec_lo, s74
.LBB6_16420:                            ;   in Loop: Header=BB6_14192 Depth=3
	s_delay_alu instid0(SALU_CYCLE_1) | instskip(NEXT) | instid1(VALU_DEP_1)
	s_or_b32 exec_lo, exec_lo, s73
	v_dual_add_f32 v2, v4, v3 :: v_dual_mov_b32 v5, v113
	v_mov_b32_e32 v1, v113
                                        ; implicit-def: $vgpr20
	s_mov_b32 s13, exec_lo
	s_delay_alu instid0(VALU_DEP_2) | instskip(SKIP_2) | instid1(VALU_DEP_3)
	v_and_b32_e32 v4, 0x7f800000, v2
	v_and_b32_e32 v0, 0x7fffff, v2
	v_lshrrev_b32_e32 v3, 24, v2
	v_cmpx_ne_u64_e32 0x7f800000, v[4:5]
	s_xor_b32 s73, exec_lo, s13
	s_cbranch_execz .LBB6_16434
; %bb.16421:                            ;   in Loop: Header=BB6_14192 Depth=3
	v_and_b32_e32 v4, 0x7fffffff, v2
	v_mov_b32_e32 v5, v113
                                        ; implicit-def: $vgpr20
	s_delay_alu instid0(VALU_DEP_1) | instskip(SKIP_2) | instid1(SALU_CYCLE_1)
	v_cmp_gt_u64_e32 vcc_lo, 0x47600001, v[4:5]
	v_and_b32_e32 v4, 0x80, v3
	s_and_saveexec_b32 s13, vcc_lo
	s_xor_b32 s74, exec_lo, s13
	s_cbranch_execz .LBB6_16431
; %bb.16422:                            ;   in Loop: Header=BB6_14192 Depth=3
	v_mov_b32_e32 v20, 0
	s_mov_b32 s75, exec_lo
	v_cmpx_ne_u32_e32 0, v2
	s_cbranch_execz .LBB6_16430
; %bb.16423:                            ;   in Loop: Header=BB6_14192 Depth=3
	v_bfe_u32 v5, v2, 23, 8
	v_or_b32_e32 v3, 0x800000, v0
	s_delay_alu instid0(VALU_DEP_2) | instskip(SKIP_2) | instid1(VALU_DEP_2)
	v_cmp_gt_u32_e64 s13, 0x72, v5
	v_sub_nc_u32_e32 v2, 0x71, v5
	v_cmp_eq_u32_e32 vcc_lo, 0, v5
	v_dual_cndmask_b32 v2, 0, v2, s13 :: v_dual_cndmask_b32 v0, v3, v0, vcc_lo
	s_delay_alu instid0(VALU_DEP_1) | instskip(NEXT) | instid1(VALU_DEP_1)
	v_cndmask_b32_e64 v20, v2, 0x70, vcc_lo
	v_dual_add_nc_u32 v2, 21, v20 :: v_dual_add_nc_u32 v21, 20, v20
	s_delay_alu instid0(VALU_DEP_1) | instskip(NEXT) | instid1(VALU_DEP_2)
	v_lshlrev_b64_e64 v[2:3], v2, -1
	v_lshlrev_b64_e64 v[56:57], v21, 1
	s_delay_alu instid0(VALU_DEP_2) | instskip(SKIP_1) | instid1(VALU_DEP_4)
	v_bfi_b32 v2, v2, 0, v0
	v_lshrrev_b64 v[0:1], v20, v[0:1]
	v_bfi_b32 v3, v3, 0, 0
	s_delay_alu instid0(VALU_DEP_1) | instskip(NEXT) | instid1(VALU_DEP_3)
	v_cmp_eq_u64_e64 s13, v[2:3], v[56:57]
	v_mov_b64_e32 v[2:3], v[0:1]
	s_and_saveexec_b32 s76, s13
; %bb.16424:                            ;   in Loop: Header=BB6_14192 Depth=3
	v_bfe_u32 v2, v0, 21, 1
	v_mov_b32_e32 v3, v113
	s_delay_alu instid0(VALU_DEP_1) | instskip(NEXT) | instid1(VALU_DEP_1)
	v_add_nc_u64_e32 v[2:3], v[0:1], v[2:3]
	v_add_nc_u64_e32 v[2:3], -1, v[2:3]
; %bb.16425:                            ;   in Loop: Header=BB6_14192 Depth=3
	s_or_b32 exec_lo, exec_lo, s76
	v_add_nc_u32_e32 v1, 0xffffff81, v5
	v_lshrrev_b32_e32 v3, 23, v0
	s_mov_b32 s13, exec_lo
	s_delay_alu instid0(VALU_DEP_2) | instskip(NEXT) | instid1(VALU_DEP_1)
	v_cndmask_b32_e64 v1, v1, 0xffffff82, vcc_lo
	v_add3_u32 v5, v20, v1, v3
	v_and_b32_e32 v1, 0x1fffff, v2
                                        ; implicit-def: $vgpr2
	s_delay_alu instid0(VALU_DEP_1) | instskip(SKIP_1) | instid1(VALU_DEP_2)
	v_dual_add_nc_u32 v3, 14, v5 :: v_dual_add_nc_u32 v0, v1, v0
	v_mov_b32_e32 v1, v113
	v_cmpx_ne_u32_e32 0, v3
	s_xor_b32 s13, exec_lo, s13
; %bb.16426:                            ;   in Loop: Header=BB6_14192 Depth=3
	s_delay_alu instid0(VALU_DEP_2) | instskip(SKIP_1) | instid1(VALU_DEP_1)
	v_cmp_lt_u64_e32 vcc_lo, 0xffffff, v[0:1]
	v_add_nc_u32_e32 v2, 15, v5
	v_cndmask_b32_e32 v2, v3, v2, vcc_lo
	v_cndmask_b32_e64 v3, 0, 1, vcc_lo
	s_delay_alu instid0(VALU_DEP_1)
	v_lshrrev_b64 v[0:1], v3, v[0:1]
; %bb.16427:                            ;   in Loop: Header=BB6_14192 Depth=3
	s_and_not1_saveexec_b32 s13, s13
; %bb.16428:                            ;   in Loop: Header=BB6_14192 Depth=3
	s_delay_alu instid0(VALU_DEP_1)
	v_bfe_u32 v2, v0, 23, 1
; %bb.16429:                            ;   in Loop: Header=BB6_14192 Depth=3
	s_or_b32 exec_lo, exec_lo, s13
	s_delay_alu instid0(VALU_DEP_2) | instskip(NEXT) | instid1(VALU_DEP_2)
	v_lshrrev_b64 v[0:1], 21, v[0:1]
	v_cmp_gt_i32_e32 vcc_lo, 32, v2
	v_min_i32_e32 v3, 31, v2
	v_cmp_eq_u32_e64 s13, 0, v2
	s_delay_alu instid0(VALU_DEP_2) | instskip(SKIP_1) | instid1(VALU_DEP_2)
	v_dual_cndmask_b32 v1, 0, v1, vcc_lo :: v_dual_lshlrev_b32 v3, 2, v3
	v_cndmask_b32_e32 v0, 3, v0, vcc_lo
	v_and_b32_e32 v3, 0xfc, v3
	s_delay_alu instid0(VALU_DEP_2) | instskip(NEXT) | instid1(VALU_DEP_2)
	v_cmp_eq_u64_e32 vcc_lo, 0, v[0:1]
	v_and_or_b32 v0, v0, 3, v3
	s_and_b32 s13, s13, vcc_lo
	s_delay_alu instid0(VALU_DEP_1) | instid1(SALU_CYCLE_1)
	v_cndmask_b32_e64 v0, v0, 0, s13
	s_delay_alu instid0(VALU_DEP_1)
	v_or_b32_e32 v20, v0, v4
.LBB6_16430:                            ;   in Loop: Header=BB6_14192 Depth=3
	s_or_b32 exec_lo, exec_lo, s75
                                        ; implicit-def: $vgpr4
.LBB6_16431:                            ;   in Loop: Header=BB6_14192 Depth=3
	s_and_not1_saveexec_b32 s13, s74
; %bb.16432:                            ;   in Loop: Header=BB6_14192 Depth=3
	v_or_b32_e32 v20, 0x7b, v4
; %bb.16433:                            ;   in Loop: Header=BB6_14192 Depth=3
	s_or_b32 exec_lo, exec_lo, s13
                                        ; implicit-def: $vgpr2
                                        ; implicit-def: $vgpr0_vgpr1
                                        ; implicit-def: $vgpr3
.LBB6_16434:                            ;   in Loop: Header=BB6_14192 Depth=3
	s_and_not1_saveexec_b32 s13, s73
	s_cbranch_execz .LBB6_16440
; %bb.16435:                            ;   in Loop: Header=BB6_14192 Depth=3
	s_mov_b32 s73, exec_lo
                                        ; implicit-def: $vgpr20
	v_cmpx_ne_u64_e32 0, v[0:1]
	s_xor_b32 s73, exec_lo, s73
; %bb.16436:                            ;   in Loop: Header=BB6_14192 Depth=3
	v_or_b32_e32 v20, 0x7f, v3
                                        ; implicit-def: $vgpr2
; %bb.16437:                            ;   in Loop: Header=BB6_14192 Depth=3
	s_and_not1_saveexec_b32 s73, s73
; %bb.16438:                            ;   in Loop: Header=BB6_14192 Depth=3
	v_cmp_lt_i32_e32 vcc_lo, -1, v2
	v_mov_b32_e32 v0, 0x7c
	s_delay_alu instid0(VALU_DEP_1)
	v_cndmask_b32_e32 v20, 0xfc, v0, vcc_lo
; %bb.16439:                            ;   in Loop: Header=BB6_14192 Depth=3
	s_or_b32 exec_lo, exec_lo, s73
.LBB6_16440:                            ;   in Loop: Header=BB6_14192 Depth=3
	s_delay_alu instid0(SALU_CYCLE_1) | instskip(SKIP_4) | instid1(VALU_DEP_1)
	s_or_b32 exec_lo, exec_lo, s13
	v_lshl_or_b32 v114, v114, 8, v99
	v_dual_mov_b32 v1, v113 :: v_dual_lshlrev_b32 v0, 16, v119
	v_dual_mov_b32 v3, 0 :: v_dual_lshlrev_b32 v2, 24, v47
	s_mov_b32 s73, exec_lo
	v_or3_b32 v0, v0, v2, v114
	v_mov_b32_e32 v2, 0
	v_cmpx_ne_u32_e32 0, v99
	s_cbranch_execz .LBB6_16450
; %bb.16441:                            ;   in Loop: Header=BB6_14192 Depth=3
	v_bfrev_b32_e32 v3, 1
	s_mov_b32 s74, exec_lo
	v_cmpx_ne_u32_e32 0x80, v99
	s_cbranch_execz .LBB6_16449
; %bb.16442:                            ;   in Loop: Header=BB6_14192 Depth=3
	v_and_b32_e32 v3, 0x7c, v99
	v_and_b32_e32 v4, 3, v99
	s_delay_alu instid0(VALU_DEP_2) | instskip(SKIP_1) | instid1(SALU_CYCLE_1)
	v_cmp_ne_u32_e32 vcc_lo, 0x7c, v3
                                        ; implicit-def: $vgpr3
	s_and_saveexec_b32 s13, vcc_lo
	s_xor_b32 s13, exec_lo, s13
	s_cbranch_execz .LBB6_16446
; %bb.16443:                            ;   in Loop: Header=BB6_14192 Depth=3
	v_bfe_u32 v3, v99, 2, 5
	s_mov_b32 s75, exec_lo
	s_delay_alu instid0(VALU_DEP_1)
	v_cmpx_eq_u32_e32 0, v3
; %bb.16444:                            ;   in Loop: Header=BB6_14192 Depth=3
	v_clz_i32_u32_e32 v3, v4
	s_delay_alu instid0(VALU_DEP_1) | instskip(NEXT) | instid1(VALU_DEP_1)
	v_min_u32_e32 v3, 32, v3
	v_subrev_nc_u32_e32 v4, 29, v3
	s_delay_alu instid0(VALU_DEP_1) | instskip(NEXT) | instid1(VALU_DEP_1)
	v_lshlrev_b64_e32 v[4:5], v4, v[0:1]
	v_dual_sub_nc_u32 v3, 30, v3 :: v_dual_bitop2_b32 v4, 3, v4 bitop3:0x40
; %bb.16445:                            ;   in Loop: Header=BB6_14192 Depth=3
	s_or_b32 exec_lo, exec_lo, s75
	v_lshlrev_b32_e32 v1, 24, v99
                                        ; implicit-def: $vgpr99
	s_delay_alu instid0(VALU_DEP_1) | instskip(NEXT) | instid1(VALU_DEP_1)
	v_and_b32_e32 v1, 0x80000000, v1
	v_lshl_add_u32 v1, v3, 23, v1
	s_delay_alu instid0(VALU_DEP_1) | instskip(NEXT) | instid1(VALU_DEP_1)
	v_lshl_or_b32 v1, v4, 21, v1
                                        ; implicit-def: $vgpr4
	v_add_nc_u32_e32 v3, 0x38000000, v1
.LBB6_16446:                            ;   in Loop: Header=BB6_14192 Depth=3
	s_and_not1_saveexec_b32 s75, s13
; %bb.16447:                            ;   in Loop: Header=BB6_14192 Depth=3
	v_and_b32_e32 v1, 0x80, v99
	v_cmp_eq_u32_e32 vcc_lo, 0, v4
	s_delay_alu instid0(VALU_DEP_2) | instskip(SKIP_1) | instid1(VALU_DEP_1)
	v_cmp_eq_u32_e64 s13, 0, v1
	v_mov_b32_e32 v1, 0x7f800000
	v_cndmask_b32_e64 v1, 0xff800000, v1, s13
	s_delay_alu instid0(VALU_DEP_1)
	v_cndmask_b32_e32 v3, 0x7f800001, v1, vcc_lo
; %bb.16448:                            ;   in Loop: Header=BB6_14192 Depth=3
	s_or_b32 exec_lo, exec_lo, s75
.LBB6_16449:                            ;   in Loop: Header=BB6_14192 Depth=3
	s_delay_alu instid0(SALU_CYCLE_1)
	s_or_b32 exec_lo, exec_lo, s74
.LBB6_16450:                            ;   in Loop: Header=BB6_14192 Depth=3
	s_delay_alu instid0(SALU_CYCLE_1) | instskip(SKIP_2) | instid1(VALU_DEP_1)
	s_or_b32 exec_lo, exec_lo, s73
	v_and_b32_e32 v1, 0xff, v22
	s_mov_b32 s73, exec_lo
	v_cmpx_ne_u16_e32 0, v1
	s_cbranch_execz .LBB6_16460
; %bb.16451:                            ;   in Loop: Header=BB6_14192 Depth=3
	v_bfe_i32 v4, v22, 0, 8
	v_bfrev_b32_e32 v2, 1
	s_mov_b32 s74, exec_lo
	s_delay_alu instid0(VALU_DEP_2)
	v_cmpx_ne_u16_e32 0xff80, v4
	s_cbranch_execz .LBB6_16459
; %bb.16452:                            ;   in Loop: Header=BB6_14192 Depth=3
	v_and_b32_e32 v2, 0x7c, v22
	v_and_b32_e32 v1, 3, v22
	s_delay_alu instid0(VALU_DEP_2) | instskip(SKIP_1) | instid1(SALU_CYCLE_1)
	v_cmp_ne_u32_e32 vcc_lo, 0x7c, v2
                                        ; implicit-def: $vgpr2
	s_and_saveexec_b32 s13, vcc_lo
	s_xor_b32 s13, exec_lo, s13
	s_cbranch_execz .LBB6_16456
; %bb.16453:                            ;   in Loop: Header=BB6_14192 Depth=3
	v_bfe_u32 v2, v22, 2, 5
	s_mov_b32 s75, exec_lo
	s_delay_alu instid0(VALU_DEP_1)
	v_cmpx_eq_u32_e32 0, v2
; %bb.16454:                            ;   in Loop: Header=BB6_14192 Depth=3
	v_clz_i32_u32_e32 v1, v1
	s_delay_alu instid0(VALU_DEP_1) | instskip(NEXT) | instid1(VALU_DEP_1)
	v_min_u32_e32 v1, 32, v1
	v_subrev_nc_u32_e32 v2, 29, v1
	s_delay_alu instid0(VALU_DEP_1) | instskip(NEXT) | instid1(VALU_DEP_1)
	v_lshlrev_b64_e32 v[4:5], v2, v[22:23]
	v_dual_sub_nc_u32 v2, 30, v1 :: v_dual_bitop2_b32 v1, 3, v4 bitop3:0x40
; %bb.16455:                            ;   in Loop: Header=BB6_14192 Depth=3
	s_or_b32 exec_lo, exec_lo, s75
	v_lshlrev_b32_e32 v4, 24, v22
	s_delay_alu instid0(VALU_DEP_1) | instskip(NEXT) | instid1(VALU_DEP_1)
	v_and_b32_e32 v4, 0x80000000, v4
	v_lshl_add_u32 v2, v2, 23, v4
                                        ; implicit-def: $vgpr4
	s_delay_alu instid0(VALU_DEP_1) | instskip(NEXT) | instid1(VALU_DEP_1)
	v_lshl_or_b32 v1, v1, 21, v2
	v_add_nc_u32_e32 v2, 0x38000000, v1
                                        ; implicit-def: $vgpr1
.LBB6_16456:                            ;   in Loop: Header=BB6_14192 Depth=3
	s_and_not1_saveexec_b32 s75, s13
; %bb.16457:                            ;   in Loop: Header=BB6_14192 Depth=3
	v_cmp_eq_u32_e32 vcc_lo, 0, v1
	v_cmp_lt_i16_e64 s13, -1, v4
	v_mov_b32_e32 v1, 0x7f800000
	s_delay_alu instid0(VALU_DEP_1) | instskip(NEXT) | instid1(VALU_DEP_1)
	v_cndmask_b32_e64 v1, 0xff800000, v1, s13
	v_cndmask_b32_e32 v2, 0x7f800001, v1, vcc_lo
; %bb.16458:                            ;   in Loop: Header=BB6_14192 Depth=3
	s_or_b32 exec_lo, exec_lo, s75
.LBB6_16459:                            ;   in Loop: Header=BB6_14192 Depth=3
	s_delay_alu instid0(SALU_CYCLE_1)
	s_or_b32 exec_lo, exec_lo, s74
.LBB6_16460:                            ;   in Loop: Header=BB6_14192 Depth=3
	s_delay_alu instid0(SALU_CYCLE_1) | instskip(NEXT) | instid1(VALU_DEP_1)
	s_or_b32 exec_lo, exec_lo, s73
	v_dual_add_f32 v4, v3, v2 :: v_dual_mov_b32 v57, v113
	v_mov_b32_e32 v3, v113
                                        ; implicit-def: $vgpr21
	s_mov_b32 s13, exec_lo
	s_delay_alu instid0(VALU_DEP_2) | instskip(SKIP_2) | instid1(VALU_DEP_3)
	v_and_b32_e32 v56, 0x7f800000, v4
	v_and_b32_e32 v2, 0x7fffff, v4
	v_lshrrev_b32_e32 v1, 24, v4
	v_cmpx_ne_u64_e32 0x7f800000, v[56:57]
	s_xor_b32 s73, exec_lo, s13
	s_cbranch_execz .LBB6_16474
; %bb.16461:                            ;   in Loop: Header=BB6_14192 Depth=3
	v_and_b32_e32 v56, 0x7fffffff, v4
	v_mov_b32_e32 v57, v113
	v_and_b32_e32 v1, 0x80, v1
                                        ; implicit-def: $vgpr21
	s_mov_b32 s13, exec_lo
	s_delay_alu instid0(VALU_DEP_2)
	v_cmpx_gt_u64_e32 0x47600001, v[56:57]
	s_xor_b32 s74, exec_lo, s13
	s_cbranch_execz .LBB6_16471
; %bb.16462:                            ;   in Loop: Header=BB6_14192 Depth=3
	v_mov_b32_e32 v21, 0
	s_mov_b32 s75, exec_lo
	v_cmpx_ne_u32_e32 0, v4
	s_cbranch_execz .LBB6_16470
; %bb.16463:                            ;   in Loop: Header=BB6_14192 Depth=3
	v_bfe_u32 v21, v4, 23, 8
	v_or_b32_e32 v5, 0x800000, v2
	s_delay_alu instid0(VALU_DEP_2) | instskip(SKIP_2) | instid1(VALU_DEP_2)
	v_cmp_gt_u32_e64 s13, 0x72, v21
	v_sub_nc_u32_e32 v4, 0x71, v21
	v_cmp_eq_u32_e32 vcc_lo, 0, v21
	v_dual_cndmask_b32 v4, 0, v4, s13 :: v_dual_cndmask_b32 v2, v5, v2, vcc_lo
	s_delay_alu instid0(VALU_DEP_1) | instskip(NEXT) | instid1(VALU_DEP_1)
	v_cndmask_b32_e64 v99, v4, 0x70, vcc_lo
	v_dual_add_nc_u32 v4, 21, v99 :: v_dual_add_nc_u32 v119, 20, v99
	s_delay_alu instid0(VALU_DEP_1) | instskip(NEXT) | instid1(VALU_DEP_2)
	v_lshlrev_b64_e64 v[4:5], v4, -1
	v_lshlrev_b64_e64 v[56:57], v119, 1
	s_delay_alu instid0(VALU_DEP_2) | instskip(SKIP_1) | instid1(VALU_DEP_4)
	v_bfi_b32 v4, v4, 0, v2
	v_lshrrev_b64 v[2:3], v99, v[2:3]
	v_bfi_b32 v5, v5, 0, 0
	s_delay_alu instid0(VALU_DEP_1) | instskip(NEXT) | instid1(VALU_DEP_3)
	v_cmp_eq_u64_e64 s13, v[4:5], v[56:57]
	v_mov_b64_e32 v[4:5], v[2:3]
	s_and_saveexec_b32 s76, s13
; %bb.16464:                            ;   in Loop: Header=BB6_14192 Depth=3
	v_bfe_u32 v4, v2, 21, 1
	v_mov_b32_e32 v5, v113
	s_delay_alu instid0(VALU_DEP_1) | instskip(NEXT) | instid1(VALU_DEP_1)
	v_add_nc_u64_e32 v[4:5], v[2:3], v[4:5]
	v_add_nc_u64_e32 v[4:5], -1, v[4:5]
; %bb.16465:                            ;   in Loop: Header=BB6_14192 Depth=3
	s_or_b32 exec_lo, exec_lo, s76
	v_add_nc_u32_e32 v3, 0xffffff81, v21
	v_lshrrev_b32_e32 v5, 23, v2
	s_mov_b32 s13, exec_lo
	s_delay_alu instid0(VALU_DEP_2) | instskip(NEXT) | instid1(VALU_DEP_1)
	v_cndmask_b32_e64 v3, v3, 0xffffff82, vcc_lo
	v_add3_u32 v21, v99, v3, v5
	v_and_b32_e32 v3, 0x1fffff, v4
                                        ; implicit-def: $vgpr4
	s_delay_alu instid0(VALU_DEP_1) | instskip(SKIP_1) | instid1(VALU_DEP_2)
	v_dual_add_nc_u32 v5, 14, v21 :: v_dual_add_nc_u32 v2, v3, v2
	v_mov_b32_e32 v3, v113
	v_cmpx_ne_u32_e32 0, v5
	s_xor_b32 s13, exec_lo, s13
; %bb.16466:                            ;   in Loop: Header=BB6_14192 Depth=3
	s_delay_alu instid0(VALU_DEP_2) | instskip(SKIP_1) | instid1(VALU_DEP_1)
	v_cmp_lt_u64_e32 vcc_lo, 0xffffff, v[2:3]
	v_add_nc_u32_e32 v4, 15, v21
	v_cndmask_b32_e32 v4, v5, v4, vcc_lo
	v_cndmask_b32_e64 v5, 0, 1, vcc_lo
	s_delay_alu instid0(VALU_DEP_1)
	v_lshrrev_b64 v[2:3], v5, v[2:3]
; %bb.16467:                            ;   in Loop: Header=BB6_14192 Depth=3
	s_and_not1_saveexec_b32 s13, s13
; %bb.16468:                            ;   in Loop: Header=BB6_14192 Depth=3
	s_delay_alu instid0(VALU_DEP_1)
	v_bfe_u32 v4, v2, 23, 1
; %bb.16469:                            ;   in Loop: Header=BB6_14192 Depth=3
	s_or_b32 exec_lo, exec_lo, s13
	s_delay_alu instid0(VALU_DEP_2) | instskip(NEXT) | instid1(VALU_DEP_2)
	v_lshrrev_b64 v[2:3], 21, v[2:3]
	v_cmp_gt_i32_e32 vcc_lo, 32, v4
	v_min_i32_e32 v5, 31, v4
	v_cmp_eq_u32_e64 s13, 0, v4
	s_delay_alu instid0(VALU_DEP_2) | instskip(SKIP_1) | instid1(VALU_DEP_2)
	v_dual_cndmask_b32 v3, 0, v3, vcc_lo :: v_dual_lshlrev_b32 v5, 2, v5
	v_cndmask_b32_e32 v2, 3, v2, vcc_lo
	v_and_b32_e32 v5, 0xfc, v5
	s_delay_alu instid0(VALU_DEP_2) | instskip(NEXT) | instid1(VALU_DEP_2)
	v_cmp_eq_u64_e32 vcc_lo, 0, v[2:3]
	v_and_or_b32 v2, v2, 3, v5
	s_and_b32 s13, s13, vcc_lo
	s_delay_alu instid0(VALU_DEP_1) | instid1(SALU_CYCLE_1)
	v_cndmask_b32_e64 v2, v2, 0, s13
	s_delay_alu instid0(VALU_DEP_1)
	v_or_b32_e32 v21, v2, v1
.LBB6_16470:                            ;   in Loop: Header=BB6_14192 Depth=3
	s_or_b32 exec_lo, exec_lo, s75
                                        ; implicit-def: $vgpr1
.LBB6_16471:                            ;   in Loop: Header=BB6_14192 Depth=3
	s_and_not1_saveexec_b32 s13, s74
; %bb.16472:                            ;   in Loop: Header=BB6_14192 Depth=3
	v_or_b32_e32 v21, 0x7b, v1
; %bb.16473:                            ;   in Loop: Header=BB6_14192 Depth=3
	s_or_b32 exec_lo, exec_lo, s13
                                        ; implicit-def: $vgpr4
                                        ; implicit-def: $vgpr2_vgpr3
                                        ; implicit-def: $vgpr1
.LBB6_16474:                            ;   in Loop: Header=BB6_14192 Depth=3
	s_and_not1_saveexec_b32 s13, s73
	s_cbranch_execz .LBB6_16480
; %bb.16475:                            ;   in Loop: Header=BB6_14192 Depth=3
	s_mov_b32 s73, exec_lo
                                        ; implicit-def: $vgpr21
	v_cmpx_ne_u64_e32 0, v[2:3]
	s_xor_b32 s73, exec_lo, s73
; %bb.16476:                            ;   in Loop: Header=BB6_14192 Depth=3
	v_or_b32_e32 v21, 0x7f, v1
                                        ; implicit-def: $vgpr4
; %bb.16477:                            ;   in Loop: Header=BB6_14192 Depth=3
	s_and_not1_saveexec_b32 s73, s73
; %bb.16478:                            ;   in Loop: Header=BB6_14192 Depth=3
	v_cmp_lt_i32_e32 vcc_lo, -1, v4
	v_mov_b32_e32 v1, 0x7c
	s_delay_alu instid0(VALU_DEP_1)
	v_cndmask_b32_e32 v21, 0xfc, v1, vcc_lo
; %bb.16479:                            ;   in Loop: Header=BB6_14192 Depth=3
	s_or_b32 exec_lo, exec_lo, s73
.LBB6_16480:                            ;   in Loop: Header=BB6_14192 Depth=3
	s_delay_alu instid0(SALU_CYCLE_1) | instskip(SKIP_3) | instid1(VALU_DEP_2)
	s_or_b32 exec_lo, exec_lo, s13
	v_lshrrev_b16 v2, 8, v114
	v_dual_mov_b32 v1, 0 :: v_dual_mov_b32 v4, 0
	s_mov_b32 s73, exec_lo
	v_cmpx_ne_u16_e32 0, v2
	s_cbranch_execz .LBB6_16490
; %bb.16481:                            ;   in Loop: Header=BB6_14192 Depth=3
	v_bfrev_b32_e32 v4, 1
	s_mov_b32 s74, exec_lo
	v_cmpx_ne_u16_e32 0x80, v2
	s_cbranch_execz .LBB6_16489
; %bb.16482:                            ;   in Loop: Header=BB6_14192 Depth=3
	v_and_b32_e32 v5, 0xffff, v2
	s_delay_alu instid0(VALU_DEP_1) | instskip(SKIP_1) | instid1(VALU_DEP_2)
	v_and_b32_e32 v4, 0x7c, v5
	v_and_b32_e32 v3, 3, v5
	v_cmp_ne_u32_e32 vcc_lo, 0x7c, v4
                                        ; implicit-def: $vgpr4
	s_and_saveexec_b32 s13, vcc_lo
	s_delay_alu instid0(SALU_CYCLE_1)
	s_xor_b32 s13, exec_lo, s13
	s_cbranch_execz .LBB6_16486
; %bb.16483:                            ;   in Loop: Header=BB6_14192 Depth=3
	v_bfe_u32 v4, v5, 2, 5
	s_mov_b32 s75, exec_lo
	s_delay_alu instid0(VALU_DEP_1)
	v_cmpx_eq_u32_e32 0, v4
	s_cbranch_execz .LBB6_16485
; %bb.16484:                            ;   in Loop: Header=BB6_14192 Depth=3
	v_clz_i32_u32_e32 v3, v3
	s_delay_alu instid0(VALU_DEP_1) | instskip(SKIP_1) | instid1(VALU_DEP_2)
	v_min_u32_e32 v4, 32, v3
	v_mov_b32_e32 v3, v113
	v_subrev_nc_u32_e32 v5, 29, v4
	v_sub_nc_u32_e32 v4, 30, v4
	s_delay_alu instid0(VALU_DEP_2) | instskip(NEXT) | instid1(VALU_DEP_1)
	v_lshlrev_b64_e32 v[2:3], v5, v[2:3]
	v_and_b32_e32 v3, 3, v2
.LBB6_16485:                            ;   in Loop: Header=BB6_14192 Depth=3
	s_or_b32 exec_lo, exec_lo, s75
	v_lshlrev_b32_e32 v2, 16, v114
                                        ; implicit-def: $vgpr114
	s_delay_alu instid0(VALU_DEP_1) | instskip(NEXT) | instid1(VALU_DEP_1)
	v_and_b32_e32 v2, 0x80000000, v2
	v_lshl_add_u32 v2, v4, 23, v2
	s_delay_alu instid0(VALU_DEP_1) | instskip(NEXT) | instid1(VALU_DEP_1)
	v_lshl_or_b32 v2, v3, 21, v2
                                        ; implicit-def: $vgpr3
	v_add_nc_u32_e32 v4, 0x38000000, v2
.LBB6_16486:                            ;   in Loop: Header=BB6_14192 Depth=3
	s_and_not1_saveexec_b32 s75, s13
; %bb.16487:                            ;   in Loop: Header=BB6_14192 Depth=3
	v_cmp_lt_i16_e64 s13, -1, v114
	v_mov_b32_e32 v2, 0x7f800000
	v_cmp_eq_u32_e32 vcc_lo, 0, v3
	s_delay_alu instid0(VALU_DEP_2) | instskip(NEXT) | instid1(VALU_DEP_1)
	v_cndmask_b32_e64 v2, 0xff800000, v2, s13
	v_cndmask_b32_e32 v4, 0x7f800001, v2, vcc_lo
; %bb.16488:                            ;   in Loop: Header=BB6_14192 Depth=3
	s_or_b32 exec_lo, exec_lo, s75
.LBB6_16489:                            ;   in Loop: Header=BB6_14192 Depth=3
	s_delay_alu instid0(SALU_CYCLE_1)
	s_or_b32 exec_lo, exec_lo, s74
.LBB6_16490:                            ;   in Loop: Header=BB6_14192 Depth=3
	s_delay_alu instid0(SALU_CYCLE_1) | instskip(SKIP_2) | instid1(VALU_DEP_1)
	s_or_b32 exec_lo, exec_lo, s73
	v_lshrrev_b16 v2, 8, v22
	s_mov_b32 s73, exec_lo
	v_cmpx_ne_u16_e32 0, v2
	s_cbranch_execz .LBB6_16500
; %bb.16491:                            ;   in Loop: Header=BB6_14192 Depth=3
	v_bfrev_b32_e32 v1, 1
	s_mov_b32 s74, exec_lo
	v_cmpx_ne_u16_e32 0x80, v2
	s_cbranch_execz .LBB6_16499
; %bb.16492:                            ;   in Loop: Header=BB6_14192 Depth=3
	v_and_b32_e32 v5, 0xffff, v2
	s_delay_alu instid0(VALU_DEP_1) | instskip(SKIP_1) | instid1(VALU_DEP_2)
	v_and_b32_e32 v1, 0x7c, v5
	v_and_b32_e32 v3, 3, v5
	v_cmp_ne_u32_e32 vcc_lo, 0x7c, v1
                                        ; implicit-def: $vgpr1
	s_and_saveexec_b32 s13, vcc_lo
	s_delay_alu instid0(SALU_CYCLE_1)
	s_xor_b32 s13, exec_lo, s13
	s_cbranch_execz .LBB6_16496
; %bb.16493:                            ;   in Loop: Header=BB6_14192 Depth=3
	v_bfe_u32 v1, v5, 2, 5
	s_mov_b32 s75, exec_lo
	s_delay_alu instid0(VALU_DEP_1)
	v_cmpx_eq_u32_e32 0, v1
	s_cbranch_execz .LBB6_16495
; %bb.16494:                            ;   in Loop: Header=BB6_14192 Depth=3
	v_clz_i32_u32_e32 v1, v3
	s_delay_alu instid0(VALU_DEP_1) | instskip(SKIP_1) | instid1(VALU_DEP_2)
	v_min_u32_e32 v1, 32, v1
	v_mov_b32_e32 v3, v113
	v_subrev_nc_u32_e32 v5, 29, v1
	v_sub_nc_u32_e32 v1, 30, v1
	s_delay_alu instid0(VALU_DEP_2) | instskip(NEXT) | instid1(VALU_DEP_1)
	v_lshlrev_b64_e32 v[2:3], v5, v[2:3]
	v_and_b32_e32 v3, 3, v2
.LBB6_16495:                            ;   in Loop: Header=BB6_14192 Depth=3
	s_or_b32 exec_lo, exec_lo, s75
	v_lshlrev_b32_e32 v2, 16, v22
	s_delay_alu instid0(VALU_DEP_1) | instskip(NEXT) | instid1(VALU_DEP_1)
	v_and_b32_e32 v2, 0x80000000, v2
	v_lshl_add_u32 v1, v1, 23, v2
	s_delay_alu instid0(VALU_DEP_1) | instskip(NEXT) | instid1(VALU_DEP_1)
	v_lshl_or_b32 v1, v3, 21, v1
                                        ; implicit-def: $vgpr3
	v_add_nc_u32_e32 v1, 0x38000000, v1
.LBB6_16496:                            ;   in Loop: Header=BB6_14192 Depth=3
	s_and_not1_saveexec_b32 s75, s13
; %bb.16497:                            ;   in Loop: Header=BB6_14192 Depth=3
	v_cmp_lt_i16_e64 s13, -1, v22
	v_mov_b32_e32 v1, 0x7f800000
	v_cmp_eq_u32_e32 vcc_lo, 0, v3
	s_delay_alu instid0(VALU_DEP_2) | instskip(NEXT) | instid1(VALU_DEP_1)
	v_cndmask_b32_e64 v1, 0xff800000, v1, s13
	v_cndmask_b32_e32 v1, 0x7f800001, v1, vcc_lo
; %bb.16498:                            ;   in Loop: Header=BB6_14192 Depth=3
	s_or_b32 exec_lo, exec_lo, s75
.LBB6_16499:                            ;   in Loop: Header=BB6_14192 Depth=3
	s_delay_alu instid0(SALU_CYCLE_1)
	s_or_b32 exec_lo, exec_lo, s74
.LBB6_16500:                            ;   in Loop: Header=BB6_14192 Depth=3
	s_delay_alu instid0(SALU_CYCLE_1) | instskip(NEXT) | instid1(VALU_DEP_1)
	s_or_b32 exec_lo, exec_lo, s73
	v_dual_add_f32 v4, v4, v1 :: v_dual_mov_b32 v57, v113
	v_mov_b32_e32 v3, v113
                                        ; implicit-def: $vgpr99
	s_mov_b32 s13, exec_lo
	s_delay_alu instid0(VALU_DEP_2) | instskip(SKIP_2) | instid1(VALU_DEP_3)
	v_and_b32_e32 v56, 0x7f800000, v4
	v_and_b32_e32 v2, 0x7fffff, v4
	v_lshrrev_b32_e32 v1, 24, v4
	v_cmpx_ne_u64_e32 0x7f800000, v[56:57]
	s_xor_b32 s73, exec_lo, s13
	s_cbranch_execz .LBB6_16514
; %bb.16501:                            ;   in Loop: Header=BB6_14192 Depth=3
	v_and_b32_e32 v56, 0x7fffffff, v4
	v_mov_b32_e32 v57, v113
	v_and_b32_e32 v1, 0x80, v1
                                        ; implicit-def: $vgpr99
	s_mov_b32 s13, exec_lo
	s_delay_alu instid0(VALU_DEP_2)
	v_cmpx_gt_u64_e32 0x47600001, v[56:57]
	s_xor_b32 s74, exec_lo, s13
	s_cbranch_execz .LBB6_16511
; %bb.16502:                            ;   in Loop: Header=BB6_14192 Depth=3
	v_mov_b32_e32 v99, 0
	s_mov_b32 s75, exec_lo
	v_cmpx_ne_u32_e32 0, v4
	s_cbranch_execz .LBB6_16510
; %bb.16503:                            ;   in Loop: Header=BB6_14192 Depth=3
	v_bfe_u32 v99, v4, 23, 8
	v_or_b32_e32 v5, 0x800000, v2
	s_delay_alu instid0(VALU_DEP_2) | instskip(SKIP_2) | instid1(VALU_DEP_2)
	v_cmp_gt_u32_e64 s13, 0x72, v99
	v_sub_nc_u32_e32 v4, 0x71, v99
	v_cmp_eq_u32_e32 vcc_lo, 0, v99
	v_dual_cndmask_b32 v4, 0, v4, s13 :: v_dual_cndmask_b32 v2, v5, v2, vcc_lo
	s_delay_alu instid0(VALU_DEP_1) | instskip(NEXT) | instid1(VALU_DEP_1)
	v_cndmask_b32_e64 v114, v4, 0x70, vcc_lo
	v_dual_add_nc_u32 v4, 21, v114 :: v_dual_add_nc_u32 v119, 20, v114
	s_delay_alu instid0(VALU_DEP_1) | instskip(NEXT) | instid1(VALU_DEP_2)
	v_lshlrev_b64_e64 v[4:5], v4, -1
	v_lshlrev_b64_e64 v[56:57], v119, 1
	s_delay_alu instid0(VALU_DEP_2) | instskip(SKIP_1) | instid1(VALU_DEP_4)
	v_bfi_b32 v4, v4, 0, v2
	v_lshrrev_b64 v[2:3], v114, v[2:3]
	v_bfi_b32 v5, v5, 0, 0
	s_delay_alu instid0(VALU_DEP_1) | instskip(NEXT) | instid1(VALU_DEP_3)
	v_cmp_eq_u64_e64 s13, v[4:5], v[56:57]
	v_mov_b64_e32 v[4:5], v[2:3]
	s_and_saveexec_b32 s76, s13
; %bb.16504:                            ;   in Loop: Header=BB6_14192 Depth=3
	v_bfe_u32 v4, v2, 21, 1
	v_mov_b32_e32 v5, v113
	s_delay_alu instid0(VALU_DEP_1) | instskip(NEXT) | instid1(VALU_DEP_1)
	v_add_nc_u64_e32 v[4:5], v[2:3], v[4:5]
	v_add_nc_u64_e32 v[4:5], -1, v[4:5]
; %bb.16505:                            ;   in Loop: Header=BB6_14192 Depth=3
	s_or_b32 exec_lo, exec_lo, s76
	v_add_nc_u32_e32 v3, 0xffffff81, v99
	v_lshrrev_b32_e32 v5, 23, v2
	s_mov_b32 s13, exec_lo
	s_delay_alu instid0(VALU_DEP_2) | instskip(NEXT) | instid1(VALU_DEP_1)
	v_cndmask_b32_e64 v3, v3, 0xffffff82, vcc_lo
	v_add3_u32 v99, v114, v3, v5
	v_and_b32_e32 v3, 0x1fffff, v4
                                        ; implicit-def: $vgpr4
	s_delay_alu instid0(VALU_DEP_1) | instskip(SKIP_1) | instid1(VALU_DEP_2)
	v_dual_add_nc_u32 v5, 14, v99 :: v_dual_add_nc_u32 v2, v3, v2
	v_mov_b32_e32 v3, v113
	v_cmpx_ne_u32_e32 0, v5
	s_xor_b32 s13, exec_lo, s13
; %bb.16506:                            ;   in Loop: Header=BB6_14192 Depth=3
	s_delay_alu instid0(VALU_DEP_2) | instskip(SKIP_1) | instid1(VALU_DEP_1)
	v_cmp_lt_u64_e32 vcc_lo, 0xffffff, v[2:3]
	v_add_nc_u32_e32 v4, 15, v99
	v_cndmask_b32_e32 v4, v5, v4, vcc_lo
	v_cndmask_b32_e64 v5, 0, 1, vcc_lo
	s_delay_alu instid0(VALU_DEP_1)
	v_lshrrev_b64 v[2:3], v5, v[2:3]
; %bb.16507:                            ;   in Loop: Header=BB6_14192 Depth=3
	s_and_not1_saveexec_b32 s13, s13
; %bb.16508:                            ;   in Loop: Header=BB6_14192 Depth=3
	s_delay_alu instid0(VALU_DEP_1)
	v_bfe_u32 v4, v2, 23, 1
; %bb.16509:                            ;   in Loop: Header=BB6_14192 Depth=3
	s_or_b32 exec_lo, exec_lo, s13
	s_delay_alu instid0(VALU_DEP_2) | instskip(NEXT) | instid1(VALU_DEP_2)
	v_lshrrev_b64 v[2:3], 21, v[2:3]
	v_cmp_gt_i32_e32 vcc_lo, 32, v4
	v_min_i32_e32 v5, 31, v4
	v_cmp_eq_u32_e64 s13, 0, v4
	s_delay_alu instid0(VALU_DEP_2) | instskip(SKIP_1) | instid1(VALU_DEP_2)
	v_dual_cndmask_b32 v3, 0, v3, vcc_lo :: v_dual_lshlrev_b32 v5, 2, v5
	v_cndmask_b32_e32 v2, 3, v2, vcc_lo
	v_and_b32_e32 v5, 0xfc, v5
	s_delay_alu instid0(VALU_DEP_2) | instskip(NEXT) | instid1(VALU_DEP_2)
	v_cmp_eq_u64_e32 vcc_lo, 0, v[2:3]
	v_and_or_b32 v2, v2, 3, v5
	s_and_b32 s13, s13, vcc_lo
	s_delay_alu instid0(VALU_DEP_1) | instid1(SALU_CYCLE_1)
	v_cndmask_b32_e64 v2, v2, 0, s13
	s_delay_alu instid0(VALU_DEP_1)
	v_or_b32_e32 v99, v2, v1
.LBB6_16510:                            ;   in Loop: Header=BB6_14192 Depth=3
	s_or_b32 exec_lo, exec_lo, s75
                                        ; implicit-def: $vgpr1
.LBB6_16511:                            ;   in Loop: Header=BB6_14192 Depth=3
	s_and_not1_saveexec_b32 s13, s74
; %bb.16512:                            ;   in Loop: Header=BB6_14192 Depth=3
	v_or_b32_e32 v99, 0x7b, v1
; %bb.16513:                            ;   in Loop: Header=BB6_14192 Depth=3
	s_or_b32 exec_lo, exec_lo, s13
                                        ; implicit-def: $vgpr4
                                        ; implicit-def: $vgpr2_vgpr3
                                        ; implicit-def: $vgpr1
.LBB6_16514:                            ;   in Loop: Header=BB6_14192 Depth=3
	s_and_not1_saveexec_b32 s13, s73
	s_cbranch_execz .LBB6_16520
; %bb.16515:                            ;   in Loop: Header=BB6_14192 Depth=3
	s_mov_b32 s73, exec_lo
                                        ; implicit-def: $vgpr99
	v_cmpx_ne_u64_e32 0, v[2:3]
	s_xor_b32 s73, exec_lo, s73
; %bb.16516:                            ;   in Loop: Header=BB6_14192 Depth=3
	v_or_b32_e32 v99, 0x7f, v1
                                        ; implicit-def: $vgpr4
; %bb.16517:                            ;   in Loop: Header=BB6_14192 Depth=3
	s_and_not1_saveexec_b32 s73, s73
; %bb.16518:                            ;   in Loop: Header=BB6_14192 Depth=3
	v_cmp_lt_i32_e32 vcc_lo, -1, v4
	v_mov_b32_e32 v1, 0x7c
	s_delay_alu instid0(VALU_DEP_1)
	v_cndmask_b32_e32 v99, 0xfc, v1, vcc_lo
; %bb.16519:                            ;   in Loop: Header=BB6_14192 Depth=3
	s_or_b32 exec_lo, exec_lo, s73
.LBB6_16520:                            ;   in Loop: Header=BB6_14192 Depth=3
	s_delay_alu instid0(SALU_CYCLE_1) | instskip(SKIP_3) | instid1(VALU_DEP_2)
	s_or_b32 exec_lo, exec_lo, s13
	v_dual_mov_b32 v1, 0 :: v_dual_lshrrev_b32 v2, 16, v0
	v_mov_b32_e32 v3, 0
	s_mov_b32 s73, exec_lo
	v_and_b32_e32 v4, 0xff, v2
	s_delay_alu instid0(VALU_DEP_1)
	v_cmpx_ne_u16_e32 0, v4
	s_cbranch_execz .LBB6_16530
; %bb.16521:                            ;   in Loop: Header=BB6_14192 Depth=3
	v_bfrev_b32_e32 v3, 1
	s_mov_b32 s74, exec_lo
	v_cmpx_ne_u16_e32 0x80, v4
	s_cbranch_execz .LBB6_16529
; %bb.16522:                            ;   in Loop: Header=BB6_14192 Depth=3
	v_and_b32_e32 v3, 0x7c0000, v0
	v_bfe_u32 v4, v0, 16, 2
	s_delay_alu instid0(VALU_DEP_2) | instskip(SKIP_1) | instid1(SALU_CYCLE_1)
	v_cmp_ne_u32_e32 vcc_lo, 0x7c0000, v3
                                        ; implicit-def: $vgpr3
	s_and_saveexec_b32 s13, vcc_lo
	s_xor_b32 s13, exec_lo, s13
	s_cbranch_execz .LBB6_16526
; %bb.16523:                            ;   in Loop: Header=BB6_14192 Depth=3
	v_bfe_u32 v3, v0, 18, 5
	s_mov_b32 s75, exec_lo
	s_delay_alu instid0(VALU_DEP_1)
	v_cmpx_eq_u32_e32 0, v3
; %bb.16524:                            ;   in Loop: Header=BB6_14192 Depth=3
	v_clz_i32_u32_e32 v3, v4
	s_delay_alu instid0(VALU_DEP_1) | instskip(NEXT) | instid1(VALU_DEP_1)
	v_min_u32_e32 v3, 32, v3
	v_subrev_nc_u32_e32 v4, 29, v3
	s_delay_alu instid0(VALU_DEP_1) | instskip(NEXT) | instid1(VALU_DEP_1)
	v_lshlrev_b64_e32 v[4:5], v4, v[2:3]
	v_dual_sub_nc_u32 v3, 30, v3 :: v_dual_bitop2_b32 v4, 3, v4 bitop3:0x40
; %bb.16525:                            ;   in Loop: Header=BB6_14192 Depth=3
	s_or_b32 exec_lo, exec_lo, s75
	v_lshlrev_b32_e32 v2, 24, v2
	s_delay_alu instid0(VALU_DEP_1) | instskip(NEXT) | instid1(VALU_DEP_1)
	v_and_b32_e32 v2, 0x80000000, v2
	v_lshl_add_u32 v2, v3, 23, v2
	s_delay_alu instid0(VALU_DEP_1) | instskip(NEXT) | instid1(VALU_DEP_1)
	v_lshl_or_b32 v2, v4, 21, v2
                                        ; implicit-def: $vgpr4
	v_add_nc_u32_e32 v3, 0x38000000, v2
                                        ; implicit-def: $vgpr2
.LBB6_16526:                            ;   in Loop: Header=BB6_14192 Depth=3
	s_and_not1_saveexec_b32 s75, s13
; %bb.16527:                            ;   in Loop: Header=BB6_14192 Depth=3
	v_bfe_i32 v2, v2, 0, 8
	v_cmp_eq_u32_e32 vcc_lo, 0, v4
	s_delay_alu instid0(VALU_DEP_2) | instskip(SKIP_1) | instid1(VALU_DEP_1)
	v_cmp_lt_i16_e64 s13, -1, v2
	v_mov_b32_e32 v2, 0x7f800000
	v_cndmask_b32_e64 v2, 0xff800000, v2, s13
	s_delay_alu instid0(VALU_DEP_1)
	v_cndmask_b32_e32 v3, 0x7f800001, v2, vcc_lo
; %bb.16528:                            ;   in Loop: Header=BB6_14192 Depth=3
	s_or_b32 exec_lo, exec_lo, s75
.LBB6_16529:                            ;   in Loop: Header=BB6_14192 Depth=3
	s_delay_alu instid0(SALU_CYCLE_1)
	s_or_b32 exec_lo, exec_lo, s74
.LBB6_16530:                            ;   in Loop: Header=BB6_14192 Depth=3
	s_delay_alu instid0(SALU_CYCLE_1) | instskip(SKIP_2) | instid1(VALU_DEP_1)
	s_or_b32 exec_lo, exec_lo, s73
	v_lshrrev_b32_e32 v2, 16, v22
	s_mov_b32 s73, exec_lo
	v_and_b32_e32 v4, 0xff, v2
	s_delay_alu instid0(VALU_DEP_1)
	v_cmpx_ne_u16_e32 0, v4
	s_cbranch_execz .LBB6_16540
; %bb.16531:                            ;   in Loop: Header=BB6_14192 Depth=3
	v_bfrev_b32_e32 v1, 1
	s_mov_b32 s74, exec_lo
	v_cmpx_ne_u16_e32 0x80, v4
	s_cbranch_execz .LBB6_16539
; %bb.16532:                            ;   in Loop: Header=BB6_14192 Depth=3
	v_and_b32_e32 v1, 0x7c0000, v22
	v_bfe_u32 v4, v22, 16, 2
	s_delay_alu instid0(VALU_DEP_2) | instskip(SKIP_1) | instid1(SALU_CYCLE_1)
	v_cmp_ne_u32_e32 vcc_lo, 0x7c0000, v1
                                        ; implicit-def: $vgpr1
	s_and_saveexec_b32 s13, vcc_lo
	s_xor_b32 s13, exec_lo, s13
	s_cbranch_execz .LBB6_16536
; %bb.16533:                            ;   in Loop: Header=BB6_14192 Depth=3
	v_bfe_u32 v1, v22, 18, 5
	s_mov_b32 s75, exec_lo
	s_delay_alu instid0(VALU_DEP_1)
	v_cmpx_eq_u32_e32 0, v1
; %bb.16534:                            ;   in Loop: Header=BB6_14192 Depth=3
	v_clz_i32_u32_e32 v1, v4
	s_delay_alu instid0(VALU_DEP_1) | instskip(NEXT) | instid1(VALU_DEP_1)
	v_min_u32_e32 v1, 32, v1
	v_subrev_nc_u32_e32 v4, 29, v1
	s_delay_alu instid0(VALU_DEP_1) | instskip(NEXT) | instid1(VALU_DEP_1)
	v_lshlrev_b64_e32 v[4:5], v4, v[2:3]
	v_dual_sub_nc_u32 v1, 30, v1 :: v_dual_bitop2_b32 v4, 3, v4 bitop3:0x40
; %bb.16535:                            ;   in Loop: Header=BB6_14192 Depth=3
	s_or_b32 exec_lo, exec_lo, s75
	v_lshlrev_b32_e32 v2, 24, v2
	s_delay_alu instid0(VALU_DEP_1) | instskip(NEXT) | instid1(VALU_DEP_1)
	v_and_b32_e32 v2, 0x80000000, v2
	v_lshl_add_u32 v1, v1, 23, v2
                                        ; implicit-def: $vgpr2
	s_delay_alu instid0(VALU_DEP_1) | instskip(NEXT) | instid1(VALU_DEP_1)
	v_lshl_or_b32 v1, v4, 21, v1
                                        ; implicit-def: $vgpr4
	v_add_nc_u32_e32 v1, 0x38000000, v1
.LBB6_16536:                            ;   in Loop: Header=BB6_14192 Depth=3
	s_and_not1_saveexec_b32 s75, s13
; %bb.16537:                            ;   in Loop: Header=BB6_14192 Depth=3
	v_bfe_i32 v1, v2, 0, 8
	v_cmp_eq_u32_e32 vcc_lo, 0, v4
	s_delay_alu instid0(VALU_DEP_2) | instskip(SKIP_1) | instid1(VALU_DEP_1)
	v_cmp_lt_i16_e64 s13, -1, v1
	v_mov_b32_e32 v1, 0x7f800000
	v_cndmask_b32_e64 v1, 0xff800000, v1, s13
	s_delay_alu instid0(VALU_DEP_1)
	v_cndmask_b32_e32 v1, 0x7f800001, v1, vcc_lo
; %bb.16538:                            ;   in Loop: Header=BB6_14192 Depth=3
	s_or_b32 exec_lo, exec_lo, s75
.LBB6_16539:                            ;   in Loop: Header=BB6_14192 Depth=3
	s_delay_alu instid0(SALU_CYCLE_1)
	s_or_b32 exec_lo, exec_lo, s74
.LBB6_16540:                            ;   in Loop: Header=BB6_14192 Depth=3
	s_delay_alu instid0(SALU_CYCLE_1) | instskip(NEXT) | instid1(VALU_DEP_1)
	s_or_b32 exec_lo, exec_lo, s73
	v_dual_add_f32 v4, v3, v1 :: v_dual_mov_b32 v57, v113
	v_mov_b32_e32 v3, v113
                                        ; implicit-def: $vgpr114
	s_mov_b32 s13, exec_lo
	s_delay_alu instid0(VALU_DEP_2) | instskip(SKIP_2) | instid1(VALU_DEP_3)
	v_and_b32_e32 v56, 0x7f800000, v4
	v_and_b32_e32 v2, 0x7fffff, v4
	v_lshrrev_b32_e32 v1, 24, v4
	v_cmpx_ne_u64_e32 0x7f800000, v[56:57]
	s_xor_b32 s73, exec_lo, s13
	s_cbranch_execz .LBB6_16554
; %bb.16541:                            ;   in Loop: Header=BB6_14192 Depth=3
	v_and_b32_e32 v56, 0x7fffffff, v4
	v_mov_b32_e32 v57, v113
	v_and_b32_e32 v1, 0x80, v1
                                        ; implicit-def: $vgpr114
	s_mov_b32 s13, exec_lo
	s_delay_alu instid0(VALU_DEP_2)
	v_cmpx_gt_u64_e32 0x47600001, v[56:57]
	s_xor_b32 s74, exec_lo, s13
	s_cbranch_execz .LBB6_16551
; %bb.16542:                            ;   in Loop: Header=BB6_14192 Depth=3
	v_mov_b32_e32 v114, 0
	s_mov_b32 s75, exec_lo
	v_cmpx_ne_u32_e32 0, v4
	s_cbranch_execz .LBB6_16550
; %bb.16543:                            ;   in Loop: Header=BB6_14192 Depth=3
	v_bfe_u32 v114, v4, 23, 8
	v_or_b32_e32 v5, 0x800000, v2
	s_delay_alu instid0(VALU_DEP_2) | instskip(SKIP_2) | instid1(VALU_DEP_2)
	v_cmp_gt_u32_e64 s13, 0x72, v114
	v_sub_nc_u32_e32 v4, 0x71, v114
	v_cmp_eq_u32_e32 vcc_lo, 0, v114
	v_dual_cndmask_b32 v4, 0, v4, s13 :: v_dual_cndmask_b32 v2, v5, v2, vcc_lo
	s_delay_alu instid0(VALU_DEP_1) | instskip(NEXT) | instid1(VALU_DEP_1)
	v_cndmask_b32_e64 v119, v4, 0x70, vcc_lo
	v_dual_add_nc_u32 v4, 21, v119 :: v_dual_add_nc_u32 v47, 20, v119
	s_delay_alu instid0(VALU_DEP_1) | instskip(NEXT) | instid1(VALU_DEP_2)
	v_lshlrev_b64_e64 v[4:5], v4, -1
	v_lshlrev_b64_e64 v[56:57], v47, 1
	s_delay_alu instid0(VALU_DEP_2) | instskip(SKIP_1) | instid1(VALU_DEP_4)
	v_bfi_b32 v4, v4, 0, v2
	v_lshrrev_b64 v[2:3], v119, v[2:3]
	v_bfi_b32 v5, v5, 0, 0
	s_delay_alu instid0(VALU_DEP_1) | instskip(NEXT) | instid1(VALU_DEP_3)
	v_cmp_eq_u64_e64 s13, v[4:5], v[56:57]
	v_mov_b64_e32 v[4:5], v[2:3]
	s_and_saveexec_b32 s76, s13
; %bb.16544:                            ;   in Loop: Header=BB6_14192 Depth=3
	v_bfe_u32 v4, v2, 21, 1
	v_mov_b32_e32 v5, v113
	s_delay_alu instid0(VALU_DEP_1) | instskip(NEXT) | instid1(VALU_DEP_1)
	v_add_nc_u64_e32 v[4:5], v[2:3], v[4:5]
	v_add_nc_u64_e32 v[4:5], -1, v[4:5]
; %bb.16545:                            ;   in Loop: Header=BB6_14192 Depth=3
	s_or_b32 exec_lo, exec_lo, s76
	v_add_nc_u32_e32 v3, 0xffffff81, v114
	v_lshrrev_b32_e32 v5, 23, v2
	s_mov_b32 s13, exec_lo
	s_delay_alu instid0(VALU_DEP_2) | instskip(NEXT) | instid1(VALU_DEP_1)
	v_cndmask_b32_e64 v3, v3, 0xffffff82, vcc_lo
	v_add3_u32 v114, v119, v3, v5
	v_and_b32_e32 v3, 0x1fffff, v4
                                        ; implicit-def: $vgpr4
	s_delay_alu instid0(VALU_DEP_2) | instskip(NEXT) | instid1(VALU_DEP_2)
	v_add_nc_u32_e32 v5, 14, v114
	v_dual_mov_b32 v3, v113 :: v_dual_add_nc_u32 v2, v3, v2
	s_delay_alu instid0(VALU_DEP_2)
	v_cmpx_ne_u32_e32 0, v5
	s_xor_b32 s13, exec_lo, s13
; %bb.16546:                            ;   in Loop: Header=BB6_14192 Depth=3
	s_delay_alu instid0(VALU_DEP_2) | instskip(SKIP_1) | instid1(VALU_DEP_1)
	v_cmp_lt_u64_e32 vcc_lo, 0xffffff, v[2:3]
	v_add_nc_u32_e32 v4, 15, v114
	v_cndmask_b32_e32 v4, v5, v4, vcc_lo
	v_cndmask_b32_e64 v5, 0, 1, vcc_lo
	s_delay_alu instid0(VALU_DEP_1)
	v_lshrrev_b64 v[2:3], v5, v[2:3]
; %bb.16547:                            ;   in Loop: Header=BB6_14192 Depth=3
	s_and_not1_saveexec_b32 s13, s13
; %bb.16548:                            ;   in Loop: Header=BB6_14192 Depth=3
	s_delay_alu instid0(VALU_DEP_1)
	v_bfe_u32 v4, v2, 23, 1
; %bb.16549:                            ;   in Loop: Header=BB6_14192 Depth=3
	s_or_b32 exec_lo, exec_lo, s13
	s_delay_alu instid0(VALU_DEP_2) | instskip(NEXT) | instid1(VALU_DEP_2)
	v_lshrrev_b64 v[2:3], 21, v[2:3]
	v_cmp_gt_i32_e32 vcc_lo, 32, v4
	v_min_i32_e32 v5, 31, v4
	v_cmp_eq_u32_e64 s13, 0, v4
	s_delay_alu instid0(VALU_DEP_2) | instskip(SKIP_1) | instid1(VALU_DEP_2)
	v_dual_cndmask_b32 v3, 0, v3, vcc_lo :: v_dual_lshlrev_b32 v5, 2, v5
	v_cndmask_b32_e32 v2, 3, v2, vcc_lo
	v_and_b32_e32 v5, 0xfc, v5
	s_delay_alu instid0(VALU_DEP_2) | instskip(NEXT) | instid1(VALU_DEP_2)
	v_cmp_eq_u64_e32 vcc_lo, 0, v[2:3]
	v_and_or_b32 v2, v2, 3, v5
	s_and_b32 s13, s13, vcc_lo
	s_delay_alu instid0(VALU_DEP_1) | instid1(SALU_CYCLE_1)
	v_cndmask_b32_e64 v2, v2, 0, s13
	s_delay_alu instid0(VALU_DEP_1)
	v_or_b32_e32 v114, v2, v1
.LBB6_16550:                            ;   in Loop: Header=BB6_14192 Depth=3
	s_or_b32 exec_lo, exec_lo, s75
                                        ; implicit-def: $vgpr1
.LBB6_16551:                            ;   in Loop: Header=BB6_14192 Depth=3
	s_and_not1_saveexec_b32 s13, s74
; %bb.16552:                            ;   in Loop: Header=BB6_14192 Depth=3
	v_or_b32_e32 v114, 0x7b, v1
; %bb.16553:                            ;   in Loop: Header=BB6_14192 Depth=3
	s_or_b32 exec_lo, exec_lo, s13
                                        ; implicit-def: $vgpr4
                                        ; implicit-def: $vgpr2_vgpr3
                                        ; implicit-def: $vgpr1
.LBB6_16554:                            ;   in Loop: Header=BB6_14192 Depth=3
	s_and_not1_saveexec_b32 s13, s73
	s_cbranch_execz .LBB6_16560
; %bb.16555:                            ;   in Loop: Header=BB6_14192 Depth=3
	s_mov_b32 s73, exec_lo
                                        ; implicit-def: $vgpr114
	v_cmpx_ne_u64_e32 0, v[2:3]
	s_xor_b32 s73, exec_lo, s73
; %bb.16556:                            ;   in Loop: Header=BB6_14192 Depth=3
	v_or_b32_e32 v114, 0x7f, v1
                                        ; implicit-def: $vgpr4
; %bb.16557:                            ;   in Loop: Header=BB6_14192 Depth=3
	s_and_not1_saveexec_b32 s73, s73
; %bb.16558:                            ;   in Loop: Header=BB6_14192 Depth=3
	v_cmp_lt_i32_e32 vcc_lo, -1, v4
	v_mov_b32_e32 v1, 0x7c
	s_delay_alu instid0(VALU_DEP_1)
	v_cndmask_b32_e32 v114, 0xfc, v1, vcc_lo
; %bb.16559:                            ;   in Loop: Header=BB6_14192 Depth=3
	s_or_b32 exec_lo, exec_lo, s73
.LBB6_16560:                            ;   in Loop: Header=BB6_14192 Depth=3
	s_delay_alu instid0(SALU_CYCLE_1)
	s_or_b32 exec_lo, exec_lo, s13
	v_dual_mov_b32 v3, 0 :: v_dual_mov_b32 v4, 0
	s_mov_b32 s73, exec_lo
	v_cmpx_lt_u32_e32 0xffffff, v0
	s_cbranch_execz .LBB6_16570
; %bb.16561:                            ;   in Loop: Header=BB6_14192 Depth=3
	v_lshrrev_b32_e32 v2, 24, v0
	v_bfrev_b32_e32 v4, 1
	s_mov_b32 s74, exec_lo
	s_delay_alu instid0(VALU_DEP_2)
	v_cmpx_ne_u32_e32 0x80, v2
	s_cbranch_execz .LBB6_16569
; %bb.16562:                            ;   in Loop: Header=BB6_14192 Depth=3
	v_and_b32_e32 v1, 0x7c000000, v0
	v_bfe_u32 v5, v0, 24, 2
	s_mov_b32 s13, exec_lo
                                        ; implicit-def: $vgpr4
	s_delay_alu instid0(VALU_DEP_2)
	v_cmpx_ne_u32_e32 0x7c000000, v1
	s_xor_b32 s13, exec_lo, s13
	s_cbranch_execz .LBB6_16566
; %bb.16563:                            ;   in Loop: Header=BB6_14192 Depth=3
	v_bfe_u32 v1, v0, 26, 5
	s_mov_b32 s75, exec_lo
	s_delay_alu instid0(VALU_DEP_1)
	v_cmpx_eq_u32_e32 0, v1
; %bb.16564:                            ;   in Loop: Header=BB6_14192 Depth=3
	v_clz_i32_u32_e32 v1, v5
	s_delay_alu instid0(VALU_DEP_1) | instskip(NEXT) | instid1(VALU_DEP_1)
	v_min_u32_e32 v1, 32, v1
	v_subrev_nc_u32_e32 v4, 29, v1
	s_delay_alu instid0(VALU_DEP_1) | instskip(NEXT) | instid1(VALU_DEP_1)
	v_lshlrev_b64_e32 v[4:5], v4, v[2:3]
	v_dual_sub_nc_u32 v1, 30, v1 :: v_dual_bitop2_b32 v5, 3, v4 bitop3:0x40
; %bb.16565:                            ;   in Loop: Header=BB6_14192 Depth=3
	s_or_b32 exec_lo, exec_lo, s75
	v_and_b32_e32 v0, 0x80000000, v0
	s_delay_alu instid0(VALU_DEP_1) | instskip(NEXT) | instid1(VALU_DEP_1)
	v_lshl_add_u32 v0, v1, 23, v0
	v_lshl_or_b32 v0, v5, 21, v0
                                        ; implicit-def: $vgpr5
	s_delay_alu instid0(VALU_DEP_1)
	v_add_nc_u32_e32 v4, 0x38000000, v0
                                        ; implicit-def: $vgpr0_vgpr1
.LBB6_16566:                            ;   in Loop: Header=BB6_14192 Depth=3
	s_and_not1_saveexec_b32 s75, s13
; %bb.16567:                            ;   in Loop: Header=BB6_14192 Depth=3
	v_cmp_lt_i32_e64 s13, -1, v0
	v_mov_b32_e32 v0, 0x7f800000
	v_cmp_eq_u32_e32 vcc_lo, 0, v5
	s_delay_alu instid0(VALU_DEP_2) | instskip(NEXT) | instid1(VALU_DEP_1)
	v_cndmask_b32_e64 v0, 0xff800000, v0, s13
	v_cndmask_b32_e32 v4, 0x7f800001, v0, vcc_lo
; %bb.16568:                            ;   in Loop: Header=BB6_14192 Depth=3
	s_or_b32 exec_lo, exec_lo, s75
.LBB6_16569:                            ;   in Loop: Header=BB6_14192 Depth=3
	s_delay_alu instid0(SALU_CYCLE_1)
	s_or_b32 exec_lo, exec_lo, s74
.LBB6_16570:                            ;   in Loop: Header=BB6_14192 Depth=3
	s_delay_alu instid0(SALU_CYCLE_1) | instskip(NEXT) | instid1(SALU_CYCLE_1)
	s_or_b32 exec_lo, exec_lo, s73
	s_mov_b32 s73, exec_lo
	v_cmpx_lt_u32_e32 0xffffff, v22
	s_cbranch_execz .LBB6_16580
; %bb.16571:                            ;   in Loop: Header=BB6_14192 Depth=3
	v_lshrrev_b32_e32 v0, 24, v22
	v_bfrev_b32_e32 v3, 1
	s_mov_b32 s74, exec_lo
	s_delay_alu instid0(VALU_DEP_2)
	v_cmpx_ne_u32_e32 0x80, v0
	s_cbranch_execz .LBB6_16579
; %bb.16572:                            ;   in Loop: Header=BB6_14192 Depth=3
	v_and_b32_e32 v2, 0x7c000000, v22
	v_bfe_u32 v1, v22, 24, 2
	s_mov_b32 s13, exec_lo
                                        ; implicit-def: $vgpr3
	s_delay_alu instid0(VALU_DEP_2)
	v_cmpx_ne_u32_e32 0x7c000000, v2
	s_xor_b32 s13, exec_lo, s13
	s_cbranch_execz .LBB6_16576
; %bb.16573:                            ;   in Loop: Header=BB6_14192 Depth=3
	v_bfe_u32 v2, v22, 26, 5
	s_mov_b32 s75, exec_lo
	s_delay_alu instid0(VALU_DEP_1)
	v_cmpx_eq_u32_e32 0, v2
; %bb.16574:                            ;   in Loop: Header=BB6_14192 Depth=3
	v_clz_i32_u32_e32 v1, v1
	s_delay_alu instid0(VALU_DEP_1) | instskip(NEXT) | instid1(VALU_DEP_1)
	v_min_u32_e32 v2, 32, v1
	v_subrev_nc_u32_e32 v1, 29, v2
	s_delay_alu instid0(VALU_DEP_1) | instskip(NEXT) | instid1(VALU_DEP_1)
	v_lshlrev_b64_e32 v[0:1], v1, v[0:1]
	v_dual_sub_nc_u32 v2, 30, v2 :: v_dual_bitop2_b32 v1, 3, v0 bitop3:0x40
; %bb.16575:                            ;   in Loop: Header=BB6_14192 Depth=3
	s_or_b32 exec_lo, exec_lo, s75
	v_and_b32_e32 v0, 0x80000000, v22
	s_delay_alu instid0(VALU_DEP_1) | instskip(NEXT) | instid1(VALU_DEP_1)
	v_lshl_add_u32 v0, v2, 23, v0
	v_lshl_or_b32 v0, v1, 21, v0
                                        ; implicit-def: $vgpr1
	s_delay_alu instid0(VALU_DEP_1)
	v_add_nc_u32_e32 v3, 0x38000000, v0
.LBB6_16576:                            ;   in Loop: Header=BB6_14192 Depth=3
	s_and_not1_saveexec_b32 s75, s13
; %bb.16577:                            ;   in Loop: Header=BB6_14192 Depth=3
	v_cmp_lt_i32_e64 s13, -1, v22
	v_mov_b32_e32 v0, 0x7f800000
	v_cmp_eq_u32_e32 vcc_lo, 0, v1
	s_delay_alu instid0(VALU_DEP_2) | instskip(NEXT) | instid1(VALU_DEP_1)
	v_cndmask_b32_e64 v0, 0xff800000, v0, s13
	v_cndmask_b32_e32 v3, 0x7f800001, v0, vcc_lo
; %bb.16578:                            ;   in Loop: Header=BB6_14192 Depth=3
	s_or_b32 exec_lo, exec_lo, s75
.LBB6_16579:                            ;   in Loop: Header=BB6_14192 Depth=3
	s_delay_alu instid0(SALU_CYCLE_1)
	s_or_b32 exec_lo, exec_lo, s74
.LBB6_16580:                            ;   in Loop: Header=BB6_14192 Depth=3
	s_delay_alu instid0(SALU_CYCLE_1) | instskip(NEXT) | instid1(VALU_DEP_1)
	s_or_b32 exec_lo, exec_lo, s73
	v_dual_add_f32 v2, v4, v3 :: v_dual_mov_b32 v5, v113
	v_mov_b32_e32 v1, v113
                                        ; implicit-def: $vgpr119
	s_mov_b32 s13, exec_lo
	s_delay_alu instid0(VALU_DEP_2) | instskip(SKIP_2) | instid1(VALU_DEP_3)
	v_and_b32_e32 v4, 0x7f800000, v2
	v_and_b32_e32 v0, 0x7fffff, v2
	v_lshrrev_b32_e32 v3, 24, v2
	v_cmpx_ne_u64_e32 0x7f800000, v[4:5]
	s_xor_b32 s73, exec_lo, s13
	s_cbranch_execz .LBB6_16594
; %bb.16581:                            ;   in Loop: Header=BB6_14192 Depth=3
	v_and_b32_e32 v4, 0x7fffffff, v2
	v_mov_b32_e32 v5, v113
                                        ; implicit-def: $vgpr119
	s_delay_alu instid0(VALU_DEP_1) | instskip(SKIP_2) | instid1(SALU_CYCLE_1)
	v_cmp_gt_u64_e32 vcc_lo, 0x47600001, v[4:5]
	v_and_b32_e32 v4, 0x80, v3
	s_and_saveexec_b32 s13, vcc_lo
	s_xor_b32 s74, exec_lo, s13
	s_cbranch_execz .LBB6_16591
; %bb.16582:                            ;   in Loop: Header=BB6_14192 Depth=3
	v_mov_b32_e32 v119, 0
	s_mov_b32 s75, exec_lo
	v_cmpx_ne_u32_e32 0, v2
	s_cbranch_execz .LBB6_16590
; %bb.16583:                            ;   in Loop: Header=BB6_14192 Depth=3
	v_bfe_u32 v5, v2, 23, 8
	v_or_b32_e32 v3, 0x800000, v0
	s_delay_alu instid0(VALU_DEP_2) | instskip(SKIP_2) | instid1(VALU_DEP_2)
	v_cmp_gt_u32_e64 s13, 0x72, v5
	v_sub_nc_u32_e32 v2, 0x71, v5
	v_cmp_eq_u32_e32 vcc_lo, 0, v5
	v_dual_cndmask_b32 v2, 0, v2, s13 :: v_dual_cndmask_b32 v0, v3, v0, vcc_lo
	s_delay_alu instid0(VALU_DEP_1) | instskip(NEXT) | instid1(VALU_DEP_1)
	v_cndmask_b32_e64 v119, v2, 0x70, vcc_lo
	v_dual_add_nc_u32 v2, 21, v119 :: v_dual_add_nc_u32 v47, 20, v119
	s_delay_alu instid0(VALU_DEP_1) | instskip(NEXT) | instid1(VALU_DEP_2)
	v_lshlrev_b64_e64 v[2:3], v2, -1
	v_lshlrev_b64_e64 v[56:57], v47, 1
	s_delay_alu instid0(VALU_DEP_2) | instskip(SKIP_1) | instid1(VALU_DEP_4)
	v_bfi_b32 v2, v2, 0, v0
	v_lshrrev_b64 v[0:1], v119, v[0:1]
	v_bfi_b32 v3, v3, 0, 0
	s_delay_alu instid0(VALU_DEP_1) | instskip(NEXT) | instid1(VALU_DEP_3)
	v_cmp_eq_u64_e64 s13, v[2:3], v[56:57]
	v_mov_b64_e32 v[2:3], v[0:1]
	s_and_saveexec_b32 s76, s13
; %bb.16584:                            ;   in Loop: Header=BB6_14192 Depth=3
	v_bfe_u32 v2, v0, 21, 1
	v_mov_b32_e32 v3, v113
	s_delay_alu instid0(VALU_DEP_1) | instskip(NEXT) | instid1(VALU_DEP_1)
	v_add_nc_u64_e32 v[2:3], v[0:1], v[2:3]
	v_add_nc_u64_e32 v[2:3], -1, v[2:3]
; %bb.16585:                            ;   in Loop: Header=BB6_14192 Depth=3
	s_or_b32 exec_lo, exec_lo, s76
	v_add_nc_u32_e32 v1, 0xffffff81, v5
	v_lshrrev_b32_e32 v3, 23, v0
	s_mov_b32 s13, exec_lo
	s_delay_alu instid0(VALU_DEP_2) | instskip(NEXT) | instid1(VALU_DEP_1)
	v_cndmask_b32_e64 v1, v1, 0xffffff82, vcc_lo
	v_add3_u32 v5, v119, v1, v3
	v_and_b32_e32 v1, 0x1fffff, v2
                                        ; implicit-def: $vgpr2
	s_delay_alu instid0(VALU_DEP_1) | instskip(SKIP_1) | instid1(VALU_DEP_2)
	v_dual_add_nc_u32 v3, 14, v5 :: v_dual_add_nc_u32 v0, v1, v0
	v_mov_b32_e32 v1, v113
	v_cmpx_ne_u32_e32 0, v3
	s_xor_b32 s13, exec_lo, s13
; %bb.16586:                            ;   in Loop: Header=BB6_14192 Depth=3
	s_delay_alu instid0(VALU_DEP_2) | instskip(SKIP_1) | instid1(VALU_DEP_1)
	v_cmp_lt_u64_e32 vcc_lo, 0xffffff, v[0:1]
	v_add_nc_u32_e32 v2, 15, v5
	v_cndmask_b32_e32 v2, v3, v2, vcc_lo
	v_cndmask_b32_e64 v3, 0, 1, vcc_lo
	s_delay_alu instid0(VALU_DEP_1)
	v_lshrrev_b64 v[0:1], v3, v[0:1]
; %bb.16587:                            ;   in Loop: Header=BB6_14192 Depth=3
	s_and_not1_saveexec_b32 s13, s13
; %bb.16588:                            ;   in Loop: Header=BB6_14192 Depth=3
	s_delay_alu instid0(VALU_DEP_1)
	v_bfe_u32 v2, v0, 23, 1
; %bb.16589:                            ;   in Loop: Header=BB6_14192 Depth=3
	s_or_b32 exec_lo, exec_lo, s13
	s_delay_alu instid0(VALU_DEP_2) | instskip(NEXT) | instid1(VALU_DEP_2)
	v_lshrrev_b64 v[0:1], 21, v[0:1]
	v_cmp_gt_i32_e32 vcc_lo, 32, v2
	v_min_i32_e32 v3, 31, v2
	v_cmp_eq_u32_e64 s13, 0, v2
	s_delay_alu instid0(VALU_DEP_2) | instskip(SKIP_1) | instid1(VALU_DEP_2)
	v_dual_cndmask_b32 v1, 0, v1, vcc_lo :: v_dual_lshlrev_b32 v3, 2, v3
	v_cndmask_b32_e32 v0, 3, v0, vcc_lo
	v_and_b32_e32 v3, 0xfc, v3
	s_delay_alu instid0(VALU_DEP_2) | instskip(NEXT) | instid1(VALU_DEP_2)
	v_cmp_eq_u64_e32 vcc_lo, 0, v[0:1]
	v_and_or_b32 v0, v0, 3, v3
	s_and_b32 s13, s13, vcc_lo
	s_delay_alu instid0(VALU_DEP_1) | instid1(SALU_CYCLE_1)
	v_cndmask_b32_e64 v0, v0, 0, s13
	s_delay_alu instid0(VALU_DEP_1)
	v_or_b32_e32 v119, v0, v4
.LBB6_16590:                            ;   in Loop: Header=BB6_14192 Depth=3
	s_or_b32 exec_lo, exec_lo, s75
                                        ; implicit-def: $vgpr4
.LBB6_16591:                            ;   in Loop: Header=BB6_14192 Depth=3
	s_and_not1_saveexec_b32 s13, s74
; %bb.16592:                            ;   in Loop: Header=BB6_14192 Depth=3
	v_or_b32_e32 v119, 0x7b, v4
; %bb.16593:                            ;   in Loop: Header=BB6_14192 Depth=3
	s_or_b32 exec_lo, exec_lo, s13
                                        ; implicit-def: $vgpr2
                                        ; implicit-def: $vgpr0_vgpr1
                                        ; implicit-def: $vgpr3
.LBB6_16594:                            ;   in Loop: Header=BB6_14192 Depth=3
	s_and_not1_saveexec_b32 s13, s73
	s_cbranch_execz .LBB6_16600
; %bb.16595:                            ;   in Loop: Header=BB6_14192 Depth=3
	s_mov_b32 s73, exec_lo
                                        ; implicit-def: $vgpr119
	v_cmpx_ne_u64_e32 0, v[0:1]
	s_xor_b32 s73, exec_lo, s73
; %bb.16596:                            ;   in Loop: Header=BB6_14192 Depth=3
	v_or_b32_e32 v119, 0x7f, v3
                                        ; implicit-def: $vgpr2
; %bb.16597:                            ;   in Loop: Header=BB6_14192 Depth=3
	s_and_not1_saveexec_b32 s73, s73
; %bb.16598:                            ;   in Loop: Header=BB6_14192 Depth=3
	v_cmp_lt_i32_e32 vcc_lo, -1, v2
	v_mov_b32_e32 v0, 0x7c
	s_delay_alu instid0(VALU_DEP_1)
	v_cndmask_b32_e32 v119, 0xfc, v0, vcc_lo
; %bb.16599:                            ;   in Loop: Header=BB6_14192 Depth=3
	s_or_b32 exec_lo, exec_lo, s73
.LBB6_16600:                            ;   in Loop: Header=BB6_14192 Depth=3
	s_delay_alu instid0(SALU_CYCLE_1) | instskip(SKIP_4) | instid1(VALU_DEP_2)
	s_or_b32 exec_lo, exec_lo, s13
	v_dual_lshlrev_b32 v0, 24, v46 :: v_dual_lshlrev_b32 v2, 16, v45
	v_lshl_or_b32 v43, v43, 8, v40
	v_dual_mov_b32 v1, v113 :: v_dual_mov_b32 v3, 0
	s_mov_b32 s73, exec_lo
	v_or3_b32 v0, v2, v0, v43
	v_mov_b32_e32 v2, 0
	v_cmpx_ne_u32_e32 0, v40
	s_cbranch_execz .LBB6_16610
; %bb.16601:                            ;   in Loop: Header=BB6_14192 Depth=3
	v_bfrev_b32_e32 v2, 1
	s_mov_b32 s74, exec_lo
	v_cmpx_ne_u32_e32 0x80, v40
	s_cbranch_execz .LBB6_16609
; %bb.16602:                            ;   in Loop: Header=BB6_14192 Depth=3
	v_and_b32_e32 v2, 0x7c, v40
	v_and_b32_e32 v4, 3, v40
	s_delay_alu instid0(VALU_DEP_2) | instskip(SKIP_1) | instid1(SALU_CYCLE_1)
	v_cmp_ne_u32_e32 vcc_lo, 0x7c, v2
                                        ; implicit-def: $vgpr2
	s_and_saveexec_b32 s13, vcc_lo
	s_xor_b32 s13, exec_lo, s13
	s_cbranch_execz .LBB6_16606
; %bb.16603:                            ;   in Loop: Header=BB6_14192 Depth=3
	v_bfe_u32 v2, v40, 2, 5
	s_mov_b32 s75, exec_lo
	s_delay_alu instid0(VALU_DEP_1)
	v_cmpx_eq_u32_e32 0, v2
; %bb.16604:                            ;   in Loop: Header=BB6_14192 Depth=3
	v_clz_i32_u32_e32 v2, v4
	s_delay_alu instid0(VALU_DEP_1) | instskip(NEXT) | instid1(VALU_DEP_1)
	v_min_u32_e32 v2, 32, v2
	v_subrev_nc_u32_e32 v4, 29, v2
	s_delay_alu instid0(VALU_DEP_1) | instskip(NEXT) | instid1(VALU_DEP_1)
	v_lshlrev_b64_e32 v[4:5], v4, v[0:1]
	v_dual_sub_nc_u32 v2, 30, v2 :: v_dual_bitop2_b32 v4, 3, v4 bitop3:0x40
; %bb.16605:                            ;   in Loop: Header=BB6_14192 Depth=3
	s_or_b32 exec_lo, exec_lo, s75
	v_lshlrev_b32_e32 v1, 24, v40
                                        ; implicit-def: $vgpr40
	s_delay_alu instid0(VALU_DEP_1) | instskip(NEXT) | instid1(VALU_DEP_1)
	v_and_b32_e32 v1, 0x80000000, v1
	v_lshl_add_u32 v1, v2, 23, v1
	s_delay_alu instid0(VALU_DEP_1) | instskip(NEXT) | instid1(VALU_DEP_1)
	v_lshl_or_b32 v1, v4, 21, v1
                                        ; implicit-def: $vgpr4
	v_add_nc_u32_e32 v2, 0x38000000, v1
.LBB6_16606:                            ;   in Loop: Header=BB6_14192 Depth=3
	s_and_not1_saveexec_b32 s75, s13
; %bb.16607:                            ;   in Loop: Header=BB6_14192 Depth=3
	v_and_b32_e32 v1, 0x80, v40
	v_cmp_eq_u32_e32 vcc_lo, 0, v4
	s_delay_alu instid0(VALU_DEP_2) | instskip(SKIP_1) | instid1(VALU_DEP_1)
	v_cmp_eq_u32_e64 s13, 0, v1
	v_mov_b32_e32 v1, 0x7f800000
	v_cndmask_b32_e64 v1, 0xff800000, v1, s13
	s_delay_alu instid0(VALU_DEP_1)
	v_cndmask_b32_e32 v2, 0x7f800001, v1, vcc_lo
; %bb.16608:                            ;   in Loop: Header=BB6_14192 Depth=3
	s_or_b32 exec_lo, exec_lo, s75
.LBB6_16609:                            ;   in Loop: Header=BB6_14192 Depth=3
	s_delay_alu instid0(SALU_CYCLE_1)
	s_or_b32 exec_lo, exec_lo, s74
.LBB6_16610:                            ;   in Loop: Header=BB6_14192 Depth=3
	s_delay_alu instid0(SALU_CYCLE_1) | instskip(SKIP_2) | instid1(VALU_DEP_1)
	s_or_b32 exec_lo, exec_lo, s73
	v_and_b32_e32 v1, 0xff, v23
	s_mov_b32 s73, exec_lo
	v_cmpx_ne_u16_e32 0, v1
	s_cbranch_execz .LBB6_16620
; %bb.16611:                            ;   in Loop: Header=BB6_14192 Depth=3
	v_bfrev_b32_e32 v3, 1
	s_mov_b32 s74, exec_lo
	v_cmpx_ne_u16_e32 0x80, v1
	s_cbranch_execz .LBB6_16619
; %bb.16612:                            ;   in Loop: Header=BB6_14192 Depth=3
	v_and_b32_e32 v3, 0x7c, v23
	v_and_b32_e32 v1, 3, v23
	s_delay_alu instid0(VALU_DEP_2) | instskip(SKIP_1) | instid1(SALU_CYCLE_1)
	v_cmp_ne_u32_e32 vcc_lo, 0x7c, v3
                                        ; implicit-def: $vgpr3
	s_and_saveexec_b32 s13, vcc_lo
	s_xor_b32 s13, exec_lo, s13
	s_cbranch_execz .LBB6_16616
; %bb.16613:                            ;   in Loop: Header=BB6_14192 Depth=3
	v_bfe_u32 v3, v23, 2, 5
	s_mov_b32 s75, exec_lo
	s_delay_alu instid0(VALU_DEP_1)
	v_cmpx_eq_u32_e32 0, v3
; %bb.16614:                            ;   in Loop: Header=BB6_14192 Depth=3
	v_clz_i32_u32_e32 v1, v1
	v_dual_mov_b32 v4, v23 :: v_dual_mov_b32 v5, v113
	s_delay_alu instid0(VALU_DEP_2) | instskip(NEXT) | instid1(VALU_DEP_1)
	v_min_u32_e32 v1, 32, v1
	v_subrev_nc_u32_e32 v3, 29, v1
	s_delay_alu instid0(VALU_DEP_1) | instskip(NEXT) | instid1(VALU_DEP_1)
	v_lshlrev_b64_e32 v[4:5], v3, v[4:5]
	v_dual_sub_nc_u32 v3, 30, v1 :: v_dual_bitop2_b32 v1, 3, v4 bitop3:0x40
; %bb.16615:                            ;   in Loop: Header=BB6_14192 Depth=3
	s_or_b32 exec_lo, exec_lo, s75
	v_lshlrev_b32_e32 v4, 24, v23
	s_delay_alu instid0(VALU_DEP_1) | instskip(NEXT) | instid1(VALU_DEP_1)
	v_and_b32_e32 v4, 0x80000000, v4
	v_lshl_add_u32 v3, v3, 23, v4
	s_delay_alu instid0(VALU_DEP_1) | instskip(NEXT) | instid1(VALU_DEP_1)
	v_lshl_or_b32 v1, v1, 21, v3
	v_add_nc_u32_e32 v3, 0x38000000, v1
                                        ; implicit-def: $vgpr1
.LBB6_16616:                            ;   in Loop: Header=BB6_14192 Depth=3
	s_and_not1_saveexec_b32 s75, s13
; %bb.16617:                            ;   in Loop: Header=BB6_14192 Depth=3
	v_bfe_i32 v3, v23, 0, 8
	v_cmp_eq_u32_e32 vcc_lo, 0, v1
	v_mov_b32_e32 v1, 0x7f800000
	s_delay_alu instid0(VALU_DEP_3) | instskip(NEXT) | instid1(VALU_DEP_1)
	v_cmp_lt_i16_e64 s13, -1, v3
	v_cndmask_b32_e64 v1, 0xff800000, v1, s13
	s_delay_alu instid0(VALU_DEP_1)
	v_cndmask_b32_e32 v3, 0x7f800001, v1, vcc_lo
; %bb.16618:                            ;   in Loop: Header=BB6_14192 Depth=3
	s_or_b32 exec_lo, exec_lo, s75
.LBB6_16619:                            ;   in Loop: Header=BB6_14192 Depth=3
	s_delay_alu instid0(SALU_CYCLE_1)
	s_or_b32 exec_lo, exec_lo, s74
.LBB6_16620:                            ;   in Loop: Header=BB6_14192 Depth=3
	s_delay_alu instid0(SALU_CYCLE_1) | instskip(NEXT) | instid1(VALU_DEP_1)
	s_or_b32 exec_lo, exec_lo, s73
	v_dual_add_f32 v4, v2, v3 :: v_dual_mov_b32 v47, v113
	v_mov_b32_e32 v3, v113
                                        ; implicit-def: $vgpr40
	s_mov_b32 s13, exec_lo
	s_delay_alu instid0(VALU_DEP_2) | instskip(SKIP_2) | instid1(VALU_DEP_3)
	v_and_b32_e32 v46, 0x7f800000, v4
	v_and_b32_e32 v2, 0x7fffff, v4
	v_lshrrev_b32_e32 v1, 24, v4
	v_cmpx_ne_u64_e32 0x7f800000, v[46:47]
	s_xor_b32 s73, exec_lo, s13
	s_cbranch_execz .LBB6_16634
; %bb.16621:                            ;   in Loop: Header=BB6_14192 Depth=3
	v_and_b32_e32 v46, 0x7fffffff, v4
	v_mov_b32_e32 v47, v113
	v_and_b32_e32 v1, 0x80, v1
                                        ; implicit-def: $vgpr40
	s_mov_b32 s13, exec_lo
	s_delay_alu instid0(VALU_DEP_2)
	v_cmpx_gt_u64_e32 0x47600001, v[46:47]
	s_xor_b32 s74, exec_lo, s13
	s_cbranch_execz .LBB6_16631
; %bb.16622:                            ;   in Loop: Header=BB6_14192 Depth=3
	v_mov_b32_e32 v40, 0
	s_mov_b32 s75, exec_lo
	v_cmpx_ne_u32_e32 0, v4
	s_cbranch_execz .LBB6_16630
; %bb.16623:                            ;   in Loop: Header=BB6_14192 Depth=3
	v_bfe_u32 v40, v4, 23, 8
	v_or_b32_e32 v5, 0x800000, v2
	s_delay_alu instid0(VALU_DEP_2) | instskip(SKIP_2) | instid1(VALU_DEP_2)
	v_cmp_gt_u32_e64 s13, 0x72, v40
	v_sub_nc_u32_e32 v4, 0x71, v40
	v_cmp_eq_u32_e32 vcc_lo, 0, v40
	v_dual_cndmask_b32 v4, 0, v4, s13 :: v_dual_cndmask_b32 v2, v5, v2, vcc_lo
	s_delay_alu instid0(VALU_DEP_1) | instskip(NEXT) | instid1(VALU_DEP_1)
	v_cndmask_b32_e64 v45, v4, 0x70, vcc_lo
	v_dual_add_nc_u32 v4, 21, v45 :: v_dual_add_nc_u32 v46, 20, v45
	s_delay_alu instid0(VALU_DEP_1) | instskip(NEXT) | instid1(VALU_DEP_2)
	v_lshlrev_b64_e64 v[4:5], v4, -1
	v_lshlrev_b64_e64 v[46:47], v46, 1
	s_delay_alu instid0(VALU_DEP_2) | instskip(SKIP_1) | instid1(VALU_DEP_4)
	v_bfi_b32 v4, v4, 0, v2
	v_lshrrev_b64 v[2:3], v45, v[2:3]
	v_bfi_b32 v5, v5, 0, 0
	s_delay_alu instid0(VALU_DEP_1) | instskip(NEXT) | instid1(VALU_DEP_3)
	v_cmp_eq_u64_e64 s13, v[4:5], v[46:47]
	v_mov_b64_e32 v[4:5], v[2:3]
	s_and_saveexec_b32 s76, s13
; %bb.16624:                            ;   in Loop: Header=BB6_14192 Depth=3
	v_bfe_u32 v4, v2, 21, 1
	v_mov_b32_e32 v5, v113
	s_delay_alu instid0(VALU_DEP_1) | instskip(NEXT) | instid1(VALU_DEP_1)
	v_add_nc_u64_e32 v[4:5], v[2:3], v[4:5]
	v_add_nc_u64_e32 v[4:5], -1, v[4:5]
; %bb.16625:                            ;   in Loop: Header=BB6_14192 Depth=3
	s_or_b32 exec_lo, exec_lo, s76
	v_add_nc_u32_e32 v3, 0xffffff81, v40
	v_lshrrev_b32_e32 v5, 23, v2
	s_mov_b32 s13, exec_lo
	s_delay_alu instid0(VALU_DEP_2) | instskip(NEXT) | instid1(VALU_DEP_1)
	v_cndmask_b32_e64 v3, v3, 0xffffff82, vcc_lo
	v_add3_u32 v40, v45, v3, v5
	v_and_b32_e32 v3, 0x1fffff, v4
                                        ; implicit-def: $vgpr4
	s_delay_alu instid0(VALU_DEP_1) | instskip(SKIP_1) | instid1(VALU_DEP_2)
	v_dual_add_nc_u32 v5, 14, v40 :: v_dual_add_nc_u32 v2, v3, v2
	v_mov_b32_e32 v3, v113
	v_cmpx_ne_u32_e32 0, v5
	s_xor_b32 s13, exec_lo, s13
; %bb.16626:                            ;   in Loop: Header=BB6_14192 Depth=3
	s_delay_alu instid0(VALU_DEP_2) | instskip(SKIP_1) | instid1(VALU_DEP_1)
	v_cmp_lt_u64_e32 vcc_lo, 0xffffff, v[2:3]
	v_add_nc_u32_e32 v4, 15, v40
	v_cndmask_b32_e32 v4, v5, v4, vcc_lo
	v_cndmask_b32_e64 v5, 0, 1, vcc_lo
	s_delay_alu instid0(VALU_DEP_1)
	v_lshrrev_b64 v[2:3], v5, v[2:3]
; %bb.16627:                            ;   in Loop: Header=BB6_14192 Depth=3
	s_and_not1_saveexec_b32 s13, s13
; %bb.16628:                            ;   in Loop: Header=BB6_14192 Depth=3
	s_delay_alu instid0(VALU_DEP_1)
	v_bfe_u32 v4, v2, 23, 1
; %bb.16629:                            ;   in Loop: Header=BB6_14192 Depth=3
	s_or_b32 exec_lo, exec_lo, s13
	s_delay_alu instid0(VALU_DEP_2) | instskip(NEXT) | instid1(VALU_DEP_2)
	v_lshrrev_b64 v[2:3], 21, v[2:3]
	v_cmp_gt_i32_e32 vcc_lo, 32, v4
	v_min_i32_e32 v5, 31, v4
	v_cmp_eq_u32_e64 s13, 0, v4
	s_delay_alu instid0(VALU_DEP_2) | instskip(SKIP_1) | instid1(VALU_DEP_2)
	v_dual_cndmask_b32 v3, 0, v3, vcc_lo :: v_dual_lshlrev_b32 v5, 2, v5
	v_cndmask_b32_e32 v2, 3, v2, vcc_lo
	v_and_b32_e32 v5, 0xfc, v5
	s_delay_alu instid0(VALU_DEP_2) | instskip(NEXT) | instid1(VALU_DEP_2)
	v_cmp_eq_u64_e32 vcc_lo, 0, v[2:3]
	v_and_or_b32 v2, v2, 3, v5
	s_and_b32 s13, s13, vcc_lo
	s_delay_alu instid0(VALU_DEP_1) | instid1(SALU_CYCLE_1)
	v_cndmask_b32_e64 v2, v2, 0, s13
	s_delay_alu instid0(VALU_DEP_1)
	v_or_b32_e32 v40, v2, v1
.LBB6_16630:                            ;   in Loop: Header=BB6_14192 Depth=3
	s_or_b32 exec_lo, exec_lo, s75
                                        ; implicit-def: $vgpr1
.LBB6_16631:                            ;   in Loop: Header=BB6_14192 Depth=3
	s_and_not1_saveexec_b32 s13, s74
; %bb.16632:                            ;   in Loop: Header=BB6_14192 Depth=3
	v_or_b32_e32 v40, 0x7b, v1
; %bb.16633:                            ;   in Loop: Header=BB6_14192 Depth=3
	s_or_b32 exec_lo, exec_lo, s13
                                        ; implicit-def: $vgpr4
                                        ; implicit-def: $vgpr2_vgpr3
                                        ; implicit-def: $vgpr1
.LBB6_16634:                            ;   in Loop: Header=BB6_14192 Depth=3
	s_and_not1_saveexec_b32 s13, s73
	s_cbranch_execz .LBB6_16640
; %bb.16635:                            ;   in Loop: Header=BB6_14192 Depth=3
	s_mov_b32 s73, exec_lo
                                        ; implicit-def: $vgpr40
	v_cmpx_ne_u64_e32 0, v[2:3]
	s_xor_b32 s73, exec_lo, s73
; %bb.16636:                            ;   in Loop: Header=BB6_14192 Depth=3
	v_or_b32_e32 v40, 0x7f, v1
                                        ; implicit-def: $vgpr4
; %bb.16637:                            ;   in Loop: Header=BB6_14192 Depth=3
	s_and_not1_saveexec_b32 s73, s73
; %bb.16638:                            ;   in Loop: Header=BB6_14192 Depth=3
	v_cmp_lt_i32_e32 vcc_lo, -1, v4
	v_mov_b32_e32 v1, 0x7c
	s_delay_alu instid0(VALU_DEP_1)
	v_cndmask_b32_e32 v40, 0xfc, v1, vcc_lo
; %bb.16639:                            ;   in Loop: Header=BB6_14192 Depth=3
	s_or_b32 exec_lo, exec_lo, s73
.LBB6_16640:                            ;   in Loop: Header=BB6_14192 Depth=3
	s_delay_alu instid0(SALU_CYCLE_1) | instskip(SKIP_3) | instid1(VALU_DEP_2)
	s_or_b32 exec_lo, exec_lo, s13
	v_lshrrev_b16 v2, 8, v43
	v_dual_mov_b32 v1, 0 :: v_dual_mov_b32 v4, 0
	s_mov_b32 s73, exec_lo
	v_cmpx_ne_u16_e32 0, v2
	s_cbranch_execz .LBB6_16650
; %bb.16641:                            ;   in Loop: Header=BB6_14192 Depth=3
	v_bfrev_b32_e32 v4, 1
	s_mov_b32 s74, exec_lo
	v_cmpx_ne_u16_e32 0x80, v2
	s_cbranch_execz .LBB6_16649
; %bb.16642:                            ;   in Loop: Header=BB6_14192 Depth=3
	v_and_b32_e32 v5, 0xffff, v2
	s_delay_alu instid0(VALU_DEP_1) | instskip(SKIP_1) | instid1(VALU_DEP_2)
	v_and_b32_e32 v4, 0x7c, v5
	v_and_b32_e32 v3, 3, v5
	v_cmp_ne_u32_e32 vcc_lo, 0x7c, v4
                                        ; implicit-def: $vgpr4
	s_and_saveexec_b32 s13, vcc_lo
	s_delay_alu instid0(SALU_CYCLE_1)
	s_xor_b32 s13, exec_lo, s13
	s_cbranch_execz .LBB6_16646
; %bb.16643:                            ;   in Loop: Header=BB6_14192 Depth=3
	v_bfe_u32 v4, v5, 2, 5
	s_mov_b32 s75, exec_lo
	s_delay_alu instid0(VALU_DEP_1)
	v_cmpx_eq_u32_e32 0, v4
	s_cbranch_execz .LBB6_16645
; %bb.16644:                            ;   in Loop: Header=BB6_14192 Depth=3
	v_clz_i32_u32_e32 v3, v3
	s_delay_alu instid0(VALU_DEP_1) | instskip(SKIP_1) | instid1(VALU_DEP_2)
	v_min_u32_e32 v4, 32, v3
	v_mov_b32_e32 v3, v113
	v_subrev_nc_u32_e32 v5, 29, v4
	v_sub_nc_u32_e32 v4, 30, v4
	s_delay_alu instid0(VALU_DEP_2) | instskip(NEXT) | instid1(VALU_DEP_1)
	v_lshlrev_b64_e32 v[2:3], v5, v[2:3]
	v_and_b32_e32 v3, 3, v2
.LBB6_16645:                            ;   in Loop: Header=BB6_14192 Depth=3
	s_or_b32 exec_lo, exec_lo, s75
	v_lshlrev_b32_e32 v2, 16, v43
                                        ; implicit-def: $vgpr43
	s_delay_alu instid0(VALU_DEP_1) | instskip(NEXT) | instid1(VALU_DEP_1)
	v_and_b32_e32 v2, 0x80000000, v2
	v_lshl_add_u32 v2, v4, 23, v2
	s_delay_alu instid0(VALU_DEP_1) | instskip(NEXT) | instid1(VALU_DEP_1)
	v_lshl_or_b32 v2, v3, 21, v2
                                        ; implicit-def: $vgpr3
	v_add_nc_u32_e32 v4, 0x38000000, v2
.LBB6_16646:                            ;   in Loop: Header=BB6_14192 Depth=3
	s_and_not1_saveexec_b32 s75, s13
; %bb.16647:                            ;   in Loop: Header=BB6_14192 Depth=3
	v_cmp_lt_i16_e64 s13, -1, v43
	v_mov_b32_e32 v2, 0x7f800000
	v_cmp_eq_u32_e32 vcc_lo, 0, v3
	s_delay_alu instid0(VALU_DEP_2) | instskip(NEXT) | instid1(VALU_DEP_1)
	v_cndmask_b32_e64 v2, 0xff800000, v2, s13
	v_cndmask_b32_e32 v4, 0x7f800001, v2, vcc_lo
; %bb.16648:                            ;   in Loop: Header=BB6_14192 Depth=3
	s_or_b32 exec_lo, exec_lo, s75
.LBB6_16649:                            ;   in Loop: Header=BB6_14192 Depth=3
	s_delay_alu instid0(SALU_CYCLE_1)
	s_or_b32 exec_lo, exec_lo, s74
.LBB6_16650:                            ;   in Loop: Header=BB6_14192 Depth=3
	s_delay_alu instid0(SALU_CYCLE_1) | instskip(SKIP_2) | instid1(VALU_DEP_1)
	s_or_b32 exec_lo, exec_lo, s73
	v_lshrrev_b16 v2, 8, v23
	s_mov_b32 s73, exec_lo
	v_cmpx_ne_u16_e32 0, v2
	s_cbranch_execz .LBB6_16660
; %bb.16651:                            ;   in Loop: Header=BB6_14192 Depth=3
	v_bfrev_b32_e32 v1, 1
	s_mov_b32 s74, exec_lo
	v_cmpx_ne_u16_e32 0x80, v2
	s_cbranch_execz .LBB6_16659
; %bb.16652:                            ;   in Loop: Header=BB6_14192 Depth=3
	v_and_b32_e32 v5, 0xffff, v2
	s_delay_alu instid0(VALU_DEP_1) | instskip(SKIP_1) | instid1(VALU_DEP_2)
	v_and_b32_e32 v1, 0x7c, v5
	v_and_b32_e32 v3, 3, v5
	v_cmp_ne_u32_e32 vcc_lo, 0x7c, v1
                                        ; implicit-def: $vgpr1
	s_and_saveexec_b32 s13, vcc_lo
	s_delay_alu instid0(SALU_CYCLE_1)
	s_xor_b32 s13, exec_lo, s13
	s_cbranch_execz .LBB6_16656
; %bb.16653:                            ;   in Loop: Header=BB6_14192 Depth=3
	v_bfe_u32 v1, v5, 2, 5
	s_mov_b32 s75, exec_lo
	s_delay_alu instid0(VALU_DEP_1)
	v_cmpx_eq_u32_e32 0, v1
	s_cbranch_execz .LBB6_16655
; %bb.16654:                            ;   in Loop: Header=BB6_14192 Depth=3
	v_clz_i32_u32_e32 v1, v3
	s_delay_alu instid0(VALU_DEP_1) | instskip(SKIP_1) | instid1(VALU_DEP_2)
	v_min_u32_e32 v1, 32, v1
	v_mov_b32_e32 v3, v113
	v_subrev_nc_u32_e32 v5, 29, v1
	v_sub_nc_u32_e32 v1, 30, v1
	s_delay_alu instid0(VALU_DEP_2) | instskip(NEXT) | instid1(VALU_DEP_1)
	v_lshlrev_b64_e32 v[2:3], v5, v[2:3]
	v_and_b32_e32 v3, 3, v2
.LBB6_16655:                            ;   in Loop: Header=BB6_14192 Depth=3
	s_or_b32 exec_lo, exec_lo, s75
	v_lshlrev_b32_e32 v2, 16, v23
	s_delay_alu instid0(VALU_DEP_1) | instskip(NEXT) | instid1(VALU_DEP_1)
	v_and_b32_e32 v2, 0x80000000, v2
	v_lshl_add_u32 v1, v1, 23, v2
	s_delay_alu instid0(VALU_DEP_1) | instskip(NEXT) | instid1(VALU_DEP_1)
	v_lshl_or_b32 v1, v3, 21, v1
                                        ; implicit-def: $vgpr3
	v_add_nc_u32_e32 v1, 0x38000000, v1
.LBB6_16656:                            ;   in Loop: Header=BB6_14192 Depth=3
	s_and_not1_saveexec_b32 s75, s13
; %bb.16657:                            ;   in Loop: Header=BB6_14192 Depth=3
	v_cmp_lt_i16_e64 s13, -1, v23
	v_mov_b32_e32 v1, 0x7f800000
	v_cmp_eq_u32_e32 vcc_lo, 0, v3
	s_delay_alu instid0(VALU_DEP_2) | instskip(NEXT) | instid1(VALU_DEP_1)
	v_cndmask_b32_e64 v1, 0xff800000, v1, s13
	v_cndmask_b32_e32 v1, 0x7f800001, v1, vcc_lo
; %bb.16658:                            ;   in Loop: Header=BB6_14192 Depth=3
	s_or_b32 exec_lo, exec_lo, s75
.LBB6_16659:                            ;   in Loop: Header=BB6_14192 Depth=3
	s_delay_alu instid0(SALU_CYCLE_1)
	s_or_b32 exec_lo, exec_lo, s74
.LBB6_16660:                            ;   in Loop: Header=BB6_14192 Depth=3
	s_delay_alu instid0(SALU_CYCLE_1) | instskip(NEXT) | instid1(VALU_DEP_1)
	s_or_b32 exec_lo, exec_lo, s73
	v_dual_add_f32 v4, v4, v1 :: v_dual_mov_b32 v47, v113
	v_mov_b32_e32 v3, v113
                                        ; implicit-def: $vgpr43
	s_mov_b32 s13, exec_lo
	s_delay_alu instid0(VALU_DEP_2) | instskip(SKIP_2) | instid1(VALU_DEP_3)
	v_and_b32_e32 v46, 0x7f800000, v4
	v_and_b32_e32 v2, 0x7fffff, v4
	v_lshrrev_b32_e32 v1, 24, v4
	v_cmpx_ne_u64_e32 0x7f800000, v[46:47]
	s_xor_b32 s73, exec_lo, s13
	s_cbranch_execz .LBB6_16674
; %bb.16661:                            ;   in Loop: Header=BB6_14192 Depth=3
	v_and_b32_e32 v46, 0x7fffffff, v4
	v_mov_b32_e32 v47, v113
	v_and_b32_e32 v1, 0x80, v1
                                        ; implicit-def: $vgpr43
	s_mov_b32 s13, exec_lo
	s_delay_alu instid0(VALU_DEP_2)
	v_cmpx_gt_u64_e32 0x47600001, v[46:47]
	s_xor_b32 s74, exec_lo, s13
	s_cbranch_execz .LBB6_16671
; %bb.16662:                            ;   in Loop: Header=BB6_14192 Depth=3
	v_mov_b32_e32 v43, 0
	s_mov_b32 s75, exec_lo
	v_cmpx_ne_u32_e32 0, v4
	s_cbranch_execz .LBB6_16670
; %bb.16663:                            ;   in Loop: Header=BB6_14192 Depth=3
	v_bfe_u32 v43, v4, 23, 8
	v_or_b32_e32 v5, 0x800000, v2
	s_delay_alu instid0(VALU_DEP_2) | instskip(SKIP_2) | instid1(VALU_DEP_2)
	v_cmp_gt_u32_e64 s13, 0x72, v43
	v_sub_nc_u32_e32 v4, 0x71, v43
	v_cmp_eq_u32_e32 vcc_lo, 0, v43
	v_dual_cndmask_b32 v4, 0, v4, s13 :: v_dual_cndmask_b32 v2, v5, v2, vcc_lo
	s_delay_alu instid0(VALU_DEP_1) | instskip(NEXT) | instid1(VALU_DEP_1)
	v_cndmask_b32_e64 v45, v4, 0x70, vcc_lo
	v_dual_add_nc_u32 v4, 21, v45 :: v_dual_add_nc_u32 v46, 20, v45
	s_delay_alu instid0(VALU_DEP_1) | instskip(NEXT) | instid1(VALU_DEP_2)
	v_lshlrev_b64_e64 v[4:5], v4, -1
	v_lshlrev_b64_e64 v[46:47], v46, 1
	s_delay_alu instid0(VALU_DEP_2) | instskip(SKIP_1) | instid1(VALU_DEP_4)
	v_bfi_b32 v4, v4, 0, v2
	v_lshrrev_b64 v[2:3], v45, v[2:3]
	v_bfi_b32 v5, v5, 0, 0
	s_delay_alu instid0(VALU_DEP_1) | instskip(NEXT) | instid1(VALU_DEP_3)
	v_cmp_eq_u64_e64 s13, v[4:5], v[46:47]
	v_mov_b64_e32 v[4:5], v[2:3]
	s_and_saveexec_b32 s76, s13
; %bb.16664:                            ;   in Loop: Header=BB6_14192 Depth=3
	v_bfe_u32 v4, v2, 21, 1
	v_mov_b32_e32 v5, v113
	s_delay_alu instid0(VALU_DEP_1) | instskip(NEXT) | instid1(VALU_DEP_1)
	v_add_nc_u64_e32 v[4:5], v[2:3], v[4:5]
	v_add_nc_u64_e32 v[4:5], -1, v[4:5]
; %bb.16665:                            ;   in Loop: Header=BB6_14192 Depth=3
	s_or_b32 exec_lo, exec_lo, s76
	v_add_nc_u32_e32 v3, 0xffffff81, v43
	v_lshrrev_b32_e32 v5, 23, v2
	s_mov_b32 s13, exec_lo
	s_delay_alu instid0(VALU_DEP_2) | instskip(NEXT) | instid1(VALU_DEP_1)
	v_cndmask_b32_e64 v3, v3, 0xffffff82, vcc_lo
	v_add3_u32 v43, v45, v3, v5
	v_and_b32_e32 v3, 0x1fffff, v4
                                        ; implicit-def: $vgpr4
	s_delay_alu instid0(VALU_DEP_1) | instskip(SKIP_1) | instid1(VALU_DEP_2)
	v_dual_add_nc_u32 v5, 14, v43 :: v_dual_add_nc_u32 v2, v3, v2
	v_mov_b32_e32 v3, v113
	v_cmpx_ne_u32_e32 0, v5
	s_xor_b32 s13, exec_lo, s13
; %bb.16666:                            ;   in Loop: Header=BB6_14192 Depth=3
	s_delay_alu instid0(VALU_DEP_2) | instskip(SKIP_1) | instid1(VALU_DEP_1)
	v_cmp_lt_u64_e32 vcc_lo, 0xffffff, v[2:3]
	v_add_nc_u32_e32 v4, 15, v43
	v_cndmask_b32_e32 v4, v5, v4, vcc_lo
	v_cndmask_b32_e64 v5, 0, 1, vcc_lo
	s_delay_alu instid0(VALU_DEP_1)
	v_lshrrev_b64 v[2:3], v5, v[2:3]
; %bb.16667:                            ;   in Loop: Header=BB6_14192 Depth=3
	s_and_not1_saveexec_b32 s13, s13
; %bb.16668:                            ;   in Loop: Header=BB6_14192 Depth=3
	s_delay_alu instid0(VALU_DEP_1)
	v_bfe_u32 v4, v2, 23, 1
; %bb.16669:                            ;   in Loop: Header=BB6_14192 Depth=3
	s_or_b32 exec_lo, exec_lo, s13
	s_delay_alu instid0(VALU_DEP_2) | instskip(NEXT) | instid1(VALU_DEP_2)
	v_lshrrev_b64 v[2:3], 21, v[2:3]
	v_cmp_gt_i32_e32 vcc_lo, 32, v4
	v_min_i32_e32 v5, 31, v4
	v_cmp_eq_u32_e64 s13, 0, v4
	s_delay_alu instid0(VALU_DEP_2) | instskip(SKIP_1) | instid1(VALU_DEP_2)
	v_dual_cndmask_b32 v3, 0, v3, vcc_lo :: v_dual_lshlrev_b32 v5, 2, v5
	v_cndmask_b32_e32 v2, 3, v2, vcc_lo
	v_and_b32_e32 v5, 0xfc, v5
	s_delay_alu instid0(VALU_DEP_2) | instskip(NEXT) | instid1(VALU_DEP_2)
	v_cmp_eq_u64_e32 vcc_lo, 0, v[2:3]
	v_and_or_b32 v2, v2, 3, v5
	s_and_b32 s13, s13, vcc_lo
	s_delay_alu instid0(VALU_DEP_1) | instid1(SALU_CYCLE_1)
	v_cndmask_b32_e64 v2, v2, 0, s13
	s_delay_alu instid0(VALU_DEP_1)
	v_or_b32_e32 v43, v2, v1
.LBB6_16670:                            ;   in Loop: Header=BB6_14192 Depth=3
	s_or_b32 exec_lo, exec_lo, s75
                                        ; implicit-def: $vgpr1
.LBB6_16671:                            ;   in Loop: Header=BB6_14192 Depth=3
	s_and_not1_saveexec_b32 s13, s74
; %bb.16672:                            ;   in Loop: Header=BB6_14192 Depth=3
	v_or_b32_e32 v43, 0x7b, v1
; %bb.16673:                            ;   in Loop: Header=BB6_14192 Depth=3
	s_or_b32 exec_lo, exec_lo, s13
                                        ; implicit-def: $vgpr4
                                        ; implicit-def: $vgpr2_vgpr3
                                        ; implicit-def: $vgpr1
.LBB6_16674:                            ;   in Loop: Header=BB6_14192 Depth=3
	s_and_not1_saveexec_b32 s13, s73
	s_cbranch_execz .LBB6_16680
; %bb.16675:                            ;   in Loop: Header=BB6_14192 Depth=3
	s_mov_b32 s73, exec_lo
                                        ; implicit-def: $vgpr43
	v_cmpx_ne_u64_e32 0, v[2:3]
	s_xor_b32 s73, exec_lo, s73
; %bb.16676:                            ;   in Loop: Header=BB6_14192 Depth=3
	v_or_b32_e32 v43, 0x7f, v1
                                        ; implicit-def: $vgpr4
; %bb.16677:                            ;   in Loop: Header=BB6_14192 Depth=3
	s_and_not1_saveexec_b32 s73, s73
; %bb.16678:                            ;   in Loop: Header=BB6_14192 Depth=3
	v_cmp_lt_i32_e32 vcc_lo, -1, v4
	v_mov_b32_e32 v1, 0x7c
	s_delay_alu instid0(VALU_DEP_1)
	v_cndmask_b32_e32 v43, 0xfc, v1, vcc_lo
; %bb.16679:                            ;   in Loop: Header=BB6_14192 Depth=3
	s_or_b32 exec_lo, exec_lo, s73
.LBB6_16680:                            ;   in Loop: Header=BB6_14192 Depth=3
	s_delay_alu instid0(SALU_CYCLE_1) | instskip(SKIP_3) | instid1(VALU_DEP_2)
	s_or_b32 exec_lo, exec_lo, s13
	v_dual_mov_b32 v1, 0 :: v_dual_lshrrev_b32 v2, 16, v0
	v_mov_b32_e32 v3, 0
	s_mov_b32 s73, exec_lo
	v_and_b32_e32 v4, 0xff, v2
	s_delay_alu instid0(VALU_DEP_1)
	v_cmpx_ne_u16_e32 0, v4
	s_cbranch_execz .LBB6_16690
; %bb.16681:                            ;   in Loop: Header=BB6_14192 Depth=3
	v_bfrev_b32_e32 v3, 1
	s_mov_b32 s74, exec_lo
	v_cmpx_ne_u16_e32 0x80, v4
	s_cbranch_execz .LBB6_16689
; %bb.16682:                            ;   in Loop: Header=BB6_14192 Depth=3
	v_and_b32_e32 v3, 0x7c0000, v0
	v_bfe_u32 v4, v0, 16, 2
	s_delay_alu instid0(VALU_DEP_2) | instskip(SKIP_1) | instid1(SALU_CYCLE_1)
	v_cmp_ne_u32_e32 vcc_lo, 0x7c0000, v3
                                        ; implicit-def: $vgpr3
	s_and_saveexec_b32 s13, vcc_lo
	s_xor_b32 s13, exec_lo, s13
	s_cbranch_execz .LBB6_16686
; %bb.16683:                            ;   in Loop: Header=BB6_14192 Depth=3
	v_bfe_u32 v3, v0, 18, 5
	s_mov_b32 s75, exec_lo
	s_delay_alu instid0(VALU_DEP_1)
	v_cmpx_eq_u32_e32 0, v3
; %bb.16684:                            ;   in Loop: Header=BB6_14192 Depth=3
	v_clz_i32_u32_e32 v3, v4
	s_delay_alu instid0(VALU_DEP_1) | instskip(NEXT) | instid1(VALU_DEP_1)
	v_min_u32_e32 v3, 32, v3
	v_subrev_nc_u32_e32 v4, 29, v3
	s_delay_alu instid0(VALU_DEP_1) | instskip(NEXT) | instid1(VALU_DEP_1)
	v_lshlrev_b64_e32 v[4:5], v4, v[2:3]
	v_dual_sub_nc_u32 v3, 30, v3 :: v_dual_bitop2_b32 v4, 3, v4 bitop3:0x40
; %bb.16685:                            ;   in Loop: Header=BB6_14192 Depth=3
	s_or_b32 exec_lo, exec_lo, s75
	v_lshlrev_b32_e32 v2, 24, v2
	s_delay_alu instid0(VALU_DEP_1) | instskip(NEXT) | instid1(VALU_DEP_1)
	v_and_b32_e32 v2, 0x80000000, v2
	v_lshl_add_u32 v2, v3, 23, v2
	s_delay_alu instid0(VALU_DEP_1) | instskip(NEXT) | instid1(VALU_DEP_1)
	v_lshl_or_b32 v2, v4, 21, v2
                                        ; implicit-def: $vgpr4
	v_add_nc_u32_e32 v3, 0x38000000, v2
                                        ; implicit-def: $vgpr2
.LBB6_16686:                            ;   in Loop: Header=BB6_14192 Depth=3
	s_and_not1_saveexec_b32 s75, s13
; %bb.16687:                            ;   in Loop: Header=BB6_14192 Depth=3
	v_bfe_i32 v2, v2, 0, 8
	v_cmp_eq_u32_e32 vcc_lo, 0, v4
	s_delay_alu instid0(VALU_DEP_2) | instskip(SKIP_1) | instid1(VALU_DEP_1)
	v_cmp_lt_i16_e64 s13, -1, v2
	v_mov_b32_e32 v2, 0x7f800000
	v_cndmask_b32_e64 v2, 0xff800000, v2, s13
	s_delay_alu instid0(VALU_DEP_1)
	v_cndmask_b32_e32 v3, 0x7f800001, v2, vcc_lo
; %bb.16688:                            ;   in Loop: Header=BB6_14192 Depth=3
	s_or_b32 exec_lo, exec_lo, s75
.LBB6_16689:                            ;   in Loop: Header=BB6_14192 Depth=3
	s_delay_alu instid0(SALU_CYCLE_1)
	s_or_b32 exec_lo, exec_lo, s74
.LBB6_16690:                            ;   in Loop: Header=BB6_14192 Depth=3
	s_delay_alu instid0(SALU_CYCLE_1) | instskip(SKIP_2) | instid1(VALU_DEP_1)
	s_or_b32 exec_lo, exec_lo, s73
	v_lshrrev_b32_e32 v2, 16, v23
	s_mov_b32 s73, exec_lo
	v_and_b32_e32 v4, 0xff, v2
	s_delay_alu instid0(VALU_DEP_1)
	v_cmpx_ne_u16_e32 0, v4
	s_cbranch_execz .LBB6_16700
; %bb.16691:                            ;   in Loop: Header=BB6_14192 Depth=3
	v_bfrev_b32_e32 v1, 1
	s_mov_b32 s74, exec_lo
	v_cmpx_ne_u16_e32 0x80, v4
	s_cbranch_execz .LBB6_16699
; %bb.16692:                            ;   in Loop: Header=BB6_14192 Depth=3
	v_and_b32_e32 v1, 0x7c0000, v23
	v_bfe_u32 v4, v23, 16, 2
	s_delay_alu instid0(VALU_DEP_2) | instskip(SKIP_1) | instid1(SALU_CYCLE_1)
	v_cmp_ne_u32_e32 vcc_lo, 0x7c0000, v1
                                        ; implicit-def: $vgpr1
	s_and_saveexec_b32 s13, vcc_lo
	s_xor_b32 s13, exec_lo, s13
	s_cbranch_execz .LBB6_16696
; %bb.16693:                            ;   in Loop: Header=BB6_14192 Depth=3
	v_bfe_u32 v1, v23, 18, 5
	s_mov_b32 s75, exec_lo
	s_delay_alu instid0(VALU_DEP_1)
	v_cmpx_eq_u32_e32 0, v1
; %bb.16694:                            ;   in Loop: Header=BB6_14192 Depth=3
	v_clz_i32_u32_e32 v1, v4
	s_delay_alu instid0(VALU_DEP_1) | instskip(NEXT) | instid1(VALU_DEP_1)
	v_min_u32_e32 v1, 32, v1
	v_subrev_nc_u32_e32 v4, 29, v1
	s_delay_alu instid0(VALU_DEP_1) | instskip(NEXT) | instid1(VALU_DEP_1)
	v_lshlrev_b64_e32 v[4:5], v4, v[2:3]
	v_dual_sub_nc_u32 v1, 30, v1 :: v_dual_bitop2_b32 v4, 3, v4 bitop3:0x40
; %bb.16695:                            ;   in Loop: Header=BB6_14192 Depth=3
	s_or_b32 exec_lo, exec_lo, s75
	v_lshlrev_b32_e32 v2, 24, v2
	s_delay_alu instid0(VALU_DEP_1) | instskip(NEXT) | instid1(VALU_DEP_1)
	v_and_b32_e32 v2, 0x80000000, v2
	v_lshl_add_u32 v1, v1, 23, v2
                                        ; implicit-def: $vgpr2
	s_delay_alu instid0(VALU_DEP_1) | instskip(NEXT) | instid1(VALU_DEP_1)
	v_lshl_or_b32 v1, v4, 21, v1
                                        ; implicit-def: $vgpr4
	v_add_nc_u32_e32 v1, 0x38000000, v1
.LBB6_16696:                            ;   in Loop: Header=BB6_14192 Depth=3
	s_and_not1_saveexec_b32 s75, s13
; %bb.16697:                            ;   in Loop: Header=BB6_14192 Depth=3
	v_bfe_i32 v1, v2, 0, 8
	v_cmp_eq_u32_e32 vcc_lo, 0, v4
	s_delay_alu instid0(VALU_DEP_2) | instskip(SKIP_1) | instid1(VALU_DEP_1)
	v_cmp_lt_i16_e64 s13, -1, v1
	v_mov_b32_e32 v1, 0x7f800000
	v_cndmask_b32_e64 v1, 0xff800000, v1, s13
	s_delay_alu instid0(VALU_DEP_1)
	v_cndmask_b32_e32 v1, 0x7f800001, v1, vcc_lo
; %bb.16698:                            ;   in Loop: Header=BB6_14192 Depth=3
	s_or_b32 exec_lo, exec_lo, s75
.LBB6_16699:                            ;   in Loop: Header=BB6_14192 Depth=3
	s_delay_alu instid0(SALU_CYCLE_1)
	s_or_b32 exec_lo, exec_lo, s74
.LBB6_16700:                            ;   in Loop: Header=BB6_14192 Depth=3
	s_delay_alu instid0(SALU_CYCLE_1) | instskip(NEXT) | instid1(VALU_DEP_1)
	s_or_b32 exec_lo, exec_lo, s73
	v_dual_add_f32 v4, v3, v1 :: v_dual_mov_b32 v47, v113
	v_mov_b32_e32 v3, v113
                                        ; implicit-def: $vgpr45
	s_mov_b32 s13, exec_lo
	s_delay_alu instid0(VALU_DEP_2) | instskip(SKIP_2) | instid1(VALU_DEP_3)
	v_and_b32_e32 v46, 0x7f800000, v4
	v_and_b32_e32 v2, 0x7fffff, v4
	v_lshrrev_b32_e32 v1, 24, v4
	v_cmpx_ne_u64_e32 0x7f800000, v[46:47]
	s_xor_b32 s73, exec_lo, s13
	s_cbranch_execz .LBB6_16714
; %bb.16701:                            ;   in Loop: Header=BB6_14192 Depth=3
	v_and_b32_e32 v46, 0x7fffffff, v4
	v_mov_b32_e32 v47, v113
	v_and_b32_e32 v1, 0x80, v1
                                        ; implicit-def: $vgpr45
	s_mov_b32 s13, exec_lo
	s_delay_alu instid0(VALU_DEP_2)
	v_cmpx_gt_u64_e32 0x47600001, v[46:47]
	s_xor_b32 s74, exec_lo, s13
	s_cbranch_execz .LBB6_16711
; %bb.16702:                            ;   in Loop: Header=BB6_14192 Depth=3
	v_mov_b32_e32 v45, 0
	s_mov_b32 s75, exec_lo
	v_cmpx_ne_u32_e32 0, v4
	s_cbranch_execz .LBB6_16710
; %bb.16703:                            ;   in Loop: Header=BB6_14192 Depth=3
	v_bfe_u32 v45, v4, 23, 8
	v_or_b32_e32 v5, 0x800000, v2
	s_delay_alu instid0(VALU_DEP_2) | instskip(SKIP_2) | instid1(VALU_DEP_2)
	v_cmp_gt_u32_e64 s13, 0x72, v45
	v_sub_nc_u32_e32 v4, 0x71, v45
	v_cmp_eq_u32_e32 vcc_lo, 0, v45
	v_dual_cndmask_b32 v4, 0, v4, s13 :: v_dual_cndmask_b32 v2, v5, v2, vcc_lo
	s_delay_alu instid0(VALU_DEP_1) | instskip(NEXT) | instid1(VALU_DEP_1)
	v_cndmask_b32_e64 v46, v4, 0x70, vcc_lo
	v_dual_add_nc_u32 v4, 21, v46 :: v_dual_add_nc_u32 v47, 20, v46
	s_delay_alu instid0(VALU_DEP_1) | instskip(NEXT) | instid1(VALU_DEP_2)
	v_lshlrev_b64_e64 v[4:5], v4, -1
	v_lshlrev_b64_e64 v[56:57], v47, 1
	s_delay_alu instid0(VALU_DEP_2) | instskip(SKIP_1) | instid1(VALU_DEP_4)
	v_bfi_b32 v4, v4, 0, v2
	v_lshrrev_b64 v[2:3], v46, v[2:3]
	v_bfi_b32 v5, v5, 0, 0
	s_delay_alu instid0(VALU_DEP_1) | instskip(NEXT) | instid1(VALU_DEP_3)
	v_cmp_eq_u64_e64 s13, v[4:5], v[56:57]
	v_mov_b64_e32 v[4:5], v[2:3]
	s_and_saveexec_b32 s76, s13
; %bb.16704:                            ;   in Loop: Header=BB6_14192 Depth=3
	v_bfe_u32 v4, v2, 21, 1
	v_mov_b32_e32 v5, v113
	s_delay_alu instid0(VALU_DEP_1) | instskip(NEXT) | instid1(VALU_DEP_1)
	v_add_nc_u64_e32 v[4:5], v[2:3], v[4:5]
	v_add_nc_u64_e32 v[4:5], -1, v[4:5]
; %bb.16705:                            ;   in Loop: Header=BB6_14192 Depth=3
	s_or_b32 exec_lo, exec_lo, s76
	v_add_nc_u32_e32 v3, 0xffffff81, v45
	v_lshrrev_b32_e32 v5, 23, v2
	s_mov_b32 s13, exec_lo
	s_delay_alu instid0(VALU_DEP_2) | instskip(NEXT) | instid1(VALU_DEP_1)
	v_cndmask_b32_e64 v3, v3, 0xffffff82, vcc_lo
	v_add3_u32 v45, v46, v3, v5
	v_and_b32_e32 v3, 0x1fffff, v4
                                        ; implicit-def: $vgpr4
	s_delay_alu instid0(VALU_DEP_1) | instskip(SKIP_1) | instid1(VALU_DEP_2)
	v_dual_add_nc_u32 v5, 14, v45 :: v_dual_add_nc_u32 v2, v3, v2
	v_mov_b32_e32 v3, v113
	v_cmpx_ne_u32_e32 0, v5
	s_xor_b32 s13, exec_lo, s13
; %bb.16706:                            ;   in Loop: Header=BB6_14192 Depth=3
	s_delay_alu instid0(VALU_DEP_2) | instskip(SKIP_1) | instid1(VALU_DEP_1)
	v_cmp_lt_u64_e32 vcc_lo, 0xffffff, v[2:3]
	v_add_nc_u32_e32 v4, 15, v45
	v_cndmask_b32_e32 v4, v5, v4, vcc_lo
	v_cndmask_b32_e64 v5, 0, 1, vcc_lo
	s_delay_alu instid0(VALU_DEP_1)
	v_lshrrev_b64 v[2:3], v5, v[2:3]
; %bb.16707:                            ;   in Loop: Header=BB6_14192 Depth=3
	s_and_not1_saveexec_b32 s13, s13
; %bb.16708:                            ;   in Loop: Header=BB6_14192 Depth=3
	s_delay_alu instid0(VALU_DEP_1)
	v_bfe_u32 v4, v2, 23, 1
; %bb.16709:                            ;   in Loop: Header=BB6_14192 Depth=3
	s_or_b32 exec_lo, exec_lo, s13
	s_delay_alu instid0(VALU_DEP_2) | instskip(NEXT) | instid1(VALU_DEP_2)
	v_lshrrev_b64 v[2:3], 21, v[2:3]
	v_cmp_gt_i32_e32 vcc_lo, 32, v4
	v_min_i32_e32 v5, 31, v4
	v_cmp_eq_u32_e64 s13, 0, v4
	s_delay_alu instid0(VALU_DEP_2) | instskip(SKIP_1) | instid1(VALU_DEP_2)
	v_dual_cndmask_b32 v3, 0, v3, vcc_lo :: v_dual_lshlrev_b32 v5, 2, v5
	v_cndmask_b32_e32 v2, 3, v2, vcc_lo
	v_and_b32_e32 v5, 0xfc, v5
	s_delay_alu instid0(VALU_DEP_2) | instskip(NEXT) | instid1(VALU_DEP_2)
	v_cmp_eq_u64_e32 vcc_lo, 0, v[2:3]
	v_and_or_b32 v2, v2, 3, v5
	s_and_b32 s13, s13, vcc_lo
	s_delay_alu instid0(VALU_DEP_1) | instid1(SALU_CYCLE_1)
	v_cndmask_b32_e64 v2, v2, 0, s13
	s_delay_alu instid0(VALU_DEP_1)
	v_or_b32_e32 v45, v2, v1
.LBB6_16710:                            ;   in Loop: Header=BB6_14192 Depth=3
	s_or_b32 exec_lo, exec_lo, s75
                                        ; implicit-def: $vgpr1
.LBB6_16711:                            ;   in Loop: Header=BB6_14192 Depth=3
	s_and_not1_saveexec_b32 s13, s74
; %bb.16712:                            ;   in Loop: Header=BB6_14192 Depth=3
	v_or_b32_e32 v45, 0x7b, v1
; %bb.16713:                            ;   in Loop: Header=BB6_14192 Depth=3
	s_or_b32 exec_lo, exec_lo, s13
                                        ; implicit-def: $vgpr4
                                        ; implicit-def: $vgpr2_vgpr3
                                        ; implicit-def: $vgpr1
.LBB6_16714:                            ;   in Loop: Header=BB6_14192 Depth=3
	s_and_not1_saveexec_b32 s13, s73
	s_cbranch_execz .LBB6_16720
; %bb.16715:                            ;   in Loop: Header=BB6_14192 Depth=3
	s_mov_b32 s73, exec_lo
                                        ; implicit-def: $vgpr45
	v_cmpx_ne_u64_e32 0, v[2:3]
	s_xor_b32 s73, exec_lo, s73
; %bb.16716:                            ;   in Loop: Header=BB6_14192 Depth=3
	v_or_b32_e32 v45, 0x7f, v1
                                        ; implicit-def: $vgpr4
; %bb.16717:                            ;   in Loop: Header=BB6_14192 Depth=3
	s_and_not1_saveexec_b32 s73, s73
; %bb.16718:                            ;   in Loop: Header=BB6_14192 Depth=3
	v_cmp_lt_i32_e32 vcc_lo, -1, v4
	v_mov_b32_e32 v1, 0x7c
	s_delay_alu instid0(VALU_DEP_1)
	v_cndmask_b32_e32 v45, 0xfc, v1, vcc_lo
; %bb.16719:                            ;   in Loop: Header=BB6_14192 Depth=3
	s_or_b32 exec_lo, exec_lo, s73
.LBB6_16720:                            ;   in Loop: Header=BB6_14192 Depth=3
	s_delay_alu instid0(SALU_CYCLE_1)
	s_or_b32 exec_lo, exec_lo, s13
	v_dual_mov_b32 v3, 0 :: v_dual_mov_b32 v4, 0
	s_mov_b32 s73, exec_lo
	v_cmpx_lt_u32_e32 0xffffff, v0
	s_cbranch_execz .LBB6_16730
; %bb.16721:                            ;   in Loop: Header=BB6_14192 Depth=3
	v_lshrrev_b32_e32 v2, 24, v0
	v_bfrev_b32_e32 v4, 1
	s_mov_b32 s74, exec_lo
	s_delay_alu instid0(VALU_DEP_2)
	v_cmpx_ne_u32_e32 0x80, v2
	s_cbranch_execz .LBB6_16729
; %bb.16722:                            ;   in Loop: Header=BB6_14192 Depth=3
	v_and_b32_e32 v1, 0x7c000000, v0
	v_bfe_u32 v5, v0, 24, 2
	s_mov_b32 s13, exec_lo
                                        ; implicit-def: $vgpr4
	s_delay_alu instid0(VALU_DEP_2)
	v_cmpx_ne_u32_e32 0x7c000000, v1
	s_xor_b32 s13, exec_lo, s13
	s_cbranch_execz .LBB6_16726
; %bb.16723:                            ;   in Loop: Header=BB6_14192 Depth=3
	v_bfe_u32 v1, v0, 26, 5
	s_mov_b32 s75, exec_lo
	s_delay_alu instid0(VALU_DEP_1)
	v_cmpx_eq_u32_e32 0, v1
; %bb.16724:                            ;   in Loop: Header=BB6_14192 Depth=3
	v_clz_i32_u32_e32 v1, v5
	s_delay_alu instid0(VALU_DEP_1) | instskip(NEXT) | instid1(VALU_DEP_1)
	v_min_u32_e32 v1, 32, v1
	v_subrev_nc_u32_e32 v4, 29, v1
	s_delay_alu instid0(VALU_DEP_1) | instskip(NEXT) | instid1(VALU_DEP_1)
	v_lshlrev_b64_e32 v[4:5], v4, v[2:3]
	v_dual_sub_nc_u32 v1, 30, v1 :: v_dual_bitop2_b32 v5, 3, v4 bitop3:0x40
; %bb.16725:                            ;   in Loop: Header=BB6_14192 Depth=3
	s_or_b32 exec_lo, exec_lo, s75
	v_and_b32_e32 v0, 0x80000000, v0
	s_delay_alu instid0(VALU_DEP_1) | instskip(NEXT) | instid1(VALU_DEP_1)
	v_lshl_add_u32 v0, v1, 23, v0
	v_lshl_or_b32 v0, v5, 21, v0
                                        ; implicit-def: $vgpr5
	s_delay_alu instid0(VALU_DEP_1)
	v_add_nc_u32_e32 v4, 0x38000000, v0
                                        ; implicit-def: $vgpr0_vgpr1
.LBB6_16726:                            ;   in Loop: Header=BB6_14192 Depth=3
	s_and_not1_saveexec_b32 s75, s13
; %bb.16727:                            ;   in Loop: Header=BB6_14192 Depth=3
	v_cmp_lt_i32_e64 s13, -1, v0
	v_mov_b32_e32 v0, 0x7f800000
	v_cmp_eq_u32_e32 vcc_lo, 0, v5
	s_delay_alu instid0(VALU_DEP_2) | instskip(NEXT) | instid1(VALU_DEP_1)
	v_cndmask_b32_e64 v0, 0xff800000, v0, s13
	v_cndmask_b32_e32 v4, 0x7f800001, v0, vcc_lo
; %bb.16728:                            ;   in Loop: Header=BB6_14192 Depth=3
	s_or_b32 exec_lo, exec_lo, s75
.LBB6_16729:                            ;   in Loop: Header=BB6_14192 Depth=3
	s_delay_alu instid0(SALU_CYCLE_1)
	s_or_b32 exec_lo, exec_lo, s74
.LBB6_16730:                            ;   in Loop: Header=BB6_14192 Depth=3
	s_delay_alu instid0(SALU_CYCLE_1) | instskip(NEXT) | instid1(SALU_CYCLE_1)
	s_or_b32 exec_lo, exec_lo, s73
	s_mov_b32 s73, exec_lo
	v_cmpx_lt_u64_e64 s[22:23], v[22:23]
	s_cbranch_execz .LBB6_16740
; %bb.16731:                            ;   in Loop: Header=BB6_14192 Depth=3
	v_lshrrev_b32_e32 v0, 24, v23
	v_bfrev_b32_e32 v3, 1
	s_mov_b32 s74, exec_lo
	s_delay_alu instid0(VALU_DEP_2)
	v_cmpx_ne_u32_e32 0x80, v0
	s_cbranch_execz .LBB6_16739
; %bb.16732:                            ;   in Loop: Header=BB6_14192 Depth=3
	v_and_b32_e32 v2, 0x7c000000, v23
	v_bfe_u32 v1, v23, 24, 2
	s_mov_b32 s13, exec_lo
                                        ; implicit-def: $vgpr3
	s_delay_alu instid0(VALU_DEP_2)
	v_cmpx_ne_u32_e32 0x7c000000, v2
	s_xor_b32 s13, exec_lo, s13
	s_cbranch_execz .LBB6_16736
; %bb.16733:                            ;   in Loop: Header=BB6_14192 Depth=3
	v_bfe_u32 v2, v23, 26, 5
	s_mov_b32 s75, exec_lo
	s_delay_alu instid0(VALU_DEP_1)
	v_cmpx_eq_u32_e32 0, v2
; %bb.16734:                            ;   in Loop: Header=BB6_14192 Depth=3
	v_clz_i32_u32_e32 v1, v1
	s_delay_alu instid0(VALU_DEP_1) | instskip(NEXT) | instid1(VALU_DEP_1)
	v_min_u32_e32 v2, 32, v1
	v_subrev_nc_u32_e32 v1, 29, v2
	s_delay_alu instid0(VALU_DEP_1) | instskip(NEXT) | instid1(VALU_DEP_1)
	v_lshlrev_b64_e32 v[0:1], v1, v[0:1]
	v_dual_sub_nc_u32 v2, 30, v2 :: v_dual_bitop2_b32 v1, 3, v0 bitop3:0x40
; %bb.16735:                            ;   in Loop: Header=BB6_14192 Depth=3
	s_or_b32 exec_lo, exec_lo, s75
	v_and_b32_e32 v0, 0x80000000, v23
                                        ; implicit-def: $vgpr22_vgpr23
	s_delay_alu instid0(VALU_DEP_1) | instskip(NEXT) | instid1(VALU_DEP_1)
	v_lshl_add_u32 v0, v2, 23, v0
	v_lshl_or_b32 v0, v1, 21, v0
                                        ; implicit-def: $vgpr1
	s_delay_alu instid0(VALU_DEP_1)
	v_add_nc_u32_e32 v3, 0x38000000, v0
.LBB6_16736:                            ;   in Loop: Header=BB6_14192 Depth=3
	s_and_not1_saveexec_b32 s75, s13
; %bb.16737:                            ;   in Loop: Header=BB6_14192 Depth=3
	v_cmp_lt_i64_e64 s13, -1, v[22:23]
	v_mov_b32_e32 v0, 0x7f800000
	v_cmp_eq_u32_e32 vcc_lo, 0, v1
	s_delay_alu instid0(VALU_DEP_2) | instskip(NEXT) | instid1(VALU_DEP_1)
	v_cndmask_b32_e64 v0, 0xff800000, v0, s13
	v_cndmask_b32_e32 v3, 0x7f800001, v0, vcc_lo
; %bb.16738:                            ;   in Loop: Header=BB6_14192 Depth=3
	s_or_b32 exec_lo, exec_lo, s75
.LBB6_16739:                            ;   in Loop: Header=BB6_14192 Depth=3
	s_delay_alu instid0(SALU_CYCLE_1)
	s_or_b32 exec_lo, exec_lo, s74
.LBB6_16740:                            ;   in Loop: Header=BB6_14192 Depth=3
	s_delay_alu instid0(SALU_CYCLE_1) | instskip(NEXT) | instid1(VALU_DEP_1)
	s_or_b32 exec_lo, exec_lo, s73
	v_dual_add_f32 v2, v4, v3 :: v_dual_mov_b32 v5, v113
	v_mov_b32_e32 v1, v113
                                        ; implicit-def: $vgpr22
	s_mov_b32 s13, exec_lo
	s_delay_alu instid0(VALU_DEP_2) | instskip(SKIP_2) | instid1(VALU_DEP_3)
	v_and_b32_e32 v4, 0x7f800000, v2
	v_and_b32_e32 v0, 0x7fffff, v2
	v_lshrrev_b32_e32 v3, 24, v2
	v_cmpx_ne_u64_e32 0x7f800000, v[4:5]
	s_xor_b32 s73, exec_lo, s13
	s_cbranch_execz .LBB6_16754
; %bb.16741:                            ;   in Loop: Header=BB6_14192 Depth=3
	v_and_b32_e32 v4, 0x7fffffff, v2
	v_mov_b32_e32 v5, v113
                                        ; implicit-def: $vgpr22
	s_delay_alu instid0(VALU_DEP_1) | instskip(SKIP_2) | instid1(SALU_CYCLE_1)
	v_cmp_gt_u64_e32 vcc_lo, 0x47600001, v[4:5]
	v_and_b32_e32 v4, 0x80, v3
	s_and_saveexec_b32 s13, vcc_lo
	s_xor_b32 s74, exec_lo, s13
	s_cbranch_execz .LBB6_16751
; %bb.16742:                            ;   in Loop: Header=BB6_14192 Depth=3
	v_mov_b32_e32 v22, 0
	s_mov_b32 s75, exec_lo
	v_cmpx_ne_u32_e32 0, v2
	s_cbranch_execz .LBB6_16750
; %bb.16743:                            ;   in Loop: Header=BB6_14192 Depth=3
	v_bfe_u32 v5, v2, 23, 8
	v_or_b32_e32 v3, 0x800000, v0
	s_delay_alu instid0(VALU_DEP_2) | instskip(SKIP_2) | instid1(VALU_DEP_2)
	v_cmp_gt_u32_e64 s13, 0x72, v5
	v_sub_nc_u32_e32 v2, 0x71, v5
	v_cmp_eq_u32_e32 vcc_lo, 0, v5
	v_dual_cndmask_b32 v2, 0, v2, s13 :: v_dual_cndmask_b32 v0, v3, v0, vcc_lo
	s_delay_alu instid0(VALU_DEP_1) | instskip(NEXT) | instid1(VALU_DEP_1)
	v_cndmask_b32_e64 v22, v2, 0x70, vcc_lo
	v_dual_add_nc_u32 v2, 21, v22 :: v_dual_add_nc_u32 v23, 20, v22
	s_delay_alu instid0(VALU_DEP_1) | instskip(NEXT) | instid1(VALU_DEP_2)
	v_lshlrev_b64_e64 v[2:3], v2, -1
	v_lshlrev_b64_e64 v[46:47], v23, 1
	s_delay_alu instid0(VALU_DEP_2) | instskip(SKIP_1) | instid1(VALU_DEP_4)
	v_bfi_b32 v2, v2, 0, v0
	v_lshrrev_b64 v[0:1], v22, v[0:1]
	v_bfi_b32 v3, v3, 0, 0
	s_delay_alu instid0(VALU_DEP_1) | instskip(NEXT) | instid1(VALU_DEP_3)
	v_cmp_eq_u64_e64 s13, v[2:3], v[46:47]
	v_mov_b64_e32 v[2:3], v[0:1]
	s_and_saveexec_b32 s76, s13
; %bb.16744:                            ;   in Loop: Header=BB6_14192 Depth=3
	v_bfe_u32 v2, v0, 21, 1
	v_mov_b32_e32 v3, v113
	s_delay_alu instid0(VALU_DEP_1) | instskip(NEXT) | instid1(VALU_DEP_1)
	v_add_nc_u64_e32 v[2:3], v[0:1], v[2:3]
	v_add_nc_u64_e32 v[2:3], -1, v[2:3]
; %bb.16745:                            ;   in Loop: Header=BB6_14192 Depth=3
	s_or_b32 exec_lo, exec_lo, s76
	v_add_nc_u32_e32 v1, 0xffffff81, v5
	v_lshrrev_b32_e32 v3, 23, v0
	s_mov_b32 s13, exec_lo
	s_delay_alu instid0(VALU_DEP_2) | instskip(NEXT) | instid1(VALU_DEP_1)
	v_cndmask_b32_e64 v1, v1, 0xffffff82, vcc_lo
	v_add3_u32 v5, v22, v1, v3
	v_and_b32_e32 v1, 0x1fffff, v2
                                        ; implicit-def: $vgpr2
	s_delay_alu instid0(VALU_DEP_1) | instskip(SKIP_1) | instid1(VALU_DEP_2)
	v_dual_add_nc_u32 v3, 14, v5 :: v_dual_add_nc_u32 v0, v1, v0
	v_mov_b32_e32 v1, v113
	v_cmpx_ne_u32_e32 0, v3
	s_xor_b32 s13, exec_lo, s13
; %bb.16746:                            ;   in Loop: Header=BB6_14192 Depth=3
	s_delay_alu instid0(VALU_DEP_2) | instskip(SKIP_1) | instid1(VALU_DEP_1)
	v_cmp_lt_u64_e32 vcc_lo, 0xffffff, v[0:1]
	v_add_nc_u32_e32 v2, 15, v5
	v_cndmask_b32_e32 v2, v3, v2, vcc_lo
	v_cndmask_b32_e64 v3, 0, 1, vcc_lo
	s_delay_alu instid0(VALU_DEP_1)
	v_lshrrev_b64 v[0:1], v3, v[0:1]
; %bb.16747:                            ;   in Loop: Header=BB6_14192 Depth=3
	s_and_not1_saveexec_b32 s13, s13
; %bb.16748:                            ;   in Loop: Header=BB6_14192 Depth=3
	s_delay_alu instid0(VALU_DEP_1)
	v_bfe_u32 v2, v0, 23, 1
; %bb.16749:                            ;   in Loop: Header=BB6_14192 Depth=3
	s_or_b32 exec_lo, exec_lo, s13
	s_delay_alu instid0(VALU_DEP_2) | instskip(NEXT) | instid1(VALU_DEP_2)
	v_lshrrev_b64 v[0:1], 21, v[0:1]
	v_cmp_gt_i32_e32 vcc_lo, 32, v2
	v_min_i32_e32 v3, 31, v2
	v_cmp_eq_u32_e64 s13, 0, v2
	s_delay_alu instid0(VALU_DEP_2) | instskip(SKIP_1) | instid1(VALU_DEP_2)
	v_dual_cndmask_b32 v1, 0, v1, vcc_lo :: v_dual_lshlrev_b32 v3, 2, v3
	v_cndmask_b32_e32 v0, 3, v0, vcc_lo
	v_and_b32_e32 v3, 0xfc, v3
	s_delay_alu instid0(VALU_DEP_2) | instskip(NEXT) | instid1(VALU_DEP_2)
	v_cmp_eq_u64_e32 vcc_lo, 0, v[0:1]
	v_and_or_b32 v0, v0, 3, v3
	s_and_b32 s13, s13, vcc_lo
	s_delay_alu instid0(VALU_DEP_1) | instid1(SALU_CYCLE_1)
	v_cndmask_b32_e64 v0, v0, 0, s13
	s_delay_alu instid0(VALU_DEP_1)
	v_or_b32_e32 v22, v0, v4
.LBB6_16750:                            ;   in Loop: Header=BB6_14192 Depth=3
	s_or_b32 exec_lo, exec_lo, s75
                                        ; implicit-def: $vgpr4
.LBB6_16751:                            ;   in Loop: Header=BB6_14192 Depth=3
	s_and_not1_saveexec_b32 s13, s74
; %bb.16752:                            ;   in Loop: Header=BB6_14192 Depth=3
	v_or_b32_e32 v22, 0x7b, v4
; %bb.16753:                            ;   in Loop: Header=BB6_14192 Depth=3
	s_or_b32 exec_lo, exec_lo, s13
                                        ; implicit-def: $vgpr2
                                        ; implicit-def: $vgpr0_vgpr1
                                        ; implicit-def: $vgpr3
.LBB6_16754:                            ;   in Loop: Header=BB6_14192 Depth=3
	s_and_not1_saveexec_b32 s13, s73
	s_cbranch_execz .LBB6_16760
; %bb.16755:                            ;   in Loop: Header=BB6_14192 Depth=3
	s_mov_b32 s73, exec_lo
                                        ; implicit-def: $vgpr22
	v_cmpx_ne_u64_e32 0, v[0:1]
	s_xor_b32 s73, exec_lo, s73
; %bb.16756:                            ;   in Loop: Header=BB6_14192 Depth=3
	v_or_b32_e32 v22, 0x7f, v3
                                        ; implicit-def: $vgpr2
; %bb.16757:                            ;   in Loop: Header=BB6_14192 Depth=3
	s_and_not1_saveexec_b32 s73, s73
; %bb.16758:                            ;   in Loop: Header=BB6_14192 Depth=3
	v_cmp_lt_i32_e32 vcc_lo, -1, v2
	v_mov_b32_e32 v0, 0x7c
	s_delay_alu instid0(VALU_DEP_1)
	v_cndmask_b32_e32 v22, 0xfc, v0, vcc_lo
; %bb.16759:                            ;   in Loop: Header=BB6_14192 Depth=3
	s_or_b32 exec_lo, exec_lo, s73
.LBB6_16760:                            ;   in Loop: Header=BB6_14192 Depth=3
	s_delay_alu instid0(SALU_CYCLE_1) | instskip(SKIP_4) | instid1(VALU_DEP_2)
	s_or_b32 exec_lo, exec_lo, s13
	v_lshl_or_b32 v118, v118, 8, v115
	v_dual_lshlrev_b32 v0, 16, v42 :: v_dual_lshlrev_b32 v2, 24, v44
	v_dual_mov_b32 v1, v113 :: v_dual_mov_b32 v3, 0
	s_mov_b32 s73, exec_lo
	v_or3_b32 v0, v0, v2, v118
	v_mov_b32_e32 v2, 0
	v_cmpx_ne_u32_e32 0, v115
	s_cbranch_execz .LBB6_16770
; %bb.16761:                            ;   in Loop: Header=BB6_14192 Depth=3
	v_bfrev_b32_e32 v3, 1
	s_mov_b32 s74, exec_lo
	v_cmpx_ne_u32_e32 0x80, v115
	s_cbranch_execz .LBB6_16769
; %bb.16762:                            ;   in Loop: Header=BB6_14192 Depth=3
	v_and_b32_e32 v3, 0x7c, v115
	v_and_b32_e32 v4, 3, v115
	s_delay_alu instid0(VALU_DEP_2) | instskip(SKIP_1) | instid1(SALU_CYCLE_1)
	v_cmp_ne_u32_e32 vcc_lo, 0x7c, v3
                                        ; implicit-def: $vgpr3
	s_and_saveexec_b32 s13, vcc_lo
	s_xor_b32 s13, exec_lo, s13
	s_cbranch_execz .LBB6_16766
; %bb.16763:                            ;   in Loop: Header=BB6_14192 Depth=3
	v_bfe_u32 v3, v115, 2, 5
	s_mov_b32 s75, exec_lo
	s_delay_alu instid0(VALU_DEP_1)
	v_cmpx_eq_u32_e32 0, v3
; %bb.16764:                            ;   in Loop: Header=BB6_14192 Depth=3
	v_clz_i32_u32_e32 v3, v4
	s_delay_alu instid0(VALU_DEP_1) | instskip(NEXT) | instid1(VALU_DEP_1)
	v_min_u32_e32 v3, 32, v3
	v_subrev_nc_u32_e32 v4, 29, v3
	s_delay_alu instid0(VALU_DEP_1) | instskip(NEXT) | instid1(VALU_DEP_1)
	v_lshlrev_b64_e32 v[4:5], v4, v[0:1]
	v_dual_sub_nc_u32 v3, 30, v3 :: v_dual_bitop2_b32 v4, 3, v4 bitop3:0x40
; %bb.16765:                            ;   in Loop: Header=BB6_14192 Depth=3
	s_or_b32 exec_lo, exec_lo, s75
	v_lshlrev_b32_e32 v1, 24, v115
                                        ; implicit-def: $vgpr115
	s_delay_alu instid0(VALU_DEP_1) | instskip(NEXT) | instid1(VALU_DEP_1)
	v_and_b32_e32 v1, 0x80000000, v1
	v_lshl_add_u32 v1, v3, 23, v1
	s_delay_alu instid0(VALU_DEP_1) | instskip(NEXT) | instid1(VALU_DEP_1)
	v_lshl_or_b32 v1, v4, 21, v1
                                        ; implicit-def: $vgpr4
	v_add_nc_u32_e32 v3, 0x38000000, v1
.LBB6_16766:                            ;   in Loop: Header=BB6_14192 Depth=3
	s_and_not1_saveexec_b32 s75, s13
; %bb.16767:                            ;   in Loop: Header=BB6_14192 Depth=3
	v_and_b32_e32 v1, 0x80, v115
	v_cmp_eq_u32_e32 vcc_lo, 0, v4
	s_delay_alu instid0(VALU_DEP_2) | instskip(SKIP_1) | instid1(VALU_DEP_1)
	v_cmp_eq_u32_e64 s13, 0, v1
	v_mov_b32_e32 v1, 0x7f800000
	v_cndmask_b32_e64 v1, 0xff800000, v1, s13
	s_delay_alu instid0(VALU_DEP_1)
	v_cndmask_b32_e32 v3, 0x7f800001, v1, vcc_lo
; %bb.16768:                            ;   in Loop: Header=BB6_14192 Depth=3
	s_or_b32 exec_lo, exec_lo, s75
.LBB6_16769:                            ;   in Loop: Header=BB6_14192 Depth=3
	s_delay_alu instid0(SALU_CYCLE_1)
	s_or_b32 exec_lo, exec_lo, s74
.LBB6_16770:                            ;   in Loop: Header=BB6_14192 Depth=3
	s_delay_alu instid0(SALU_CYCLE_1) | instskip(SKIP_3) | instid1(VALU_DEP_1)
	s_or_b32 exec_lo, exec_lo, s73
	s_wait_loadcnt 0x2
	v_and_b32_e32 v1, 0xff, v16
	s_mov_b32 s73, exec_lo
	v_cmpx_ne_u16_e32 0, v1
	s_cbranch_execz .LBB6_16780
; %bb.16771:                            ;   in Loop: Header=BB6_14192 Depth=3
	v_bfe_i32 v4, v16, 0, 8
	v_bfrev_b32_e32 v2, 1
	s_mov_b32 s74, exec_lo
	s_delay_alu instid0(VALU_DEP_2)
	v_cmpx_ne_u16_e32 0xff80, v4
	s_cbranch_execz .LBB6_16779
; %bb.16772:                            ;   in Loop: Header=BB6_14192 Depth=3
	v_and_b32_e32 v2, 0x7c, v16
	v_and_b32_e32 v1, 3, v16
	s_delay_alu instid0(VALU_DEP_2) | instskip(SKIP_1) | instid1(SALU_CYCLE_1)
	v_cmp_ne_u32_e32 vcc_lo, 0x7c, v2
                                        ; implicit-def: $vgpr2
	s_and_saveexec_b32 s13, vcc_lo
	s_xor_b32 s13, exec_lo, s13
	s_cbranch_execz .LBB6_16776
; %bb.16773:                            ;   in Loop: Header=BB6_14192 Depth=3
	v_bfe_u32 v2, v16, 2, 5
	s_mov_b32 s75, exec_lo
	s_delay_alu instid0(VALU_DEP_1)
	v_cmpx_eq_u32_e32 0, v2
; %bb.16774:                            ;   in Loop: Header=BB6_14192 Depth=3
	v_clz_i32_u32_e32 v1, v1
	s_delay_alu instid0(VALU_DEP_1) | instskip(NEXT) | instid1(VALU_DEP_1)
	v_min_u32_e32 v1, 32, v1
	v_subrev_nc_u32_e32 v2, 29, v1
	s_delay_alu instid0(VALU_DEP_1) | instskip(NEXT) | instid1(VALU_DEP_1)
	v_lshlrev_b64_e32 v[4:5], v2, v[16:17]
	v_dual_sub_nc_u32 v2, 30, v1 :: v_dual_bitop2_b32 v1, 3, v4 bitop3:0x40
; %bb.16775:                            ;   in Loop: Header=BB6_14192 Depth=3
	s_or_b32 exec_lo, exec_lo, s75
	v_lshlrev_b32_e32 v4, 24, v16
	s_delay_alu instid0(VALU_DEP_1) | instskip(NEXT) | instid1(VALU_DEP_1)
	v_and_b32_e32 v4, 0x80000000, v4
	v_lshl_add_u32 v2, v2, 23, v4
                                        ; implicit-def: $vgpr4
	s_delay_alu instid0(VALU_DEP_1) | instskip(NEXT) | instid1(VALU_DEP_1)
	v_lshl_or_b32 v1, v1, 21, v2
	v_add_nc_u32_e32 v2, 0x38000000, v1
                                        ; implicit-def: $vgpr1
.LBB6_16776:                            ;   in Loop: Header=BB6_14192 Depth=3
	s_and_not1_saveexec_b32 s75, s13
; %bb.16777:                            ;   in Loop: Header=BB6_14192 Depth=3
	v_cmp_eq_u32_e32 vcc_lo, 0, v1
	v_cmp_lt_i16_e64 s13, -1, v4
	v_mov_b32_e32 v1, 0x7f800000
	s_delay_alu instid0(VALU_DEP_1) | instskip(NEXT) | instid1(VALU_DEP_1)
	v_cndmask_b32_e64 v1, 0xff800000, v1, s13
	v_cndmask_b32_e32 v2, 0x7f800001, v1, vcc_lo
; %bb.16778:                            ;   in Loop: Header=BB6_14192 Depth=3
	s_or_b32 exec_lo, exec_lo, s75
.LBB6_16779:                            ;   in Loop: Header=BB6_14192 Depth=3
	s_delay_alu instid0(SALU_CYCLE_1)
	s_or_b32 exec_lo, exec_lo, s74
.LBB6_16780:                            ;   in Loop: Header=BB6_14192 Depth=3
	s_delay_alu instid0(SALU_CYCLE_1) | instskip(NEXT) | instid1(VALU_DEP_1)
	s_or_b32 exec_lo, exec_lo, s73
	v_dual_add_f32 v4, v3, v2 :: v_dual_mov_b32 v47, v113
	v_mov_b32_e32 v3, v113
                                        ; implicit-def: $vgpr23
	s_mov_b32 s13, exec_lo
	s_delay_alu instid0(VALU_DEP_2) | instskip(SKIP_2) | instid1(VALU_DEP_3)
	v_and_b32_e32 v46, 0x7f800000, v4
	v_and_b32_e32 v2, 0x7fffff, v4
	v_lshrrev_b32_e32 v1, 24, v4
	v_cmpx_ne_u64_e32 0x7f800000, v[46:47]
	s_xor_b32 s73, exec_lo, s13
	s_cbranch_execz .LBB6_16794
; %bb.16781:                            ;   in Loop: Header=BB6_14192 Depth=3
	v_and_b32_e32 v46, 0x7fffffff, v4
	v_mov_b32_e32 v47, v113
	v_and_b32_e32 v1, 0x80, v1
                                        ; implicit-def: $vgpr23
	s_mov_b32 s13, exec_lo
	s_delay_alu instid0(VALU_DEP_2)
	v_cmpx_gt_u64_e32 0x47600001, v[46:47]
	s_xor_b32 s74, exec_lo, s13
	s_cbranch_execz .LBB6_16791
; %bb.16782:                            ;   in Loop: Header=BB6_14192 Depth=3
	v_mov_b32_e32 v23, 0
	s_mov_b32 s75, exec_lo
	v_cmpx_ne_u32_e32 0, v4
	s_cbranch_execz .LBB6_16790
; %bb.16783:                            ;   in Loop: Header=BB6_14192 Depth=3
	v_bfe_u32 v23, v4, 23, 8
	v_or_b32_e32 v5, 0x800000, v2
	s_delay_alu instid0(VALU_DEP_2) | instskip(SKIP_2) | instid1(VALU_DEP_2)
	v_cmp_gt_u32_e64 s13, 0x72, v23
	v_sub_nc_u32_e32 v4, 0x71, v23
	v_cmp_eq_u32_e32 vcc_lo, 0, v23
	v_dual_cndmask_b32 v4, 0, v4, s13 :: v_dual_cndmask_b32 v2, v5, v2, vcc_lo
	s_delay_alu instid0(VALU_DEP_1) | instskip(NEXT) | instid1(VALU_DEP_1)
	v_cndmask_b32_e64 v115, v4, 0x70, vcc_lo
	v_dual_add_nc_u32 v4, 21, v115 :: v_dual_add_nc_u32 v42, 20, v115
	s_delay_alu instid0(VALU_DEP_1) | instskip(NEXT) | instid1(VALU_DEP_2)
	v_lshlrev_b64_e64 v[4:5], v4, -1
	v_lshlrev_b64_e64 v[46:47], v42, 1
	s_delay_alu instid0(VALU_DEP_2) | instskip(SKIP_1) | instid1(VALU_DEP_4)
	v_bfi_b32 v4, v4, 0, v2
	v_lshrrev_b64 v[2:3], v115, v[2:3]
	v_bfi_b32 v5, v5, 0, 0
	s_delay_alu instid0(VALU_DEP_1) | instskip(NEXT) | instid1(VALU_DEP_3)
	v_cmp_eq_u64_e64 s13, v[4:5], v[46:47]
	v_mov_b64_e32 v[4:5], v[2:3]
	s_and_saveexec_b32 s76, s13
; %bb.16784:                            ;   in Loop: Header=BB6_14192 Depth=3
	v_bfe_u32 v4, v2, 21, 1
	v_mov_b32_e32 v5, v113
	s_delay_alu instid0(VALU_DEP_1) | instskip(NEXT) | instid1(VALU_DEP_1)
	v_add_nc_u64_e32 v[4:5], v[2:3], v[4:5]
	v_add_nc_u64_e32 v[4:5], -1, v[4:5]
; %bb.16785:                            ;   in Loop: Header=BB6_14192 Depth=3
	s_or_b32 exec_lo, exec_lo, s76
	v_add_nc_u32_e32 v3, 0xffffff81, v23
	v_lshrrev_b32_e32 v5, 23, v2
	s_mov_b32 s13, exec_lo
	s_delay_alu instid0(VALU_DEP_2) | instskip(NEXT) | instid1(VALU_DEP_1)
	v_cndmask_b32_e64 v3, v3, 0xffffff82, vcc_lo
	v_add3_u32 v23, v115, v3, v5
	v_and_b32_e32 v3, 0x1fffff, v4
                                        ; implicit-def: $vgpr4
	s_delay_alu instid0(VALU_DEP_1) | instskip(SKIP_1) | instid1(VALU_DEP_2)
	v_dual_add_nc_u32 v5, 14, v23 :: v_dual_add_nc_u32 v2, v3, v2
	v_mov_b32_e32 v3, v113
	v_cmpx_ne_u32_e32 0, v5
	s_xor_b32 s13, exec_lo, s13
; %bb.16786:                            ;   in Loop: Header=BB6_14192 Depth=3
	s_delay_alu instid0(VALU_DEP_2) | instskip(SKIP_1) | instid1(VALU_DEP_1)
	v_cmp_lt_u64_e32 vcc_lo, 0xffffff, v[2:3]
	v_add_nc_u32_e32 v4, 15, v23
	v_cndmask_b32_e32 v4, v5, v4, vcc_lo
	v_cndmask_b32_e64 v5, 0, 1, vcc_lo
	s_delay_alu instid0(VALU_DEP_1)
	v_lshrrev_b64 v[2:3], v5, v[2:3]
; %bb.16787:                            ;   in Loop: Header=BB6_14192 Depth=3
	s_and_not1_saveexec_b32 s13, s13
; %bb.16788:                            ;   in Loop: Header=BB6_14192 Depth=3
	s_delay_alu instid0(VALU_DEP_1)
	v_bfe_u32 v4, v2, 23, 1
; %bb.16789:                            ;   in Loop: Header=BB6_14192 Depth=3
	s_or_b32 exec_lo, exec_lo, s13
	s_delay_alu instid0(VALU_DEP_2) | instskip(NEXT) | instid1(VALU_DEP_2)
	v_lshrrev_b64 v[2:3], 21, v[2:3]
	v_cmp_gt_i32_e32 vcc_lo, 32, v4
	v_min_i32_e32 v5, 31, v4
	v_cmp_eq_u32_e64 s13, 0, v4
	s_delay_alu instid0(VALU_DEP_2) | instskip(SKIP_1) | instid1(VALU_DEP_2)
	v_dual_cndmask_b32 v3, 0, v3, vcc_lo :: v_dual_lshlrev_b32 v5, 2, v5
	v_cndmask_b32_e32 v2, 3, v2, vcc_lo
	v_and_b32_e32 v5, 0xfc, v5
	s_delay_alu instid0(VALU_DEP_2) | instskip(NEXT) | instid1(VALU_DEP_2)
	v_cmp_eq_u64_e32 vcc_lo, 0, v[2:3]
	v_and_or_b32 v2, v2, 3, v5
	s_and_b32 s13, s13, vcc_lo
	s_delay_alu instid0(VALU_DEP_1) | instid1(SALU_CYCLE_1)
	v_cndmask_b32_e64 v2, v2, 0, s13
	s_delay_alu instid0(VALU_DEP_1)
	v_or_b32_e32 v23, v2, v1
.LBB6_16790:                            ;   in Loop: Header=BB6_14192 Depth=3
	s_or_b32 exec_lo, exec_lo, s75
                                        ; implicit-def: $vgpr1
.LBB6_16791:                            ;   in Loop: Header=BB6_14192 Depth=3
	s_and_not1_saveexec_b32 s13, s74
; %bb.16792:                            ;   in Loop: Header=BB6_14192 Depth=3
	v_or_b32_e32 v23, 0x7b, v1
; %bb.16793:                            ;   in Loop: Header=BB6_14192 Depth=3
	s_or_b32 exec_lo, exec_lo, s13
                                        ; implicit-def: $vgpr4
                                        ; implicit-def: $vgpr2_vgpr3
                                        ; implicit-def: $vgpr1
.LBB6_16794:                            ;   in Loop: Header=BB6_14192 Depth=3
	s_and_not1_saveexec_b32 s13, s73
	s_cbranch_execz .LBB6_16800
; %bb.16795:                            ;   in Loop: Header=BB6_14192 Depth=3
	s_mov_b32 s73, exec_lo
                                        ; implicit-def: $vgpr23
	v_cmpx_ne_u64_e32 0, v[2:3]
	s_xor_b32 s73, exec_lo, s73
; %bb.16796:                            ;   in Loop: Header=BB6_14192 Depth=3
	v_or_b32_e32 v23, 0x7f, v1
                                        ; implicit-def: $vgpr4
; %bb.16797:                            ;   in Loop: Header=BB6_14192 Depth=3
	s_and_not1_saveexec_b32 s73, s73
; %bb.16798:                            ;   in Loop: Header=BB6_14192 Depth=3
	v_cmp_lt_i32_e32 vcc_lo, -1, v4
	v_mov_b32_e32 v1, 0x7c
	s_delay_alu instid0(VALU_DEP_1)
	v_cndmask_b32_e32 v23, 0xfc, v1, vcc_lo
; %bb.16799:                            ;   in Loop: Header=BB6_14192 Depth=3
	s_or_b32 exec_lo, exec_lo, s73
.LBB6_16800:                            ;   in Loop: Header=BB6_14192 Depth=3
	s_delay_alu instid0(SALU_CYCLE_1) | instskip(SKIP_3) | instid1(VALU_DEP_2)
	s_or_b32 exec_lo, exec_lo, s13
	v_lshrrev_b16 v2, 8, v118
	v_dual_mov_b32 v1, 0 :: v_dual_mov_b32 v4, 0
	s_mov_b32 s73, exec_lo
	v_cmpx_ne_u16_e32 0, v2
	s_cbranch_execz .LBB6_16810
; %bb.16801:                            ;   in Loop: Header=BB6_14192 Depth=3
	v_bfrev_b32_e32 v4, 1
	s_mov_b32 s74, exec_lo
	v_cmpx_ne_u16_e32 0x80, v2
	s_cbranch_execz .LBB6_16809
; %bb.16802:                            ;   in Loop: Header=BB6_14192 Depth=3
	v_and_b32_e32 v5, 0xffff, v2
	s_delay_alu instid0(VALU_DEP_1) | instskip(SKIP_1) | instid1(VALU_DEP_2)
	v_and_b32_e32 v4, 0x7c, v5
	v_and_b32_e32 v3, 3, v5
	v_cmp_ne_u32_e32 vcc_lo, 0x7c, v4
                                        ; implicit-def: $vgpr4
	s_and_saveexec_b32 s13, vcc_lo
	s_delay_alu instid0(SALU_CYCLE_1)
	s_xor_b32 s13, exec_lo, s13
	s_cbranch_execz .LBB6_16806
; %bb.16803:                            ;   in Loop: Header=BB6_14192 Depth=3
	v_bfe_u32 v4, v5, 2, 5
	s_mov_b32 s75, exec_lo
	s_delay_alu instid0(VALU_DEP_1)
	v_cmpx_eq_u32_e32 0, v4
	s_cbranch_execz .LBB6_16805
; %bb.16804:                            ;   in Loop: Header=BB6_14192 Depth=3
	v_clz_i32_u32_e32 v3, v3
	s_delay_alu instid0(VALU_DEP_1) | instskip(SKIP_1) | instid1(VALU_DEP_2)
	v_min_u32_e32 v4, 32, v3
	v_mov_b32_e32 v3, v113
	v_subrev_nc_u32_e32 v5, 29, v4
	v_sub_nc_u32_e32 v4, 30, v4
	s_delay_alu instid0(VALU_DEP_2) | instskip(NEXT) | instid1(VALU_DEP_1)
	v_lshlrev_b64_e32 v[2:3], v5, v[2:3]
	v_and_b32_e32 v3, 3, v2
.LBB6_16805:                            ;   in Loop: Header=BB6_14192 Depth=3
	s_or_b32 exec_lo, exec_lo, s75
	v_lshlrev_b32_e32 v2, 16, v118
                                        ; implicit-def: $vgpr118
	s_delay_alu instid0(VALU_DEP_1) | instskip(NEXT) | instid1(VALU_DEP_1)
	v_and_b32_e32 v2, 0x80000000, v2
	v_lshl_add_u32 v2, v4, 23, v2
	s_delay_alu instid0(VALU_DEP_1) | instskip(NEXT) | instid1(VALU_DEP_1)
	v_lshl_or_b32 v2, v3, 21, v2
                                        ; implicit-def: $vgpr3
	v_add_nc_u32_e32 v4, 0x38000000, v2
.LBB6_16806:                            ;   in Loop: Header=BB6_14192 Depth=3
	s_and_not1_saveexec_b32 s75, s13
; %bb.16807:                            ;   in Loop: Header=BB6_14192 Depth=3
	v_cmp_lt_i16_e64 s13, -1, v118
	v_mov_b32_e32 v2, 0x7f800000
	v_cmp_eq_u32_e32 vcc_lo, 0, v3
	s_delay_alu instid0(VALU_DEP_2) | instskip(NEXT) | instid1(VALU_DEP_1)
	v_cndmask_b32_e64 v2, 0xff800000, v2, s13
	v_cndmask_b32_e32 v4, 0x7f800001, v2, vcc_lo
; %bb.16808:                            ;   in Loop: Header=BB6_14192 Depth=3
	s_or_b32 exec_lo, exec_lo, s75
.LBB6_16809:                            ;   in Loop: Header=BB6_14192 Depth=3
	s_delay_alu instid0(SALU_CYCLE_1)
	s_or_b32 exec_lo, exec_lo, s74
.LBB6_16810:                            ;   in Loop: Header=BB6_14192 Depth=3
	s_delay_alu instid0(SALU_CYCLE_1) | instskip(SKIP_2) | instid1(VALU_DEP_1)
	s_or_b32 exec_lo, exec_lo, s73
	v_lshrrev_b16 v2, 8, v16
	s_mov_b32 s73, exec_lo
	v_cmpx_ne_u16_e32 0, v2
	s_cbranch_execz .LBB6_16820
; %bb.16811:                            ;   in Loop: Header=BB6_14192 Depth=3
	v_bfrev_b32_e32 v1, 1
	s_mov_b32 s74, exec_lo
	v_cmpx_ne_u16_e32 0x80, v2
	s_cbranch_execz .LBB6_16819
; %bb.16812:                            ;   in Loop: Header=BB6_14192 Depth=3
	v_and_b32_e32 v5, 0xffff, v2
	s_delay_alu instid0(VALU_DEP_1) | instskip(SKIP_1) | instid1(VALU_DEP_2)
	v_and_b32_e32 v1, 0x7c, v5
	v_and_b32_e32 v3, 3, v5
	v_cmp_ne_u32_e32 vcc_lo, 0x7c, v1
                                        ; implicit-def: $vgpr1
	s_and_saveexec_b32 s13, vcc_lo
	s_delay_alu instid0(SALU_CYCLE_1)
	s_xor_b32 s13, exec_lo, s13
	s_cbranch_execz .LBB6_16816
; %bb.16813:                            ;   in Loop: Header=BB6_14192 Depth=3
	v_bfe_u32 v1, v5, 2, 5
	s_mov_b32 s75, exec_lo
	s_delay_alu instid0(VALU_DEP_1)
	v_cmpx_eq_u32_e32 0, v1
	s_cbranch_execz .LBB6_16815
; %bb.16814:                            ;   in Loop: Header=BB6_14192 Depth=3
	v_clz_i32_u32_e32 v1, v3
	s_delay_alu instid0(VALU_DEP_1) | instskip(SKIP_1) | instid1(VALU_DEP_2)
	v_min_u32_e32 v1, 32, v1
	v_mov_b32_e32 v3, v113
	v_subrev_nc_u32_e32 v5, 29, v1
	v_sub_nc_u32_e32 v1, 30, v1
	s_delay_alu instid0(VALU_DEP_2) | instskip(NEXT) | instid1(VALU_DEP_1)
	v_lshlrev_b64_e32 v[2:3], v5, v[2:3]
	v_and_b32_e32 v3, 3, v2
.LBB6_16815:                            ;   in Loop: Header=BB6_14192 Depth=3
	s_or_b32 exec_lo, exec_lo, s75
	v_lshlrev_b32_e32 v2, 16, v16
	s_delay_alu instid0(VALU_DEP_1) | instskip(NEXT) | instid1(VALU_DEP_1)
	v_and_b32_e32 v2, 0x80000000, v2
	v_lshl_add_u32 v1, v1, 23, v2
	s_delay_alu instid0(VALU_DEP_1) | instskip(NEXT) | instid1(VALU_DEP_1)
	v_lshl_or_b32 v1, v3, 21, v1
                                        ; implicit-def: $vgpr3
	v_add_nc_u32_e32 v1, 0x38000000, v1
.LBB6_16816:                            ;   in Loop: Header=BB6_14192 Depth=3
	s_and_not1_saveexec_b32 s75, s13
; %bb.16817:                            ;   in Loop: Header=BB6_14192 Depth=3
	v_cmp_lt_i16_e64 s13, -1, v16
	v_mov_b32_e32 v1, 0x7f800000
	v_cmp_eq_u32_e32 vcc_lo, 0, v3
	s_delay_alu instid0(VALU_DEP_2) | instskip(NEXT) | instid1(VALU_DEP_1)
	v_cndmask_b32_e64 v1, 0xff800000, v1, s13
	v_cndmask_b32_e32 v1, 0x7f800001, v1, vcc_lo
; %bb.16818:                            ;   in Loop: Header=BB6_14192 Depth=3
	s_or_b32 exec_lo, exec_lo, s75
.LBB6_16819:                            ;   in Loop: Header=BB6_14192 Depth=3
	s_delay_alu instid0(SALU_CYCLE_1)
	s_or_b32 exec_lo, exec_lo, s74
.LBB6_16820:                            ;   in Loop: Header=BB6_14192 Depth=3
	s_delay_alu instid0(SALU_CYCLE_1) | instskip(NEXT) | instid1(VALU_DEP_1)
	s_or_b32 exec_lo, exec_lo, s73
	v_dual_add_f32 v4, v4, v1 :: v_dual_mov_b32 v47, v113
	v_mov_b32_e32 v3, v113
                                        ; implicit-def: $vgpr115
	s_mov_b32 s13, exec_lo
	s_delay_alu instid0(VALU_DEP_2) | instskip(SKIP_2) | instid1(VALU_DEP_3)
	v_and_b32_e32 v46, 0x7f800000, v4
	v_and_b32_e32 v2, 0x7fffff, v4
	v_lshrrev_b32_e32 v1, 24, v4
	v_cmpx_ne_u64_e32 0x7f800000, v[46:47]
	s_xor_b32 s73, exec_lo, s13
	s_cbranch_execz .LBB6_16834
; %bb.16821:                            ;   in Loop: Header=BB6_14192 Depth=3
	v_and_b32_e32 v46, 0x7fffffff, v4
	v_mov_b32_e32 v47, v113
	v_and_b32_e32 v1, 0x80, v1
                                        ; implicit-def: $vgpr115
	s_mov_b32 s13, exec_lo
	s_delay_alu instid0(VALU_DEP_2)
	v_cmpx_gt_u64_e32 0x47600001, v[46:47]
	s_xor_b32 s74, exec_lo, s13
	s_cbranch_execz .LBB6_16831
; %bb.16822:                            ;   in Loop: Header=BB6_14192 Depth=3
	v_mov_b32_e32 v115, 0
	s_mov_b32 s75, exec_lo
	v_cmpx_ne_u32_e32 0, v4
	s_cbranch_execz .LBB6_16830
; %bb.16823:                            ;   in Loop: Header=BB6_14192 Depth=3
	v_bfe_u32 v115, v4, 23, 8
	v_or_b32_e32 v5, 0x800000, v2
	s_delay_alu instid0(VALU_DEP_2) | instskip(SKIP_2) | instid1(VALU_DEP_2)
	v_cmp_gt_u32_e64 s13, 0x72, v115
	v_sub_nc_u32_e32 v4, 0x71, v115
	v_cmp_eq_u32_e32 vcc_lo, 0, v115
	v_dual_cndmask_b32 v4, 0, v4, s13 :: v_dual_cndmask_b32 v2, v5, v2, vcc_lo
	s_delay_alu instid0(VALU_DEP_1) | instskip(NEXT) | instid1(VALU_DEP_1)
	v_cndmask_b32_e64 v118, v4, 0x70, vcc_lo
	v_dual_add_nc_u32 v4, 21, v118 :: v_dual_add_nc_u32 v42, 20, v118
	s_delay_alu instid0(VALU_DEP_1) | instskip(NEXT) | instid1(VALU_DEP_2)
	v_lshlrev_b64_e64 v[4:5], v4, -1
	v_lshlrev_b64_e64 v[46:47], v42, 1
	s_delay_alu instid0(VALU_DEP_2) | instskip(SKIP_1) | instid1(VALU_DEP_4)
	v_bfi_b32 v4, v4, 0, v2
	v_lshrrev_b64 v[2:3], v118, v[2:3]
	v_bfi_b32 v5, v5, 0, 0
	s_delay_alu instid0(VALU_DEP_1) | instskip(NEXT) | instid1(VALU_DEP_3)
	v_cmp_eq_u64_e64 s13, v[4:5], v[46:47]
	v_mov_b64_e32 v[4:5], v[2:3]
	s_and_saveexec_b32 s76, s13
; %bb.16824:                            ;   in Loop: Header=BB6_14192 Depth=3
	v_bfe_u32 v4, v2, 21, 1
	v_mov_b32_e32 v5, v113
	s_delay_alu instid0(VALU_DEP_1) | instskip(NEXT) | instid1(VALU_DEP_1)
	v_add_nc_u64_e32 v[4:5], v[2:3], v[4:5]
	v_add_nc_u64_e32 v[4:5], -1, v[4:5]
; %bb.16825:                            ;   in Loop: Header=BB6_14192 Depth=3
	s_or_b32 exec_lo, exec_lo, s76
	v_add_nc_u32_e32 v3, 0xffffff81, v115
	v_lshrrev_b32_e32 v5, 23, v2
	s_mov_b32 s13, exec_lo
	s_delay_alu instid0(VALU_DEP_2) | instskip(NEXT) | instid1(VALU_DEP_1)
	v_cndmask_b32_e64 v3, v3, 0xffffff82, vcc_lo
	v_add3_u32 v115, v118, v3, v5
	v_and_b32_e32 v3, 0x1fffff, v4
                                        ; implicit-def: $vgpr4
	s_delay_alu instid0(VALU_DEP_1) | instskip(SKIP_1) | instid1(VALU_DEP_2)
	v_dual_add_nc_u32 v5, 14, v115 :: v_dual_add_nc_u32 v2, v3, v2
	v_mov_b32_e32 v3, v113
	v_cmpx_ne_u32_e32 0, v5
	s_xor_b32 s13, exec_lo, s13
; %bb.16826:                            ;   in Loop: Header=BB6_14192 Depth=3
	s_delay_alu instid0(VALU_DEP_2) | instskip(SKIP_1) | instid1(VALU_DEP_1)
	v_cmp_lt_u64_e32 vcc_lo, 0xffffff, v[2:3]
	v_add_nc_u32_e32 v4, 15, v115
	v_cndmask_b32_e32 v4, v5, v4, vcc_lo
	v_cndmask_b32_e64 v5, 0, 1, vcc_lo
	s_delay_alu instid0(VALU_DEP_1)
	v_lshrrev_b64 v[2:3], v5, v[2:3]
; %bb.16827:                            ;   in Loop: Header=BB6_14192 Depth=3
	s_and_not1_saveexec_b32 s13, s13
; %bb.16828:                            ;   in Loop: Header=BB6_14192 Depth=3
	s_delay_alu instid0(VALU_DEP_1)
	v_bfe_u32 v4, v2, 23, 1
; %bb.16829:                            ;   in Loop: Header=BB6_14192 Depth=3
	s_or_b32 exec_lo, exec_lo, s13
	s_delay_alu instid0(VALU_DEP_2) | instskip(NEXT) | instid1(VALU_DEP_2)
	v_lshrrev_b64 v[2:3], 21, v[2:3]
	v_cmp_gt_i32_e32 vcc_lo, 32, v4
	v_min_i32_e32 v5, 31, v4
	v_cmp_eq_u32_e64 s13, 0, v4
	s_delay_alu instid0(VALU_DEP_2) | instskip(SKIP_1) | instid1(VALU_DEP_2)
	v_dual_cndmask_b32 v3, 0, v3, vcc_lo :: v_dual_lshlrev_b32 v5, 2, v5
	v_cndmask_b32_e32 v2, 3, v2, vcc_lo
	v_and_b32_e32 v5, 0xfc, v5
	s_delay_alu instid0(VALU_DEP_2) | instskip(NEXT) | instid1(VALU_DEP_2)
	v_cmp_eq_u64_e32 vcc_lo, 0, v[2:3]
	v_and_or_b32 v2, v2, 3, v5
	s_and_b32 s13, s13, vcc_lo
	s_delay_alu instid0(VALU_DEP_1) | instid1(SALU_CYCLE_1)
	v_cndmask_b32_e64 v2, v2, 0, s13
	s_delay_alu instid0(VALU_DEP_1)
	v_or_b32_e32 v115, v2, v1
.LBB6_16830:                            ;   in Loop: Header=BB6_14192 Depth=3
	s_or_b32 exec_lo, exec_lo, s75
                                        ; implicit-def: $vgpr1
.LBB6_16831:                            ;   in Loop: Header=BB6_14192 Depth=3
	s_and_not1_saveexec_b32 s13, s74
; %bb.16832:                            ;   in Loop: Header=BB6_14192 Depth=3
	v_or_b32_e32 v115, 0x7b, v1
; %bb.16833:                            ;   in Loop: Header=BB6_14192 Depth=3
	s_or_b32 exec_lo, exec_lo, s13
                                        ; implicit-def: $vgpr4
                                        ; implicit-def: $vgpr2_vgpr3
                                        ; implicit-def: $vgpr1
.LBB6_16834:                            ;   in Loop: Header=BB6_14192 Depth=3
	s_and_not1_saveexec_b32 s13, s73
	s_cbranch_execz .LBB6_16840
; %bb.16835:                            ;   in Loop: Header=BB6_14192 Depth=3
	s_mov_b32 s73, exec_lo
                                        ; implicit-def: $vgpr115
	v_cmpx_ne_u64_e32 0, v[2:3]
	s_xor_b32 s73, exec_lo, s73
; %bb.16836:                            ;   in Loop: Header=BB6_14192 Depth=3
	v_or_b32_e32 v115, 0x7f, v1
                                        ; implicit-def: $vgpr4
; %bb.16837:                            ;   in Loop: Header=BB6_14192 Depth=3
	s_and_not1_saveexec_b32 s73, s73
; %bb.16838:                            ;   in Loop: Header=BB6_14192 Depth=3
	v_cmp_lt_i32_e32 vcc_lo, -1, v4
	v_mov_b32_e32 v1, 0x7c
	s_delay_alu instid0(VALU_DEP_1)
	v_cndmask_b32_e32 v115, 0xfc, v1, vcc_lo
; %bb.16839:                            ;   in Loop: Header=BB6_14192 Depth=3
	s_or_b32 exec_lo, exec_lo, s73
.LBB6_16840:                            ;   in Loop: Header=BB6_14192 Depth=3
	s_delay_alu instid0(SALU_CYCLE_1) | instskip(SKIP_3) | instid1(VALU_DEP_2)
	s_or_b32 exec_lo, exec_lo, s13
	v_dual_mov_b32 v1, 0 :: v_dual_lshrrev_b32 v2, 16, v0
	v_mov_b32_e32 v3, 0
	s_mov_b32 s73, exec_lo
	v_and_b32_e32 v4, 0xff, v2
	s_delay_alu instid0(VALU_DEP_1)
	v_cmpx_ne_u16_e32 0, v4
	s_cbranch_execz .LBB6_16850
; %bb.16841:                            ;   in Loop: Header=BB6_14192 Depth=3
	v_bfrev_b32_e32 v3, 1
	s_mov_b32 s74, exec_lo
	v_cmpx_ne_u16_e32 0x80, v4
	s_cbranch_execz .LBB6_16849
; %bb.16842:                            ;   in Loop: Header=BB6_14192 Depth=3
	v_and_b32_e32 v3, 0x7c0000, v0
	v_bfe_u32 v4, v0, 16, 2
	s_delay_alu instid0(VALU_DEP_2) | instskip(SKIP_1) | instid1(SALU_CYCLE_1)
	v_cmp_ne_u32_e32 vcc_lo, 0x7c0000, v3
                                        ; implicit-def: $vgpr3
	s_and_saveexec_b32 s13, vcc_lo
	s_xor_b32 s13, exec_lo, s13
	s_cbranch_execz .LBB6_16846
; %bb.16843:                            ;   in Loop: Header=BB6_14192 Depth=3
	v_bfe_u32 v3, v0, 18, 5
	s_mov_b32 s75, exec_lo
	s_delay_alu instid0(VALU_DEP_1)
	v_cmpx_eq_u32_e32 0, v3
; %bb.16844:                            ;   in Loop: Header=BB6_14192 Depth=3
	v_clz_i32_u32_e32 v3, v4
	s_delay_alu instid0(VALU_DEP_1) | instskip(NEXT) | instid1(VALU_DEP_1)
	v_min_u32_e32 v3, 32, v3
	v_subrev_nc_u32_e32 v4, 29, v3
	s_delay_alu instid0(VALU_DEP_1) | instskip(NEXT) | instid1(VALU_DEP_1)
	v_lshlrev_b64_e32 v[4:5], v4, v[2:3]
	v_dual_sub_nc_u32 v3, 30, v3 :: v_dual_bitop2_b32 v4, 3, v4 bitop3:0x40
; %bb.16845:                            ;   in Loop: Header=BB6_14192 Depth=3
	s_or_b32 exec_lo, exec_lo, s75
	v_lshlrev_b32_e32 v2, 24, v2
	s_delay_alu instid0(VALU_DEP_1) | instskip(NEXT) | instid1(VALU_DEP_1)
	v_and_b32_e32 v2, 0x80000000, v2
	v_lshl_add_u32 v2, v3, 23, v2
	s_delay_alu instid0(VALU_DEP_1) | instskip(NEXT) | instid1(VALU_DEP_1)
	v_lshl_or_b32 v2, v4, 21, v2
                                        ; implicit-def: $vgpr4
	v_add_nc_u32_e32 v3, 0x38000000, v2
                                        ; implicit-def: $vgpr2
.LBB6_16846:                            ;   in Loop: Header=BB6_14192 Depth=3
	s_and_not1_saveexec_b32 s75, s13
; %bb.16847:                            ;   in Loop: Header=BB6_14192 Depth=3
	v_bfe_i32 v2, v2, 0, 8
	v_cmp_eq_u32_e32 vcc_lo, 0, v4
	s_delay_alu instid0(VALU_DEP_2) | instskip(SKIP_1) | instid1(VALU_DEP_1)
	v_cmp_lt_i16_e64 s13, -1, v2
	v_mov_b32_e32 v2, 0x7f800000
	v_cndmask_b32_e64 v2, 0xff800000, v2, s13
	s_delay_alu instid0(VALU_DEP_1)
	v_cndmask_b32_e32 v3, 0x7f800001, v2, vcc_lo
; %bb.16848:                            ;   in Loop: Header=BB6_14192 Depth=3
	s_or_b32 exec_lo, exec_lo, s75
.LBB6_16849:                            ;   in Loop: Header=BB6_14192 Depth=3
	s_delay_alu instid0(SALU_CYCLE_1)
	s_or_b32 exec_lo, exec_lo, s74
.LBB6_16850:                            ;   in Loop: Header=BB6_14192 Depth=3
	s_delay_alu instid0(SALU_CYCLE_1) | instskip(SKIP_2) | instid1(VALU_DEP_1)
	s_or_b32 exec_lo, exec_lo, s73
	v_lshrrev_b32_e32 v2, 16, v16
	s_mov_b32 s73, exec_lo
	v_and_b32_e32 v4, 0xff, v2
	s_delay_alu instid0(VALU_DEP_1)
	v_cmpx_ne_u16_e32 0, v4
	s_cbranch_execz .LBB6_16860
; %bb.16851:                            ;   in Loop: Header=BB6_14192 Depth=3
	v_bfrev_b32_e32 v1, 1
	s_mov_b32 s74, exec_lo
	v_cmpx_ne_u16_e32 0x80, v4
	s_cbranch_execz .LBB6_16859
; %bb.16852:                            ;   in Loop: Header=BB6_14192 Depth=3
	v_and_b32_e32 v1, 0x7c0000, v16
	v_bfe_u32 v4, v16, 16, 2
	s_delay_alu instid0(VALU_DEP_2) | instskip(SKIP_1) | instid1(SALU_CYCLE_1)
	v_cmp_ne_u32_e32 vcc_lo, 0x7c0000, v1
                                        ; implicit-def: $vgpr1
	s_and_saveexec_b32 s13, vcc_lo
	s_xor_b32 s13, exec_lo, s13
	s_cbranch_execz .LBB6_16856
; %bb.16853:                            ;   in Loop: Header=BB6_14192 Depth=3
	v_bfe_u32 v1, v16, 18, 5
	s_mov_b32 s75, exec_lo
	s_delay_alu instid0(VALU_DEP_1)
	v_cmpx_eq_u32_e32 0, v1
; %bb.16854:                            ;   in Loop: Header=BB6_14192 Depth=3
	v_clz_i32_u32_e32 v1, v4
	s_delay_alu instid0(VALU_DEP_1) | instskip(NEXT) | instid1(VALU_DEP_1)
	v_min_u32_e32 v1, 32, v1
	v_subrev_nc_u32_e32 v4, 29, v1
	s_delay_alu instid0(VALU_DEP_1) | instskip(NEXT) | instid1(VALU_DEP_1)
	v_lshlrev_b64_e32 v[4:5], v4, v[2:3]
	v_dual_sub_nc_u32 v1, 30, v1 :: v_dual_bitop2_b32 v4, 3, v4 bitop3:0x40
; %bb.16855:                            ;   in Loop: Header=BB6_14192 Depth=3
	s_or_b32 exec_lo, exec_lo, s75
	v_lshlrev_b32_e32 v2, 24, v2
	s_delay_alu instid0(VALU_DEP_1) | instskip(NEXT) | instid1(VALU_DEP_1)
	v_and_b32_e32 v2, 0x80000000, v2
	v_lshl_add_u32 v1, v1, 23, v2
                                        ; implicit-def: $vgpr2
	s_delay_alu instid0(VALU_DEP_1) | instskip(NEXT) | instid1(VALU_DEP_1)
	v_lshl_or_b32 v1, v4, 21, v1
                                        ; implicit-def: $vgpr4
	v_add_nc_u32_e32 v1, 0x38000000, v1
.LBB6_16856:                            ;   in Loop: Header=BB6_14192 Depth=3
	s_and_not1_saveexec_b32 s75, s13
; %bb.16857:                            ;   in Loop: Header=BB6_14192 Depth=3
	v_bfe_i32 v1, v2, 0, 8
	v_cmp_eq_u32_e32 vcc_lo, 0, v4
	s_delay_alu instid0(VALU_DEP_2) | instskip(SKIP_1) | instid1(VALU_DEP_1)
	v_cmp_lt_i16_e64 s13, -1, v1
	v_mov_b32_e32 v1, 0x7f800000
	v_cndmask_b32_e64 v1, 0xff800000, v1, s13
	s_delay_alu instid0(VALU_DEP_1)
	v_cndmask_b32_e32 v1, 0x7f800001, v1, vcc_lo
; %bb.16858:                            ;   in Loop: Header=BB6_14192 Depth=3
	s_or_b32 exec_lo, exec_lo, s75
.LBB6_16859:                            ;   in Loop: Header=BB6_14192 Depth=3
	s_delay_alu instid0(SALU_CYCLE_1)
	s_or_b32 exec_lo, exec_lo, s74
.LBB6_16860:                            ;   in Loop: Header=BB6_14192 Depth=3
	s_delay_alu instid0(SALU_CYCLE_1) | instskip(NEXT) | instid1(VALU_DEP_1)
	s_or_b32 exec_lo, exec_lo, s73
	v_dual_add_f32 v4, v3, v1 :: v_dual_mov_b32 v47, v113
	v_mov_b32_e32 v3, v113
                                        ; implicit-def: $vgpr118
	s_mov_b32 s13, exec_lo
	s_delay_alu instid0(VALU_DEP_2) | instskip(SKIP_2) | instid1(VALU_DEP_3)
	v_and_b32_e32 v46, 0x7f800000, v4
	v_and_b32_e32 v2, 0x7fffff, v4
	v_lshrrev_b32_e32 v1, 24, v4
	v_cmpx_ne_u64_e32 0x7f800000, v[46:47]
	s_xor_b32 s73, exec_lo, s13
	s_cbranch_execz .LBB6_16874
; %bb.16861:                            ;   in Loop: Header=BB6_14192 Depth=3
	v_and_b32_e32 v46, 0x7fffffff, v4
	v_mov_b32_e32 v47, v113
	v_and_b32_e32 v1, 0x80, v1
                                        ; implicit-def: $vgpr118
	s_mov_b32 s13, exec_lo
	s_delay_alu instid0(VALU_DEP_2)
	v_cmpx_gt_u64_e32 0x47600001, v[46:47]
	s_xor_b32 s74, exec_lo, s13
	s_cbranch_execz .LBB6_16871
; %bb.16862:                            ;   in Loop: Header=BB6_14192 Depth=3
	v_mov_b32_e32 v118, 0
	s_mov_b32 s75, exec_lo
	v_cmpx_ne_u32_e32 0, v4
	s_cbranch_execz .LBB6_16870
; %bb.16863:                            ;   in Loop: Header=BB6_14192 Depth=3
	v_bfe_u32 v118, v4, 23, 8
	v_or_b32_e32 v5, 0x800000, v2
	s_delay_alu instid0(VALU_DEP_2) | instskip(SKIP_2) | instid1(VALU_DEP_2)
	v_cmp_gt_u32_e64 s13, 0x72, v118
	v_sub_nc_u32_e32 v4, 0x71, v118
	v_cmp_eq_u32_e32 vcc_lo, 0, v118
	v_dual_cndmask_b32 v4, 0, v4, s13 :: v_dual_cndmask_b32 v2, v5, v2, vcc_lo
	s_delay_alu instid0(VALU_DEP_1) | instskip(NEXT) | instid1(VALU_DEP_1)
	v_cndmask_b32_e64 v42, v4, 0x70, vcc_lo
	v_dual_add_nc_u32 v4, 21, v42 :: v_dual_add_nc_u32 v44, 20, v42
	s_delay_alu instid0(VALU_DEP_1) | instskip(NEXT) | instid1(VALU_DEP_2)
	v_lshlrev_b64_e64 v[4:5], v4, -1
	v_lshlrev_b64_e64 v[46:47], v44, 1
	s_delay_alu instid0(VALU_DEP_2) | instskip(SKIP_1) | instid1(VALU_DEP_4)
	v_bfi_b32 v4, v4, 0, v2
	v_lshrrev_b64 v[2:3], v42, v[2:3]
	v_bfi_b32 v5, v5, 0, 0
	s_delay_alu instid0(VALU_DEP_1) | instskip(NEXT) | instid1(VALU_DEP_3)
	v_cmp_eq_u64_e64 s13, v[4:5], v[46:47]
	v_mov_b64_e32 v[4:5], v[2:3]
	s_and_saveexec_b32 s76, s13
; %bb.16864:                            ;   in Loop: Header=BB6_14192 Depth=3
	v_bfe_u32 v4, v2, 21, 1
	v_mov_b32_e32 v5, v113
	s_delay_alu instid0(VALU_DEP_1) | instskip(NEXT) | instid1(VALU_DEP_1)
	v_add_nc_u64_e32 v[4:5], v[2:3], v[4:5]
	v_add_nc_u64_e32 v[4:5], -1, v[4:5]
; %bb.16865:                            ;   in Loop: Header=BB6_14192 Depth=3
	s_or_b32 exec_lo, exec_lo, s76
	v_add_nc_u32_e32 v3, 0xffffff81, v118
	v_lshrrev_b32_e32 v5, 23, v2
	s_mov_b32 s13, exec_lo
	s_delay_alu instid0(VALU_DEP_2) | instskip(NEXT) | instid1(VALU_DEP_1)
	v_cndmask_b32_e64 v3, v3, 0xffffff82, vcc_lo
	v_add3_u32 v118, v42, v3, v5
	v_and_b32_e32 v3, 0x1fffff, v4
                                        ; implicit-def: $vgpr4
	s_delay_alu instid0(VALU_DEP_2) | instskip(NEXT) | instid1(VALU_DEP_2)
	v_add_nc_u32_e32 v5, 14, v118
	v_dual_mov_b32 v3, v113 :: v_dual_add_nc_u32 v2, v3, v2
	s_delay_alu instid0(VALU_DEP_2)
	v_cmpx_ne_u32_e32 0, v5
	s_xor_b32 s13, exec_lo, s13
; %bb.16866:                            ;   in Loop: Header=BB6_14192 Depth=3
	s_delay_alu instid0(VALU_DEP_2) | instskip(SKIP_1) | instid1(VALU_DEP_1)
	v_cmp_lt_u64_e32 vcc_lo, 0xffffff, v[2:3]
	v_add_nc_u32_e32 v4, 15, v118
	v_cndmask_b32_e32 v4, v5, v4, vcc_lo
	v_cndmask_b32_e64 v5, 0, 1, vcc_lo
	s_delay_alu instid0(VALU_DEP_1)
	v_lshrrev_b64 v[2:3], v5, v[2:3]
; %bb.16867:                            ;   in Loop: Header=BB6_14192 Depth=3
	s_and_not1_saveexec_b32 s13, s13
; %bb.16868:                            ;   in Loop: Header=BB6_14192 Depth=3
	s_delay_alu instid0(VALU_DEP_1)
	v_bfe_u32 v4, v2, 23, 1
; %bb.16869:                            ;   in Loop: Header=BB6_14192 Depth=3
	s_or_b32 exec_lo, exec_lo, s13
	s_delay_alu instid0(VALU_DEP_2) | instskip(NEXT) | instid1(VALU_DEP_2)
	v_lshrrev_b64 v[2:3], 21, v[2:3]
	v_cmp_gt_i32_e32 vcc_lo, 32, v4
	v_min_i32_e32 v5, 31, v4
	v_cmp_eq_u32_e64 s13, 0, v4
	s_delay_alu instid0(VALU_DEP_2) | instskip(SKIP_1) | instid1(VALU_DEP_2)
	v_dual_cndmask_b32 v3, 0, v3, vcc_lo :: v_dual_lshlrev_b32 v5, 2, v5
	v_cndmask_b32_e32 v2, 3, v2, vcc_lo
	v_and_b32_e32 v5, 0xfc, v5
	s_delay_alu instid0(VALU_DEP_2) | instskip(NEXT) | instid1(VALU_DEP_2)
	v_cmp_eq_u64_e32 vcc_lo, 0, v[2:3]
	v_and_or_b32 v2, v2, 3, v5
	s_and_b32 s13, s13, vcc_lo
	s_delay_alu instid0(VALU_DEP_1) | instid1(SALU_CYCLE_1)
	v_cndmask_b32_e64 v2, v2, 0, s13
	s_delay_alu instid0(VALU_DEP_1)
	v_or_b32_e32 v118, v2, v1
.LBB6_16870:                            ;   in Loop: Header=BB6_14192 Depth=3
	s_or_b32 exec_lo, exec_lo, s75
                                        ; implicit-def: $vgpr1
.LBB6_16871:                            ;   in Loop: Header=BB6_14192 Depth=3
	s_and_not1_saveexec_b32 s13, s74
; %bb.16872:                            ;   in Loop: Header=BB6_14192 Depth=3
	v_or_b32_e32 v118, 0x7b, v1
; %bb.16873:                            ;   in Loop: Header=BB6_14192 Depth=3
	s_or_b32 exec_lo, exec_lo, s13
                                        ; implicit-def: $vgpr4
                                        ; implicit-def: $vgpr2_vgpr3
                                        ; implicit-def: $vgpr1
.LBB6_16874:                            ;   in Loop: Header=BB6_14192 Depth=3
	s_and_not1_saveexec_b32 s13, s73
	s_cbranch_execz .LBB6_16880
; %bb.16875:                            ;   in Loop: Header=BB6_14192 Depth=3
	s_mov_b32 s73, exec_lo
                                        ; implicit-def: $vgpr118
	v_cmpx_ne_u64_e32 0, v[2:3]
	s_xor_b32 s73, exec_lo, s73
; %bb.16876:                            ;   in Loop: Header=BB6_14192 Depth=3
	v_or_b32_e32 v118, 0x7f, v1
                                        ; implicit-def: $vgpr4
; %bb.16877:                            ;   in Loop: Header=BB6_14192 Depth=3
	s_and_not1_saveexec_b32 s73, s73
; %bb.16878:                            ;   in Loop: Header=BB6_14192 Depth=3
	v_cmp_lt_i32_e32 vcc_lo, -1, v4
	v_mov_b32_e32 v1, 0x7c
	s_delay_alu instid0(VALU_DEP_1)
	v_cndmask_b32_e32 v118, 0xfc, v1, vcc_lo
; %bb.16879:                            ;   in Loop: Header=BB6_14192 Depth=3
	s_or_b32 exec_lo, exec_lo, s73
.LBB6_16880:                            ;   in Loop: Header=BB6_14192 Depth=3
	s_delay_alu instid0(SALU_CYCLE_1)
	s_or_b32 exec_lo, exec_lo, s13
	v_dual_mov_b32 v3, 0 :: v_dual_mov_b32 v4, 0
	s_mov_b32 s73, exec_lo
	v_cmpx_lt_u32_e32 0xffffff, v0
	s_cbranch_execz .LBB6_16890
; %bb.16881:                            ;   in Loop: Header=BB6_14192 Depth=3
	v_lshrrev_b32_e32 v2, 24, v0
	v_bfrev_b32_e32 v4, 1
	s_mov_b32 s74, exec_lo
	s_delay_alu instid0(VALU_DEP_2)
	v_cmpx_ne_u32_e32 0x80, v2
	s_cbranch_execz .LBB6_16889
; %bb.16882:                            ;   in Loop: Header=BB6_14192 Depth=3
	v_and_b32_e32 v1, 0x7c000000, v0
	v_bfe_u32 v5, v0, 24, 2
	s_mov_b32 s13, exec_lo
                                        ; implicit-def: $vgpr4
	s_delay_alu instid0(VALU_DEP_2)
	v_cmpx_ne_u32_e32 0x7c000000, v1
	s_xor_b32 s13, exec_lo, s13
	s_cbranch_execz .LBB6_16886
; %bb.16883:                            ;   in Loop: Header=BB6_14192 Depth=3
	v_bfe_u32 v1, v0, 26, 5
	s_mov_b32 s75, exec_lo
	s_delay_alu instid0(VALU_DEP_1)
	v_cmpx_eq_u32_e32 0, v1
; %bb.16884:                            ;   in Loop: Header=BB6_14192 Depth=3
	v_clz_i32_u32_e32 v1, v5
	s_delay_alu instid0(VALU_DEP_1) | instskip(NEXT) | instid1(VALU_DEP_1)
	v_min_u32_e32 v1, 32, v1
	v_subrev_nc_u32_e32 v4, 29, v1
	s_delay_alu instid0(VALU_DEP_1) | instskip(NEXT) | instid1(VALU_DEP_1)
	v_lshlrev_b64_e32 v[4:5], v4, v[2:3]
	v_dual_sub_nc_u32 v1, 30, v1 :: v_dual_bitop2_b32 v5, 3, v4 bitop3:0x40
; %bb.16885:                            ;   in Loop: Header=BB6_14192 Depth=3
	s_or_b32 exec_lo, exec_lo, s75
	v_and_b32_e32 v0, 0x80000000, v0
	s_delay_alu instid0(VALU_DEP_1) | instskip(NEXT) | instid1(VALU_DEP_1)
	v_lshl_add_u32 v0, v1, 23, v0
	v_lshl_or_b32 v0, v5, 21, v0
                                        ; implicit-def: $vgpr5
	s_delay_alu instid0(VALU_DEP_1)
	v_add_nc_u32_e32 v4, 0x38000000, v0
                                        ; implicit-def: $vgpr0_vgpr1
.LBB6_16886:                            ;   in Loop: Header=BB6_14192 Depth=3
	s_and_not1_saveexec_b32 s75, s13
; %bb.16887:                            ;   in Loop: Header=BB6_14192 Depth=3
	v_cmp_lt_i32_e64 s13, -1, v0
	v_mov_b32_e32 v0, 0x7f800000
	v_cmp_eq_u32_e32 vcc_lo, 0, v5
	s_delay_alu instid0(VALU_DEP_2) | instskip(NEXT) | instid1(VALU_DEP_1)
	v_cndmask_b32_e64 v0, 0xff800000, v0, s13
	v_cndmask_b32_e32 v4, 0x7f800001, v0, vcc_lo
; %bb.16888:                            ;   in Loop: Header=BB6_14192 Depth=3
	s_or_b32 exec_lo, exec_lo, s75
.LBB6_16889:                            ;   in Loop: Header=BB6_14192 Depth=3
	s_delay_alu instid0(SALU_CYCLE_1)
	s_or_b32 exec_lo, exec_lo, s74
.LBB6_16890:                            ;   in Loop: Header=BB6_14192 Depth=3
	s_delay_alu instid0(SALU_CYCLE_1) | instskip(NEXT) | instid1(SALU_CYCLE_1)
	s_or_b32 exec_lo, exec_lo, s73
	s_mov_b32 s73, exec_lo
	v_cmpx_lt_u32_e32 0xffffff, v16
	s_cbranch_execz .LBB6_16900
; %bb.16891:                            ;   in Loop: Header=BB6_14192 Depth=3
	v_lshrrev_b32_e32 v0, 24, v16
	v_bfrev_b32_e32 v3, 1
	s_mov_b32 s74, exec_lo
	s_delay_alu instid0(VALU_DEP_2)
	v_cmpx_ne_u32_e32 0x80, v0
	s_cbranch_execz .LBB6_16899
; %bb.16892:                            ;   in Loop: Header=BB6_14192 Depth=3
	v_and_b32_e32 v2, 0x7c000000, v16
	v_bfe_u32 v1, v16, 24, 2
	s_mov_b32 s13, exec_lo
                                        ; implicit-def: $vgpr3
	s_delay_alu instid0(VALU_DEP_2)
	v_cmpx_ne_u32_e32 0x7c000000, v2
	s_xor_b32 s13, exec_lo, s13
	s_cbranch_execz .LBB6_16896
; %bb.16893:                            ;   in Loop: Header=BB6_14192 Depth=3
	v_bfe_u32 v2, v16, 26, 5
	s_mov_b32 s75, exec_lo
	s_delay_alu instid0(VALU_DEP_1)
	v_cmpx_eq_u32_e32 0, v2
; %bb.16894:                            ;   in Loop: Header=BB6_14192 Depth=3
	v_clz_i32_u32_e32 v1, v1
	s_delay_alu instid0(VALU_DEP_1) | instskip(NEXT) | instid1(VALU_DEP_1)
	v_min_u32_e32 v2, 32, v1
	v_subrev_nc_u32_e32 v1, 29, v2
	s_delay_alu instid0(VALU_DEP_1) | instskip(NEXT) | instid1(VALU_DEP_1)
	v_lshlrev_b64_e32 v[0:1], v1, v[0:1]
	v_dual_sub_nc_u32 v2, 30, v2 :: v_dual_bitop2_b32 v1, 3, v0 bitop3:0x40
; %bb.16895:                            ;   in Loop: Header=BB6_14192 Depth=3
	s_or_b32 exec_lo, exec_lo, s75
	v_and_b32_e32 v0, 0x80000000, v16
	s_delay_alu instid0(VALU_DEP_1) | instskip(NEXT) | instid1(VALU_DEP_1)
	v_lshl_add_u32 v0, v2, 23, v0
	v_lshl_or_b32 v0, v1, 21, v0
                                        ; implicit-def: $vgpr1
	s_delay_alu instid0(VALU_DEP_1)
	v_add_nc_u32_e32 v3, 0x38000000, v0
.LBB6_16896:                            ;   in Loop: Header=BB6_14192 Depth=3
	s_and_not1_saveexec_b32 s75, s13
; %bb.16897:                            ;   in Loop: Header=BB6_14192 Depth=3
	v_cmp_lt_i32_e64 s13, -1, v16
	v_mov_b32_e32 v0, 0x7f800000
	v_cmp_eq_u32_e32 vcc_lo, 0, v1
	s_delay_alu instid0(VALU_DEP_2) | instskip(NEXT) | instid1(VALU_DEP_1)
	v_cndmask_b32_e64 v0, 0xff800000, v0, s13
	v_cndmask_b32_e32 v3, 0x7f800001, v0, vcc_lo
; %bb.16898:                            ;   in Loop: Header=BB6_14192 Depth=3
	s_or_b32 exec_lo, exec_lo, s75
.LBB6_16899:                            ;   in Loop: Header=BB6_14192 Depth=3
	s_delay_alu instid0(SALU_CYCLE_1)
	s_or_b32 exec_lo, exec_lo, s74
.LBB6_16900:                            ;   in Loop: Header=BB6_14192 Depth=3
	s_delay_alu instid0(SALU_CYCLE_1) | instskip(NEXT) | instid1(VALU_DEP_1)
	s_or_b32 exec_lo, exec_lo, s73
	v_dual_add_f32 v2, v4, v3 :: v_dual_mov_b32 v5, v113
	v_mov_b32_e32 v1, v113
                                        ; implicit-def: $vgpr42
	s_mov_b32 s13, exec_lo
	s_delay_alu instid0(VALU_DEP_2) | instskip(SKIP_2) | instid1(VALU_DEP_3)
	v_and_b32_e32 v4, 0x7f800000, v2
	v_and_b32_e32 v0, 0x7fffff, v2
	v_lshrrev_b32_e32 v3, 24, v2
	v_cmpx_ne_u64_e32 0x7f800000, v[4:5]
	s_xor_b32 s73, exec_lo, s13
	s_cbranch_execz .LBB6_16914
; %bb.16901:                            ;   in Loop: Header=BB6_14192 Depth=3
	v_and_b32_e32 v4, 0x7fffffff, v2
	v_mov_b32_e32 v5, v113
                                        ; implicit-def: $vgpr42
	s_delay_alu instid0(VALU_DEP_1) | instskip(SKIP_2) | instid1(SALU_CYCLE_1)
	v_cmp_gt_u64_e32 vcc_lo, 0x47600001, v[4:5]
	v_and_b32_e32 v4, 0x80, v3
	s_and_saveexec_b32 s13, vcc_lo
	s_xor_b32 s74, exec_lo, s13
	s_cbranch_execz .LBB6_16911
; %bb.16902:                            ;   in Loop: Header=BB6_14192 Depth=3
	v_mov_b32_e32 v42, 0
	s_mov_b32 s75, exec_lo
	v_cmpx_ne_u32_e32 0, v2
	s_cbranch_execz .LBB6_16910
; %bb.16903:                            ;   in Loop: Header=BB6_14192 Depth=3
	v_bfe_u32 v5, v2, 23, 8
	v_or_b32_e32 v3, 0x800000, v0
	s_delay_alu instid0(VALU_DEP_2) | instskip(SKIP_2) | instid1(VALU_DEP_2)
	v_cmp_gt_u32_e64 s13, 0x72, v5
	v_sub_nc_u32_e32 v2, 0x71, v5
	v_cmp_eq_u32_e32 vcc_lo, 0, v5
	v_dual_cndmask_b32 v2, 0, v2, s13 :: v_dual_cndmask_b32 v0, v3, v0, vcc_lo
	s_delay_alu instid0(VALU_DEP_1) | instskip(NEXT) | instid1(VALU_DEP_1)
	v_cndmask_b32_e64 v42, v2, 0x70, vcc_lo
	v_dual_add_nc_u32 v2, 21, v42 :: v_dual_add_nc_u32 v44, 20, v42
	s_delay_alu instid0(VALU_DEP_1) | instskip(NEXT) | instid1(VALU_DEP_2)
	v_lshlrev_b64_e64 v[2:3], v2, -1
	v_lshlrev_b64_e64 v[46:47], v44, 1
	s_delay_alu instid0(VALU_DEP_2) | instskip(SKIP_1) | instid1(VALU_DEP_4)
	v_bfi_b32 v2, v2, 0, v0
	v_lshrrev_b64 v[0:1], v42, v[0:1]
	v_bfi_b32 v3, v3, 0, 0
	s_delay_alu instid0(VALU_DEP_1) | instskip(NEXT) | instid1(VALU_DEP_3)
	v_cmp_eq_u64_e64 s13, v[2:3], v[46:47]
	v_mov_b64_e32 v[2:3], v[0:1]
	s_and_saveexec_b32 s76, s13
; %bb.16904:                            ;   in Loop: Header=BB6_14192 Depth=3
	v_bfe_u32 v2, v0, 21, 1
	v_mov_b32_e32 v3, v113
	s_delay_alu instid0(VALU_DEP_1) | instskip(NEXT) | instid1(VALU_DEP_1)
	v_add_nc_u64_e32 v[2:3], v[0:1], v[2:3]
	v_add_nc_u64_e32 v[2:3], -1, v[2:3]
; %bb.16905:                            ;   in Loop: Header=BB6_14192 Depth=3
	s_or_b32 exec_lo, exec_lo, s76
	v_add_nc_u32_e32 v1, 0xffffff81, v5
	v_lshrrev_b32_e32 v3, 23, v0
	s_mov_b32 s13, exec_lo
	s_delay_alu instid0(VALU_DEP_2) | instskip(NEXT) | instid1(VALU_DEP_1)
	v_cndmask_b32_e64 v1, v1, 0xffffff82, vcc_lo
	v_add3_u32 v5, v42, v1, v3
	v_and_b32_e32 v1, 0x1fffff, v2
                                        ; implicit-def: $vgpr2
	s_delay_alu instid0(VALU_DEP_1) | instskip(SKIP_1) | instid1(VALU_DEP_2)
	v_dual_add_nc_u32 v3, 14, v5 :: v_dual_add_nc_u32 v0, v1, v0
	v_mov_b32_e32 v1, v113
	v_cmpx_ne_u32_e32 0, v3
	s_xor_b32 s13, exec_lo, s13
; %bb.16906:                            ;   in Loop: Header=BB6_14192 Depth=3
	s_delay_alu instid0(VALU_DEP_2) | instskip(SKIP_1) | instid1(VALU_DEP_1)
	v_cmp_lt_u64_e32 vcc_lo, 0xffffff, v[0:1]
	v_add_nc_u32_e32 v2, 15, v5
	v_cndmask_b32_e32 v2, v3, v2, vcc_lo
	v_cndmask_b32_e64 v3, 0, 1, vcc_lo
	s_delay_alu instid0(VALU_DEP_1)
	v_lshrrev_b64 v[0:1], v3, v[0:1]
; %bb.16907:                            ;   in Loop: Header=BB6_14192 Depth=3
	s_and_not1_saveexec_b32 s13, s13
; %bb.16908:                            ;   in Loop: Header=BB6_14192 Depth=3
	s_delay_alu instid0(VALU_DEP_1)
	v_bfe_u32 v2, v0, 23, 1
; %bb.16909:                            ;   in Loop: Header=BB6_14192 Depth=3
	s_or_b32 exec_lo, exec_lo, s13
	s_delay_alu instid0(VALU_DEP_2) | instskip(NEXT) | instid1(VALU_DEP_2)
	v_lshrrev_b64 v[0:1], 21, v[0:1]
	v_cmp_gt_i32_e32 vcc_lo, 32, v2
	v_min_i32_e32 v3, 31, v2
	v_cmp_eq_u32_e64 s13, 0, v2
	s_delay_alu instid0(VALU_DEP_2) | instskip(SKIP_1) | instid1(VALU_DEP_2)
	v_dual_cndmask_b32 v1, 0, v1, vcc_lo :: v_dual_lshlrev_b32 v3, 2, v3
	v_cndmask_b32_e32 v0, 3, v0, vcc_lo
	v_and_b32_e32 v3, 0xfc, v3
	s_delay_alu instid0(VALU_DEP_2) | instskip(NEXT) | instid1(VALU_DEP_2)
	v_cmp_eq_u64_e32 vcc_lo, 0, v[0:1]
	v_and_or_b32 v0, v0, 3, v3
	s_and_b32 s13, s13, vcc_lo
	s_delay_alu instid0(VALU_DEP_1) | instid1(SALU_CYCLE_1)
	v_cndmask_b32_e64 v0, v0, 0, s13
	s_delay_alu instid0(VALU_DEP_1)
	v_or_b32_e32 v42, v0, v4
.LBB6_16910:                            ;   in Loop: Header=BB6_14192 Depth=3
	s_or_b32 exec_lo, exec_lo, s75
                                        ; implicit-def: $vgpr4
.LBB6_16911:                            ;   in Loop: Header=BB6_14192 Depth=3
	s_and_not1_saveexec_b32 s13, s74
; %bb.16912:                            ;   in Loop: Header=BB6_14192 Depth=3
	v_or_b32_e32 v42, 0x7b, v4
; %bb.16913:                            ;   in Loop: Header=BB6_14192 Depth=3
	s_or_b32 exec_lo, exec_lo, s13
                                        ; implicit-def: $vgpr2
                                        ; implicit-def: $vgpr0_vgpr1
                                        ; implicit-def: $vgpr3
.LBB6_16914:                            ;   in Loop: Header=BB6_14192 Depth=3
	s_and_not1_saveexec_b32 s13, s73
	s_cbranch_execz .LBB6_16920
; %bb.16915:                            ;   in Loop: Header=BB6_14192 Depth=3
	s_mov_b32 s73, exec_lo
                                        ; implicit-def: $vgpr42
	v_cmpx_ne_u64_e32 0, v[0:1]
	s_xor_b32 s73, exec_lo, s73
; %bb.16916:                            ;   in Loop: Header=BB6_14192 Depth=3
	v_or_b32_e32 v42, 0x7f, v3
                                        ; implicit-def: $vgpr2
; %bb.16917:                            ;   in Loop: Header=BB6_14192 Depth=3
	s_and_not1_saveexec_b32 s73, s73
; %bb.16918:                            ;   in Loop: Header=BB6_14192 Depth=3
	v_cmp_lt_i32_e32 vcc_lo, -1, v2
	v_mov_b32_e32 v0, 0x7c
	s_delay_alu instid0(VALU_DEP_1)
	v_cndmask_b32_e32 v42, 0xfc, v0, vcc_lo
; %bb.16919:                            ;   in Loop: Header=BB6_14192 Depth=3
	s_or_b32 exec_lo, exec_lo, s73
.LBB6_16920:                            ;   in Loop: Header=BB6_14192 Depth=3
	s_delay_alu instid0(SALU_CYCLE_1) | instskip(SKIP_4) | instid1(VALU_DEP_1)
	s_or_b32 exec_lo, exec_lo, s13
	v_lshl_or_b32 v112, v112, 8, v100
	v_dual_mov_b32 v1, v113 :: v_dual_lshlrev_b32 v0, 16, v117
	v_dual_mov_b32 v3, 0 :: v_dual_lshlrev_b32 v2, 24, v41
	s_mov_b32 s73, exec_lo
	v_or3_b32 v0, v0, v2, v112
	v_mov_b32_e32 v2, 0
	v_cmpx_ne_u32_e32 0, v100
	s_cbranch_execz .LBB6_16930
; %bb.16921:                            ;   in Loop: Header=BB6_14192 Depth=3
	v_bfrev_b32_e32 v2, 1
	s_mov_b32 s74, exec_lo
	v_cmpx_ne_u32_e32 0x80, v100
	s_cbranch_execz .LBB6_16929
; %bb.16922:                            ;   in Loop: Header=BB6_14192 Depth=3
	v_and_b32_e32 v2, 0x7c, v100
	v_and_b32_e32 v4, 3, v100
	s_delay_alu instid0(VALU_DEP_2) | instskip(SKIP_1) | instid1(SALU_CYCLE_1)
	v_cmp_ne_u32_e32 vcc_lo, 0x7c, v2
                                        ; implicit-def: $vgpr2
	s_and_saveexec_b32 s13, vcc_lo
	s_xor_b32 s13, exec_lo, s13
	s_cbranch_execz .LBB6_16926
; %bb.16923:                            ;   in Loop: Header=BB6_14192 Depth=3
	v_bfe_u32 v2, v100, 2, 5
	s_mov_b32 s75, exec_lo
	s_delay_alu instid0(VALU_DEP_1)
	v_cmpx_eq_u32_e32 0, v2
; %bb.16924:                            ;   in Loop: Header=BB6_14192 Depth=3
	v_clz_i32_u32_e32 v2, v4
	s_delay_alu instid0(VALU_DEP_1) | instskip(NEXT) | instid1(VALU_DEP_1)
	v_min_u32_e32 v2, 32, v2
	v_subrev_nc_u32_e32 v4, 29, v2
	s_delay_alu instid0(VALU_DEP_1) | instskip(NEXT) | instid1(VALU_DEP_1)
	v_lshlrev_b64_e32 v[4:5], v4, v[0:1]
	v_dual_sub_nc_u32 v2, 30, v2 :: v_dual_bitop2_b32 v4, 3, v4 bitop3:0x40
; %bb.16925:                            ;   in Loop: Header=BB6_14192 Depth=3
	s_or_b32 exec_lo, exec_lo, s75
	v_lshlrev_b32_e32 v1, 24, v100
                                        ; implicit-def: $vgpr100
	s_delay_alu instid0(VALU_DEP_1) | instskip(NEXT) | instid1(VALU_DEP_1)
	v_and_b32_e32 v1, 0x80000000, v1
	v_lshl_add_u32 v1, v2, 23, v1
	s_delay_alu instid0(VALU_DEP_1) | instskip(NEXT) | instid1(VALU_DEP_1)
	v_lshl_or_b32 v1, v4, 21, v1
                                        ; implicit-def: $vgpr4
	v_add_nc_u32_e32 v2, 0x38000000, v1
.LBB6_16926:                            ;   in Loop: Header=BB6_14192 Depth=3
	s_and_not1_saveexec_b32 s75, s13
; %bb.16927:                            ;   in Loop: Header=BB6_14192 Depth=3
	v_and_b32_e32 v1, 0x80, v100
	v_cmp_eq_u32_e32 vcc_lo, 0, v4
	s_delay_alu instid0(VALU_DEP_2) | instskip(SKIP_1) | instid1(VALU_DEP_1)
	v_cmp_eq_u32_e64 s13, 0, v1
	v_mov_b32_e32 v1, 0x7f800000
	v_cndmask_b32_e64 v1, 0xff800000, v1, s13
	s_delay_alu instid0(VALU_DEP_1)
	v_cndmask_b32_e32 v2, 0x7f800001, v1, vcc_lo
; %bb.16928:                            ;   in Loop: Header=BB6_14192 Depth=3
	s_or_b32 exec_lo, exec_lo, s75
.LBB6_16929:                            ;   in Loop: Header=BB6_14192 Depth=3
	s_delay_alu instid0(SALU_CYCLE_1)
	s_or_b32 exec_lo, exec_lo, s74
.LBB6_16930:                            ;   in Loop: Header=BB6_14192 Depth=3
	s_delay_alu instid0(SALU_CYCLE_1) | instskip(SKIP_2) | instid1(VALU_DEP_1)
	s_or_b32 exec_lo, exec_lo, s73
	v_and_b32_e32 v1, 0xff, v17
	s_mov_b32 s73, exec_lo
	v_cmpx_ne_u16_e32 0, v1
	s_cbranch_execz .LBB6_16940
; %bb.16931:                            ;   in Loop: Header=BB6_14192 Depth=3
	v_bfrev_b32_e32 v3, 1
	s_mov_b32 s74, exec_lo
	v_cmpx_ne_u16_e32 0x80, v1
	s_cbranch_execz .LBB6_16939
; %bb.16932:                            ;   in Loop: Header=BB6_14192 Depth=3
	v_and_b32_e32 v3, 0x7c, v17
	v_and_b32_e32 v1, 3, v17
	s_delay_alu instid0(VALU_DEP_2) | instskip(SKIP_1) | instid1(SALU_CYCLE_1)
	v_cmp_ne_u32_e32 vcc_lo, 0x7c, v3
                                        ; implicit-def: $vgpr3
	s_and_saveexec_b32 s13, vcc_lo
	s_xor_b32 s13, exec_lo, s13
	s_cbranch_execz .LBB6_16936
; %bb.16933:                            ;   in Loop: Header=BB6_14192 Depth=3
	v_bfe_u32 v3, v17, 2, 5
	s_mov_b32 s75, exec_lo
	s_delay_alu instid0(VALU_DEP_1)
	v_cmpx_eq_u32_e32 0, v3
; %bb.16934:                            ;   in Loop: Header=BB6_14192 Depth=3
	v_clz_i32_u32_e32 v1, v1
	v_dual_mov_b32 v4, v17 :: v_dual_mov_b32 v5, v113
	s_delay_alu instid0(VALU_DEP_2) | instskip(NEXT) | instid1(VALU_DEP_1)
	v_min_u32_e32 v1, 32, v1
	v_subrev_nc_u32_e32 v3, 29, v1
	s_delay_alu instid0(VALU_DEP_1) | instskip(NEXT) | instid1(VALU_DEP_1)
	v_lshlrev_b64_e32 v[4:5], v3, v[4:5]
	v_dual_sub_nc_u32 v3, 30, v1 :: v_dual_bitop2_b32 v1, 3, v4 bitop3:0x40
; %bb.16935:                            ;   in Loop: Header=BB6_14192 Depth=3
	s_or_b32 exec_lo, exec_lo, s75
	v_lshlrev_b32_e32 v4, 24, v17
	s_delay_alu instid0(VALU_DEP_1) | instskip(NEXT) | instid1(VALU_DEP_1)
	v_and_b32_e32 v4, 0x80000000, v4
	v_lshl_add_u32 v3, v3, 23, v4
	s_delay_alu instid0(VALU_DEP_1) | instskip(NEXT) | instid1(VALU_DEP_1)
	v_lshl_or_b32 v1, v1, 21, v3
	v_add_nc_u32_e32 v3, 0x38000000, v1
                                        ; implicit-def: $vgpr1
.LBB6_16936:                            ;   in Loop: Header=BB6_14192 Depth=3
	s_and_not1_saveexec_b32 s75, s13
; %bb.16937:                            ;   in Loop: Header=BB6_14192 Depth=3
	v_bfe_i32 v3, v17, 0, 8
	v_cmp_eq_u32_e32 vcc_lo, 0, v1
	v_mov_b32_e32 v1, 0x7f800000
	s_delay_alu instid0(VALU_DEP_3) | instskip(NEXT) | instid1(VALU_DEP_1)
	v_cmp_lt_i16_e64 s13, -1, v3
	v_cndmask_b32_e64 v1, 0xff800000, v1, s13
	s_delay_alu instid0(VALU_DEP_1)
	v_cndmask_b32_e32 v3, 0x7f800001, v1, vcc_lo
; %bb.16938:                            ;   in Loop: Header=BB6_14192 Depth=3
	s_or_b32 exec_lo, exec_lo, s75
.LBB6_16939:                            ;   in Loop: Header=BB6_14192 Depth=3
	s_delay_alu instid0(SALU_CYCLE_1)
	s_or_b32 exec_lo, exec_lo, s74
.LBB6_16940:                            ;   in Loop: Header=BB6_14192 Depth=3
	s_delay_alu instid0(SALU_CYCLE_1) | instskip(NEXT) | instid1(VALU_DEP_1)
	s_or_b32 exec_lo, exec_lo, s73
	v_dual_add_f32 v4, v2, v3 :: v_dual_mov_b32 v47, v113
	v_mov_b32_e32 v3, v113
                                        ; implicit-def: $vgpr100
	s_mov_b32 s13, exec_lo
	s_delay_alu instid0(VALU_DEP_2) | instskip(SKIP_2) | instid1(VALU_DEP_3)
	v_and_b32_e32 v46, 0x7f800000, v4
	v_and_b32_e32 v2, 0x7fffff, v4
	v_lshrrev_b32_e32 v1, 24, v4
	v_cmpx_ne_u64_e32 0x7f800000, v[46:47]
	s_xor_b32 s73, exec_lo, s13
	s_cbranch_execz .LBB6_16954
; %bb.16941:                            ;   in Loop: Header=BB6_14192 Depth=3
	v_and_b32_e32 v46, 0x7fffffff, v4
	v_mov_b32_e32 v47, v113
	v_and_b32_e32 v1, 0x80, v1
                                        ; implicit-def: $vgpr100
	s_mov_b32 s13, exec_lo
	s_delay_alu instid0(VALU_DEP_2)
	v_cmpx_gt_u64_e32 0x47600001, v[46:47]
	s_xor_b32 s74, exec_lo, s13
	s_cbranch_execz .LBB6_16951
; %bb.16942:                            ;   in Loop: Header=BB6_14192 Depth=3
	v_mov_b32_e32 v100, 0
	s_mov_b32 s75, exec_lo
	v_cmpx_ne_u32_e32 0, v4
	s_cbranch_execz .LBB6_16950
; %bb.16943:                            ;   in Loop: Header=BB6_14192 Depth=3
	v_bfe_u32 v100, v4, 23, 8
	v_or_b32_e32 v5, 0x800000, v2
	s_delay_alu instid0(VALU_DEP_2) | instskip(SKIP_2) | instid1(VALU_DEP_2)
	v_cmp_gt_u32_e64 s13, 0x72, v100
	v_sub_nc_u32_e32 v4, 0x71, v100
	v_cmp_eq_u32_e32 vcc_lo, 0, v100
	v_dual_cndmask_b32 v4, 0, v4, s13 :: v_dual_cndmask_b32 v2, v5, v2, vcc_lo
	s_delay_alu instid0(VALU_DEP_1) | instskip(NEXT) | instid1(VALU_DEP_1)
	v_cndmask_b32_e64 v117, v4, 0x70, vcc_lo
	v_dual_add_nc_u32 v4, 21, v117 :: v_dual_add_nc_u32 v41, 20, v117
	s_delay_alu instid0(VALU_DEP_1) | instskip(NEXT) | instid1(VALU_DEP_2)
	v_lshlrev_b64_e64 v[4:5], v4, -1
	v_lshlrev_b64_e64 v[46:47], v41, 1
	s_delay_alu instid0(VALU_DEP_2) | instskip(SKIP_1) | instid1(VALU_DEP_4)
	v_bfi_b32 v4, v4, 0, v2
	v_lshrrev_b64 v[2:3], v117, v[2:3]
	v_bfi_b32 v5, v5, 0, 0
	s_delay_alu instid0(VALU_DEP_1) | instskip(NEXT) | instid1(VALU_DEP_3)
	v_cmp_eq_u64_e64 s13, v[4:5], v[46:47]
	v_mov_b64_e32 v[4:5], v[2:3]
	s_and_saveexec_b32 s76, s13
; %bb.16944:                            ;   in Loop: Header=BB6_14192 Depth=3
	v_bfe_u32 v4, v2, 21, 1
	v_mov_b32_e32 v5, v113
	s_delay_alu instid0(VALU_DEP_1) | instskip(NEXT) | instid1(VALU_DEP_1)
	v_add_nc_u64_e32 v[4:5], v[2:3], v[4:5]
	v_add_nc_u64_e32 v[4:5], -1, v[4:5]
; %bb.16945:                            ;   in Loop: Header=BB6_14192 Depth=3
	s_or_b32 exec_lo, exec_lo, s76
	v_add_nc_u32_e32 v3, 0xffffff81, v100
	v_lshrrev_b32_e32 v5, 23, v2
	s_mov_b32 s13, exec_lo
	s_delay_alu instid0(VALU_DEP_2) | instskip(NEXT) | instid1(VALU_DEP_1)
	v_cndmask_b32_e64 v3, v3, 0xffffff82, vcc_lo
	v_add3_u32 v100, v117, v3, v5
	v_and_b32_e32 v3, 0x1fffff, v4
                                        ; implicit-def: $vgpr4
	s_delay_alu instid0(VALU_DEP_1) | instskip(SKIP_1) | instid1(VALU_DEP_2)
	v_dual_add_nc_u32 v5, 14, v100 :: v_dual_add_nc_u32 v2, v3, v2
	v_mov_b32_e32 v3, v113
	v_cmpx_ne_u32_e32 0, v5
	s_xor_b32 s13, exec_lo, s13
; %bb.16946:                            ;   in Loop: Header=BB6_14192 Depth=3
	s_delay_alu instid0(VALU_DEP_2) | instskip(SKIP_1) | instid1(VALU_DEP_1)
	v_cmp_lt_u64_e32 vcc_lo, 0xffffff, v[2:3]
	v_add_nc_u32_e32 v4, 15, v100
	v_cndmask_b32_e32 v4, v5, v4, vcc_lo
	v_cndmask_b32_e64 v5, 0, 1, vcc_lo
	s_delay_alu instid0(VALU_DEP_1)
	v_lshrrev_b64 v[2:3], v5, v[2:3]
; %bb.16947:                            ;   in Loop: Header=BB6_14192 Depth=3
	s_and_not1_saveexec_b32 s13, s13
; %bb.16948:                            ;   in Loop: Header=BB6_14192 Depth=3
	s_delay_alu instid0(VALU_DEP_1)
	v_bfe_u32 v4, v2, 23, 1
; %bb.16949:                            ;   in Loop: Header=BB6_14192 Depth=3
	s_or_b32 exec_lo, exec_lo, s13
	s_delay_alu instid0(VALU_DEP_2) | instskip(NEXT) | instid1(VALU_DEP_2)
	v_lshrrev_b64 v[2:3], 21, v[2:3]
	v_cmp_gt_i32_e32 vcc_lo, 32, v4
	v_min_i32_e32 v5, 31, v4
	v_cmp_eq_u32_e64 s13, 0, v4
	s_delay_alu instid0(VALU_DEP_2) | instskip(SKIP_1) | instid1(VALU_DEP_2)
	v_dual_cndmask_b32 v3, 0, v3, vcc_lo :: v_dual_lshlrev_b32 v5, 2, v5
	v_cndmask_b32_e32 v2, 3, v2, vcc_lo
	v_and_b32_e32 v5, 0xfc, v5
	s_delay_alu instid0(VALU_DEP_2) | instskip(NEXT) | instid1(VALU_DEP_2)
	v_cmp_eq_u64_e32 vcc_lo, 0, v[2:3]
	v_and_or_b32 v2, v2, 3, v5
	s_and_b32 s13, s13, vcc_lo
	s_delay_alu instid0(VALU_DEP_1) | instid1(SALU_CYCLE_1)
	v_cndmask_b32_e64 v2, v2, 0, s13
	s_delay_alu instid0(VALU_DEP_1)
	v_or_b32_e32 v100, v2, v1
.LBB6_16950:                            ;   in Loop: Header=BB6_14192 Depth=3
	s_or_b32 exec_lo, exec_lo, s75
                                        ; implicit-def: $vgpr1
.LBB6_16951:                            ;   in Loop: Header=BB6_14192 Depth=3
	s_and_not1_saveexec_b32 s13, s74
; %bb.16952:                            ;   in Loop: Header=BB6_14192 Depth=3
	v_or_b32_e32 v100, 0x7b, v1
; %bb.16953:                            ;   in Loop: Header=BB6_14192 Depth=3
	s_or_b32 exec_lo, exec_lo, s13
                                        ; implicit-def: $vgpr4
                                        ; implicit-def: $vgpr2_vgpr3
                                        ; implicit-def: $vgpr1
.LBB6_16954:                            ;   in Loop: Header=BB6_14192 Depth=3
	s_and_not1_saveexec_b32 s13, s73
	s_cbranch_execz .LBB6_16960
; %bb.16955:                            ;   in Loop: Header=BB6_14192 Depth=3
	s_mov_b32 s73, exec_lo
                                        ; implicit-def: $vgpr100
	v_cmpx_ne_u64_e32 0, v[2:3]
	s_xor_b32 s73, exec_lo, s73
; %bb.16956:                            ;   in Loop: Header=BB6_14192 Depth=3
	v_or_b32_e32 v100, 0x7f, v1
                                        ; implicit-def: $vgpr4
; %bb.16957:                            ;   in Loop: Header=BB6_14192 Depth=3
	s_and_not1_saveexec_b32 s73, s73
; %bb.16958:                            ;   in Loop: Header=BB6_14192 Depth=3
	v_cmp_lt_i32_e32 vcc_lo, -1, v4
	v_mov_b32_e32 v1, 0x7c
	s_delay_alu instid0(VALU_DEP_1)
	v_cndmask_b32_e32 v100, 0xfc, v1, vcc_lo
; %bb.16959:                            ;   in Loop: Header=BB6_14192 Depth=3
	s_or_b32 exec_lo, exec_lo, s73
.LBB6_16960:                            ;   in Loop: Header=BB6_14192 Depth=3
	s_delay_alu instid0(SALU_CYCLE_1) | instskip(SKIP_3) | instid1(VALU_DEP_2)
	s_or_b32 exec_lo, exec_lo, s13
	v_lshrrev_b16 v2, 8, v112
	v_dual_mov_b32 v1, 0 :: v_dual_mov_b32 v4, 0
	s_mov_b32 s73, exec_lo
	v_cmpx_ne_u16_e32 0, v2
	s_cbranch_execz .LBB6_16970
; %bb.16961:                            ;   in Loop: Header=BB6_14192 Depth=3
	v_bfrev_b32_e32 v4, 1
	s_mov_b32 s74, exec_lo
	v_cmpx_ne_u16_e32 0x80, v2
	s_cbranch_execz .LBB6_16969
; %bb.16962:                            ;   in Loop: Header=BB6_14192 Depth=3
	v_and_b32_e32 v5, 0xffff, v2
	s_delay_alu instid0(VALU_DEP_1) | instskip(SKIP_1) | instid1(VALU_DEP_2)
	v_and_b32_e32 v4, 0x7c, v5
	v_and_b32_e32 v3, 3, v5
	v_cmp_ne_u32_e32 vcc_lo, 0x7c, v4
                                        ; implicit-def: $vgpr4
	s_and_saveexec_b32 s13, vcc_lo
	s_delay_alu instid0(SALU_CYCLE_1)
	s_xor_b32 s13, exec_lo, s13
	s_cbranch_execz .LBB6_16966
; %bb.16963:                            ;   in Loop: Header=BB6_14192 Depth=3
	v_bfe_u32 v4, v5, 2, 5
	s_mov_b32 s75, exec_lo
	s_delay_alu instid0(VALU_DEP_1)
	v_cmpx_eq_u32_e32 0, v4
	s_cbranch_execz .LBB6_16965
; %bb.16964:                            ;   in Loop: Header=BB6_14192 Depth=3
	v_clz_i32_u32_e32 v3, v3
	s_delay_alu instid0(VALU_DEP_1) | instskip(SKIP_1) | instid1(VALU_DEP_2)
	v_min_u32_e32 v4, 32, v3
	v_mov_b32_e32 v3, v113
	v_subrev_nc_u32_e32 v5, 29, v4
	v_sub_nc_u32_e32 v4, 30, v4
	s_delay_alu instid0(VALU_DEP_2) | instskip(NEXT) | instid1(VALU_DEP_1)
	v_lshlrev_b64_e32 v[2:3], v5, v[2:3]
	v_and_b32_e32 v3, 3, v2
.LBB6_16965:                            ;   in Loop: Header=BB6_14192 Depth=3
	s_or_b32 exec_lo, exec_lo, s75
	v_lshlrev_b32_e32 v2, 16, v112
                                        ; implicit-def: $vgpr112
	s_delay_alu instid0(VALU_DEP_1) | instskip(NEXT) | instid1(VALU_DEP_1)
	v_and_b32_e32 v2, 0x80000000, v2
	v_lshl_add_u32 v2, v4, 23, v2
	s_delay_alu instid0(VALU_DEP_1) | instskip(NEXT) | instid1(VALU_DEP_1)
	v_lshl_or_b32 v2, v3, 21, v2
                                        ; implicit-def: $vgpr3
	v_add_nc_u32_e32 v4, 0x38000000, v2
.LBB6_16966:                            ;   in Loop: Header=BB6_14192 Depth=3
	s_and_not1_saveexec_b32 s75, s13
; %bb.16967:                            ;   in Loop: Header=BB6_14192 Depth=3
	v_cmp_lt_i16_e64 s13, -1, v112
	v_mov_b32_e32 v2, 0x7f800000
	v_cmp_eq_u32_e32 vcc_lo, 0, v3
	s_delay_alu instid0(VALU_DEP_2) | instskip(NEXT) | instid1(VALU_DEP_1)
	v_cndmask_b32_e64 v2, 0xff800000, v2, s13
	v_cndmask_b32_e32 v4, 0x7f800001, v2, vcc_lo
; %bb.16968:                            ;   in Loop: Header=BB6_14192 Depth=3
	s_or_b32 exec_lo, exec_lo, s75
.LBB6_16969:                            ;   in Loop: Header=BB6_14192 Depth=3
	s_delay_alu instid0(SALU_CYCLE_1)
	s_or_b32 exec_lo, exec_lo, s74
.LBB6_16970:                            ;   in Loop: Header=BB6_14192 Depth=3
	s_delay_alu instid0(SALU_CYCLE_1) | instskip(SKIP_2) | instid1(VALU_DEP_1)
	s_or_b32 exec_lo, exec_lo, s73
	v_lshrrev_b16 v2, 8, v17
	s_mov_b32 s73, exec_lo
	v_cmpx_ne_u16_e32 0, v2
	s_cbranch_execz .LBB6_16980
; %bb.16971:                            ;   in Loop: Header=BB6_14192 Depth=3
	v_bfrev_b32_e32 v1, 1
	s_mov_b32 s74, exec_lo
	v_cmpx_ne_u16_e32 0x80, v2
	s_cbranch_execz .LBB6_16979
; %bb.16972:                            ;   in Loop: Header=BB6_14192 Depth=3
	v_and_b32_e32 v5, 0xffff, v2
	s_delay_alu instid0(VALU_DEP_1) | instskip(SKIP_1) | instid1(VALU_DEP_2)
	v_and_b32_e32 v1, 0x7c, v5
	v_and_b32_e32 v3, 3, v5
	v_cmp_ne_u32_e32 vcc_lo, 0x7c, v1
                                        ; implicit-def: $vgpr1
	s_and_saveexec_b32 s13, vcc_lo
	s_delay_alu instid0(SALU_CYCLE_1)
	s_xor_b32 s13, exec_lo, s13
	s_cbranch_execz .LBB6_16976
; %bb.16973:                            ;   in Loop: Header=BB6_14192 Depth=3
	v_bfe_u32 v1, v5, 2, 5
	s_mov_b32 s75, exec_lo
	s_delay_alu instid0(VALU_DEP_1)
	v_cmpx_eq_u32_e32 0, v1
	s_cbranch_execz .LBB6_16975
; %bb.16974:                            ;   in Loop: Header=BB6_14192 Depth=3
	v_clz_i32_u32_e32 v1, v3
	s_delay_alu instid0(VALU_DEP_1) | instskip(SKIP_1) | instid1(VALU_DEP_2)
	v_min_u32_e32 v1, 32, v1
	v_mov_b32_e32 v3, v113
	v_subrev_nc_u32_e32 v5, 29, v1
	v_sub_nc_u32_e32 v1, 30, v1
	s_delay_alu instid0(VALU_DEP_2) | instskip(NEXT) | instid1(VALU_DEP_1)
	v_lshlrev_b64_e32 v[2:3], v5, v[2:3]
	v_and_b32_e32 v3, 3, v2
.LBB6_16975:                            ;   in Loop: Header=BB6_14192 Depth=3
	s_or_b32 exec_lo, exec_lo, s75
	v_lshlrev_b32_e32 v2, 16, v17
	s_delay_alu instid0(VALU_DEP_1) | instskip(NEXT) | instid1(VALU_DEP_1)
	v_and_b32_e32 v2, 0x80000000, v2
	v_lshl_add_u32 v1, v1, 23, v2
	s_delay_alu instid0(VALU_DEP_1) | instskip(NEXT) | instid1(VALU_DEP_1)
	v_lshl_or_b32 v1, v3, 21, v1
                                        ; implicit-def: $vgpr3
	v_add_nc_u32_e32 v1, 0x38000000, v1
.LBB6_16976:                            ;   in Loop: Header=BB6_14192 Depth=3
	s_and_not1_saveexec_b32 s75, s13
; %bb.16977:                            ;   in Loop: Header=BB6_14192 Depth=3
	v_cmp_lt_i16_e64 s13, -1, v17
	v_mov_b32_e32 v1, 0x7f800000
	v_cmp_eq_u32_e32 vcc_lo, 0, v3
	s_delay_alu instid0(VALU_DEP_2) | instskip(NEXT) | instid1(VALU_DEP_1)
	v_cndmask_b32_e64 v1, 0xff800000, v1, s13
	v_cndmask_b32_e32 v1, 0x7f800001, v1, vcc_lo
; %bb.16978:                            ;   in Loop: Header=BB6_14192 Depth=3
	s_or_b32 exec_lo, exec_lo, s75
.LBB6_16979:                            ;   in Loop: Header=BB6_14192 Depth=3
	s_delay_alu instid0(SALU_CYCLE_1)
	s_or_b32 exec_lo, exec_lo, s74
.LBB6_16980:                            ;   in Loop: Header=BB6_14192 Depth=3
	s_delay_alu instid0(SALU_CYCLE_1) | instskip(NEXT) | instid1(VALU_DEP_1)
	s_or_b32 exec_lo, exec_lo, s73
	v_dual_add_f32 v4, v4, v1 :: v_dual_mov_b32 v47, v113
	v_mov_b32_e32 v3, v113
                                        ; implicit-def: $vgpr112
	s_mov_b32 s13, exec_lo
	s_delay_alu instid0(VALU_DEP_2) | instskip(SKIP_2) | instid1(VALU_DEP_3)
	v_and_b32_e32 v46, 0x7f800000, v4
	v_and_b32_e32 v2, 0x7fffff, v4
	v_lshrrev_b32_e32 v1, 24, v4
	v_cmpx_ne_u64_e32 0x7f800000, v[46:47]
	s_xor_b32 s73, exec_lo, s13
	s_cbranch_execz .LBB6_16994
; %bb.16981:                            ;   in Loop: Header=BB6_14192 Depth=3
	v_and_b32_e32 v46, 0x7fffffff, v4
	v_mov_b32_e32 v47, v113
	v_and_b32_e32 v1, 0x80, v1
                                        ; implicit-def: $vgpr112
	s_mov_b32 s13, exec_lo
	s_delay_alu instid0(VALU_DEP_2)
	v_cmpx_gt_u64_e32 0x47600001, v[46:47]
	s_xor_b32 s74, exec_lo, s13
	s_cbranch_execz .LBB6_16991
; %bb.16982:                            ;   in Loop: Header=BB6_14192 Depth=3
	v_mov_b32_e32 v112, 0
	s_mov_b32 s75, exec_lo
	v_cmpx_ne_u32_e32 0, v4
	s_cbranch_execz .LBB6_16990
; %bb.16983:                            ;   in Loop: Header=BB6_14192 Depth=3
	v_bfe_u32 v112, v4, 23, 8
	v_or_b32_e32 v5, 0x800000, v2
	s_delay_alu instid0(VALU_DEP_2) | instskip(SKIP_2) | instid1(VALU_DEP_2)
	v_cmp_gt_u32_e64 s13, 0x72, v112
	v_sub_nc_u32_e32 v4, 0x71, v112
	v_cmp_eq_u32_e32 vcc_lo, 0, v112
	v_dual_cndmask_b32 v4, 0, v4, s13 :: v_dual_cndmask_b32 v2, v5, v2, vcc_lo
	s_delay_alu instid0(VALU_DEP_1) | instskip(NEXT) | instid1(VALU_DEP_1)
	v_cndmask_b32_e64 v117, v4, 0x70, vcc_lo
	v_dual_add_nc_u32 v4, 21, v117 :: v_dual_add_nc_u32 v41, 20, v117
	s_delay_alu instid0(VALU_DEP_1) | instskip(NEXT) | instid1(VALU_DEP_2)
	v_lshlrev_b64_e64 v[4:5], v4, -1
	v_lshlrev_b64_e64 v[46:47], v41, 1
	s_delay_alu instid0(VALU_DEP_2) | instskip(SKIP_1) | instid1(VALU_DEP_4)
	v_bfi_b32 v4, v4, 0, v2
	v_lshrrev_b64 v[2:3], v117, v[2:3]
	v_bfi_b32 v5, v5, 0, 0
	s_delay_alu instid0(VALU_DEP_1) | instskip(NEXT) | instid1(VALU_DEP_3)
	v_cmp_eq_u64_e64 s13, v[4:5], v[46:47]
	v_mov_b64_e32 v[4:5], v[2:3]
	s_and_saveexec_b32 s76, s13
; %bb.16984:                            ;   in Loop: Header=BB6_14192 Depth=3
	v_bfe_u32 v4, v2, 21, 1
	v_mov_b32_e32 v5, v113
	s_delay_alu instid0(VALU_DEP_1) | instskip(NEXT) | instid1(VALU_DEP_1)
	v_add_nc_u64_e32 v[4:5], v[2:3], v[4:5]
	v_add_nc_u64_e32 v[4:5], -1, v[4:5]
; %bb.16985:                            ;   in Loop: Header=BB6_14192 Depth=3
	s_or_b32 exec_lo, exec_lo, s76
	v_add_nc_u32_e32 v3, 0xffffff81, v112
	v_lshrrev_b32_e32 v5, 23, v2
	s_mov_b32 s13, exec_lo
	s_delay_alu instid0(VALU_DEP_2) | instskip(NEXT) | instid1(VALU_DEP_1)
	v_cndmask_b32_e64 v3, v3, 0xffffff82, vcc_lo
	v_add3_u32 v112, v117, v3, v5
	v_and_b32_e32 v3, 0x1fffff, v4
                                        ; implicit-def: $vgpr4
	s_delay_alu instid0(VALU_DEP_1) | instskip(SKIP_1) | instid1(VALU_DEP_2)
	v_dual_add_nc_u32 v5, 14, v112 :: v_dual_add_nc_u32 v2, v3, v2
	v_mov_b32_e32 v3, v113
	v_cmpx_ne_u32_e32 0, v5
	s_xor_b32 s13, exec_lo, s13
; %bb.16986:                            ;   in Loop: Header=BB6_14192 Depth=3
	s_delay_alu instid0(VALU_DEP_2) | instskip(SKIP_1) | instid1(VALU_DEP_1)
	v_cmp_lt_u64_e32 vcc_lo, 0xffffff, v[2:3]
	v_add_nc_u32_e32 v4, 15, v112
	v_cndmask_b32_e32 v4, v5, v4, vcc_lo
	v_cndmask_b32_e64 v5, 0, 1, vcc_lo
	s_delay_alu instid0(VALU_DEP_1)
	v_lshrrev_b64 v[2:3], v5, v[2:3]
; %bb.16987:                            ;   in Loop: Header=BB6_14192 Depth=3
	s_and_not1_saveexec_b32 s13, s13
; %bb.16988:                            ;   in Loop: Header=BB6_14192 Depth=3
	s_delay_alu instid0(VALU_DEP_1)
	v_bfe_u32 v4, v2, 23, 1
; %bb.16989:                            ;   in Loop: Header=BB6_14192 Depth=3
	s_or_b32 exec_lo, exec_lo, s13
	s_delay_alu instid0(VALU_DEP_2) | instskip(NEXT) | instid1(VALU_DEP_2)
	v_lshrrev_b64 v[2:3], 21, v[2:3]
	v_cmp_gt_i32_e32 vcc_lo, 32, v4
	v_min_i32_e32 v5, 31, v4
	v_cmp_eq_u32_e64 s13, 0, v4
	s_delay_alu instid0(VALU_DEP_2) | instskip(SKIP_1) | instid1(VALU_DEP_2)
	v_dual_cndmask_b32 v3, 0, v3, vcc_lo :: v_dual_lshlrev_b32 v5, 2, v5
	v_cndmask_b32_e32 v2, 3, v2, vcc_lo
	v_and_b32_e32 v5, 0xfc, v5
	s_delay_alu instid0(VALU_DEP_2) | instskip(NEXT) | instid1(VALU_DEP_2)
	v_cmp_eq_u64_e32 vcc_lo, 0, v[2:3]
	v_and_or_b32 v2, v2, 3, v5
	s_and_b32 s13, s13, vcc_lo
	s_delay_alu instid0(VALU_DEP_1) | instid1(SALU_CYCLE_1)
	v_cndmask_b32_e64 v2, v2, 0, s13
	s_delay_alu instid0(VALU_DEP_1)
	v_or_b32_e32 v112, v2, v1
.LBB6_16990:                            ;   in Loop: Header=BB6_14192 Depth=3
	s_or_b32 exec_lo, exec_lo, s75
                                        ; implicit-def: $vgpr1
.LBB6_16991:                            ;   in Loop: Header=BB6_14192 Depth=3
	s_and_not1_saveexec_b32 s13, s74
; %bb.16992:                            ;   in Loop: Header=BB6_14192 Depth=3
	v_or_b32_e32 v112, 0x7b, v1
; %bb.16993:                            ;   in Loop: Header=BB6_14192 Depth=3
	s_or_b32 exec_lo, exec_lo, s13
                                        ; implicit-def: $vgpr4
                                        ; implicit-def: $vgpr2_vgpr3
                                        ; implicit-def: $vgpr1
.LBB6_16994:                            ;   in Loop: Header=BB6_14192 Depth=3
	s_and_not1_saveexec_b32 s13, s73
	s_cbranch_execz .LBB6_17000
; %bb.16995:                            ;   in Loop: Header=BB6_14192 Depth=3
	s_mov_b32 s73, exec_lo
                                        ; implicit-def: $vgpr112
	v_cmpx_ne_u64_e32 0, v[2:3]
	s_xor_b32 s73, exec_lo, s73
; %bb.16996:                            ;   in Loop: Header=BB6_14192 Depth=3
	v_or_b32_e32 v112, 0x7f, v1
                                        ; implicit-def: $vgpr4
; %bb.16997:                            ;   in Loop: Header=BB6_14192 Depth=3
	s_and_not1_saveexec_b32 s73, s73
; %bb.16998:                            ;   in Loop: Header=BB6_14192 Depth=3
	v_cmp_lt_i32_e32 vcc_lo, -1, v4
	v_mov_b32_e32 v1, 0x7c
	s_delay_alu instid0(VALU_DEP_1)
	v_cndmask_b32_e32 v112, 0xfc, v1, vcc_lo
; %bb.16999:                            ;   in Loop: Header=BB6_14192 Depth=3
	s_or_b32 exec_lo, exec_lo, s73
.LBB6_17000:                            ;   in Loop: Header=BB6_14192 Depth=3
	s_delay_alu instid0(SALU_CYCLE_1) | instskip(SKIP_3) | instid1(VALU_DEP_2)
	s_or_b32 exec_lo, exec_lo, s13
	v_dual_mov_b32 v1, 0 :: v_dual_lshrrev_b32 v2, 16, v0
	v_mov_b32_e32 v3, 0
	s_mov_b32 s73, exec_lo
	v_and_b32_e32 v4, 0xff, v2
	s_delay_alu instid0(VALU_DEP_1)
	v_cmpx_ne_u16_e32 0, v4
	s_cbranch_execz .LBB6_17010
; %bb.17001:                            ;   in Loop: Header=BB6_14192 Depth=3
	v_bfrev_b32_e32 v3, 1
	s_mov_b32 s74, exec_lo
	v_cmpx_ne_u16_e32 0x80, v4
	s_cbranch_execz .LBB6_17009
; %bb.17002:                            ;   in Loop: Header=BB6_14192 Depth=3
	v_and_b32_e32 v3, 0x7c0000, v0
	v_bfe_u32 v4, v0, 16, 2
	s_delay_alu instid0(VALU_DEP_2) | instskip(SKIP_1) | instid1(SALU_CYCLE_1)
	v_cmp_ne_u32_e32 vcc_lo, 0x7c0000, v3
                                        ; implicit-def: $vgpr3
	s_and_saveexec_b32 s13, vcc_lo
	s_xor_b32 s13, exec_lo, s13
	s_cbranch_execz .LBB6_17006
; %bb.17003:                            ;   in Loop: Header=BB6_14192 Depth=3
	v_bfe_u32 v3, v0, 18, 5
	s_mov_b32 s75, exec_lo
	s_delay_alu instid0(VALU_DEP_1)
	v_cmpx_eq_u32_e32 0, v3
; %bb.17004:                            ;   in Loop: Header=BB6_14192 Depth=3
	v_clz_i32_u32_e32 v3, v4
	s_delay_alu instid0(VALU_DEP_1) | instskip(NEXT) | instid1(VALU_DEP_1)
	v_min_u32_e32 v3, 32, v3
	v_subrev_nc_u32_e32 v4, 29, v3
	s_delay_alu instid0(VALU_DEP_1) | instskip(NEXT) | instid1(VALU_DEP_1)
	v_lshlrev_b64_e32 v[4:5], v4, v[2:3]
	v_dual_sub_nc_u32 v3, 30, v3 :: v_dual_bitop2_b32 v4, 3, v4 bitop3:0x40
; %bb.17005:                            ;   in Loop: Header=BB6_14192 Depth=3
	s_or_b32 exec_lo, exec_lo, s75
	v_lshlrev_b32_e32 v2, 24, v2
	s_delay_alu instid0(VALU_DEP_1) | instskip(NEXT) | instid1(VALU_DEP_1)
	v_and_b32_e32 v2, 0x80000000, v2
	v_lshl_add_u32 v2, v3, 23, v2
	s_delay_alu instid0(VALU_DEP_1) | instskip(NEXT) | instid1(VALU_DEP_1)
	v_lshl_or_b32 v2, v4, 21, v2
                                        ; implicit-def: $vgpr4
	v_add_nc_u32_e32 v3, 0x38000000, v2
                                        ; implicit-def: $vgpr2
.LBB6_17006:                            ;   in Loop: Header=BB6_14192 Depth=3
	s_and_not1_saveexec_b32 s75, s13
; %bb.17007:                            ;   in Loop: Header=BB6_14192 Depth=3
	v_bfe_i32 v2, v2, 0, 8
	v_cmp_eq_u32_e32 vcc_lo, 0, v4
	s_delay_alu instid0(VALU_DEP_2) | instskip(SKIP_1) | instid1(VALU_DEP_1)
	v_cmp_lt_i16_e64 s13, -1, v2
	v_mov_b32_e32 v2, 0x7f800000
	v_cndmask_b32_e64 v2, 0xff800000, v2, s13
	s_delay_alu instid0(VALU_DEP_1)
	v_cndmask_b32_e32 v3, 0x7f800001, v2, vcc_lo
; %bb.17008:                            ;   in Loop: Header=BB6_14192 Depth=3
	s_or_b32 exec_lo, exec_lo, s75
.LBB6_17009:                            ;   in Loop: Header=BB6_14192 Depth=3
	s_delay_alu instid0(SALU_CYCLE_1)
	s_or_b32 exec_lo, exec_lo, s74
.LBB6_17010:                            ;   in Loop: Header=BB6_14192 Depth=3
	s_delay_alu instid0(SALU_CYCLE_1) | instskip(SKIP_2) | instid1(VALU_DEP_1)
	s_or_b32 exec_lo, exec_lo, s73
	v_lshrrev_b32_e32 v2, 16, v17
	s_mov_b32 s73, exec_lo
	v_and_b32_e32 v4, 0xff, v2
	s_delay_alu instid0(VALU_DEP_1)
	v_cmpx_ne_u16_e32 0, v4
	s_cbranch_execz .LBB6_17020
; %bb.17011:                            ;   in Loop: Header=BB6_14192 Depth=3
	v_bfrev_b32_e32 v1, 1
	s_mov_b32 s74, exec_lo
	v_cmpx_ne_u16_e32 0x80, v4
	s_cbranch_execz .LBB6_17019
; %bb.17012:                            ;   in Loop: Header=BB6_14192 Depth=3
	v_and_b32_e32 v1, 0x7c0000, v17
	v_bfe_u32 v4, v17, 16, 2
	s_delay_alu instid0(VALU_DEP_2) | instskip(SKIP_1) | instid1(SALU_CYCLE_1)
	v_cmp_ne_u32_e32 vcc_lo, 0x7c0000, v1
                                        ; implicit-def: $vgpr1
	s_and_saveexec_b32 s13, vcc_lo
	s_xor_b32 s13, exec_lo, s13
	s_cbranch_execz .LBB6_17016
; %bb.17013:                            ;   in Loop: Header=BB6_14192 Depth=3
	v_bfe_u32 v1, v17, 18, 5
	s_mov_b32 s75, exec_lo
	s_delay_alu instid0(VALU_DEP_1)
	v_cmpx_eq_u32_e32 0, v1
; %bb.17014:                            ;   in Loop: Header=BB6_14192 Depth=3
	v_clz_i32_u32_e32 v1, v4
	s_delay_alu instid0(VALU_DEP_1) | instskip(NEXT) | instid1(VALU_DEP_1)
	v_min_u32_e32 v1, 32, v1
	v_subrev_nc_u32_e32 v4, 29, v1
	s_delay_alu instid0(VALU_DEP_1) | instskip(NEXT) | instid1(VALU_DEP_1)
	v_lshlrev_b64_e32 v[4:5], v4, v[2:3]
	v_dual_sub_nc_u32 v1, 30, v1 :: v_dual_bitop2_b32 v4, 3, v4 bitop3:0x40
; %bb.17015:                            ;   in Loop: Header=BB6_14192 Depth=3
	s_or_b32 exec_lo, exec_lo, s75
	v_lshlrev_b32_e32 v2, 24, v2
	s_delay_alu instid0(VALU_DEP_1) | instskip(NEXT) | instid1(VALU_DEP_1)
	v_and_b32_e32 v2, 0x80000000, v2
	v_lshl_add_u32 v1, v1, 23, v2
                                        ; implicit-def: $vgpr2
	s_delay_alu instid0(VALU_DEP_1) | instskip(NEXT) | instid1(VALU_DEP_1)
	v_lshl_or_b32 v1, v4, 21, v1
                                        ; implicit-def: $vgpr4
	v_add_nc_u32_e32 v1, 0x38000000, v1
.LBB6_17016:                            ;   in Loop: Header=BB6_14192 Depth=3
	s_and_not1_saveexec_b32 s75, s13
; %bb.17017:                            ;   in Loop: Header=BB6_14192 Depth=3
	v_bfe_i32 v1, v2, 0, 8
	v_cmp_eq_u32_e32 vcc_lo, 0, v4
	s_delay_alu instid0(VALU_DEP_2) | instskip(SKIP_1) | instid1(VALU_DEP_1)
	v_cmp_lt_i16_e64 s13, -1, v1
	v_mov_b32_e32 v1, 0x7f800000
	v_cndmask_b32_e64 v1, 0xff800000, v1, s13
	s_delay_alu instid0(VALU_DEP_1)
	v_cndmask_b32_e32 v1, 0x7f800001, v1, vcc_lo
; %bb.17018:                            ;   in Loop: Header=BB6_14192 Depth=3
	s_or_b32 exec_lo, exec_lo, s75
.LBB6_17019:                            ;   in Loop: Header=BB6_14192 Depth=3
	s_delay_alu instid0(SALU_CYCLE_1)
	s_or_b32 exec_lo, exec_lo, s74
.LBB6_17020:                            ;   in Loop: Header=BB6_14192 Depth=3
	s_delay_alu instid0(SALU_CYCLE_1) | instskip(NEXT) | instid1(VALU_DEP_1)
	s_or_b32 exec_lo, exec_lo, s73
	v_dual_add_f32 v4, v3, v1 :: v_dual_mov_b32 v47, v113
	v_mov_b32_e32 v3, v113
                                        ; implicit-def: $vgpr117
	s_mov_b32 s13, exec_lo
	s_delay_alu instid0(VALU_DEP_2) | instskip(SKIP_2) | instid1(VALU_DEP_3)
	v_and_b32_e32 v46, 0x7f800000, v4
	v_and_b32_e32 v2, 0x7fffff, v4
	v_lshrrev_b32_e32 v1, 24, v4
	v_cmpx_ne_u64_e32 0x7f800000, v[46:47]
	s_xor_b32 s73, exec_lo, s13
	s_cbranch_execz .LBB6_17034
; %bb.17021:                            ;   in Loop: Header=BB6_14192 Depth=3
	v_and_b32_e32 v46, 0x7fffffff, v4
	v_mov_b32_e32 v47, v113
	v_and_b32_e32 v1, 0x80, v1
                                        ; implicit-def: $vgpr117
	s_mov_b32 s13, exec_lo
	s_delay_alu instid0(VALU_DEP_2)
	v_cmpx_gt_u64_e32 0x47600001, v[46:47]
	s_xor_b32 s74, exec_lo, s13
	s_cbranch_execz .LBB6_17031
; %bb.17022:                            ;   in Loop: Header=BB6_14192 Depth=3
	v_mov_b32_e32 v117, 0
	s_mov_b32 s75, exec_lo
	v_cmpx_ne_u32_e32 0, v4
	s_cbranch_execz .LBB6_17030
; %bb.17023:                            ;   in Loop: Header=BB6_14192 Depth=3
	v_bfe_u32 v117, v4, 23, 8
	v_or_b32_e32 v5, 0x800000, v2
	s_delay_alu instid0(VALU_DEP_2) | instskip(SKIP_2) | instid1(VALU_DEP_2)
	v_cmp_gt_u32_e64 s13, 0x72, v117
	v_sub_nc_u32_e32 v4, 0x71, v117
	v_cmp_eq_u32_e32 vcc_lo, 0, v117
	v_dual_cndmask_b32 v4, 0, v4, s13 :: v_dual_cndmask_b32 v2, v5, v2, vcc_lo
	s_delay_alu instid0(VALU_DEP_1) | instskip(NEXT) | instid1(VALU_DEP_1)
	v_cndmask_b32_e64 v41, v4, 0x70, vcc_lo
	v_dual_add_nc_u32 v4, 21, v41 :: v_dual_add_nc_u32 v44, 20, v41
	s_delay_alu instid0(VALU_DEP_1) | instskip(NEXT) | instid1(VALU_DEP_2)
	v_lshlrev_b64_e64 v[4:5], v4, -1
	v_lshlrev_b64_e64 v[46:47], v44, 1
	s_delay_alu instid0(VALU_DEP_2) | instskip(SKIP_1) | instid1(VALU_DEP_4)
	v_bfi_b32 v4, v4, 0, v2
	v_lshrrev_b64 v[2:3], v41, v[2:3]
	v_bfi_b32 v5, v5, 0, 0
	s_delay_alu instid0(VALU_DEP_1) | instskip(NEXT) | instid1(VALU_DEP_3)
	v_cmp_eq_u64_e64 s13, v[4:5], v[46:47]
	v_mov_b64_e32 v[4:5], v[2:3]
	s_and_saveexec_b32 s76, s13
; %bb.17024:                            ;   in Loop: Header=BB6_14192 Depth=3
	v_bfe_u32 v4, v2, 21, 1
	v_mov_b32_e32 v5, v113
	s_delay_alu instid0(VALU_DEP_1) | instskip(NEXT) | instid1(VALU_DEP_1)
	v_add_nc_u64_e32 v[4:5], v[2:3], v[4:5]
	v_add_nc_u64_e32 v[4:5], -1, v[4:5]
; %bb.17025:                            ;   in Loop: Header=BB6_14192 Depth=3
	s_or_b32 exec_lo, exec_lo, s76
	v_add_nc_u32_e32 v3, 0xffffff81, v117
	v_lshrrev_b32_e32 v5, 23, v2
	s_mov_b32 s13, exec_lo
	s_delay_alu instid0(VALU_DEP_2) | instskip(NEXT) | instid1(VALU_DEP_1)
	v_cndmask_b32_e64 v3, v3, 0xffffff82, vcc_lo
	v_add3_u32 v117, v41, v3, v5
	v_and_b32_e32 v3, 0x1fffff, v4
                                        ; implicit-def: $vgpr4
	s_delay_alu instid0(VALU_DEP_1) | instskip(SKIP_1) | instid1(VALU_DEP_2)
	v_dual_add_nc_u32 v5, 14, v117 :: v_dual_add_nc_u32 v2, v3, v2
	v_mov_b32_e32 v3, v113
	v_cmpx_ne_u32_e32 0, v5
	s_xor_b32 s13, exec_lo, s13
; %bb.17026:                            ;   in Loop: Header=BB6_14192 Depth=3
	s_delay_alu instid0(VALU_DEP_2) | instskip(SKIP_1) | instid1(VALU_DEP_1)
	v_cmp_lt_u64_e32 vcc_lo, 0xffffff, v[2:3]
	v_add_nc_u32_e32 v4, 15, v117
	v_cndmask_b32_e32 v4, v5, v4, vcc_lo
	v_cndmask_b32_e64 v5, 0, 1, vcc_lo
	s_delay_alu instid0(VALU_DEP_1)
	v_lshrrev_b64 v[2:3], v5, v[2:3]
; %bb.17027:                            ;   in Loop: Header=BB6_14192 Depth=3
	s_and_not1_saveexec_b32 s13, s13
; %bb.17028:                            ;   in Loop: Header=BB6_14192 Depth=3
	s_delay_alu instid0(VALU_DEP_1)
	v_bfe_u32 v4, v2, 23, 1
; %bb.17029:                            ;   in Loop: Header=BB6_14192 Depth=3
	s_or_b32 exec_lo, exec_lo, s13
	s_delay_alu instid0(VALU_DEP_2) | instskip(NEXT) | instid1(VALU_DEP_2)
	v_lshrrev_b64 v[2:3], 21, v[2:3]
	v_cmp_gt_i32_e32 vcc_lo, 32, v4
	v_min_i32_e32 v5, 31, v4
	v_cmp_eq_u32_e64 s13, 0, v4
	s_delay_alu instid0(VALU_DEP_2) | instskip(SKIP_1) | instid1(VALU_DEP_2)
	v_dual_cndmask_b32 v3, 0, v3, vcc_lo :: v_dual_lshlrev_b32 v5, 2, v5
	v_cndmask_b32_e32 v2, 3, v2, vcc_lo
	v_and_b32_e32 v5, 0xfc, v5
	s_delay_alu instid0(VALU_DEP_2) | instskip(NEXT) | instid1(VALU_DEP_2)
	v_cmp_eq_u64_e32 vcc_lo, 0, v[2:3]
	v_and_or_b32 v2, v2, 3, v5
	s_and_b32 s13, s13, vcc_lo
	s_delay_alu instid0(VALU_DEP_1) | instid1(SALU_CYCLE_1)
	v_cndmask_b32_e64 v2, v2, 0, s13
	s_delay_alu instid0(VALU_DEP_1)
	v_or_b32_e32 v117, v2, v1
.LBB6_17030:                            ;   in Loop: Header=BB6_14192 Depth=3
	s_or_b32 exec_lo, exec_lo, s75
                                        ; implicit-def: $vgpr1
.LBB6_17031:                            ;   in Loop: Header=BB6_14192 Depth=3
	s_and_not1_saveexec_b32 s13, s74
; %bb.17032:                            ;   in Loop: Header=BB6_14192 Depth=3
	v_or_b32_e32 v117, 0x7b, v1
; %bb.17033:                            ;   in Loop: Header=BB6_14192 Depth=3
	s_or_b32 exec_lo, exec_lo, s13
                                        ; implicit-def: $vgpr4
                                        ; implicit-def: $vgpr2_vgpr3
                                        ; implicit-def: $vgpr1
.LBB6_17034:                            ;   in Loop: Header=BB6_14192 Depth=3
	s_and_not1_saveexec_b32 s13, s73
	s_cbranch_execz .LBB6_17040
; %bb.17035:                            ;   in Loop: Header=BB6_14192 Depth=3
	s_mov_b32 s73, exec_lo
                                        ; implicit-def: $vgpr117
	v_cmpx_ne_u64_e32 0, v[2:3]
	s_xor_b32 s73, exec_lo, s73
; %bb.17036:                            ;   in Loop: Header=BB6_14192 Depth=3
	v_or_b32_e32 v117, 0x7f, v1
                                        ; implicit-def: $vgpr4
; %bb.17037:                            ;   in Loop: Header=BB6_14192 Depth=3
	s_and_not1_saveexec_b32 s73, s73
; %bb.17038:                            ;   in Loop: Header=BB6_14192 Depth=3
	v_cmp_lt_i32_e32 vcc_lo, -1, v4
	v_mov_b32_e32 v1, 0x7c
	s_delay_alu instid0(VALU_DEP_1)
	v_cndmask_b32_e32 v117, 0xfc, v1, vcc_lo
; %bb.17039:                            ;   in Loop: Header=BB6_14192 Depth=3
	s_or_b32 exec_lo, exec_lo, s73
.LBB6_17040:                            ;   in Loop: Header=BB6_14192 Depth=3
	s_delay_alu instid0(SALU_CYCLE_1)
	s_or_b32 exec_lo, exec_lo, s13
	v_dual_mov_b32 v3, 0 :: v_dual_mov_b32 v4, 0
	s_mov_b32 s73, exec_lo
	v_cmpx_lt_u32_e32 0xffffff, v0
	s_cbranch_execz .LBB6_17050
; %bb.17041:                            ;   in Loop: Header=BB6_14192 Depth=3
	v_lshrrev_b32_e32 v2, 24, v0
	v_bfrev_b32_e32 v4, 1
	s_mov_b32 s74, exec_lo
	s_delay_alu instid0(VALU_DEP_2)
	v_cmpx_ne_u32_e32 0x80, v2
	s_cbranch_execz .LBB6_17049
; %bb.17042:                            ;   in Loop: Header=BB6_14192 Depth=3
	v_and_b32_e32 v1, 0x7c000000, v0
	v_bfe_u32 v5, v0, 24, 2
	s_mov_b32 s13, exec_lo
                                        ; implicit-def: $vgpr4
	s_delay_alu instid0(VALU_DEP_2)
	v_cmpx_ne_u32_e32 0x7c000000, v1
	s_xor_b32 s13, exec_lo, s13
	s_cbranch_execz .LBB6_17046
; %bb.17043:                            ;   in Loop: Header=BB6_14192 Depth=3
	v_bfe_u32 v1, v0, 26, 5
	s_mov_b32 s75, exec_lo
	s_delay_alu instid0(VALU_DEP_1)
	v_cmpx_eq_u32_e32 0, v1
; %bb.17044:                            ;   in Loop: Header=BB6_14192 Depth=3
	v_clz_i32_u32_e32 v1, v5
	s_delay_alu instid0(VALU_DEP_1) | instskip(NEXT) | instid1(VALU_DEP_1)
	v_min_u32_e32 v1, 32, v1
	v_subrev_nc_u32_e32 v4, 29, v1
	s_delay_alu instid0(VALU_DEP_1) | instskip(NEXT) | instid1(VALU_DEP_1)
	v_lshlrev_b64_e32 v[4:5], v4, v[2:3]
	v_dual_sub_nc_u32 v1, 30, v1 :: v_dual_bitop2_b32 v5, 3, v4 bitop3:0x40
; %bb.17045:                            ;   in Loop: Header=BB6_14192 Depth=3
	s_or_b32 exec_lo, exec_lo, s75
	v_and_b32_e32 v0, 0x80000000, v0
	s_delay_alu instid0(VALU_DEP_1) | instskip(NEXT) | instid1(VALU_DEP_1)
	v_lshl_add_u32 v0, v1, 23, v0
	v_lshl_or_b32 v0, v5, 21, v0
                                        ; implicit-def: $vgpr5
	s_delay_alu instid0(VALU_DEP_1)
	v_add_nc_u32_e32 v4, 0x38000000, v0
                                        ; implicit-def: $vgpr0_vgpr1
.LBB6_17046:                            ;   in Loop: Header=BB6_14192 Depth=3
	s_and_not1_saveexec_b32 s75, s13
; %bb.17047:                            ;   in Loop: Header=BB6_14192 Depth=3
	v_cmp_lt_i32_e64 s13, -1, v0
	v_mov_b32_e32 v0, 0x7f800000
	v_cmp_eq_u32_e32 vcc_lo, 0, v5
	s_delay_alu instid0(VALU_DEP_2) | instskip(NEXT) | instid1(VALU_DEP_1)
	v_cndmask_b32_e64 v0, 0xff800000, v0, s13
	v_cndmask_b32_e32 v4, 0x7f800001, v0, vcc_lo
; %bb.17048:                            ;   in Loop: Header=BB6_14192 Depth=3
	s_or_b32 exec_lo, exec_lo, s75
.LBB6_17049:                            ;   in Loop: Header=BB6_14192 Depth=3
	s_delay_alu instid0(SALU_CYCLE_1)
	s_or_b32 exec_lo, exec_lo, s74
.LBB6_17050:                            ;   in Loop: Header=BB6_14192 Depth=3
	s_delay_alu instid0(SALU_CYCLE_1) | instskip(NEXT) | instid1(SALU_CYCLE_1)
	s_or_b32 exec_lo, exec_lo, s73
	s_mov_b32 s73, exec_lo
	v_cmpx_lt_u64_e64 s[22:23], v[16:17]
	s_cbranch_execz .LBB6_17060
; %bb.17051:                            ;   in Loop: Header=BB6_14192 Depth=3
	v_lshrrev_b32_e32 v0, 24, v17
	v_bfrev_b32_e32 v3, 1
	s_mov_b32 s74, exec_lo
	s_delay_alu instid0(VALU_DEP_2)
	v_cmpx_ne_u32_e32 0x80, v0
	s_cbranch_execz .LBB6_17059
; %bb.17052:                            ;   in Loop: Header=BB6_14192 Depth=3
	v_and_b32_e32 v2, 0x7c000000, v17
	v_bfe_u32 v1, v17, 24, 2
	s_mov_b32 s13, exec_lo
                                        ; implicit-def: $vgpr3
	s_delay_alu instid0(VALU_DEP_2)
	v_cmpx_ne_u32_e32 0x7c000000, v2
	s_xor_b32 s13, exec_lo, s13
	s_cbranch_execz .LBB6_17056
; %bb.17053:                            ;   in Loop: Header=BB6_14192 Depth=3
	v_bfe_u32 v2, v17, 26, 5
	s_mov_b32 s75, exec_lo
	s_delay_alu instid0(VALU_DEP_1)
	v_cmpx_eq_u32_e32 0, v2
; %bb.17054:                            ;   in Loop: Header=BB6_14192 Depth=3
	v_clz_i32_u32_e32 v1, v1
	s_delay_alu instid0(VALU_DEP_1) | instskip(NEXT) | instid1(VALU_DEP_1)
	v_min_u32_e32 v2, 32, v1
	v_subrev_nc_u32_e32 v1, 29, v2
	s_delay_alu instid0(VALU_DEP_1) | instskip(NEXT) | instid1(VALU_DEP_1)
	v_lshlrev_b64_e32 v[0:1], v1, v[0:1]
	v_dual_sub_nc_u32 v2, 30, v2 :: v_dual_bitop2_b32 v1, 3, v0 bitop3:0x40
; %bb.17055:                            ;   in Loop: Header=BB6_14192 Depth=3
	s_or_b32 exec_lo, exec_lo, s75
	v_and_b32_e32 v0, 0x80000000, v17
	s_delay_alu instid0(VALU_DEP_1) | instskip(NEXT) | instid1(VALU_DEP_1)
	v_lshl_add_u32 v0, v2, 23, v0
	v_lshl_or_b32 v0, v1, 21, v0
                                        ; implicit-def: $vgpr1
	s_delay_alu instid0(VALU_DEP_1)
	v_add_nc_u32_e32 v3, 0x38000000, v0
.LBB6_17056:                            ;   in Loop: Header=BB6_14192 Depth=3
	s_and_not1_saveexec_b32 s75, s13
; %bb.17057:                            ;   in Loop: Header=BB6_14192 Depth=3
	v_cmp_lt_i64_e64 s13, -1, v[16:17]
	v_mov_b32_e32 v0, 0x7f800000
	v_cmp_eq_u32_e32 vcc_lo, 0, v1
	s_delay_alu instid0(VALU_DEP_2) | instskip(NEXT) | instid1(VALU_DEP_1)
	v_cndmask_b32_e64 v0, 0xff800000, v0, s13
	v_cndmask_b32_e32 v3, 0x7f800001, v0, vcc_lo
; %bb.17058:                            ;   in Loop: Header=BB6_14192 Depth=3
	s_or_b32 exec_lo, exec_lo, s75
.LBB6_17059:                            ;   in Loop: Header=BB6_14192 Depth=3
	s_delay_alu instid0(SALU_CYCLE_1)
	s_or_b32 exec_lo, exec_lo, s74
.LBB6_17060:                            ;   in Loop: Header=BB6_14192 Depth=3
	s_delay_alu instid0(SALU_CYCLE_1) | instskip(NEXT) | instid1(VALU_DEP_1)
	s_or_b32 exec_lo, exec_lo, s73
	v_dual_add_f32 v2, v4, v3 :: v_dual_mov_b32 v5, v113
	v_mov_b32_e32 v1, v113
                                        ; implicit-def: $vgpr16
	s_mov_b32 s13, exec_lo
	s_delay_alu instid0(VALU_DEP_2) | instskip(SKIP_2) | instid1(VALU_DEP_3)
	v_and_b32_e32 v4, 0x7f800000, v2
	v_and_b32_e32 v0, 0x7fffff, v2
	v_lshrrev_b32_e32 v3, 24, v2
	v_cmpx_ne_u64_e32 0x7f800000, v[4:5]
	s_xor_b32 s73, exec_lo, s13
	s_cbranch_execz .LBB6_17074
; %bb.17061:                            ;   in Loop: Header=BB6_14192 Depth=3
	v_and_b32_e32 v4, 0x7fffffff, v2
	v_mov_b32_e32 v5, v113
                                        ; implicit-def: $vgpr16
	s_delay_alu instid0(VALU_DEP_1) | instskip(SKIP_2) | instid1(SALU_CYCLE_1)
	v_cmp_gt_u64_e32 vcc_lo, 0x47600001, v[4:5]
	v_and_b32_e32 v4, 0x80, v3
	s_and_saveexec_b32 s13, vcc_lo
	s_xor_b32 s74, exec_lo, s13
	s_cbranch_execz .LBB6_17071
; %bb.17062:                            ;   in Loop: Header=BB6_14192 Depth=3
	v_mov_b32_e32 v16, 0
	s_mov_b32 s75, exec_lo
	v_cmpx_ne_u32_e32 0, v2
	s_cbranch_execz .LBB6_17070
; %bb.17063:                            ;   in Loop: Header=BB6_14192 Depth=3
	v_bfe_u32 v5, v2, 23, 8
	v_or_b32_e32 v3, 0x800000, v0
	s_delay_alu instid0(VALU_DEP_2) | instskip(SKIP_2) | instid1(VALU_DEP_2)
	v_cmp_gt_u32_e64 s13, 0x72, v5
	v_sub_nc_u32_e32 v2, 0x71, v5
	v_cmp_eq_u32_e32 vcc_lo, 0, v5
	v_dual_cndmask_b32 v2, 0, v2, s13 :: v_dual_cndmask_b32 v0, v3, v0, vcc_lo
	s_delay_alu instid0(VALU_DEP_1) | instskip(NEXT) | instid1(VALU_DEP_1)
	v_cndmask_b32_e64 v16, v2, 0x70, vcc_lo
	v_dual_add_nc_u32 v2, 21, v16 :: v_dual_add_nc_u32 v17, 20, v16
	s_delay_alu instid0(VALU_DEP_1) | instskip(NEXT) | instid1(VALU_DEP_2)
	v_lshlrev_b64_e64 v[2:3], v2, -1
	v_lshlrev_b64_e64 v[46:47], v17, 1
	s_delay_alu instid0(VALU_DEP_2) | instskip(SKIP_1) | instid1(VALU_DEP_4)
	v_bfi_b32 v2, v2, 0, v0
	v_lshrrev_b64 v[0:1], v16, v[0:1]
	v_bfi_b32 v3, v3, 0, 0
	s_delay_alu instid0(VALU_DEP_1) | instskip(NEXT) | instid1(VALU_DEP_3)
	v_cmp_eq_u64_e64 s13, v[2:3], v[46:47]
	v_mov_b64_e32 v[2:3], v[0:1]
	s_and_saveexec_b32 s76, s13
; %bb.17064:                            ;   in Loop: Header=BB6_14192 Depth=3
	v_bfe_u32 v2, v0, 21, 1
	v_mov_b32_e32 v3, v113
	s_delay_alu instid0(VALU_DEP_1) | instskip(NEXT) | instid1(VALU_DEP_1)
	v_add_nc_u64_e32 v[2:3], v[0:1], v[2:3]
	v_add_nc_u64_e32 v[2:3], -1, v[2:3]
; %bb.17065:                            ;   in Loop: Header=BB6_14192 Depth=3
	s_or_b32 exec_lo, exec_lo, s76
	v_add_nc_u32_e32 v1, 0xffffff81, v5
	v_lshrrev_b32_e32 v3, 23, v0
	s_mov_b32 s13, exec_lo
	s_delay_alu instid0(VALU_DEP_2) | instskip(NEXT) | instid1(VALU_DEP_1)
	v_cndmask_b32_e64 v1, v1, 0xffffff82, vcc_lo
	v_add3_u32 v5, v16, v1, v3
	v_and_b32_e32 v1, 0x1fffff, v2
                                        ; implicit-def: $vgpr2
	s_delay_alu instid0(VALU_DEP_1) | instskip(SKIP_1) | instid1(VALU_DEP_2)
	v_dual_add_nc_u32 v3, 14, v5 :: v_dual_add_nc_u32 v0, v1, v0
	v_mov_b32_e32 v1, v113
	v_cmpx_ne_u32_e32 0, v3
	s_xor_b32 s13, exec_lo, s13
; %bb.17066:                            ;   in Loop: Header=BB6_14192 Depth=3
	s_delay_alu instid0(VALU_DEP_2) | instskip(SKIP_1) | instid1(VALU_DEP_1)
	v_cmp_lt_u64_e32 vcc_lo, 0xffffff, v[0:1]
	v_add_nc_u32_e32 v2, 15, v5
	v_cndmask_b32_e32 v2, v3, v2, vcc_lo
	v_cndmask_b32_e64 v3, 0, 1, vcc_lo
	s_delay_alu instid0(VALU_DEP_1)
	v_lshrrev_b64 v[0:1], v3, v[0:1]
; %bb.17067:                            ;   in Loop: Header=BB6_14192 Depth=3
	s_and_not1_saveexec_b32 s13, s13
; %bb.17068:                            ;   in Loop: Header=BB6_14192 Depth=3
	s_delay_alu instid0(VALU_DEP_1)
	v_bfe_u32 v2, v0, 23, 1
; %bb.17069:                            ;   in Loop: Header=BB6_14192 Depth=3
	s_or_b32 exec_lo, exec_lo, s13
	s_delay_alu instid0(VALU_DEP_2) | instskip(NEXT) | instid1(VALU_DEP_2)
	v_lshrrev_b64 v[0:1], 21, v[0:1]
	v_cmp_gt_i32_e32 vcc_lo, 32, v2
	v_min_i32_e32 v3, 31, v2
	v_cmp_eq_u32_e64 s13, 0, v2
	s_delay_alu instid0(VALU_DEP_2) | instskip(SKIP_1) | instid1(VALU_DEP_2)
	v_dual_cndmask_b32 v1, 0, v1, vcc_lo :: v_dual_lshlrev_b32 v3, 2, v3
	v_cndmask_b32_e32 v0, 3, v0, vcc_lo
	v_and_b32_e32 v3, 0xfc, v3
	s_delay_alu instid0(VALU_DEP_2) | instskip(NEXT) | instid1(VALU_DEP_2)
	v_cmp_eq_u64_e32 vcc_lo, 0, v[0:1]
	v_and_or_b32 v0, v0, 3, v3
	s_and_b32 s13, s13, vcc_lo
	s_delay_alu instid0(VALU_DEP_1) | instid1(SALU_CYCLE_1)
	v_cndmask_b32_e64 v0, v0, 0, s13
	s_delay_alu instid0(VALU_DEP_1)
	v_or_b32_e32 v16, v0, v4
.LBB6_17070:                            ;   in Loop: Header=BB6_14192 Depth=3
	s_or_b32 exec_lo, exec_lo, s75
                                        ; implicit-def: $vgpr4
.LBB6_17071:                            ;   in Loop: Header=BB6_14192 Depth=3
	s_and_not1_saveexec_b32 s13, s74
; %bb.17072:                            ;   in Loop: Header=BB6_14192 Depth=3
	v_or_b32_e32 v16, 0x7b, v4
; %bb.17073:                            ;   in Loop: Header=BB6_14192 Depth=3
	s_or_b32 exec_lo, exec_lo, s13
                                        ; implicit-def: $vgpr2
                                        ; implicit-def: $vgpr0_vgpr1
                                        ; implicit-def: $vgpr3
.LBB6_17074:                            ;   in Loop: Header=BB6_14192 Depth=3
	s_and_not1_saveexec_b32 s13, s73
	s_cbranch_execz .LBB6_17080
; %bb.17075:                            ;   in Loop: Header=BB6_14192 Depth=3
	s_mov_b32 s73, exec_lo
                                        ; implicit-def: $vgpr16
	v_cmpx_ne_u64_e32 0, v[0:1]
	s_xor_b32 s73, exec_lo, s73
; %bb.17076:                            ;   in Loop: Header=BB6_14192 Depth=3
	v_or_b32_e32 v16, 0x7f, v3
                                        ; implicit-def: $vgpr2
; %bb.17077:                            ;   in Loop: Header=BB6_14192 Depth=3
	s_and_not1_saveexec_b32 s73, s73
; %bb.17078:                            ;   in Loop: Header=BB6_14192 Depth=3
	v_cmp_lt_i32_e32 vcc_lo, -1, v2
	v_mov_b32_e32 v0, 0x7c
	s_delay_alu instid0(VALU_DEP_1)
	v_cndmask_b32_e32 v16, 0xfc, v0, vcc_lo
; %bb.17079:                            ;   in Loop: Header=BB6_14192 Depth=3
	s_or_b32 exec_lo, exec_lo, s73
.LBB6_17080:                            ;   in Loop: Header=BB6_14192 Depth=3
	s_delay_alu instid0(SALU_CYCLE_1) | instskip(SKIP_4) | instid1(VALU_DEP_2)
	s_or_b32 exec_lo, exec_lo, s13
	v_lshl_or_b32 v101, v101, 8, v86
	v_dual_lshlrev_b32 v0, 16, v103 :: v_dual_lshlrev_b32 v2, 24, v116
	v_dual_mov_b32 v1, v113 :: v_dual_mov_b32 v3, 0
	s_mov_b32 s73, exec_lo
	v_or3_b32 v0, v0, v2, v101
	v_mov_b32_e32 v2, 0
	v_cmpx_ne_u32_e32 0, v86
	s_cbranch_execz .LBB6_17090
; %bb.17081:                            ;   in Loop: Header=BB6_14192 Depth=3
	v_bfrev_b32_e32 v3, 1
	s_mov_b32 s74, exec_lo
	v_cmpx_ne_u32_e32 0x80, v86
	s_cbranch_execz .LBB6_17089
; %bb.17082:                            ;   in Loop: Header=BB6_14192 Depth=3
	v_and_b32_e32 v3, 0x7c, v86
	v_and_b32_e32 v4, 3, v86
	s_delay_alu instid0(VALU_DEP_2) | instskip(SKIP_1) | instid1(SALU_CYCLE_1)
	v_cmp_ne_u32_e32 vcc_lo, 0x7c, v3
                                        ; implicit-def: $vgpr3
	s_and_saveexec_b32 s13, vcc_lo
	s_xor_b32 s13, exec_lo, s13
	s_cbranch_execz .LBB6_17086
; %bb.17083:                            ;   in Loop: Header=BB6_14192 Depth=3
	v_bfe_u32 v3, v86, 2, 5
	s_mov_b32 s75, exec_lo
	s_delay_alu instid0(VALU_DEP_1)
	v_cmpx_eq_u32_e32 0, v3
; %bb.17084:                            ;   in Loop: Header=BB6_14192 Depth=3
	v_clz_i32_u32_e32 v3, v4
	s_delay_alu instid0(VALU_DEP_1) | instskip(NEXT) | instid1(VALU_DEP_1)
	v_min_u32_e32 v3, 32, v3
	v_subrev_nc_u32_e32 v4, 29, v3
	s_delay_alu instid0(VALU_DEP_1) | instskip(NEXT) | instid1(VALU_DEP_1)
	v_lshlrev_b64_e32 v[4:5], v4, v[0:1]
	v_dual_sub_nc_u32 v3, 30, v3 :: v_dual_bitop2_b32 v4, 3, v4 bitop3:0x40
; %bb.17085:                            ;   in Loop: Header=BB6_14192 Depth=3
	s_or_b32 exec_lo, exec_lo, s75
	v_lshlrev_b32_e32 v1, 24, v86
                                        ; implicit-def: $vgpr86
	s_delay_alu instid0(VALU_DEP_1) | instskip(NEXT) | instid1(VALU_DEP_1)
	v_and_b32_e32 v1, 0x80000000, v1
	v_lshl_add_u32 v1, v3, 23, v1
	s_delay_alu instid0(VALU_DEP_1) | instskip(NEXT) | instid1(VALU_DEP_1)
	v_lshl_or_b32 v1, v4, 21, v1
                                        ; implicit-def: $vgpr4
	v_add_nc_u32_e32 v3, 0x38000000, v1
.LBB6_17086:                            ;   in Loop: Header=BB6_14192 Depth=3
	s_and_not1_saveexec_b32 s75, s13
; %bb.17087:                            ;   in Loop: Header=BB6_14192 Depth=3
	v_and_b32_e32 v1, 0x80, v86
	v_cmp_eq_u32_e32 vcc_lo, 0, v4
	s_delay_alu instid0(VALU_DEP_2) | instskip(SKIP_1) | instid1(VALU_DEP_1)
	v_cmp_eq_u32_e64 s13, 0, v1
	v_mov_b32_e32 v1, 0x7f800000
	v_cndmask_b32_e64 v1, 0xff800000, v1, s13
	s_delay_alu instid0(VALU_DEP_1)
	v_cndmask_b32_e32 v3, 0x7f800001, v1, vcc_lo
; %bb.17088:                            ;   in Loop: Header=BB6_14192 Depth=3
	s_or_b32 exec_lo, exec_lo, s75
.LBB6_17089:                            ;   in Loop: Header=BB6_14192 Depth=3
	s_delay_alu instid0(SALU_CYCLE_1)
	s_or_b32 exec_lo, exec_lo, s74
.LBB6_17090:                            ;   in Loop: Header=BB6_14192 Depth=3
	s_delay_alu instid0(SALU_CYCLE_1) | instskip(SKIP_2) | instid1(VALU_DEP_1)
	s_or_b32 exec_lo, exec_lo, s73
	v_and_b32_e32 v1, 0xff, v18
	s_mov_b32 s73, exec_lo
	v_cmpx_ne_u16_e32 0, v1
	s_cbranch_execz .LBB6_17100
; %bb.17091:                            ;   in Loop: Header=BB6_14192 Depth=3
	v_bfe_i32 v4, v18, 0, 8
	v_bfrev_b32_e32 v2, 1
	s_mov_b32 s74, exec_lo
	s_delay_alu instid0(VALU_DEP_2)
	v_cmpx_ne_u16_e32 0xff80, v4
	s_cbranch_execz .LBB6_17099
; %bb.17092:                            ;   in Loop: Header=BB6_14192 Depth=3
	v_and_b32_e32 v2, 0x7c, v18
	v_and_b32_e32 v1, 3, v18
	s_delay_alu instid0(VALU_DEP_2) | instskip(SKIP_1) | instid1(SALU_CYCLE_1)
	v_cmp_ne_u32_e32 vcc_lo, 0x7c, v2
                                        ; implicit-def: $vgpr2
	s_and_saveexec_b32 s13, vcc_lo
	s_xor_b32 s13, exec_lo, s13
	s_cbranch_execz .LBB6_17096
; %bb.17093:                            ;   in Loop: Header=BB6_14192 Depth=3
	v_bfe_u32 v2, v18, 2, 5
	s_mov_b32 s75, exec_lo
	s_delay_alu instid0(VALU_DEP_1)
	v_cmpx_eq_u32_e32 0, v2
; %bb.17094:                            ;   in Loop: Header=BB6_14192 Depth=3
	v_clz_i32_u32_e32 v1, v1
	s_delay_alu instid0(VALU_DEP_1) | instskip(NEXT) | instid1(VALU_DEP_1)
	v_min_u32_e32 v1, 32, v1
	v_subrev_nc_u32_e32 v2, 29, v1
	s_delay_alu instid0(VALU_DEP_1) | instskip(NEXT) | instid1(VALU_DEP_1)
	v_lshlrev_b64_e32 v[4:5], v2, v[18:19]
	v_dual_sub_nc_u32 v2, 30, v1 :: v_dual_bitop2_b32 v1, 3, v4 bitop3:0x40
; %bb.17095:                            ;   in Loop: Header=BB6_14192 Depth=3
	s_or_b32 exec_lo, exec_lo, s75
	v_lshlrev_b32_e32 v4, 24, v18
	s_delay_alu instid0(VALU_DEP_1) | instskip(NEXT) | instid1(VALU_DEP_1)
	v_and_b32_e32 v4, 0x80000000, v4
	v_lshl_add_u32 v2, v2, 23, v4
                                        ; implicit-def: $vgpr4
	s_delay_alu instid0(VALU_DEP_1) | instskip(NEXT) | instid1(VALU_DEP_1)
	v_lshl_or_b32 v1, v1, 21, v2
	v_add_nc_u32_e32 v2, 0x38000000, v1
                                        ; implicit-def: $vgpr1
.LBB6_17096:                            ;   in Loop: Header=BB6_14192 Depth=3
	s_and_not1_saveexec_b32 s75, s13
; %bb.17097:                            ;   in Loop: Header=BB6_14192 Depth=3
	v_cmp_eq_u32_e32 vcc_lo, 0, v1
	v_cmp_lt_i16_e64 s13, -1, v4
	v_mov_b32_e32 v1, 0x7f800000
	s_delay_alu instid0(VALU_DEP_1) | instskip(NEXT) | instid1(VALU_DEP_1)
	v_cndmask_b32_e64 v1, 0xff800000, v1, s13
	v_cndmask_b32_e32 v2, 0x7f800001, v1, vcc_lo
; %bb.17098:                            ;   in Loop: Header=BB6_14192 Depth=3
	s_or_b32 exec_lo, exec_lo, s75
.LBB6_17099:                            ;   in Loop: Header=BB6_14192 Depth=3
	s_delay_alu instid0(SALU_CYCLE_1)
	s_or_b32 exec_lo, exec_lo, s74
.LBB6_17100:                            ;   in Loop: Header=BB6_14192 Depth=3
	s_delay_alu instid0(SALU_CYCLE_1) | instskip(NEXT) | instid1(VALU_DEP_1)
	s_or_b32 exec_lo, exec_lo, s73
	v_dual_add_f32 v4, v3, v2 :: v_dual_mov_b32 v47, v113
	v_mov_b32_e32 v3, v113
                                        ; implicit-def: $vgpr17
	s_mov_b32 s13, exec_lo
	s_delay_alu instid0(VALU_DEP_2) | instskip(SKIP_2) | instid1(VALU_DEP_3)
	v_and_b32_e32 v46, 0x7f800000, v4
	v_and_b32_e32 v2, 0x7fffff, v4
	v_lshrrev_b32_e32 v1, 24, v4
	v_cmpx_ne_u64_e32 0x7f800000, v[46:47]
	s_xor_b32 s73, exec_lo, s13
	s_cbranch_execz .LBB6_17114
; %bb.17101:                            ;   in Loop: Header=BB6_14192 Depth=3
	v_and_b32_e32 v46, 0x7fffffff, v4
	v_mov_b32_e32 v47, v113
	v_and_b32_e32 v1, 0x80, v1
                                        ; implicit-def: $vgpr17
	s_mov_b32 s13, exec_lo
	s_delay_alu instid0(VALU_DEP_2)
	v_cmpx_gt_u64_e32 0x47600001, v[46:47]
	s_xor_b32 s74, exec_lo, s13
	s_cbranch_execz .LBB6_17111
; %bb.17102:                            ;   in Loop: Header=BB6_14192 Depth=3
	v_mov_b32_e32 v17, 0
	s_mov_b32 s75, exec_lo
	v_cmpx_ne_u32_e32 0, v4
	s_cbranch_execz .LBB6_17110
; %bb.17103:                            ;   in Loop: Header=BB6_14192 Depth=3
	v_bfe_u32 v17, v4, 23, 8
	v_or_b32_e32 v5, 0x800000, v2
	s_delay_alu instid0(VALU_DEP_2) | instskip(SKIP_2) | instid1(VALU_DEP_2)
	v_cmp_gt_u32_e64 s13, 0x72, v17
	v_sub_nc_u32_e32 v4, 0x71, v17
	v_cmp_eq_u32_e32 vcc_lo, 0, v17
	v_dual_cndmask_b32 v4, 0, v4, s13 :: v_dual_cndmask_b32 v2, v5, v2, vcc_lo
	s_delay_alu instid0(VALU_DEP_1) | instskip(NEXT) | instid1(VALU_DEP_1)
	v_cndmask_b32_e64 v86, v4, 0x70, vcc_lo
	v_dual_add_nc_u32 v4, 21, v86 :: v_dual_add_nc_u32 v103, 20, v86
	s_delay_alu instid0(VALU_DEP_1) | instskip(NEXT) | instid1(VALU_DEP_2)
	v_lshlrev_b64_e64 v[4:5], v4, -1
	v_lshlrev_b64_e64 v[46:47], v103, 1
	s_delay_alu instid0(VALU_DEP_2) | instskip(SKIP_1) | instid1(VALU_DEP_4)
	v_bfi_b32 v4, v4, 0, v2
	v_lshrrev_b64 v[2:3], v86, v[2:3]
	v_bfi_b32 v5, v5, 0, 0
	s_delay_alu instid0(VALU_DEP_1) | instskip(NEXT) | instid1(VALU_DEP_3)
	v_cmp_eq_u64_e64 s13, v[4:5], v[46:47]
	v_mov_b64_e32 v[4:5], v[2:3]
	s_and_saveexec_b32 s76, s13
; %bb.17104:                            ;   in Loop: Header=BB6_14192 Depth=3
	v_bfe_u32 v4, v2, 21, 1
	v_mov_b32_e32 v5, v113
	s_delay_alu instid0(VALU_DEP_1) | instskip(NEXT) | instid1(VALU_DEP_1)
	v_add_nc_u64_e32 v[4:5], v[2:3], v[4:5]
	v_add_nc_u64_e32 v[4:5], -1, v[4:5]
; %bb.17105:                            ;   in Loop: Header=BB6_14192 Depth=3
	s_or_b32 exec_lo, exec_lo, s76
	v_add_nc_u32_e32 v3, 0xffffff81, v17
	v_lshrrev_b32_e32 v5, 23, v2
	s_mov_b32 s13, exec_lo
	s_delay_alu instid0(VALU_DEP_2) | instskip(NEXT) | instid1(VALU_DEP_1)
	v_cndmask_b32_e64 v3, v3, 0xffffff82, vcc_lo
	v_add3_u32 v17, v86, v3, v5
	v_and_b32_e32 v3, 0x1fffff, v4
                                        ; implicit-def: $vgpr4
	s_delay_alu instid0(VALU_DEP_1) | instskip(SKIP_1) | instid1(VALU_DEP_2)
	v_dual_add_nc_u32 v5, 14, v17 :: v_dual_add_nc_u32 v2, v3, v2
	v_mov_b32_e32 v3, v113
	v_cmpx_ne_u32_e32 0, v5
	s_xor_b32 s13, exec_lo, s13
; %bb.17106:                            ;   in Loop: Header=BB6_14192 Depth=3
	s_delay_alu instid0(VALU_DEP_2) | instskip(SKIP_1) | instid1(VALU_DEP_1)
	v_cmp_lt_u64_e32 vcc_lo, 0xffffff, v[2:3]
	v_add_nc_u32_e32 v4, 15, v17
	v_cndmask_b32_e32 v4, v5, v4, vcc_lo
	v_cndmask_b32_e64 v5, 0, 1, vcc_lo
	s_delay_alu instid0(VALU_DEP_1)
	v_lshrrev_b64 v[2:3], v5, v[2:3]
; %bb.17107:                            ;   in Loop: Header=BB6_14192 Depth=3
	s_and_not1_saveexec_b32 s13, s13
; %bb.17108:                            ;   in Loop: Header=BB6_14192 Depth=3
	s_delay_alu instid0(VALU_DEP_1)
	v_bfe_u32 v4, v2, 23, 1
; %bb.17109:                            ;   in Loop: Header=BB6_14192 Depth=3
	s_or_b32 exec_lo, exec_lo, s13
	s_delay_alu instid0(VALU_DEP_2) | instskip(NEXT) | instid1(VALU_DEP_2)
	v_lshrrev_b64 v[2:3], 21, v[2:3]
	v_cmp_gt_i32_e32 vcc_lo, 32, v4
	v_min_i32_e32 v5, 31, v4
	v_cmp_eq_u32_e64 s13, 0, v4
	s_delay_alu instid0(VALU_DEP_2) | instskip(SKIP_1) | instid1(VALU_DEP_2)
	v_dual_cndmask_b32 v3, 0, v3, vcc_lo :: v_dual_lshlrev_b32 v5, 2, v5
	v_cndmask_b32_e32 v2, 3, v2, vcc_lo
	v_and_b32_e32 v5, 0xfc, v5
	s_delay_alu instid0(VALU_DEP_2) | instskip(NEXT) | instid1(VALU_DEP_2)
	v_cmp_eq_u64_e32 vcc_lo, 0, v[2:3]
	v_and_or_b32 v2, v2, 3, v5
	s_and_b32 s13, s13, vcc_lo
	s_delay_alu instid0(VALU_DEP_1) | instid1(SALU_CYCLE_1)
	v_cndmask_b32_e64 v2, v2, 0, s13
	s_delay_alu instid0(VALU_DEP_1)
	v_or_b32_e32 v17, v2, v1
.LBB6_17110:                            ;   in Loop: Header=BB6_14192 Depth=3
	s_or_b32 exec_lo, exec_lo, s75
                                        ; implicit-def: $vgpr1
.LBB6_17111:                            ;   in Loop: Header=BB6_14192 Depth=3
	s_and_not1_saveexec_b32 s13, s74
; %bb.17112:                            ;   in Loop: Header=BB6_14192 Depth=3
	v_or_b32_e32 v17, 0x7b, v1
; %bb.17113:                            ;   in Loop: Header=BB6_14192 Depth=3
	s_or_b32 exec_lo, exec_lo, s13
                                        ; implicit-def: $vgpr4
                                        ; implicit-def: $vgpr2_vgpr3
                                        ; implicit-def: $vgpr1
.LBB6_17114:                            ;   in Loop: Header=BB6_14192 Depth=3
	s_and_not1_saveexec_b32 s13, s73
	s_cbranch_execz .LBB6_17120
; %bb.17115:                            ;   in Loop: Header=BB6_14192 Depth=3
	s_mov_b32 s73, exec_lo
                                        ; implicit-def: $vgpr17
	v_cmpx_ne_u64_e32 0, v[2:3]
	s_xor_b32 s73, exec_lo, s73
; %bb.17116:                            ;   in Loop: Header=BB6_14192 Depth=3
	v_or_b32_e32 v17, 0x7f, v1
                                        ; implicit-def: $vgpr4
; %bb.17117:                            ;   in Loop: Header=BB6_14192 Depth=3
	s_and_not1_saveexec_b32 s73, s73
; %bb.17118:                            ;   in Loop: Header=BB6_14192 Depth=3
	v_cmp_lt_i32_e32 vcc_lo, -1, v4
	v_mov_b32_e32 v1, 0x7c
	s_delay_alu instid0(VALU_DEP_1)
	v_cndmask_b32_e32 v17, 0xfc, v1, vcc_lo
; %bb.17119:                            ;   in Loop: Header=BB6_14192 Depth=3
	s_or_b32 exec_lo, exec_lo, s73
.LBB6_17120:                            ;   in Loop: Header=BB6_14192 Depth=3
	s_delay_alu instid0(SALU_CYCLE_1) | instskip(SKIP_3) | instid1(VALU_DEP_2)
	s_or_b32 exec_lo, exec_lo, s13
	v_lshrrev_b16 v2, 8, v101
	v_dual_mov_b32 v1, 0 :: v_dual_mov_b32 v4, 0
	s_mov_b32 s73, exec_lo
	v_cmpx_ne_u16_e32 0, v2
	s_cbranch_execz .LBB6_17130
; %bb.17121:                            ;   in Loop: Header=BB6_14192 Depth=3
	v_bfrev_b32_e32 v4, 1
	s_mov_b32 s74, exec_lo
	v_cmpx_ne_u16_e32 0x80, v2
	s_cbranch_execz .LBB6_17129
; %bb.17122:                            ;   in Loop: Header=BB6_14192 Depth=3
	v_and_b32_e32 v5, 0xffff, v2
	s_delay_alu instid0(VALU_DEP_1) | instskip(SKIP_1) | instid1(VALU_DEP_2)
	v_and_b32_e32 v4, 0x7c, v5
	v_and_b32_e32 v3, 3, v5
	v_cmp_ne_u32_e32 vcc_lo, 0x7c, v4
                                        ; implicit-def: $vgpr4
	s_and_saveexec_b32 s13, vcc_lo
	s_delay_alu instid0(SALU_CYCLE_1)
	s_xor_b32 s13, exec_lo, s13
	s_cbranch_execz .LBB6_17126
; %bb.17123:                            ;   in Loop: Header=BB6_14192 Depth=3
	v_bfe_u32 v4, v5, 2, 5
	s_mov_b32 s75, exec_lo
	s_delay_alu instid0(VALU_DEP_1)
	v_cmpx_eq_u32_e32 0, v4
	s_cbranch_execz .LBB6_17125
; %bb.17124:                            ;   in Loop: Header=BB6_14192 Depth=3
	v_clz_i32_u32_e32 v3, v3
	s_delay_alu instid0(VALU_DEP_1) | instskip(SKIP_1) | instid1(VALU_DEP_2)
	v_min_u32_e32 v4, 32, v3
	v_mov_b32_e32 v3, v113
	v_subrev_nc_u32_e32 v5, 29, v4
	v_sub_nc_u32_e32 v4, 30, v4
	s_delay_alu instid0(VALU_DEP_2) | instskip(NEXT) | instid1(VALU_DEP_1)
	v_lshlrev_b64_e32 v[2:3], v5, v[2:3]
	v_and_b32_e32 v3, 3, v2
.LBB6_17125:                            ;   in Loop: Header=BB6_14192 Depth=3
	s_or_b32 exec_lo, exec_lo, s75
	v_lshlrev_b32_e32 v2, 16, v101
                                        ; implicit-def: $vgpr101
	s_delay_alu instid0(VALU_DEP_1) | instskip(NEXT) | instid1(VALU_DEP_1)
	v_and_b32_e32 v2, 0x80000000, v2
	v_lshl_add_u32 v2, v4, 23, v2
	s_delay_alu instid0(VALU_DEP_1) | instskip(NEXT) | instid1(VALU_DEP_1)
	v_lshl_or_b32 v2, v3, 21, v2
                                        ; implicit-def: $vgpr3
	v_add_nc_u32_e32 v4, 0x38000000, v2
.LBB6_17126:                            ;   in Loop: Header=BB6_14192 Depth=3
	s_and_not1_saveexec_b32 s75, s13
; %bb.17127:                            ;   in Loop: Header=BB6_14192 Depth=3
	v_cmp_lt_i16_e64 s13, -1, v101
	v_mov_b32_e32 v2, 0x7f800000
	v_cmp_eq_u32_e32 vcc_lo, 0, v3
	s_delay_alu instid0(VALU_DEP_2) | instskip(NEXT) | instid1(VALU_DEP_1)
	v_cndmask_b32_e64 v2, 0xff800000, v2, s13
	v_cndmask_b32_e32 v4, 0x7f800001, v2, vcc_lo
; %bb.17128:                            ;   in Loop: Header=BB6_14192 Depth=3
	s_or_b32 exec_lo, exec_lo, s75
.LBB6_17129:                            ;   in Loop: Header=BB6_14192 Depth=3
	s_delay_alu instid0(SALU_CYCLE_1)
	s_or_b32 exec_lo, exec_lo, s74
.LBB6_17130:                            ;   in Loop: Header=BB6_14192 Depth=3
	s_delay_alu instid0(SALU_CYCLE_1) | instskip(SKIP_2) | instid1(VALU_DEP_1)
	s_or_b32 exec_lo, exec_lo, s73
	v_lshrrev_b16 v2, 8, v18
	s_mov_b32 s73, exec_lo
	v_cmpx_ne_u16_e32 0, v2
	s_cbranch_execz .LBB6_17140
; %bb.17131:                            ;   in Loop: Header=BB6_14192 Depth=3
	v_bfrev_b32_e32 v1, 1
	s_mov_b32 s74, exec_lo
	v_cmpx_ne_u16_e32 0x80, v2
	s_cbranch_execz .LBB6_17139
; %bb.17132:                            ;   in Loop: Header=BB6_14192 Depth=3
	v_and_b32_e32 v5, 0xffff, v2
	s_delay_alu instid0(VALU_DEP_1) | instskip(SKIP_1) | instid1(VALU_DEP_2)
	v_and_b32_e32 v1, 0x7c, v5
	v_and_b32_e32 v3, 3, v5
	v_cmp_ne_u32_e32 vcc_lo, 0x7c, v1
                                        ; implicit-def: $vgpr1
	s_and_saveexec_b32 s13, vcc_lo
	s_delay_alu instid0(SALU_CYCLE_1)
	s_xor_b32 s13, exec_lo, s13
	s_cbranch_execz .LBB6_17136
; %bb.17133:                            ;   in Loop: Header=BB6_14192 Depth=3
	v_bfe_u32 v1, v5, 2, 5
	s_mov_b32 s75, exec_lo
	s_delay_alu instid0(VALU_DEP_1)
	v_cmpx_eq_u32_e32 0, v1
	s_cbranch_execz .LBB6_17135
; %bb.17134:                            ;   in Loop: Header=BB6_14192 Depth=3
	v_clz_i32_u32_e32 v1, v3
	s_delay_alu instid0(VALU_DEP_1) | instskip(SKIP_1) | instid1(VALU_DEP_2)
	v_min_u32_e32 v1, 32, v1
	v_mov_b32_e32 v3, v113
	v_subrev_nc_u32_e32 v5, 29, v1
	v_sub_nc_u32_e32 v1, 30, v1
	s_delay_alu instid0(VALU_DEP_2) | instskip(NEXT) | instid1(VALU_DEP_1)
	v_lshlrev_b64_e32 v[2:3], v5, v[2:3]
	v_and_b32_e32 v3, 3, v2
.LBB6_17135:                            ;   in Loop: Header=BB6_14192 Depth=3
	s_or_b32 exec_lo, exec_lo, s75
	v_lshlrev_b32_e32 v2, 16, v18
	s_delay_alu instid0(VALU_DEP_1) | instskip(NEXT) | instid1(VALU_DEP_1)
	v_and_b32_e32 v2, 0x80000000, v2
	v_lshl_add_u32 v1, v1, 23, v2
	s_delay_alu instid0(VALU_DEP_1) | instskip(NEXT) | instid1(VALU_DEP_1)
	v_lshl_or_b32 v1, v3, 21, v1
                                        ; implicit-def: $vgpr3
	v_add_nc_u32_e32 v1, 0x38000000, v1
.LBB6_17136:                            ;   in Loop: Header=BB6_14192 Depth=3
	s_and_not1_saveexec_b32 s75, s13
; %bb.17137:                            ;   in Loop: Header=BB6_14192 Depth=3
	v_cmp_lt_i16_e64 s13, -1, v18
	v_mov_b32_e32 v1, 0x7f800000
	v_cmp_eq_u32_e32 vcc_lo, 0, v3
	s_delay_alu instid0(VALU_DEP_2) | instskip(NEXT) | instid1(VALU_DEP_1)
	v_cndmask_b32_e64 v1, 0xff800000, v1, s13
	v_cndmask_b32_e32 v1, 0x7f800001, v1, vcc_lo
; %bb.17138:                            ;   in Loop: Header=BB6_14192 Depth=3
	s_or_b32 exec_lo, exec_lo, s75
.LBB6_17139:                            ;   in Loop: Header=BB6_14192 Depth=3
	s_delay_alu instid0(SALU_CYCLE_1)
	s_or_b32 exec_lo, exec_lo, s74
.LBB6_17140:                            ;   in Loop: Header=BB6_14192 Depth=3
	s_delay_alu instid0(SALU_CYCLE_1) | instskip(NEXT) | instid1(VALU_DEP_1)
	s_or_b32 exec_lo, exec_lo, s73
	v_dual_add_f32 v4, v4, v1 :: v_dual_mov_b32 v47, v113
	v_mov_b32_e32 v3, v113
                                        ; implicit-def: $vgpr86
	s_mov_b32 s13, exec_lo
	s_delay_alu instid0(VALU_DEP_2) | instskip(SKIP_2) | instid1(VALU_DEP_3)
	v_and_b32_e32 v46, 0x7f800000, v4
	v_and_b32_e32 v2, 0x7fffff, v4
	v_lshrrev_b32_e32 v1, 24, v4
	v_cmpx_ne_u64_e32 0x7f800000, v[46:47]
	s_xor_b32 s73, exec_lo, s13
	s_cbranch_execz .LBB6_17154
; %bb.17141:                            ;   in Loop: Header=BB6_14192 Depth=3
	v_and_b32_e32 v46, 0x7fffffff, v4
	v_mov_b32_e32 v47, v113
	v_and_b32_e32 v1, 0x80, v1
                                        ; implicit-def: $vgpr86
	s_mov_b32 s13, exec_lo
	s_delay_alu instid0(VALU_DEP_2)
	v_cmpx_gt_u64_e32 0x47600001, v[46:47]
	s_xor_b32 s74, exec_lo, s13
	s_cbranch_execz .LBB6_17151
; %bb.17142:                            ;   in Loop: Header=BB6_14192 Depth=3
	v_mov_b32_e32 v86, 0
	s_mov_b32 s75, exec_lo
	v_cmpx_ne_u32_e32 0, v4
	s_cbranch_execz .LBB6_17150
; %bb.17143:                            ;   in Loop: Header=BB6_14192 Depth=3
	v_bfe_u32 v86, v4, 23, 8
	v_or_b32_e32 v5, 0x800000, v2
	s_delay_alu instid0(VALU_DEP_2) | instskip(SKIP_2) | instid1(VALU_DEP_2)
	v_cmp_gt_u32_e64 s13, 0x72, v86
	v_sub_nc_u32_e32 v4, 0x71, v86
	v_cmp_eq_u32_e32 vcc_lo, 0, v86
	v_dual_cndmask_b32 v4, 0, v4, s13 :: v_dual_cndmask_b32 v2, v5, v2, vcc_lo
	s_delay_alu instid0(VALU_DEP_1) | instskip(NEXT) | instid1(VALU_DEP_1)
	v_cndmask_b32_e64 v101, v4, 0x70, vcc_lo
	v_dual_add_nc_u32 v4, 21, v101 :: v_dual_add_nc_u32 v103, 20, v101
	s_delay_alu instid0(VALU_DEP_1) | instskip(NEXT) | instid1(VALU_DEP_2)
	v_lshlrev_b64_e64 v[4:5], v4, -1
	v_lshlrev_b64_e64 v[46:47], v103, 1
	s_delay_alu instid0(VALU_DEP_2) | instskip(SKIP_1) | instid1(VALU_DEP_4)
	v_bfi_b32 v4, v4, 0, v2
	v_lshrrev_b64 v[2:3], v101, v[2:3]
	v_bfi_b32 v5, v5, 0, 0
	s_delay_alu instid0(VALU_DEP_1) | instskip(NEXT) | instid1(VALU_DEP_3)
	v_cmp_eq_u64_e64 s13, v[4:5], v[46:47]
	v_mov_b64_e32 v[4:5], v[2:3]
	s_and_saveexec_b32 s76, s13
; %bb.17144:                            ;   in Loop: Header=BB6_14192 Depth=3
	v_bfe_u32 v4, v2, 21, 1
	v_mov_b32_e32 v5, v113
	s_delay_alu instid0(VALU_DEP_1) | instskip(NEXT) | instid1(VALU_DEP_1)
	v_add_nc_u64_e32 v[4:5], v[2:3], v[4:5]
	v_add_nc_u64_e32 v[4:5], -1, v[4:5]
; %bb.17145:                            ;   in Loop: Header=BB6_14192 Depth=3
	s_or_b32 exec_lo, exec_lo, s76
	v_add_nc_u32_e32 v3, 0xffffff81, v86
	v_lshrrev_b32_e32 v5, 23, v2
	s_mov_b32 s13, exec_lo
	s_delay_alu instid0(VALU_DEP_2) | instskip(NEXT) | instid1(VALU_DEP_1)
	v_cndmask_b32_e64 v3, v3, 0xffffff82, vcc_lo
	v_add3_u32 v86, v101, v3, v5
	v_and_b32_e32 v3, 0x1fffff, v4
                                        ; implicit-def: $vgpr4
	s_delay_alu instid0(VALU_DEP_2) | instskip(NEXT) | instid1(VALU_DEP_2)
	v_add_nc_u32_e32 v5, 14, v86
	v_dual_mov_b32 v3, v113 :: v_dual_add_nc_u32 v2, v3, v2
	s_delay_alu instid0(VALU_DEP_2)
	v_cmpx_ne_u32_e32 0, v5
	s_xor_b32 s13, exec_lo, s13
; %bb.17146:                            ;   in Loop: Header=BB6_14192 Depth=3
	s_delay_alu instid0(VALU_DEP_2) | instskip(SKIP_1) | instid1(VALU_DEP_1)
	v_cmp_lt_u64_e32 vcc_lo, 0xffffff, v[2:3]
	v_add_nc_u32_e32 v4, 15, v86
	v_cndmask_b32_e32 v4, v5, v4, vcc_lo
	v_cndmask_b32_e64 v5, 0, 1, vcc_lo
	s_delay_alu instid0(VALU_DEP_1)
	v_lshrrev_b64 v[2:3], v5, v[2:3]
; %bb.17147:                            ;   in Loop: Header=BB6_14192 Depth=3
	s_and_not1_saveexec_b32 s13, s13
; %bb.17148:                            ;   in Loop: Header=BB6_14192 Depth=3
	s_delay_alu instid0(VALU_DEP_1)
	v_bfe_u32 v4, v2, 23, 1
; %bb.17149:                            ;   in Loop: Header=BB6_14192 Depth=3
	s_or_b32 exec_lo, exec_lo, s13
	s_delay_alu instid0(VALU_DEP_2) | instskip(NEXT) | instid1(VALU_DEP_2)
	v_lshrrev_b64 v[2:3], 21, v[2:3]
	v_cmp_gt_i32_e32 vcc_lo, 32, v4
	v_min_i32_e32 v5, 31, v4
	v_cmp_eq_u32_e64 s13, 0, v4
	s_delay_alu instid0(VALU_DEP_2) | instskip(SKIP_1) | instid1(VALU_DEP_2)
	v_dual_cndmask_b32 v3, 0, v3, vcc_lo :: v_dual_lshlrev_b32 v5, 2, v5
	v_cndmask_b32_e32 v2, 3, v2, vcc_lo
	v_and_b32_e32 v5, 0xfc, v5
	s_delay_alu instid0(VALU_DEP_2) | instskip(NEXT) | instid1(VALU_DEP_2)
	v_cmp_eq_u64_e32 vcc_lo, 0, v[2:3]
	v_and_or_b32 v2, v2, 3, v5
	s_and_b32 s13, s13, vcc_lo
	s_delay_alu instid0(VALU_DEP_1) | instid1(SALU_CYCLE_1)
	v_cndmask_b32_e64 v2, v2, 0, s13
	s_delay_alu instid0(VALU_DEP_1)
	v_or_b32_e32 v86, v2, v1
.LBB6_17150:                            ;   in Loop: Header=BB6_14192 Depth=3
	s_or_b32 exec_lo, exec_lo, s75
                                        ; implicit-def: $vgpr1
.LBB6_17151:                            ;   in Loop: Header=BB6_14192 Depth=3
	s_and_not1_saveexec_b32 s13, s74
; %bb.17152:                            ;   in Loop: Header=BB6_14192 Depth=3
	v_or_b32_e32 v86, 0x7b, v1
; %bb.17153:                            ;   in Loop: Header=BB6_14192 Depth=3
	s_or_b32 exec_lo, exec_lo, s13
                                        ; implicit-def: $vgpr4
                                        ; implicit-def: $vgpr2_vgpr3
                                        ; implicit-def: $vgpr1
.LBB6_17154:                            ;   in Loop: Header=BB6_14192 Depth=3
	s_and_not1_saveexec_b32 s13, s73
	s_cbranch_execz .LBB6_17160
; %bb.17155:                            ;   in Loop: Header=BB6_14192 Depth=3
	s_mov_b32 s73, exec_lo
                                        ; implicit-def: $vgpr86
	v_cmpx_ne_u64_e32 0, v[2:3]
	s_xor_b32 s73, exec_lo, s73
; %bb.17156:                            ;   in Loop: Header=BB6_14192 Depth=3
	v_or_b32_e32 v86, 0x7f, v1
                                        ; implicit-def: $vgpr4
; %bb.17157:                            ;   in Loop: Header=BB6_14192 Depth=3
	s_and_not1_saveexec_b32 s73, s73
; %bb.17158:                            ;   in Loop: Header=BB6_14192 Depth=3
	v_cmp_lt_i32_e32 vcc_lo, -1, v4
	v_mov_b32_e32 v1, 0x7c
	s_delay_alu instid0(VALU_DEP_1)
	v_cndmask_b32_e32 v86, 0xfc, v1, vcc_lo
; %bb.17159:                            ;   in Loop: Header=BB6_14192 Depth=3
	s_or_b32 exec_lo, exec_lo, s73
.LBB6_17160:                            ;   in Loop: Header=BB6_14192 Depth=3
	s_delay_alu instid0(SALU_CYCLE_1) | instskip(SKIP_3) | instid1(VALU_DEP_2)
	s_or_b32 exec_lo, exec_lo, s13
	v_dual_mov_b32 v1, 0 :: v_dual_lshrrev_b32 v2, 16, v0
	v_mov_b32_e32 v3, 0
	s_mov_b32 s73, exec_lo
	v_and_b32_e32 v4, 0xff, v2
	s_delay_alu instid0(VALU_DEP_1)
	v_cmpx_ne_u16_e32 0, v4
	s_cbranch_execz .LBB6_17170
; %bb.17161:                            ;   in Loop: Header=BB6_14192 Depth=3
	v_bfrev_b32_e32 v3, 1
	s_mov_b32 s74, exec_lo
	v_cmpx_ne_u16_e32 0x80, v4
	s_cbranch_execz .LBB6_17169
; %bb.17162:                            ;   in Loop: Header=BB6_14192 Depth=3
	v_and_b32_e32 v3, 0x7c0000, v0
	v_bfe_u32 v4, v0, 16, 2
	s_delay_alu instid0(VALU_DEP_2) | instskip(SKIP_1) | instid1(SALU_CYCLE_1)
	v_cmp_ne_u32_e32 vcc_lo, 0x7c0000, v3
                                        ; implicit-def: $vgpr3
	s_and_saveexec_b32 s13, vcc_lo
	s_xor_b32 s13, exec_lo, s13
	s_cbranch_execz .LBB6_17166
; %bb.17163:                            ;   in Loop: Header=BB6_14192 Depth=3
	v_bfe_u32 v3, v0, 18, 5
	s_mov_b32 s75, exec_lo
	s_delay_alu instid0(VALU_DEP_1)
	v_cmpx_eq_u32_e32 0, v3
; %bb.17164:                            ;   in Loop: Header=BB6_14192 Depth=3
	v_clz_i32_u32_e32 v3, v4
	s_delay_alu instid0(VALU_DEP_1) | instskip(NEXT) | instid1(VALU_DEP_1)
	v_min_u32_e32 v3, 32, v3
	v_subrev_nc_u32_e32 v4, 29, v3
	s_delay_alu instid0(VALU_DEP_1) | instskip(NEXT) | instid1(VALU_DEP_1)
	v_lshlrev_b64_e32 v[4:5], v4, v[2:3]
	v_dual_sub_nc_u32 v3, 30, v3 :: v_dual_bitop2_b32 v4, 3, v4 bitop3:0x40
; %bb.17165:                            ;   in Loop: Header=BB6_14192 Depth=3
	s_or_b32 exec_lo, exec_lo, s75
	v_lshlrev_b32_e32 v2, 24, v2
	s_delay_alu instid0(VALU_DEP_1) | instskip(NEXT) | instid1(VALU_DEP_1)
	v_and_b32_e32 v2, 0x80000000, v2
	v_lshl_add_u32 v2, v3, 23, v2
	s_delay_alu instid0(VALU_DEP_1) | instskip(NEXT) | instid1(VALU_DEP_1)
	v_lshl_or_b32 v2, v4, 21, v2
                                        ; implicit-def: $vgpr4
	v_add_nc_u32_e32 v3, 0x38000000, v2
                                        ; implicit-def: $vgpr2
.LBB6_17166:                            ;   in Loop: Header=BB6_14192 Depth=3
	s_and_not1_saveexec_b32 s75, s13
; %bb.17167:                            ;   in Loop: Header=BB6_14192 Depth=3
	v_bfe_i32 v2, v2, 0, 8
	v_cmp_eq_u32_e32 vcc_lo, 0, v4
	s_delay_alu instid0(VALU_DEP_2) | instskip(SKIP_1) | instid1(VALU_DEP_1)
	v_cmp_lt_i16_e64 s13, -1, v2
	v_mov_b32_e32 v2, 0x7f800000
	v_cndmask_b32_e64 v2, 0xff800000, v2, s13
	s_delay_alu instid0(VALU_DEP_1)
	v_cndmask_b32_e32 v3, 0x7f800001, v2, vcc_lo
; %bb.17168:                            ;   in Loop: Header=BB6_14192 Depth=3
	s_or_b32 exec_lo, exec_lo, s75
.LBB6_17169:                            ;   in Loop: Header=BB6_14192 Depth=3
	s_delay_alu instid0(SALU_CYCLE_1)
	s_or_b32 exec_lo, exec_lo, s74
.LBB6_17170:                            ;   in Loop: Header=BB6_14192 Depth=3
	s_delay_alu instid0(SALU_CYCLE_1) | instskip(SKIP_2) | instid1(VALU_DEP_1)
	s_or_b32 exec_lo, exec_lo, s73
	v_lshrrev_b32_e32 v2, 16, v18
	s_mov_b32 s73, exec_lo
	v_and_b32_e32 v4, 0xff, v2
	s_delay_alu instid0(VALU_DEP_1)
	v_cmpx_ne_u16_e32 0, v4
	s_cbranch_execz .LBB6_17180
; %bb.17171:                            ;   in Loop: Header=BB6_14192 Depth=3
	v_bfrev_b32_e32 v1, 1
	s_mov_b32 s74, exec_lo
	v_cmpx_ne_u16_e32 0x80, v4
	s_cbranch_execz .LBB6_17179
; %bb.17172:                            ;   in Loop: Header=BB6_14192 Depth=3
	v_and_b32_e32 v1, 0x7c0000, v18
	v_bfe_u32 v4, v18, 16, 2
	s_delay_alu instid0(VALU_DEP_2) | instskip(SKIP_1) | instid1(SALU_CYCLE_1)
	v_cmp_ne_u32_e32 vcc_lo, 0x7c0000, v1
                                        ; implicit-def: $vgpr1
	s_and_saveexec_b32 s13, vcc_lo
	s_xor_b32 s13, exec_lo, s13
	s_cbranch_execz .LBB6_17176
; %bb.17173:                            ;   in Loop: Header=BB6_14192 Depth=3
	v_bfe_u32 v1, v18, 18, 5
	s_mov_b32 s75, exec_lo
	s_delay_alu instid0(VALU_DEP_1)
	v_cmpx_eq_u32_e32 0, v1
; %bb.17174:                            ;   in Loop: Header=BB6_14192 Depth=3
	v_clz_i32_u32_e32 v1, v4
	s_delay_alu instid0(VALU_DEP_1) | instskip(NEXT) | instid1(VALU_DEP_1)
	v_min_u32_e32 v1, 32, v1
	v_subrev_nc_u32_e32 v4, 29, v1
	s_delay_alu instid0(VALU_DEP_1) | instskip(NEXT) | instid1(VALU_DEP_1)
	v_lshlrev_b64_e32 v[4:5], v4, v[2:3]
	v_dual_sub_nc_u32 v1, 30, v1 :: v_dual_bitop2_b32 v4, 3, v4 bitop3:0x40
; %bb.17175:                            ;   in Loop: Header=BB6_14192 Depth=3
	s_or_b32 exec_lo, exec_lo, s75
	v_lshlrev_b32_e32 v2, 24, v2
	s_delay_alu instid0(VALU_DEP_1) | instskip(NEXT) | instid1(VALU_DEP_1)
	v_and_b32_e32 v2, 0x80000000, v2
	v_lshl_add_u32 v1, v1, 23, v2
                                        ; implicit-def: $vgpr2
	s_delay_alu instid0(VALU_DEP_1) | instskip(NEXT) | instid1(VALU_DEP_1)
	v_lshl_or_b32 v1, v4, 21, v1
                                        ; implicit-def: $vgpr4
	v_add_nc_u32_e32 v1, 0x38000000, v1
.LBB6_17176:                            ;   in Loop: Header=BB6_14192 Depth=3
	s_and_not1_saveexec_b32 s75, s13
; %bb.17177:                            ;   in Loop: Header=BB6_14192 Depth=3
	v_bfe_i32 v1, v2, 0, 8
	v_cmp_eq_u32_e32 vcc_lo, 0, v4
	s_delay_alu instid0(VALU_DEP_2) | instskip(SKIP_1) | instid1(VALU_DEP_1)
	v_cmp_lt_i16_e64 s13, -1, v1
	v_mov_b32_e32 v1, 0x7f800000
	v_cndmask_b32_e64 v1, 0xff800000, v1, s13
	s_delay_alu instid0(VALU_DEP_1)
	v_cndmask_b32_e32 v1, 0x7f800001, v1, vcc_lo
; %bb.17178:                            ;   in Loop: Header=BB6_14192 Depth=3
	s_or_b32 exec_lo, exec_lo, s75
.LBB6_17179:                            ;   in Loop: Header=BB6_14192 Depth=3
	s_delay_alu instid0(SALU_CYCLE_1)
	s_or_b32 exec_lo, exec_lo, s74
.LBB6_17180:                            ;   in Loop: Header=BB6_14192 Depth=3
	s_delay_alu instid0(SALU_CYCLE_1) | instskip(NEXT) | instid1(VALU_DEP_1)
	s_or_b32 exec_lo, exec_lo, s73
	v_dual_add_f32 v4, v3, v1 :: v_dual_mov_b32 v47, v113
	v_mov_b32_e32 v3, v113
                                        ; implicit-def: $vgpr101
	s_mov_b32 s13, exec_lo
	s_delay_alu instid0(VALU_DEP_2) | instskip(SKIP_2) | instid1(VALU_DEP_3)
	v_and_b32_e32 v46, 0x7f800000, v4
	v_and_b32_e32 v2, 0x7fffff, v4
	v_lshrrev_b32_e32 v1, 24, v4
	v_cmpx_ne_u64_e32 0x7f800000, v[46:47]
	s_xor_b32 s73, exec_lo, s13
	s_cbranch_execz .LBB6_17194
; %bb.17181:                            ;   in Loop: Header=BB6_14192 Depth=3
	v_and_b32_e32 v46, 0x7fffffff, v4
	v_mov_b32_e32 v47, v113
	v_and_b32_e32 v1, 0x80, v1
                                        ; implicit-def: $vgpr101
	s_mov_b32 s13, exec_lo
	s_delay_alu instid0(VALU_DEP_2)
	v_cmpx_gt_u64_e32 0x47600001, v[46:47]
	s_xor_b32 s74, exec_lo, s13
	s_cbranch_execz .LBB6_17191
; %bb.17182:                            ;   in Loop: Header=BB6_14192 Depth=3
	v_mov_b32_e32 v101, 0
	s_mov_b32 s75, exec_lo
	v_cmpx_ne_u32_e32 0, v4
	s_cbranch_execz .LBB6_17190
; %bb.17183:                            ;   in Loop: Header=BB6_14192 Depth=3
	v_bfe_u32 v101, v4, 23, 8
	v_or_b32_e32 v5, 0x800000, v2
	s_delay_alu instid0(VALU_DEP_2) | instskip(SKIP_2) | instid1(VALU_DEP_2)
	v_cmp_gt_u32_e64 s13, 0x72, v101
	v_sub_nc_u32_e32 v4, 0x71, v101
	v_cmp_eq_u32_e32 vcc_lo, 0, v101
	v_dual_cndmask_b32 v4, 0, v4, s13 :: v_dual_cndmask_b32 v2, v5, v2, vcc_lo
	s_delay_alu instid0(VALU_DEP_1) | instskip(NEXT) | instid1(VALU_DEP_1)
	v_cndmask_b32_e64 v103, v4, 0x70, vcc_lo
	v_dual_add_nc_u32 v4, 21, v103 :: v_dual_add_nc_u32 v116, 20, v103
	s_delay_alu instid0(VALU_DEP_1) | instskip(NEXT) | instid1(VALU_DEP_2)
	v_lshlrev_b64_e64 v[4:5], v4, -1
	v_lshlrev_b64_e64 v[46:47], v116, 1
	s_delay_alu instid0(VALU_DEP_2) | instskip(SKIP_1) | instid1(VALU_DEP_4)
	v_bfi_b32 v4, v4, 0, v2
	v_lshrrev_b64 v[2:3], v103, v[2:3]
	v_bfi_b32 v5, v5, 0, 0
	s_delay_alu instid0(VALU_DEP_1) | instskip(NEXT) | instid1(VALU_DEP_3)
	v_cmp_eq_u64_e64 s13, v[4:5], v[46:47]
	v_mov_b64_e32 v[4:5], v[2:3]
	s_and_saveexec_b32 s76, s13
; %bb.17184:                            ;   in Loop: Header=BB6_14192 Depth=3
	v_bfe_u32 v4, v2, 21, 1
	v_mov_b32_e32 v5, v113
	s_delay_alu instid0(VALU_DEP_1) | instskip(NEXT) | instid1(VALU_DEP_1)
	v_add_nc_u64_e32 v[4:5], v[2:3], v[4:5]
	v_add_nc_u64_e32 v[4:5], -1, v[4:5]
; %bb.17185:                            ;   in Loop: Header=BB6_14192 Depth=3
	s_or_b32 exec_lo, exec_lo, s76
	v_add_nc_u32_e32 v3, 0xffffff81, v101
	v_lshrrev_b32_e32 v5, 23, v2
	s_mov_b32 s13, exec_lo
	s_delay_alu instid0(VALU_DEP_2) | instskip(NEXT) | instid1(VALU_DEP_1)
	v_cndmask_b32_e64 v3, v3, 0xffffff82, vcc_lo
	v_add3_u32 v101, v103, v3, v5
	v_and_b32_e32 v3, 0x1fffff, v4
                                        ; implicit-def: $vgpr4
	s_delay_alu instid0(VALU_DEP_1) | instskip(SKIP_1) | instid1(VALU_DEP_2)
	v_dual_add_nc_u32 v5, 14, v101 :: v_dual_add_nc_u32 v2, v3, v2
	v_mov_b32_e32 v3, v113
	v_cmpx_ne_u32_e32 0, v5
	s_xor_b32 s13, exec_lo, s13
; %bb.17186:                            ;   in Loop: Header=BB6_14192 Depth=3
	s_delay_alu instid0(VALU_DEP_2) | instskip(SKIP_1) | instid1(VALU_DEP_1)
	v_cmp_lt_u64_e32 vcc_lo, 0xffffff, v[2:3]
	v_add_nc_u32_e32 v4, 15, v101
	v_cndmask_b32_e32 v4, v5, v4, vcc_lo
	v_cndmask_b32_e64 v5, 0, 1, vcc_lo
	s_delay_alu instid0(VALU_DEP_1)
	v_lshrrev_b64 v[2:3], v5, v[2:3]
; %bb.17187:                            ;   in Loop: Header=BB6_14192 Depth=3
	s_and_not1_saveexec_b32 s13, s13
; %bb.17188:                            ;   in Loop: Header=BB6_14192 Depth=3
	s_delay_alu instid0(VALU_DEP_1)
	v_bfe_u32 v4, v2, 23, 1
; %bb.17189:                            ;   in Loop: Header=BB6_14192 Depth=3
	s_or_b32 exec_lo, exec_lo, s13
	s_delay_alu instid0(VALU_DEP_2) | instskip(NEXT) | instid1(VALU_DEP_2)
	v_lshrrev_b64 v[2:3], 21, v[2:3]
	v_cmp_gt_i32_e32 vcc_lo, 32, v4
	v_min_i32_e32 v5, 31, v4
	v_cmp_eq_u32_e64 s13, 0, v4
	s_delay_alu instid0(VALU_DEP_2) | instskip(SKIP_1) | instid1(VALU_DEP_2)
	v_dual_cndmask_b32 v3, 0, v3, vcc_lo :: v_dual_lshlrev_b32 v5, 2, v5
	v_cndmask_b32_e32 v2, 3, v2, vcc_lo
	v_and_b32_e32 v5, 0xfc, v5
	s_delay_alu instid0(VALU_DEP_2) | instskip(NEXT) | instid1(VALU_DEP_2)
	v_cmp_eq_u64_e32 vcc_lo, 0, v[2:3]
	v_and_or_b32 v2, v2, 3, v5
	s_and_b32 s13, s13, vcc_lo
	s_delay_alu instid0(VALU_DEP_1) | instid1(SALU_CYCLE_1)
	v_cndmask_b32_e64 v2, v2, 0, s13
	s_delay_alu instid0(VALU_DEP_1)
	v_or_b32_e32 v101, v2, v1
.LBB6_17190:                            ;   in Loop: Header=BB6_14192 Depth=3
	s_or_b32 exec_lo, exec_lo, s75
                                        ; implicit-def: $vgpr1
.LBB6_17191:                            ;   in Loop: Header=BB6_14192 Depth=3
	s_and_not1_saveexec_b32 s13, s74
; %bb.17192:                            ;   in Loop: Header=BB6_14192 Depth=3
	v_or_b32_e32 v101, 0x7b, v1
; %bb.17193:                            ;   in Loop: Header=BB6_14192 Depth=3
	s_or_b32 exec_lo, exec_lo, s13
                                        ; implicit-def: $vgpr4
                                        ; implicit-def: $vgpr2_vgpr3
                                        ; implicit-def: $vgpr1
.LBB6_17194:                            ;   in Loop: Header=BB6_14192 Depth=3
	s_and_not1_saveexec_b32 s13, s73
	s_cbranch_execz .LBB6_17200
; %bb.17195:                            ;   in Loop: Header=BB6_14192 Depth=3
	s_mov_b32 s73, exec_lo
                                        ; implicit-def: $vgpr101
	v_cmpx_ne_u64_e32 0, v[2:3]
	s_xor_b32 s73, exec_lo, s73
; %bb.17196:                            ;   in Loop: Header=BB6_14192 Depth=3
	v_or_b32_e32 v101, 0x7f, v1
                                        ; implicit-def: $vgpr4
; %bb.17197:                            ;   in Loop: Header=BB6_14192 Depth=3
	s_and_not1_saveexec_b32 s73, s73
; %bb.17198:                            ;   in Loop: Header=BB6_14192 Depth=3
	v_cmp_lt_i32_e32 vcc_lo, -1, v4
	v_mov_b32_e32 v1, 0x7c
	s_delay_alu instid0(VALU_DEP_1)
	v_cndmask_b32_e32 v101, 0xfc, v1, vcc_lo
; %bb.17199:                            ;   in Loop: Header=BB6_14192 Depth=3
	s_or_b32 exec_lo, exec_lo, s73
.LBB6_17200:                            ;   in Loop: Header=BB6_14192 Depth=3
	s_delay_alu instid0(SALU_CYCLE_1)
	s_or_b32 exec_lo, exec_lo, s13
	v_dual_mov_b32 v3, 0 :: v_dual_mov_b32 v4, 0
	s_mov_b32 s73, exec_lo
	v_cmpx_lt_u32_e32 0xffffff, v0
	s_cbranch_execz .LBB6_17210
; %bb.17201:                            ;   in Loop: Header=BB6_14192 Depth=3
	v_lshrrev_b32_e32 v2, 24, v0
	v_bfrev_b32_e32 v4, 1
	s_mov_b32 s74, exec_lo
	s_delay_alu instid0(VALU_DEP_2)
	v_cmpx_ne_u32_e32 0x80, v2
	s_cbranch_execz .LBB6_17209
; %bb.17202:                            ;   in Loop: Header=BB6_14192 Depth=3
	v_and_b32_e32 v1, 0x7c000000, v0
	v_bfe_u32 v5, v0, 24, 2
	s_mov_b32 s13, exec_lo
                                        ; implicit-def: $vgpr4
	s_delay_alu instid0(VALU_DEP_2)
	v_cmpx_ne_u32_e32 0x7c000000, v1
	s_xor_b32 s13, exec_lo, s13
	s_cbranch_execz .LBB6_17206
; %bb.17203:                            ;   in Loop: Header=BB6_14192 Depth=3
	v_bfe_u32 v1, v0, 26, 5
	s_mov_b32 s75, exec_lo
	s_delay_alu instid0(VALU_DEP_1)
	v_cmpx_eq_u32_e32 0, v1
; %bb.17204:                            ;   in Loop: Header=BB6_14192 Depth=3
	v_clz_i32_u32_e32 v1, v5
	s_delay_alu instid0(VALU_DEP_1) | instskip(NEXT) | instid1(VALU_DEP_1)
	v_min_u32_e32 v1, 32, v1
	v_subrev_nc_u32_e32 v4, 29, v1
	s_delay_alu instid0(VALU_DEP_1) | instskip(NEXT) | instid1(VALU_DEP_1)
	v_lshlrev_b64_e32 v[4:5], v4, v[2:3]
	v_dual_sub_nc_u32 v1, 30, v1 :: v_dual_bitop2_b32 v5, 3, v4 bitop3:0x40
; %bb.17205:                            ;   in Loop: Header=BB6_14192 Depth=3
	s_or_b32 exec_lo, exec_lo, s75
	v_and_b32_e32 v0, 0x80000000, v0
	s_delay_alu instid0(VALU_DEP_1) | instskip(NEXT) | instid1(VALU_DEP_1)
	v_lshl_add_u32 v0, v1, 23, v0
	v_lshl_or_b32 v0, v5, 21, v0
                                        ; implicit-def: $vgpr5
	s_delay_alu instid0(VALU_DEP_1)
	v_add_nc_u32_e32 v4, 0x38000000, v0
                                        ; implicit-def: $vgpr0_vgpr1
.LBB6_17206:                            ;   in Loop: Header=BB6_14192 Depth=3
	s_and_not1_saveexec_b32 s75, s13
; %bb.17207:                            ;   in Loop: Header=BB6_14192 Depth=3
	v_cmp_lt_i32_e64 s13, -1, v0
	v_mov_b32_e32 v0, 0x7f800000
	v_cmp_eq_u32_e32 vcc_lo, 0, v5
	s_delay_alu instid0(VALU_DEP_2) | instskip(NEXT) | instid1(VALU_DEP_1)
	v_cndmask_b32_e64 v0, 0xff800000, v0, s13
	v_cndmask_b32_e32 v4, 0x7f800001, v0, vcc_lo
; %bb.17208:                            ;   in Loop: Header=BB6_14192 Depth=3
	s_or_b32 exec_lo, exec_lo, s75
.LBB6_17209:                            ;   in Loop: Header=BB6_14192 Depth=3
	s_delay_alu instid0(SALU_CYCLE_1)
	s_or_b32 exec_lo, exec_lo, s74
.LBB6_17210:                            ;   in Loop: Header=BB6_14192 Depth=3
	s_delay_alu instid0(SALU_CYCLE_1) | instskip(NEXT) | instid1(SALU_CYCLE_1)
	s_or_b32 exec_lo, exec_lo, s73
	s_mov_b32 s73, exec_lo
	v_cmpx_lt_u32_e32 0xffffff, v18
	s_cbranch_execz .LBB6_17220
; %bb.17211:                            ;   in Loop: Header=BB6_14192 Depth=3
	v_lshrrev_b32_e32 v0, 24, v18
	v_bfrev_b32_e32 v3, 1
	s_mov_b32 s74, exec_lo
	s_delay_alu instid0(VALU_DEP_2)
	v_cmpx_ne_u32_e32 0x80, v0
	s_cbranch_execz .LBB6_17219
; %bb.17212:                            ;   in Loop: Header=BB6_14192 Depth=3
	v_and_b32_e32 v2, 0x7c000000, v18
	v_bfe_u32 v1, v18, 24, 2
	s_mov_b32 s13, exec_lo
                                        ; implicit-def: $vgpr3
	s_delay_alu instid0(VALU_DEP_2)
	v_cmpx_ne_u32_e32 0x7c000000, v2
	s_xor_b32 s13, exec_lo, s13
	s_cbranch_execz .LBB6_17216
; %bb.17213:                            ;   in Loop: Header=BB6_14192 Depth=3
	v_bfe_u32 v2, v18, 26, 5
	s_mov_b32 s75, exec_lo
	s_delay_alu instid0(VALU_DEP_1)
	v_cmpx_eq_u32_e32 0, v2
; %bb.17214:                            ;   in Loop: Header=BB6_14192 Depth=3
	v_clz_i32_u32_e32 v1, v1
	s_delay_alu instid0(VALU_DEP_1) | instskip(NEXT) | instid1(VALU_DEP_1)
	v_min_u32_e32 v2, 32, v1
	v_subrev_nc_u32_e32 v1, 29, v2
	s_delay_alu instid0(VALU_DEP_1) | instskip(NEXT) | instid1(VALU_DEP_1)
	v_lshlrev_b64_e32 v[0:1], v1, v[0:1]
	v_dual_sub_nc_u32 v2, 30, v2 :: v_dual_bitop2_b32 v1, 3, v0 bitop3:0x40
; %bb.17215:                            ;   in Loop: Header=BB6_14192 Depth=3
	s_or_b32 exec_lo, exec_lo, s75
	v_and_b32_e32 v0, 0x80000000, v18
	s_delay_alu instid0(VALU_DEP_1) | instskip(NEXT) | instid1(VALU_DEP_1)
	v_lshl_add_u32 v0, v2, 23, v0
	v_lshl_or_b32 v0, v1, 21, v0
                                        ; implicit-def: $vgpr1
	s_delay_alu instid0(VALU_DEP_1)
	v_add_nc_u32_e32 v3, 0x38000000, v0
.LBB6_17216:                            ;   in Loop: Header=BB6_14192 Depth=3
	s_and_not1_saveexec_b32 s75, s13
; %bb.17217:                            ;   in Loop: Header=BB6_14192 Depth=3
	v_cmp_lt_i32_e64 s13, -1, v18
	v_mov_b32_e32 v0, 0x7f800000
	v_cmp_eq_u32_e32 vcc_lo, 0, v1
	s_delay_alu instid0(VALU_DEP_2) | instskip(NEXT) | instid1(VALU_DEP_1)
	v_cndmask_b32_e64 v0, 0xff800000, v0, s13
	v_cndmask_b32_e32 v3, 0x7f800001, v0, vcc_lo
; %bb.17218:                            ;   in Loop: Header=BB6_14192 Depth=3
	s_or_b32 exec_lo, exec_lo, s75
.LBB6_17219:                            ;   in Loop: Header=BB6_14192 Depth=3
	s_delay_alu instid0(SALU_CYCLE_1)
	s_or_b32 exec_lo, exec_lo, s74
.LBB6_17220:                            ;   in Loop: Header=BB6_14192 Depth=3
	s_delay_alu instid0(SALU_CYCLE_1) | instskip(NEXT) | instid1(VALU_DEP_1)
	s_or_b32 exec_lo, exec_lo, s73
	v_dual_add_f32 v2, v4, v3 :: v_dual_mov_b32 v5, v113
	v_mov_b32_e32 v1, v113
                                        ; implicit-def: $vgpr103
	s_mov_b32 s13, exec_lo
	s_delay_alu instid0(VALU_DEP_2) | instskip(SKIP_2) | instid1(VALU_DEP_3)
	v_and_b32_e32 v4, 0x7f800000, v2
	v_and_b32_e32 v0, 0x7fffff, v2
	v_lshrrev_b32_e32 v3, 24, v2
	v_cmpx_ne_u64_e32 0x7f800000, v[4:5]
	s_xor_b32 s73, exec_lo, s13
	s_cbranch_execz .LBB6_17234
; %bb.17221:                            ;   in Loop: Header=BB6_14192 Depth=3
	v_and_b32_e32 v4, 0x7fffffff, v2
	v_mov_b32_e32 v5, v113
                                        ; implicit-def: $vgpr103
	s_delay_alu instid0(VALU_DEP_1) | instskip(SKIP_2) | instid1(SALU_CYCLE_1)
	v_cmp_gt_u64_e32 vcc_lo, 0x47600001, v[4:5]
	v_and_b32_e32 v4, 0x80, v3
	s_and_saveexec_b32 s13, vcc_lo
	s_xor_b32 s74, exec_lo, s13
	s_cbranch_execz .LBB6_17231
; %bb.17222:                            ;   in Loop: Header=BB6_14192 Depth=3
	v_mov_b32_e32 v103, 0
	s_mov_b32 s75, exec_lo
	v_cmpx_ne_u32_e32 0, v2
	s_cbranch_execz .LBB6_17230
; %bb.17223:                            ;   in Loop: Header=BB6_14192 Depth=3
	v_bfe_u32 v5, v2, 23, 8
	v_or_b32_e32 v3, 0x800000, v0
	s_delay_alu instid0(VALU_DEP_2) | instskip(SKIP_2) | instid1(VALU_DEP_2)
	v_cmp_gt_u32_e64 s13, 0x72, v5
	v_sub_nc_u32_e32 v2, 0x71, v5
	v_cmp_eq_u32_e32 vcc_lo, 0, v5
	v_dual_cndmask_b32 v2, 0, v2, s13 :: v_dual_cndmask_b32 v0, v3, v0, vcc_lo
	s_delay_alu instid0(VALU_DEP_1) | instskip(NEXT) | instid1(VALU_DEP_1)
	v_cndmask_b32_e64 v103, v2, 0x70, vcc_lo
	v_dual_add_nc_u32 v2, 21, v103 :: v_dual_add_nc_u32 v116, 20, v103
	s_delay_alu instid0(VALU_DEP_1) | instskip(NEXT) | instid1(VALU_DEP_2)
	v_lshlrev_b64_e64 v[2:3], v2, -1
	v_lshlrev_b64_e64 v[46:47], v116, 1
	s_delay_alu instid0(VALU_DEP_2) | instskip(SKIP_1) | instid1(VALU_DEP_4)
	v_bfi_b32 v2, v2, 0, v0
	v_lshrrev_b64 v[0:1], v103, v[0:1]
	v_bfi_b32 v3, v3, 0, 0
	s_delay_alu instid0(VALU_DEP_1) | instskip(NEXT) | instid1(VALU_DEP_3)
	v_cmp_eq_u64_e64 s13, v[2:3], v[46:47]
	v_mov_b64_e32 v[2:3], v[0:1]
	s_and_saveexec_b32 s76, s13
; %bb.17224:                            ;   in Loop: Header=BB6_14192 Depth=3
	v_bfe_u32 v2, v0, 21, 1
	v_mov_b32_e32 v3, v113
	s_delay_alu instid0(VALU_DEP_1) | instskip(NEXT) | instid1(VALU_DEP_1)
	v_add_nc_u64_e32 v[2:3], v[0:1], v[2:3]
	v_add_nc_u64_e32 v[2:3], -1, v[2:3]
; %bb.17225:                            ;   in Loop: Header=BB6_14192 Depth=3
	s_or_b32 exec_lo, exec_lo, s76
	v_add_nc_u32_e32 v1, 0xffffff81, v5
	v_lshrrev_b32_e32 v3, 23, v0
	s_mov_b32 s13, exec_lo
	s_delay_alu instid0(VALU_DEP_2) | instskip(NEXT) | instid1(VALU_DEP_1)
	v_cndmask_b32_e64 v1, v1, 0xffffff82, vcc_lo
	v_add3_u32 v5, v103, v1, v3
	v_and_b32_e32 v1, 0x1fffff, v2
                                        ; implicit-def: $vgpr2
	s_delay_alu instid0(VALU_DEP_1) | instskip(SKIP_1) | instid1(VALU_DEP_2)
	v_dual_add_nc_u32 v3, 14, v5 :: v_dual_add_nc_u32 v0, v1, v0
	v_mov_b32_e32 v1, v113
	v_cmpx_ne_u32_e32 0, v3
	s_xor_b32 s13, exec_lo, s13
; %bb.17226:                            ;   in Loop: Header=BB6_14192 Depth=3
	s_delay_alu instid0(VALU_DEP_2) | instskip(SKIP_1) | instid1(VALU_DEP_1)
	v_cmp_lt_u64_e32 vcc_lo, 0xffffff, v[0:1]
	v_add_nc_u32_e32 v2, 15, v5
	v_cndmask_b32_e32 v2, v3, v2, vcc_lo
	v_cndmask_b32_e64 v3, 0, 1, vcc_lo
	s_delay_alu instid0(VALU_DEP_1)
	v_lshrrev_b64 v[0:1], v3, v[0:1]
; %bb.17227:                            ;   in Loop: Header=BB6_14192 Depth=3
	s_and_not1_saveexec_b32 s13, s13
; %bb.17228:                            ;   in Loop: Header=BB6_14192 Depth=3
	s_delay_alu instid0(VALU_DEP_1)
	v_bfe_u32 v2, v0, 23, 1
; %bb.17229:                            ;   in Loop: Header=BB6_14192 Depth=3
	s_or_b32 exec_lo, exec_lo, s13
	s_delay_alu instid0(VALU_DEP_2) | instskip(NEXT) | instid1(VALU_DEP_2)
	v_lshrrev_b64 v[0:1], 21, v[0:1]
	v_cmp_gt_i32_e32 vcc_lo, 32, v2
	v_min_i32_e32 v3, 31, v2
	v_cmp_eq_u32_e64 s13, 0, v2
	s_delay_alu instid0(VALU_DEP_2) | instskip(SKIP_1) | instid1(VALU_DEP_2)
	v_dual_cndmask_b32 v1, 0, v1, vcc_lo :: v_dual_lshlrev_b32 v3, 2, v3
	v_cndmask_b32_e32 v0, 3, v0, vcc_lo
	v_and_b32_e32 v3, 0xfc, v3
	s_delay_alu instid0(VALU_DEP_2) | instskip(NEXT) | instid1(VALU_DEP_2)
	v_cmp_eq_u64_e32 vcc_lo, 0, v[0:1]
	v_and_or_b32 v0, v0, 3, v3
	s_and_b32 s13, s13, vcc_lo
	s_delay_alu instid0(VALU_DEP_1) | instid1(SALU_CYCLE_1)
	v_cndmask_b32_e64 v0, v0, 0, s13
	s_delay_alu instid0(VALU_DEP_1)
	v_or_b32_e32 v103, v0, v4
.LBB6_17230:                            ;   in Loop: Header=BB6_14192 Depth=3
	s_or_b32 exec_lo, exec_lo, s75
                                        ; implicit-def: $vgpr4
.LBB6_17231:                            ;   in Loop: Header=BB6_14192 Depth=3
	s_and_not1_saveexec_b32 s13, s74
; %bb.17232:                            ;   in Loop: Header=BB6_14192 Depth=3
	v_or_b32_e32 v103, 0x7b, v4
; %bb.17233:                            ;   in Loop: Header=BB6_14192 Depth=3
	s_or_b32 exec_lo, exec_lo, s13
                                        ; implicit-def: $vgpr2
                                        ; implicit-def: $vgpr0_vgpr1
                                        ; implicit-def: $vgpr3
.LBB6_17234:                            ;   in Loop: Header=BB6_14192 Depth=3
	s_and_not1_saveexec_b32 s13, s73
	s_cbranch_execz .LBB6_17240
; %bb.17235:                            ;   in Loop: Header=BB6_14192 Depth=3
	s_mov_b32 s73, exec_lo
                                        ; implicit-def: $vgpr103
	v_cmpx_ne_u64_e32 0, v[0:1]
	s_xor_b32 s73, exec_lo, s73
; %bb.17236:                            ;   in Loop: Header=BB6_14192 Depth=3
	v_or_b32_e32 v103, 0x7f, v3
                                        ; implicit-def: $vgpr2
; %bb.17237:                            ;   in Loop: Header=BB6_14192 Depth=3
	s_and_not1_saveexec_b32 s73, s73
; %bb.17238:                            ;   in Loop: Header=BB6_14192 Depth=3
	v_cmp_lt_i32_e32 vcc_lo, -1, v2
	v_mov_b32_e32 v0, 0x7c
	s_delay_alu instid0(VALU_DEP_1)
	v_cndmask_b32_e32 v103, 0xfc, v0, vcc_lo
; %bb.17239:                            ;   in Loop: Header=BB6_14192 Depth=3
	s_or_b32 exec_lo, exec_lo, s73
.LBB6_17240:                            ;   in Loop: Header=BB6_14192 Depth=3
	s_delay_alu instid0(SALU_CYCLE_1) | instskip(SKIP_4) | instid1(VALU_DEP_1)
	s_or_b32 exec_lo, exec_lo, s13
	v_dual_mov_b32 v1, v113 :: v_dual_lshlrev_b32 v0, 24, v102
	v_dual_mov_b32 v3, 0 :: v_dual_lshlrev_b32 v2, 16, v98
	v_lshl_or_b32 v96, v96, 8, v82
	s_mov_b32 s73, exec_lo
	v_or3_b32 v0, v2, v0, v96
	v_mov_b32_e32 v2, 0
	v_cmpx_ne_u32_e32 0, v82
	s_cbranch_execz .LBB6_17250
; %bb.17241:                            ;   in Loop: Header=BB6_14192 Depth=3
	v_bfrev_b32_e32 v2, 1
	s_mov_b32 s74, exec_lo
	v_cmpx_ne_u32_e32 0x80, v82
	s_cbranch_execz .LBB6_17249
; %bb.17242:                            ;   in Loop: Header=BB6_14192 Depth=3
	v_and_b32_e32 v2, 0x7c, v82
	v_and_b32_e32 v4, 3, v82
	s_delay_alu instid0(VALU_DEP_2) | instskip(SKIP_1) | instid1(SALU_CYCLE_1)
	v_cmp_ne_u32_e32 vcc_lo, 0x7c, v2
                                        ; implicit-def: $vgpr2
	s_and_saveexec_b32 s13, vcc_lo
	s_xor_b32 s13, exec_lo, s13
	s_cbranch_execz .LBB6_17246
; %bb.17243:                            ;   in Loop: Header=BB6_14192 Depth=3
	v_bfe_u32 v2, v82, 2, 5
	s_mov_b32 s75, exec_lo
	s_delay_alu instid0(VALU_DEP_1)
	v_cmpx_eq_u32_e32 0, v2
; %bb.17244:                            ;   in Loop: Header=BB6_14192 Depth=3
	v_clz_i32_u32_e32 v2, v4
	s_delay_alu instid0(VALU_DEP_1) | instskip(NEXT) | instid1(VALU_DEP_1)
	v_min_u32_e32 v2, 32, v2
	v_subrev_nc_u32_e32 v4, 29, v2
	s_delay_alu instid0(VALU_DEP_1) | instskip(NEXT) | instid1(VALU_DEP_1)
	v_lshlrev_b64_e32 v[4:5], v4, v[0:1]
	v_dual_sub_nc_u32 v2, 30, v2 :: v_dual_bitop2_b32 v4, 3, v4 bitop3:0x40
; %bb.17245:                            ;   in Loop: Header=BB6_14192 Depth=3
	s_or_b32 exec_lo, exec_lo, s75
	v_lshlrev_b32_e32 v1, 24, v82
                                        ; implicit-def: $vgpr82
	s_delay_alu instid0(VALU_DEP_1) | instskip(NEXT) | instid1(VALU_DEP_1)
	v_and_b32_e32 v1, 0x80000000, v1
	v_lshl_add_u32 v1, v2, 23, v1
	s_delay_alu instid0(VALU_DEP_1) | instskip(NEXT) | instid1(VALU_DEP_1)
	v_lshl_or_b32 v1, v4, 21, v1
                                        ; implicit-def: $vgpr4
	v_add_nc_u32_e32 v2, 0x38000000, v1
.LBB6_17246:                            ;   in Loop: Header=BB6_14192 Depth=3
	s_and_not1_saveexec_b32 s75, s13
; %bb.17247:                            ;   in Loop: Header=BB6_14192 Depth=3
	v_and_b32_e32 v1, 0x80, v82
	v_cmp_eq_u32_e32 vcc_lo, 0, v4
	s_delay_alu instid0(VALU_DEP_2) | instskip(SKIP_1) | instid1(VALU_DEP_1)
	v_cmp_eq_u32_e64 s13, 0, v1
	v_mov_b32_e32 v1, 0x7f800000
	v_cndmask_b32_e64 v1, 0xff800000, v1, s13
	s_delay_alu instid0(VALU_DEP_1)
	v_cndmask_b32_e32 v2, 0x7f800001, v1, vcc_lo
; %bb.17248:                            ;   in Loop: Header=BB6_14192 Depth=3
	s_or_b32 exec_lo, exec_lo, s75
.LBB6_17249:                            ;   in Loop: Header=BB6_14192 Depth=3
	s_delay_alu instid0(SALU_CYCLE_1)
	s_or_b32 exec_lo, exec_lo, s74
.LBB6_17250:                            ;   in Loop: Header=BB6_14192 Depth=3
	s_delay_alu instid0(SALU_CYCLE_1) | instskip(SKIP_2) | instid1(VALU_DEP_1)
	s_or_b32 exec_lo, exec_lo, s73
	v_and_b32_e32 v1, 0xff, v19
	s_mov_b32 s73, exec_lo
	v_cmpx_ne_u16_e32 0, v1
	s_cbranch_execz .LBB6_17260
; %bb.17251:                            ;   in Loop: Header=BB6_14192 Depth=3
	v_bfrev_b32_e32 v3, 1
	s_mov_b32 s74, exec_lo
	v_cmpx_ne_u16_e32 0x80, v1
	s_cbranch_execz .LBB6_17259
; %bb.17252:                            ;   in Loop: Header=BB6_14192 Depth=3
	v_and_b32_e32 v3, 0x7c, v19
	v_and_b32_e32 v1, 3, v19
	s_delay_alu instid0(VALU_DEP_2) | instskip(SKIP_1) | instid1(SALU_CYCLE_1)
	v_cmp_ne_u32_e32 vcc_lo, 0x7c, v3
                                        ; implicit-def: $vgpr3
	s_and_saveexec_b32 s13, vcc_lo
	s_xor_b32 s13, exec_lo, s13
	s_cbranch_execz .LBB6_17256
; %bb.17253:                            ;   in Loop: Header=BB6_14192 Depth=3
	v_bfe_u32 v3, v19, 2, 5
	s_mov_b32 s75, exec_lo
	s_delay_alu instid0(VALU_DEP_1)
	v_cmpx_eq_u32_e32 0, v3
; %bb.17254:                            ;   in Loop: Header=BB6_14192 Depth=3
	v_clz_i32_u32_e32 v1, v1
	v_dual_mov_b32 v4, v19 :: v_dual_mov_b32 v5, v113
	s_delay_alu instid0(VALU_DEP_2) | instskip(NEXT) | instid1(VALU_DEP_1)
	v_min_u32_e32 v1, 32, v1
	v_subrev_nc_u32_e32 v3, 29, v1
	s_delay_alu instid0(VALU_DEP_1) | instskip(NEXT) | instid1(VALU_DEP_1)
	v_lshlrev_b64_e32 v[4:5], v3, v[4:5]
	v_dual_sub_nc_u32 v3, 30, v1 :: v_dual_bitop2_b32 v1, 3, v4 bitop3:0x40
; %bb.17255:                            ;   in Loop: Header=BB6_14192 Depth=3
	s_or_b32 exec_lo, exec_lo, s75
	v_lshlrev_b32_e32 v4, 24, v19
	s_delay_alu instid0(VALU_DEP_1) | instskip(NEXT) | instid1(VALU_DEP_1)
	v_and_b32_e32 v4, 0x80000000, v4
	v_lshl_add_u32 v3, v3, 23, v4
	s_delay_alu instid0(VALU_DEP_1) | instskip(NEXT) | instid1(VALU_DEP_1)
	v_lshl_or_b32 v1, v1, 21, v3
	v_add_nc_u32_e32 v3, 0x38000000, v1
                                        ; implicit-def: $vgpr1
.LBB6_17256:                            ;   in Loop: Header=BB6_14192 Depth=3
	s_and_not1_saveexec_b32 s75, s13
; %bb.17257:                            ;   in Loop: Header=BB6_14192 Depth=3
	v_bfe_i32 v3, v19, 0, 8
	v_cmp_eq_u32_e32 vcc_lo, 0, v1
	v_mov_b32_e32 v1, 0x7f800000
	s_delay_alu instid0(VALU_DEP_3) | instskip(NEXT) | instid1(VALU_DEP_1)
	v_cmp_lt_i16_e64 s13, -1, v3
	v_cndmask_b32_e64 v1, 0xff800000, v1, s13
	s_delay_alu instid0(VALU_DEP_1)
	v_cndmask_b32_e32 v3, 0x7f800001, v1, vcc_lo
; %bb.17258:                            ;   in Loop: Header=BB6_14192 Depth=3
	s_or_b32 exec_lo, exec_lo, s75
.LBB6_17259:                            ;   in Loop: Header=BB6_14192 Depth=3
	s_delay_alu instid0(SALU_CYCLE_1)
	s_or_b32 exec_lo, exec_lo, s74
.LBB6_17260:                            ;   in Loop: Header=BB6_14192 Depth=3
	s_delay_alu instid0(SALU_CYCLE_1) | instskip(NEXT) | instid1(VALU_DEP_1)
	s_or_b32 exec_lo, exec_lo, s73
	v_dual_add_f32 v4, v2, v3 :: v_dual_mov_b32 v47, v113
	v_mov_b32_e32 v3, v113
                                        ; implicit-def: $vgpr82
	s_mov_b32 s13, exec_lo
	s_delay_alu instid0(VALU_DEP_2) | instskip(SKIP_2) | instid1(VALU_DEP_3)
	v_and_b32_e32 v46, 0x7f800000, v4
	v_and_b32_e32 v2, 0x7fffff, v4
	v_lshrrev_b32_e32 v1, 24, v4
	v_cmpx_ne_u64_e32 0x7f800000, v[46:47]
	s_xor_b32 s73, exec_lo, s13
	s_cbranch_execz .LBB6_17274
; %bb.17261:                            ;   in Loop: Header=BB6_14192 Depth=3
	v_and_b32_e32 v46, 0x7fffffff, v4
	v_mov_b32_e32 v47, v113
	v_and_b32_e32 v1, 0x80, v1
                                        ; implicit-def: $vgpr82
	s_mov_b32 s13, exec_lo
	s_delay_alu instid0(VALU_DEP_2)
	v_cmpx_gt_u64_e32 0x47600001, v[46:47]
	s_xor_b32 s74, exec_lo, s13
	s_cbranch_execz .LBB6_17271
; %bb.17262:                            ;   in Loop: Header=BB6_14192 Depth=3
	v_mov_b32_e32 v82, 0
	s_mov_b32 s75, exec_lo
	v_cmpx_ne_u32_e32 0, v4
	s_cbranch_execz .LBB6_17270
; %bb.17263:                            ;   in Loop: Header=BB6_14192 Depth=3
	v_bfe_u32 v82, v4, 23, 8
	v_or_b32_e32 v5, 0x800000, v2
	s_delay_alu instid0(VALU_DEP_2) | instskip(SKIP_2) | instid1(VALU_DEP_2)
	v_cmp_gt_u32_e64 s13, 0x72, v82
	v_sub_nc_u32_e32 v4, 0x71, v82
	v_cmp_eq_u32_e32 vcc_lo, 0, v82
	v_dual_cndmask_b32 v4, 0, v4, s13 :: v_dual_cndmask_b32 v2, v5, v2, vcc_lo
	s_delay_alu instid0(VALU_DEP_1) | instskip(NEXT) | instid1(VALU_DEP_1)
	v_cndmask_b32_e64 v98, v4, 0x70, vcc_lo
	v_dual_add_nc_u32 v4, 21, v98 :: v_dual_add_nc_u32 v102, 20, v98
	s_delay_alu instid0(VALU_DEP_1) | instskip(NEXT) | instid1(VALU_DEP_2)
	v_lshlrev_b64_e64 v[4:5], v4, -1
	v_lshlrev_b64_e64 v[46:47], v102, 1
	s_delay_alu instid0(VALU_DEP_2) | instskip(SKIP_1) | instid1(VALU_DEP_4)
	v_bfi_b32 v4, v4, 0, v2
	v_lshrrev_b64 v[2:3], v98, v[2:3]
	v_bfi_b32 v5, v5, 0, 0
	s_delay_alu instid0(VALU_DEP_1) | instskip(NEXT) | instid1(VALU_DEP_3)
	v_cmp_eq_u64_e64 s13, v[4:5], v[46:47]
	v_mov_b64_e32 v[4:5], v[2:3]
	s_and_saveexec_b32 s76, s13
; %bb.17264:                            ;   in Loop: Header=BB6_14192 Depth=3
	v_bfe_u32 v4, v2, 21, 1
	v_mov_b32_e32 v5, v113
	s_delay_alu instid0(VALU_DEP_1) | instskip(NEXT) | instid1(VALU_DEP_1)
	v_add_nc_u64_e32 v[4:5], v[2:3], v[4:5]
	v_add_nc_u64_e32 v[4:5], -1, v[4:5]
; %bb.17265:                            ;   in Loop: Header=BB6_14192 Depth=3
	s_or_b32 exec_lo, exec_lo, s76
	v_add_nc_u32_e32 v3, 0xffffff81, v82
	v_lshrrev_b32_e32 v5, 23, v2
	s_mov_b32 s13, exec_lo
	s_delay_alu instid0(VALU_DEP_2) | instskip(NEXT) | instid1(VALU_DEP_1)
	v_cndmask_b32_e64 v3, v3, 0xffffff82, vcc_lo
	v_add3_u32 v82, v98, v3, v5
	v_and_b32_e32 v3, 0x1fffff, v4
                                        ; implicit-def: $vgpr4
	s_delay_alu instid0(VALU_DEP_2) | instskip(NEXT) | instid1(VALU_DEP_2)
	v_add_nc_u32_e32 v5, 14, v82
	v_dual_mov_b32 v3, v113 :: v_dual_add_nc_u32 v2, v3, v2
	s_delay_alu instid0(VALU_DEP_2)
	v_cmpx_ne_u32_e32 0, v5
	s_xor_b32 s13, exec_lo, s13
; %bb.17266:                            ;   in Loop: Header=BB6_14192 Depth=3
	s_delay_alu instid0(VALU_DEP_2) | instskip(SKIP_1) | instid1(VALU_DEP_1)
	v_cmp_lt_u64_e32 vcc_lo, 0xffffff, v[2:3]
	v_add_nc_u32_e32 v4, 15, v82
	v_cndmask_b32_e32 v4, v5, v4, vcc_lo
	v_cndmask_b32_e64 v5, 0, 1, vcc_lo
	s_delay_alu instid0(VALU_DEP_1)
	v_lshrrev_b64 v[2:3], v5, v[2:3]
; %bb.17267:                            ;   in Loop: Header=BB6_14192 Depth=3
	s_and_not1_saveexec_b32 s13, s13
; %bb.17268:                            ;   in Loop: Header=BB6_14192 Depth=3
	s_delay_alu instid0(VALU_DEP_1)
	v_bfe_u32 v4, v2, 23, 1
; %bb.17269:                            ;   in Loop: Header=BB6_14192 Depth=3
	s_or_b32 exec_lo, exec_lo, s13
	s_delay_alu instid0(VALU_DEP_2) | instskip(NEXT) | instid1(VALU_DEP_2)
	v_lshrrev_b64 v[2:3], 21, v[2:3]
	v_cmp_gt_i32_e32 vcc_lo, 32, v4
	v_min_i32_e32 v5, 31, v4
	v_cmp_eq_u32_e64 s13, 0, v4
	s_delay_alu instid0(VALU_DEP_2) | instskip(SKIP_1) | instid1(VALU_DEP_2)
	v_dual_cndmask_b32 v3, 0, v3, vcc_lo :: v_dual_lshlrev_b32 v5, 2, v5
	v_cndmask_b32_e32 v2, 3, v2, vcc_lo
	v_and_b32_e32 v5, 0xfc, v5
	s_delay_alu instid0(VALU_DEP_2) | instskip(NEXT) | instid1(VALU_DEP_2)
	v_cmp_eq_u64_e32 vcc_lo, 0, v[2:3]
	v_and_or_b32 v2, v2, 3, v5
	s_and_b32 s13, s13, vcc_lo
	s_delay_alu instid0(VALU_DEP_1) | instid1(SALU_CYCLE_1)
	v_cndmask_b32_e64 v2, v2, 0, s13
	s_delay_alu instid0(VALU_DEP_1)
	v_or_b32_e32 v82, v2, v1
.LBB6_17270:                            ;   in Loop: Header=BB6_14192 Depth=3
	s_or_b32 exec_lo, exec_lo, s75
                                        ; implicit-def: $vgpr1
.LBB6_17271:                            ;   in Loop: Header=BB6_14192 Depth=3
	s_and_not1_saveexec_b32 s13, s74
; %bb.17272:                            ;   in Loop: Header=BB6_14192 Depth=3
	v_or_b32_e32 v82, 0x7b, v1
; %bb.17273:                            ;   in Loop: Header=BB6_14192 Depth=3
	s_or_b32 exec_lo, exec_lo, s13
                                        ; implicit-def: $vgpr4
                                        ; implicit-def: $vgpr2_vgpr3
                                        ; implicit-def: $vgpr1
.LBB6_17274:                            ;   in Loop: Header=BB6_14192 Depth=3
	s_and_not1_saveexec_b32 s13, s73
	s_cbranch_execz .LBB6_17280
; %bb.17275:                            ;   in Loop: Header=BB6_14192 Depth=3
	s_mov_b32 s73, exec_lo
                                        ; implicit-def: $vgpr82
	v_cmpx_ne_u64_e32 0, v[2:3]
	s_xor_b32 s73, exec_lo, s73
; %bb.17276:                            ;   in Loop: Header=BB6_14192 Depth=3
	v_or_b32_e32 v82, 0x7f, v1
                                        ; implicit-def: $vgpr4
; %bb.17277:                            ;   in Loop: Header=BB6_14192 Depth=3
	s_and_not1_saveexec_b32 s73, s73
; %bb.17278:                            ;   in Loop: Header=BB6_14192 Depth=3
	v_cmp_lt_i32_e32 vcc_lo, -1, v4
	v_mov_b32_e32 v1, 0x7c
	s_delay_alu instid0(VALU_DEP_1)
	v_cndmask_b32_e32 v82, 0xfc, v1, vcc_lo
; %bb.17279:                            ;   in Loop: Header=BB6_14192 Depth=3
	s_or_b32 exec_lo, exec_lo, s73
.LBB6_17280:                            ;   in Loop: Header=BB6_14192 Depth=3
	s_delay_alu instid0(SALU_CYCLE_1) | instskip(SKIP_3) | instid1(VALU_DEP_2)
	s_or_b32 exec_lo, exec_lo, s13
	v_lshrrev_b16 v2, 8, v96
	v_dual_mov_b32 v1, 0 :: v_dual_mov_b32 v4, 0
	s_mov_b32 s73, exec_lo
	v_cmpx_ne_u16_e32 0, v2
	s_cbranch_execz .LBB6_17290
; %bb.17281:                            ;   in Loop: Header=BB6_14192 Depth=3
	v_bfrev_b32_e32 v4, 1
	s_mov_b32 s74, exec_lo
	v_cmpx_ne_u16_e32 0x80, v2
	s_cbranch_execz .LBB6_17289
; %bb.17282:                            ;   in Loop: Header=BB6_14192 Depth=3
	v_and_b32_e32 v5, 0xffff, v2
	s_delay_alu instid0(VALU_DEP_1) | instskip(SKIP_1) | instid1(VALU_DEP_2)
	v_and_b32_e32 v4, 0x7c, v5
	v_and_b32_e32 v3, 3, v5
	v_cmp_ne_u32_e32 vcc_lo, 0x7c, v4
                                        ; implicit-def: $vgpr4
	s_and_saveexec_b32 s13, vcc_lo
	s_delay_alu instid0(SALU_CYCLE_1)
	s_xor_b32 s13, exec_lo, s13
	s_cbranch_execz .LBB6_17286
; %bb.17283:                            ;   in Loop: Header=BB6_14192 Depth=3
	v_bfe_u32 v4, v5, 2, 5
	s_mov_b32 s75, exec_lo
	s_delay_alu instid0(VALU_DEP_1)
	v_cmpx_eq_u32_e32 0, v4
	s_cbranch_execz .LBB6_17285
; %bb.17284:                            ;   in Loop: Header=BB6_14192 Depth=3
	v_clz_i32_u32_e32 v3, v3
	s_delay_alu instid0(VALU_DEP_1) | instskip(SKIP_1) | instid1(VALU_DEP_2)
	v_min_u32_e32 v4, 32, v3
	v_mov_b32_e32 v3, v113
	v_subrev_nc_u32_e32 v5, 29, v4
	v_sub_nc_u32_e32 v4, 30, v4
	s_delay_alu instid0(VALU_DEP_2) | instskip(NEXT) | instid1(VALU_DEP_1)
	v_lshlrev_b64_e32 v[2:3], v5, v[2:3]
	v_and_b32_e32 v3, 3, v2
.LBB6_17285:                            ;   in Loop: Header=BB6_14192 Depth=3
	s_or_b32 exec_lo, exec_lo, s75
	v_lshlrev_b32_e32 v2, 16, v96
                                        ; implicit-def: $vgpr96
	s_delay_alu instid0(VALU_DEP_1) | instskip(NEXT) | instid1(VALU_DEP_1)
	v_and_b32_e32 v2, 0x80000000, v2
	v_lshl_add_u32 v2, v4, 23, v2
	s_delay_alu instid0(VALU_DEP_1) | instskip(NEXT) | instid1(VALU_DEP_1)
	v_lshl_or_b32 v2, v3, 21, v2
                                        ; implicit-def: $vgpr3
	v_add_nc_u32_e32 v4, 0x38000000, v2
.LBB6_17286:                            ;   in Loop: Header=BB6_14192 Depth=3
	s_and_not1_saveexec_b32 s75, s13
; %bb.17287:                            ;   in Loop: Header=BB6_14192 Depth=3
	v_cmp_lt_i16_e64 s13, -1, v96
	v_mov_b32_e32 v2, 0x7f800000
	v_cmp_eq_u32_e32 vcc_lo, 0, v3
	s_delay_alu instid0(VALU_DEP_2) | instskip(NEXT) | instid1(VALU_DEP_1)
	v_cndmask_b32_e64 v2, 0xff800000, v2, s13
	v_cndmask_b32_e32 v4, 0x7f800001, v2, vcc_lo
; %bb.17288:                            ;   in Loop: Header=BB6_14192 Depth=3
	s_or_b32 exec_lo, exec_lo, s75
.LBB6_17289:                            ;   in Loop: Header=BB6_14192 Depth=3
	s_delay_alu instid0(SALU_CYCLE_1)
	s_or_b32 exec_lo, exec_lo, s74
.LBB6_17290:                            ;   in Loop: Header=BB6_14192 Depth=3
	s_delay_alu instid0(SALU_CYCLE_1) | instskip(SKIP_2) | instid1(VALU_DEP_1)
	s_or_b32 exec_lo, exec_lo, s73
	v_lshrrev_b16 v2, 8, v19
	s_mov_b32 s73, exec_lo
	v_cmpx_ne_u16_e32 0, v2
	s_cbranch_execz .LBB6_17300
; %bb.17291:                            ;   in Loop: Header=BB6_14192 Depth=3
	v_bfrev_b32_e32 v1, 1
	s_mov_b32 s74, exec_lo
	v_cmpx_ne_u16_e32 0x80, v2
	s_cbranch_execz .LBB6_17299
; %bb.17292:                            ;   in Loop: Header=BB6_14192 Depth=3
	v_and_b32_e32 v5, 0xffff, v2
	s_delay_alu instid0(VALU_DEP_1) | instskip(SKIP_1) | instid1(VALU_DEP_2)
	v_and_b32_e32 v1, 0x7c, v5
	v_and_b32_e32 v3, 3, v5
	v_cmp_ne_u32_e32 vcc_lo, 0x7c, v1
                                        ; implicit-def: $vgpr1
	s_and_saveexec_b32 s13, vcc_lo
	s_delay_alu instid0(SALU_CYCLE_1)
	s_xor_b32 s13, exec_lo, s13
	s_cbranch_execz .LBB6_17296
; %bb.17293:                            ;   in Loop: Header=BB6_14192 Depth=3
	v_bfe_u32 v1, v5, 2, 5
	s_mov_b32 s75, exec_lo
	s_delay_alu instid0(VALU_DEP_1)
	v_cmpx_eq_u32_e32 0, v1
	s_cbranch_execz .LBB6_17295
; %bb.17294:                            ;   in Loop: Header=BB6_14192 Depth=3
	v_clz_i32_u32_e32 v1, v3
	s_delay_alu instid0(VALU_DEP_1) | instskip(SKIP_1) | instid1(VALU_DEP_2)
	v_min_u32_e32 v1, 32, v1
	v_mov_b32_e32 v3, v113
	v_subrev_nc_u32_e32 v5, 29, v1
	v_sub_nc_u32_e32 v1, 30, v1
	s_delay_alu instid0(VALU_DEP_2) | instskip(NEXT) | instid1(VALU_DEP_1)
	v_lshlrev_b64_e32 v[2:3], v5, v[2:3]
	v_and_b32_e32 v3, 3, v2
.LBB6_17295:                            ;   in Loop: Header=BB6_14192 Depth=3
	s_or_b32 exec_lo, exec_lo, s75
	v_lshlrev_b32_e32 v2, 16, v19
	s_delay_alu instid0(VALU_DEP_1) | instskip(NEXT) | instid1(VALU_DEP_1)
	v_and_b32_e32 v2, 0x80000000, v2
	v_lshl_add_u32 v1, v1, 23, v2
	s_delay_alu instid0(VALU_DEP_1) | instskip(NEXT) | instid1(VALU_DEP_1)
	v_lshl_or_b32 v1, v3, 21, v1
                                        ; implicit-def: $vgpr3
	v_add_nc_u32_e32 v1, 0x38000000, v1
.LBB6_17296:                            ;   in Loop: Header=BB6_14192 Depth=3
	s_and_not1_saveexec_b32 s75, s13
; %bb.17297:                            ;   in Loop: Header=BB6_14192 Depth=3
	v_cmp_lt_i16_e64 s13, -1, v19
	v_mov_b32_e32 v1, 0x7f800000
	v_cmp_eq_u32_e32 vcc_lo, 0, v3
	s_delay_alu instid0(VALU_DEP_2) | instskip(NEXT) | instid1(VALU_DEP_1)
	v_cndmask_b32_e64 v1, 0xff800000, v1, s13
	v_cndmask_b32_e32 v1, 0x7f800001, v1, vcc_lo
; %bb.17298:                            ;   in Loop: Header=BB6_14192 Depth=3
	s_or_b32 exec_lo, exec_lo, s75
.LBB6_17299:                            ;   in Loop: Header=BB6_14192 Depth=3
	s_delay_alu instid0(SALU_CYCLE_1)
	s_or_b32 exec_lo, exec_lo, s74
.LBB6_17300:                            ;   in Loop: Header=BB6_14192 Depth=3
	s_delay_alu instid0(SALU_CYCLE_1) | instskip(NEXT) | instid1(VALU_DEP_1)
	s_or_b32 exec_lo, exec_lo, s73
	v_dual_add_f32 v4, v4, v1 :: v_dual_mov_b32 v47, v113
	v_mov_b32_e32 v3, v113
                                        ; implicit-def: $vgpr96
	s_mov_b32 s13, exec_lo
	s_delay_alu instid0(VALU_DEP_2) | instskip(SKIP_2) | instid1(VALU_DEP_3)
	v_and_b32_e32 v46, 0x7f800000, v4
	v_and_b32_e32 v2, 0x7fffff, v4
	v_lshrrev_b32_e32 v1, 24, v4
	v_cmpx_ne_u64_e32 0x7f800000, v[46:47]
	s_xor_b32 s73, exec_lo, s13
	s_cbranch_execz .LBB6_17314
; %bb.17301:                            ;   in Loop: Header=BB6_14192 Depth=3
	v_and_b32_e32 v46, 0x7fffffff, v4
	v_mov_b32_e32 v47, v113
	v_and_b32_e32 v1, 0x80, v1
                                        ; implicit-def: $vgpr96
	s_mov_b32 s13, exec_lo
	s_delay_alu instid0(VALU_DEP_2)
	v_cmpx_gt_u64_e32 0x47600001, v[46:47]
	s_xor_b32 s74, exec_lo, s13
	s_cbranch_execz .LBB6_17311
; %bb.17302:                            ;   in Loop: Header=BB6_14192 Depth=3
	v_mov_b32_e32 v96, 0
	s_mov_b32 s75, exec_lo
	v_cmpx_ne_u32_e32 0, v4
	s_cbranch_execz .LBB6_17310
; %bb.17303:                            ;   in Loop: Header=BB6_14192 Depth=3
	v_bfe_u32 v96, v4, 23, 8
	v_or_b32_e32 v5, 0x800000, v2
	s_delay_alu instid0(VALU_DEP_2) | instskip(SKIP_2) | instid1(VALU_DEP_2)
	v_cmp_gt_u32_e64 s13, 0x72, v96
	v_sub_nc_u32_e32 v4, 0x71, v96
	v_cmp_eq_u32_e32 vcc_lo, 0, v96
	v_dual_cndmask_b32 v4, 0, v4, s13 :: v_dual_cndmask_b32 v2, v5, v2, vcc_lo
	s_delay_alu instid0(VALU_DEP_1) | instskip(NEXT) | instid1(VALU_DEP_1)
	v_cndmask_b32_e64 v98, v4, 0x70, vcc_lo
	v_dual_add_nc_u32 v4, 21, v98 :: v_dual_add_nc_u32 v102, 20, v98
	s_delay_alu instid0(VALU_DEP_1) | instskip(NEXT) | instid1(VALU_DEP_2)
	v_lshlrev_b64_e64 v[4:5], v4, -1
	v_lshlrev_b64_e64 v[46:47], v102, 1
	s_delay_alu instid0(VALU_DEP_2) | instskip(SKIP_1) | instid1(VALU_DEP_4)
	v_bfi_b32 v4, v4, 0, v2
	v_lshrrev_b64 v[2:3], v98, v[2:3]
	v_bfi_b32 v5, v5, 0, 0
	s_delay_alu instid0(VALU_DEP_1) | instskip(NEXT) | instid1(VALU_DEP_3)
	v_cmp_eq_u64_e64 s13, v[4:5], v[46:47]
	v_mov_b64_e32 v[4:5], v[2:3]
	s_and_saveexec_b32 s76, s13
; %bb.17304:                            ;   in Loop: Header=BB6_14192 Depth=3
	v_bfe_u32 v4, v2, 21, 1
	v_mov_b32_e32 v5, v113
	s_delay_alu instid0(VALU_DEP_1) | instskip(NEXT) | instid1(VALU_DEP_1)
	v_add_nc_u64_e32 v[4:5], v[2:3], v[4:5]
	v_add_nc_u64_e32 v[4:5], -1, v[4:5]
; %bb.17305:                            ;   in Loop: Header=BB6_14192 Depth=3
	s_or_b32 exec_lo, exec_lo, s76
	v_add_nc_u32_e32 v3, 0xffffff81, v96
	v_lshrrev_b32_e32 v5, 23, v2
	s_mov_b32 s13, exec_lo
	s_delay_alu instid0(VALU_DEP_2) | instskip(NEXT) | instid1(VALU_DEP_1)
	v_cndmask_b32_e64 v3, v3, 0xffffff82, vcc_lo
	v_add3_u32 v96, v98, v3, v5
	v_and_b32_e32 v3, 0x1fffff, v4
                                        ; implicit-def: $vgpr4
	s_delay_alu instid0(VALU_DEP_1) | instskip(SKIP_1) | instid1(VALU_DEP_2)
	v_dual_add_nc_u32 v5, 14, v96 :: v_dual_add_nc_u32 v2, v3, v2
	v_mov_b32_e32 v3, v113
	v_cmpx_ne_u32_e32 0, v5
	s_xor_b32 s13, exec_lo, s13
; %bb.17306:                            ;   in Loop: Header=BB6_14192 Depth=3
	s_delay_alu instid0(VALU_DEP_2) | instskip(SKIP_1) | instid1(VALU_DEP_1)
	v_cmp_lt_u64_e32 vcc_lo, 0xffffff, v[2:3]
	v_add_nc_u32_e32 v4, 15, v96
	v_cndmask_b32_e32 v4, v5, v4, vcc_lo
	v_cndmask_b32_e64 v5, 0, 1, vcc_lo
	s_delay_alu instid0(VALU_DEP_1)
	v_lshrrev_b64 v[2:3], v5, v[2:3]
; %bb.17307:                            ;   in Loop: Header=BB6_14192 Depth=3
	s_and_not1_saveexec_b32 s13, s13
; %bb.17308:                            ;   in Loop: Header=BB6_14192 Depth=3
	s_delay_alu instid0(VALU_DEP_1)
	v_bfe_u32 v4, v2, 23, 1
; %bb.17309:                            ;   in Loop: Header=BB6_14192 Depth=3
	s_or_b32 exec_lo, exec_lo, s13
	s_delay_alu instid0(VALU_DEP_2) | instskip(NEXT) | instid1(VALU_DEP_2)
	v_lshrrev_b64 v[2:3], 21, v[2:3]
	v_cmp_gt_i32_e32 vcc_lo, 32, v4
	v_min_i32_e32 v5, 31, v4
	v_cmp_eq_u32_e64 s13, 0, v4
	s_delay_alu instid0(VALU_DEP_2) | instskip(SKIP_1) | instid1(VALU_DEP_2)
	v_dual_cndmask_b32 v3, 0, v3, vcc_lo :: v_dual_lshlrev_b32 v5, 2, v5
	v_cndmask_b32_e32 v2, 3, v2, vcc_lo
	v_and_b32_e32 v5, 0xfc, v5
	s_delay_alu instid0(VALU_DEP_2) | instskip(NEXT) | instid1(VALU_DEP_2)
	v_cmp_eq_u64_e32 vcc_lo, 0, v[2:3]
	v_and_or_b32 v2, v2, 3, v5
	s_and_b32 s13, s13, vcc_lo
	s_delay_alu instid0(VALU_DEP_1) | instid1(SALU_CYCLE_1)
	v_cndmask_b32_e64 v2, v2, 0, s13
	s_delay_alu instid0(VALU_DEP_1)
	v_or_b32_e32 v96, v2, v1
.LBB6_17310:                            ;   in Loop: Header=BB6_14192 Depth=3
	s_or_b32 exec_lo, exec_lo, s75
                                        ; implicit-def: $vgpr1
.LBB6_17311:                            ;   in Loop: Header=BB6_14192 Depth=3
	s_and_not1_saveexec_b32 s13, s74
; %bb.17312:                            ;   in Loop: Header=BB6_14192 Depth=3
	v_or_b32_e32 v96, 0x7b, v1
; %bb.17313:                            ;   in Loop: Header=BB6_14192 Depth=3
	s_or_b32 exec_lo, exec_lo, s13
                                        ; implicit-def: $vgpr4
                                        ; implicit-def: $vgpr2_vgpr3
                                        ; implicit-def: $vgpr1
.LBB6_17314:                            ;   in Loop: Header=BB6_14192 Depth=3
	s_and_not1_saveexec_b32 s13, s73
	s_cbranch_execz .LBB6_17320
; %bb.17315:                            ;   in Loop: Header=BB6_14192 Depth=3
	s_mov_b32 s73, exec_lo
                                        ; implicit-def: $vgpr96
	v_cmpx_ne_u64_e32 0, v[2:3]
	s_xor_b32 s73, exec_lo, s73
; %bb.17316:                            ;   in Loop: Header=BB6_14192 Depth=3
	v_or_b32_e32 v96, 0x7f, v1
                                        ; implicit-def: $vgpr4
; %bb.17317:                            ;   in Loop: Header=BB6_14192 Depth=3
	s_and_not1_saveexec_b32 s73, s73
; %bb.17318:                            ;   in Loop: Header=BB6_14192 Depth=3
	v_cmp_lt_i32_e32 vcc_lo, -1, v4
	v_mov_b32_e32 v1, 0x7c
	s_delay_alu instid0(VALU_DEP_1)
	v_cndmask_b32_e32 v96, 0xfc, v1, vcc_lo
; %bb.17319:                            ;   in Loop: Header=BB6_14192 Depth=3
	s_or_b32 exec_lo, exec_lo, s73
.LBB6_17320:                            ;   in Loop: Header=BB6_14192 Depth=3
	s_delay_alu instid0(SALU_CYCLE_1) | instskip(SKIP_3) | instid1(VALU_DEP_2)
	s_or_b32 exec_lo, exec_lo, s13
	v_dual_mov_b32 v1, 0 :: v_dual_lshrrev_b32 v2, 16, v0
	v_mov_b32_e32 v3, 0
	s_mov_b32 s73, exec_lo
	v_and_b32_e32 v4, 0xff, v2
	s_delay_alu instid0(VALU_DEP_1)
	v_cmpx_ne_u16_e32 0, v4
	s_cbranch_execz .LBB6_17330
; %bb.17321:                            ;   in Loop: Header=BB6_14192 Depth=3
	v_bfrev_b32_e32 v3, 1
	s_mov_b32 s74, exec_lo
	v_cmpx_ne_u16_e32 0x80, v4
	s_cbranch_execz .LBB6_17329
; %bb.17322:                            ;   in Loop: Header=BB6_14192 Depth=3
	v_and_b32_e32 v3, 0x7c0000, v0
	v_bfe_u32 v4, v0, 16, 2
	s_delay_alu instid0(VALU_DEP_2) | instskip(SKIP_1) | instid1(SALU_CYCLE_1)
	v_cmp_ne_u32_e32 vcc_lo, 0x7c0000, v3
                                        ; implicit-def: $vgpr3
	s_and_saveexec_b32 s13, vcc_lo
	s_xor_b32 s13, exec_lo, s13
	s_cbranch_execz .LBB6_17326
; %bb.17323:                            ;   in Loop: Header=BB6_14192 Depth=3
	v_bfe_u32 v3, v0, 18, 5
	s_mov_b32 s75, exec_lo
	s_delay_alu instid0(VALU_DEP_1)
	v_cmpx_eq_u32_e32 0, v3
; %bb.17324:                            ;   in Loop: Header=BB6_14192 Depth=3
	v_clz_i32_u32_e32 v3, v4
	s_delay_alu instid0(VALU_DEP_1) | instskip(NEXT) | instid1(VALU_DEP_1)
	v_min_u32_e32 v3, 32, v3
	v_subrev_nc_u32_e32 v4, 29, v3
	s_delay_alu instid0(VALU_DEP_1) | instskip(NEXT) | instid1(VALU_DEP_1)
	v_lshlrev_b64_e32 v[4:5], v4, v[2:3]
	v_dual_sub_nc_u32 v3, 30, v3 :: v_dual_bitop2_b32 v4, 3, v4 bitop3:0x40
; %bb.17325:                            ;   in Loop: Header=BB6_14192 Depth=3
	s_or_b32 exec_lo, exec_lo, s75
	v_lshlrev_b32_e32 v2, 24, v2
	s_delay_alu instid0(VALU_DEP_1) | instskip(NEXT) | instid1(VALU_DEP_1)
	v_and_b32_e32 v2, 0x80000000, v2
	v_lshl_add_u32 v2, v3, 23, v2
	s_delay_alu instid0(VALU_DEP_1) | instskip(NEXT) | instid1(VALU_DEP_1)
	v_lshl_or_b32 v2, v4, 21, v2
                                        ; implicit-def: $vgpr4
	v_add_nc_u32_e32 v3, 0x38000000, v2
                                        ; implicit-def: $vgpr2
.LBB6_17326:                            ;   in Loop: Header=BB6_14192 Depth=3
	s_and_not1_saveexec_b32 s75, s13
; %bb.17327:                            ;   in Loop: Header=BB6_14192 Depth=3
	v_bfe_i32 v2, v2, 0, 8
	v_cmp_eq_u32_e32 vcc_lo, 0, v4
	s_delay_alu instid0(VALU_DEP_2) | instskip(SKIP_1) | instid1(VALU_DEP_1)
	v_cmp_lt_i16_e64 s13, -1, v2
	v_mov_b32_e32 v2, 0x7f800000
	v_cndmask_b32_e64 v2, 0xff800000, v2, s13
	s_delay_alu instid0(VALU_DEP_1)
	v_cndmask_b32_e32 v3, 0x7f800001, v2, vcc_lo
; %bb.17328:                            ;   in Loop: Header=BB6_14192 Depth=3
	s_or_b32 exec_lo, exec_lo, s75
.LBB6_17329:                            ;   in Loop: Header=BB6_14192 Depth=3
	s_delay_alu instid0(SALU_CYCLE_1)
	s_or_b32 exec_lo, exec_lo, s74
.LBB6_17330:                            ;   in Loop: Header=BB6_14192 Depth=3
	s_delay_alu instid0(SALU_CYCLE_1) | instskip(SKIP_2) | instid1(VALU_DEP_1)
	s_or_b32 exec_lo, exec_lo, s73
	v_lshrrev_b32_e32 v2, 16, v19
	s_mov_b32 s73, exec_lo
	v_and_b32_e32 v4, 0xff, v2
	s_delay_alu instid0(VALU_DEP_1)
	v_cmpx_ne_u16_e32 0, v4
	s_cbranch_execz .LBB6_17340
; %bb.17331:                            ;   in Loop: Header=BB6_14192 Depth=3
	v_bfrev_b32_e32 v1, 1
	s_mov_b32 s74, exec_lo
	v_cmpx_ne_u16_e32 0x80, v4
	s_cbranch_execz .LBB6_17339
; %bb.17332:                            ;   in Loop: Header=BB6_14192 Depth=3
	v_and_b32_e32 v1, 0x7c0000, v19
	v_bfe_u32 v4, v19, 16, 2
	s_delay_alu instid0(VALU_DEP_2) | instskip(SKIP_1) | instid1(SALU_CYCLE_1)
	v_cmp_ne_u32_e32 vcc_lo, 0x7c0000, v1
                                        ; implicit-def: $vgpr1
	s_and_saveexec_b32 s13, vcc_lo
	s_xor_b32 s13, exec_lo, s13
	s_cbranch_execz .LBB6_17336
; %bb.17333:                            ;   in Loop: Header=BB6_14192 Depth=3
	v_bfe_u32 v1, v19, 18, 5
	s_mov_b32 s75, exec_lo
	s_delay_alu instid0(VALU_DEP_1)
	v_cmpx_eq_u32_e32 0, v1
; %bb.17334:                            ;   in Loop: Header=BB6_14192 Depth=3
	v_clz_i32_u32_e32 v1, v4
	s_delay_alu instid0(VALU_DEP_1) | instskip(NEXT) | instid1(VALU_DEP_1)
	v_min_u32_e32 v1, 32, v1
	v_subrev_nc_u32_e32 v4, 29, v1
	s_delay_alu instid0(VALU_DEP_1) | instskip(NEXT) | instid1(VALU_DEP_1)
	v_lshlrev_b64_e32 v[4:5], v4, v[2:3]
	v_dual_sub_nc_u32 v1, 30, v1 :: v_dual_bitop2_b32 v4, 3, v4 bitop3:0x40
; %bb.17335:                            ;   in Loop: Header=BB6_14192 Depth=3
	s_or_b32 exec_lo, exec_lo, s75
	v_lshlrev_b32_e32 v2, 24, v2
	s_delay_alu instid0(VALU_DEP_1) | instskip(NEXT) | instid1(VALU_DEP_1)
	v_and_b32_e32 v2, 0x80000000, v2
	v_lshl_add_u32 v1, v1, 23, v2
                                        ; implicit-def: $vgpr2
	s_delay_alu instid0(VALU_DEP_1) | instskip(NEXT) | instid1(VALU_DEP_1)
	v_lshl_or_b32 v1, v4, 21, v1
                                        ; implicit-def: $vgpr4
	v_add_nc_u32_e32 v1, 0x38000000, v1
.LBB6_17336:                            ;   in Loop: Header=BB6_14192 Depth=3
	s_and_not1_saveexec_b32 s75, s13
; %bb.17337:                            ;   in Loop: Header=BB6_14192 Depth=3
	v_bfe_i32 v1, v2, 0, 8
	v_cmp_eq_u32_e32 vcc_lo, 0, v4
	s_delay_alu instid0(VALU_DEP_2) | instskip(SKIP_1) | instid1(VALU_DEP_1)
	v_cmp_lt_i16_e64 s13, -1, v1
	v_mov_b32_e32 v1, 0x7f800000
	v_cndmask_b32_e64 v1, 0xff800000, v1, s13
	s_delay_alu instid0(VALU_DEP_1)
	v_cndmask_b32_e32 v1, 0x7f800001, v1, vcc_lo
; %bb.17338:                            ;   in Loop: Header=BB6_14192 Depth=3
	s_or_b32 exec_lo, exec_lo, s75
.LBB6_17339:                            ;   in Loop: Header=BB6_14192 Depth=3
	s_delay_alu instid0(SALU_CYCLE_1)
	s_or_b32 exec_lo, exec_lo, s74
.LBB6_17340:                            ;   in Loop: Header=BB6_14192 Depth=3
	s_delay_alu instid0(SALU_CYCLE_1) | instskip(NEXT) | instid1(VALU_DEP_1)
	s_or_b32 exec_lo, exec_lo, s73
	v_dual_add_f32 v4, v3, v1 :: v_dual_mov_b32 v47, v113
	v_mov_b32_e32 v3, v113
                                        ; implicit-def: $vgpr98
	s_mov_b32 s13, exec_lo
	s_delay_alu instid0(VALU_DEP_2) | instskip(SKIP_2) | instid1(VALU_DEP_3)
	v_and_b32_e32 v46, 0x7f800000, v4
	v_and_b32_e32 v2, 0x7fffff, v4
	v_lshrrev_b32_e32 v1, 24, v4
	v_cmpx_ne_u64_e32 0x7f800000, v[46:47]
	s_xor_b32 s73, exec_lo, s13
	s_cbranch_execz .LBB6_17354
; %bb.17341:                            ;   in Loop: Header=BB6_14192 Depth=3
	v_and_b32_e32 v46, 0x7fffffff, v4
	v_mov_b32_e32 v47, v113
	v_and_b32_e32 v1, 0x80, v1
                                        ; implicit-def: $vgpr98
	s_mov_b32 s13, exec_lo
	s_delay_alu instid0(VALU_DEP_2)
	v_cmpx_gt_u64_e32 0x47600001, v[46:47]
	s_xor_b32 s74, exec_lo, s13
	s_cbranch_execz .LBB6_17351
; %bb.17342:                            ;   in Loop: Header=BB6_14192 Depth=3
	v_mov_b32_e32 v98, 0
	s_mov_b32 s75, exec_lo
	v_cmpx_ne_u32_e32 0, v4
	s_cbranch_execz .LBB6_17350
; %bb.17343:                            ;   in Loop: Header=BB6_14192 Depth=3
	v_bfe_u32 v98, v4, 23, 8
	v_or_b32_e32 v5, 0x800000, v2
	s_delay_alu instid0(VALU_DEP_2) | instskip(SKIP_2) | instid1(VALU_DEP_2)
	v_cmp_gt_u32_e64 s13, 0x72, v98
	v_sub_nc_u32_e32 v4, 0x71, v98
	v_cmp_eq_u32_e32 vcc_lo, 0, v98
	v_dual_cndmask_b32 v4, 0, v4, s13 :: v_dual_cndmask_b32 v2, v5, v2, vcc_lo
	s_delay_alu instid0(VALU_DEP_1) | instskip(NEXT) | instid1(VALU_DEP_1)
	v_cndmask_b32_e64 v102, v4, 0x70, vcc_lo
	v_dual_add_nc_u32 v4, 21, v102 :: v_dual_add_nc_u32 v116, 20, v102
	s_delay_alu instid0(VALU_DEP_1) | instskip(NEXT) | instid1(VALU_DEP_2)
	v_lshlrev_b64_e64 v[4:5], v4, -1
	v_lshlrev_b64_e64 v[46:47], v116, 1
	s_delay_alu instid0(VALU_DEP_2) | instskip(SKIP_1) | instid1(VALU_DEP_4)
	v_bfi_b32 v4, v4, 0, v2
	v_lshrrev_b64 v[2:3], v102, v[2:3]
	v_bfi_b32 v5, v5, 0, 0
	s_delay_alu instid0(VALU_DEP_1) | instskip(NEXT) | instid1(VALU_DEP_3)
	v_cmp_eq_u64_e64 s13, v[4:5], v[46:47]
	v_mov_b64_e32 v[4:5], v[2:3]
	s_and_saveexec_b32 s76, s13
; %bb.17344:                            ;   in Loop: Header=BB6_14192 Depth=3
	v_bfe_u32 v4, v2, 21, 1
	v_mov_b32_e32 v5, v113
	s_delay_alu instid0(VALU_DEP_1) | instskip(NEXT) | instid1(VALU_DEP_1)
	v_add_nc_u64_e32 v[4:5], v[2:3], v[4:5]
	v_add_nc_u64_e32 v[4:5], -1, v[4:5]
; %bb.17345:                            ;   in Loop: Header=BB6_14192 Depth=3
	s_or_b32 exec_lo, exec_lo, s76
	v_add_nc_u32_e32 v3, 0xffffff81, v98
	v_lshrrev_b32_e32 v5, 23, v2
	s_mov_b32 s13, exec_lo
	s_delay_alu instid0(VALU_DEP_2) | instskip(NEXT) | instid1(VALU_DEP_1)
	v_cndmask_b32_e64 v3, v3, 0xffffff82, vcc_lo
	v_add3_u32 v98, v102, v3, v5
	v_and_b32_e32 v3, 0x1fffff, v4
                                        ; implicit-def: $vgpr4
	s_delay_alu instid0(VALU_DEP_2) | instskip(NEXT) | instid1(VALU_DEP_2)
	v_add_nc_u32_e32 v5, 14, v98
	v_dual_mov_b32 v3, v113 :: v_dual_add_nc_u32 v2, v3, v2
	s_delay_alu instid0(VALU_DEP_2)
	v_cmpx_ne_u32_e32 0, v5
	s_xor_b32 s13, exec_lo, s13
; %bb.17346:                            ;   in Loop: Header=BB6_14192 Depth=3
	s_delay_alu instid0(VALU_DEP_2) | instskip(SKIP_1) | instid1(VALU_DEP_1)
	v_cmp_lt_u64_e32 vcc_lo, 0xffffff, v[2:3]
	v_add_nc_u32_e32 v4, 15, v98
	v_cndmask_b32_e32 v4, v5, v4, vcc_lo
	v_cndmask_b32_e64 v5, 0, 1, vcc_lo
	s_delay_alu instid0(VALU_DEP_1)
	v_lshrrev_b64 v[2:3], v5, v[2:3]
; %bb.17347:                            ;   in Loop: Header=BB6_14192 Depth=3
	s_and_not1_saveexec_b32 s13, s13
; %bb.17348:                            ;   in Loop: Header=BB6_14192 Depth=3
	s_delay_alu instid0(VALU_DEP_1)
	v_bfe_u32 v4, v2, 23, 1
; %bb.17349:                            ;   in Loop: Header=BB6_14192 Depth=3
	s_or_b32 exec_lo, exec_lo, s13
	s_delay_alu instid0(VALU_DEP_2) | instskip(NEXT) | instid1(VALU_DEP_2)
	v_lshrrev_b64 v[2:3], 21, v[2:3]
	v_cmp_gt_i32_e32 vcc_lo, 32, v4
	v_min_i32_e32 v5, 31, v4
	v_cmp_eq_u32_e64 s13, 0, v4
	s_delay_alu instid0(VALU_DEP_2) | instskip(SKIP_1) | instid1(VALU_DEP_2)
	v_dual_cndmask_b32 v3, 0, v3, vcc_lo :: v_dual_lshlrev_b32 v5, 2, v5
	v_cndmask_b32_e32 v2, 3, v2, vcc_lo
	v_and_b32_e32 v5, 0xfc, v5
	s_delay_alu instid0(VALU_DEP_2) | instskip(NEXT) | instid1(VALU_DEP_2)
	v_cmp_eq_u64_e32 vcc_lo, 0, v[2:3]
	v_and_or_b32 v2, v2, 3, v5
	s_and_b32 s13, s13, vcc_lo
	s_delay_alu instid0(VALU_DEP_1) | instid1(SALU_CYCLE_1)
	v_cndmask_b32_e64 v2, v2, 0, s13
	s_delay_alu instid0(VALU_DEP_1)
	v_or_b32_e32 v98, v2, v1
.LBB6_17350:                            ;   in Loop: Header=BB6_14192 Depth=3
	s_or_b32 exec_lo, exec_lo, s75
                                        ; implicit-def: $vgpr1
.LBB6_17351:                            ;   in Loop: Header=BB6_14192 Depth=3
	s_and_not1_saveexec_b32 s13, s74
; %bb.17352:                            ;   in Loop: Header=BB6_14192 Depth=3
	v_or_b32_e32 v98, 0x7b, v1
; %bb.17353:                            ;   in Loop: Header=BB6_14192 Depth=3
	s_or_b32 exec_lo, exec_lo, s13
                                        ; implicit-def: $vgpr4
                                        ; implicit-def: $vgpr2_vgpr3
                                        ; implicit-def: $vgpr1
.LBB6_17354:                            ;   in Loop: Header=BB6_14192 Depth=3
	s_and_not1_saveexec_b32 s13, s73
	s_cbranch_execz .LBB6_17360
; %bb.17355:                            ;   in Loop: Header=BB6_14192 Depth=3
	s_mov_b32 s73, exec_lo
                                        ; implicit-def: $vgpr98
	v_cmpx_ne_u64_e32 0, v[2:3]
	s_xor_b32 s73, exec_lo, s73
; %bb.17356:                            ;   in Loop: Header=BB6_14192 Depth=3
	v_or_b32_e32 v98, 0x7f, v1
                                        ; implicit-def: $vgpr4
; %bb.17357:                            ;   in Loop: Header=BB6_14192 Depth=3
	s_and_not1_saveexec_b32 s73, s73
; %bb.17358:                            ;   in Loop: Header=BB6_14192 Depth=3
	v_cmp_lt_i32_e32 vcc_lo, -1, v4
	v_mov_b32_e32 v1, 0x7c
	s_delay_alu instid0(VALU_DEP_1)
	v_cndmask_b32_e32 v98, 0xfc, v1, vcc_lo
; %bb.17359:                            ;   in Loop: Header=BB6_14192 Depth=3
	s_or_b32 exec_lo, exec_lo, s73
.LBB6_17360:                            ;   in Loop: Header=BB6_14192 Depth=3
	s_delay_alu instid0(SALU_CYCLE_1)
	s_or_b32 exec_lo, exec_lo, s13
	v_dual_mov_b32 v3, 0 :: v_dual_mov_b32 v4, 0
	s_mov_b32 s73, exec_lo
	v_cmpx_lt_u32_e32 0xffffff, v0
	s_cbranch_execz .LBB6_17370
; %bb.17361:                            ;   in Loop: Header=BB6_14192 Depth=3
	v_lshrrev_b32_e32 v2, 24, v0
	v_bfrev_b32_e32 v4, 1
	s_mov_b32 s74, exec_lo
	s_delay_alu instid0(VALU_DEP_2)
	v_cmpx_ne_u32_e32 0x80, v2
	s_cbranch_execz .LBB6_17369
; %bb.17362:                            ;   in Loop: Header=BB6_14192 Depth=3
	v_and_b32_e32 v1, 0x7c000000, v0
	v_bfe_u32 v5, v0, 24, 2
	s_mov_b32 s13, exec_lo
                                        ; implicit-def: $vgpr4
	s_delay_alu instid0(VALU_DEP_2)
	v_cmpx_ne_u32_e32 0x7c000000, v1
	s_xor_b32 s13, exec_lo, s13
	s_cbranch_execz .LBB6_17366
; %bb.17363:                            ;   in Loop: Header=BB6_14192 Depth=3
	v_bfe_u32 v1, v0, 26, 5
	s_mov_b32 s75, exec_lo
	s_delay_alu instid0(VALU_DEP_1)
	v_cmpx_eq_u32_e32 0, v1
; %bb.17364:                            ;   in Loop: Header=BB6_14192 Depth=3
	v_clz_i32_u32_e32 v1, v5
	s_delay_alu instid0(VALU_DEP_1) | instskip(NEXT) | instid1(VALU_DEP_1)
	v_min_u32_e32 v1, 32, v1
	v_subrev_nc_u32_e32 v4, 29, v1
	s_delay_alu instid0(VALU_DEP_1) | instskip(NEXT) | instid1(VALU_DEP_1)
	v_lshlrev_b64_e32 v[4:5], v4, v[2:3]
	v_dual_sub_nc_u32 v1, 30, v1 :: v_dual_bitop2_b32 v5, 3, v4 bitop3:0x40
; %bb.17365:                            ;   in Loop: Header=BB6_14192 Depth=3
	s_or_b32 exec_lo, exec_lo, s75
	v_and_b32_e32 v0, 0x80000000, v0
	s_delay_alu instid0(VALU_DEP_1) | instskip(NEXT) | instid1(VALU_DEP_1)
	v_lshl_add_u32 v0, v1, 23, v0
	v_lshl_or_b32 v0, v5, 21, v0
                                        ; implicit-def: $vgpr5
	s_delay_alu instid0(VALU_DEP_1)
	v_add_nc_u32_e32 v4, 0x38000000, v0
                                        ; implicit-def: $vgpr0_vgpr1
.LBB6_17366:                            ;   in Loop: Header=BB6_14192 Depth=3
	s_and_not1_saveexec_b32 s75, s13
; %bb.17367:                            ;   in Loop: Header=BB6_14192 Depth=3
	v_cmp_lt_i32_e64 s13, -1, v0
	v_mov_b32_e32 v0, 0x7f800000
	v_cmp_eq_u32_e32 vcc_lo, 0, v5
	s_delay_alu instid0(VALU_DEP_2) | instskip(NEXT) | instid1(VALU_DEP_1)
	v_cndmask_b32_e64 v0, 0xff800000, v0, s13
	v_cndmask_b32_e32 v4, 0x7f800001, v0, vcc_lo
; %bb.17368:                            ;   in Loop: Header=BB6_14192 Depth=3
	s_or_b32 exec_lo, exec_lo, s75
.LBB6_17369:                            ;   in Loop: Header=BB6_14192 Depth=3
	s_delay_alu instid0(SALU_CYCLE_1)
	s_or_b32 exec_lo, exec_lo, s74
.LBB6_17370:                            ;   in Loop: Header=BB6_14192 Depth=3
	s_delay_alu instid0(SALU_CYCLE_1) | instskip(NEXT) | instid1(SALU_CYCLE_1)
	s_or_b32 exec_lo, exec_lo, s73
	s_mov_b32 s73, exec_lo
	v_cmpx_lt_u64_e64 s[22:23], v[18:19]
	s_cbranch_execz .LBB6_17380
; %bb.17371:                            ;   in Loop: Header=BB6_14192 Depth=3
	v_lshrrev_b32_e32 v0, 24, v19
	v_bfrev_b32_e32 v3, 1
	s_mov_b32 s74, exec_lo
	s_delay_alu instid0(VALU_DEP_2)
	v_cmpx_ne_u32_e32 0x80, v0
	s_cbranch_execz .LBB6_17379
; %bb.17372:                            ;   in Loop: Header=BB6_14192 Depth=3
	v_and_b32_e32 v2, 0x7c000000, v19
	v_bfe_u32 v1, v19, 24, 2
	s_mov_b32 s13, exec_lo
                                        ; implicit-def: $vgpr3
	s_delay_alu instid0(VALU_DEP_2)
	v_cmpx_ne_u32_e32 0x7c000000, v2
	s_xor_b32 s13, exec_lo, s13
	s_cbranch_execz .LBB6_17376
; %bb.17373:                            ;   in Loop: Header=BB6_14192 Depth=3
	v_bfe_u32 v2, v19, 26, 5
	s_mov_b32 s75, exec_lo
	s_delay_alu instid0(VALU_DEP_1)
	v_cmpx_eq_u32_e32 0, v2
; %bb.17374:                            ;   in Loop: Header=BB6_14192 Depth=3
	v_clz_i32_u32_e32 v1, v1
	s_delay_alu instid0(VALU_DEP_1) | instskip(NEXT) | instid1(VALU_DEP_1)
	v_min_u32_e32 v2, 32, v1
	v_subrev_nc_u32_e32 v1, 29, v2
	s_delay_alu instid0(VALU_DEP_1) | instskip(NEXT) | instid1(VALU_DEP_1)
	v_lshlrev_b64_e32 v[0:1], v1, v[0:1]
	v_dual_sub_nc_u32 v2, 30, v2 :: v_dual_bitop2_b32 v1, 3, v0 bitop3:0x40
; %bb.17375:                            ;   in Loop: Header=BB6_14192 Depth=3
	s_or_b32 exec_lo, exec_lo, s75
	v_and_b32_e32 v0, 0x80000000, v19
                                        ; implicit-def: $vgpr18_vgpr19
	s_delay_alu instid0(VALU_DEP_1) | instskip(NEXT) | instid1(VALU_DEP_1)
	v_lshl_add_u32 v0, v2, 23, v0
	v_lshl_or_b32 v0, v1, 21, v0
                                        ; implicit-def: $vgpr1
	s_delay_alu instid0(VALU_DEP_1)
	v_add_nc_u32_e32 v3, 0x38000000, v0
.LBB6_17376:                            ;   in Loop: Header=BB6_14192 Depth=3
	s_and_not1_saveexec_b32 s75, s13
; %bb.17377:                            ;   in Loop: Header=BB6_14192 Depth=3
	v_cmp_lt_i64_e64 s13, -1, v[18:19]
	v_mov_b32_e32 v0, 0x7f800000
	v_cmp_eq_u32_e32 vcc_lo, 0, v1
	s_delay_alu instid0(VALU_DEP_2) | instskip(NEXT) | instid1(VALU_DEP_1)
	v_cndmask_b32_e64 v0, 0xff800000, v0, s13
	v_cndmask_b32_e32 v3, 0x7f800001, v0, vcc_lo
; %bb.17378:                            ;   in Loop: Header=BB6_14192 Depth=3
	s_or_b32 exec_lo, exec_lo, s75
.LBB6_17379:                            ;   in Loop: Header=BB6_14192 Depth=3
	s_delay_alu instid0(SALU_CYCLE_1)
	s_or_b32 exec_lo, exec_lo, s74
.LBB6_17380:                            ;   in Loop: Header=BB6_14192 Depth=3
	s_delay_alu instid0(SALU_CYCLE_1) | instskip(NEXT) | instid1(VALU_DEP_1)
	s_or_b32 exec_lo, exec_lo, s73
	v_dual_add_f32 v2, v4, v3 :: v_dual_mov_b32 v5, v113
	v_mov_b32_e32 v1, v113
                                        ; implicit-def: $vgpr18
	s_mov_b32 s13, exec_lo
	s_delay_alu instid0(VALU_DEP_2) | instskip(SKIP_2) | instid1(VALU_DEP_3)
	v_and_b32_e32 v4, 0x7f800000, v2
	v_and_b32_e32 v0, 0x7fffff, v2
	v_lshrrev_b32_e32 v3, 24, v2
	v_cmpx_ne_u64_e32 0x7f800000, v[4:5]
	s_xor_b32 s73, exec_lo, s13
	s_cbranch_execz .LBB6_17394
; %bb.17381:                            ;   in Loop: Header=BB6_14192 Depth=3
	v_and_b32_e32 v4, 0x7fffffff, v2
	v_mov_b32_e32 v5, v113
                                        ; implicit-def: $vgpr18
	s_delay_alu instid0(VALU_DEP_1) | instskip(SKIP_2) | instid1(SALU_CYCLE_1)
	v_cmp_gt_u64_e32 vcc_lo, 0x47600001, v[4:5]
	v_and_b32_e32 v4, 0x80, v3
	s_and_saveexec_b32 s13, vcc_lo
	s_xor_b32 s74, exec_lo, s13
	s_cbranch_execz .LBB6_17391
; %bb.17382:                            ;   in Loop: Header=BB6_14192 Depth=3
	v_mov_b32_e32 v18, 0
	s_mov_b32 s75, exec_lo
	v_cmpx_ne_u32_e32 0, v2
	s_cbranch_execz .LBB6_17390
; %bb.17383:                            ;   in Loop: Header=BB6_14192 Depth=3
	v_bfe_u32 v5, v2, 23, 8
	v_or_b32_e32 v3, 0x800000, v0
	s_delay_alu instid0(VALU_DEP_2) | instskip(SKIP_2) | instid1(VALU_DEP_2)
	v_cmp_gt_u32_e64 s13, 0x72, v5
	v_sub_nc_u32_e32 v2, 0x71, v5
	v_cmp_eq_u32_e32 vcc_lo, 0, v5
	v_dual_cndmask_b32 v2, 0, v2, s13 :: v_dual_cndmask_b32 v0, v3, v0, vcc_lo
	s_delay_alu instid0(VALU_DEP_1) | instskip(NEXT) | instid1(VALU_DEP_1)
	v_cndmask_b32_e64 v18, v2, 0x70, vcc_lo
	v_dual_add_nc_u32 v2, 21, v18 :: v_dual_add_nc_u32 v19, 20, v18
	s_delay_alu instid0(VALU_DEP_1) | instskip(NEXT) | instid1(VALU_DEP_2)
	v_lshlrev_b64_e64 v[2:3], v2, -1
	v_lshlrev_b64_e64 v[46:47], v19, 1
	s_delay_alu instid0(VALU_DEP_2) | instskip(SKIP_1) | instid1(VALU_DEP_4)
	v_bfi_b32 v2, v2, 0, v0
	v_lshrrev_b64 v[0:1], v18, v[0:1]
	v_bfi_b32 v3, v3, 0, 0
	s_delay_alu instid0(VALU_DEP_1) | instskip(NEXT) | instid1(VALU_DEP_3)
	v_cmp_eq_u64_e64 s13, v[2:3], v[46:47]
	v_mov_b64_e32 v[2:3], v[0:1]
	s_and_saveexec_b32 s76, s13
; %bb.17384:                            ;   in Loop: Header=BB6_14192 Depth=3
	v_bfe_u32 v2, v0, 21, 1
	v_mov_b32_e32 v3, v113
	s_delay_alu instid0(VALU_DEP_1) | instskip(NEXT) | instid1(VALU_DEP_1)
	v_add_nc_u64_e32 v[2:3], v[0:1], v[2:3]
	v_add_nc_u64_e32 v[2:3], -1, v[2:3]
; %bb.17385:                            ;   in Loop: Header=BB6_14192 Depth=3
	s_or_b32 exec_lo, exec_lo, s76
	v_add_nc_u32_e32 v1, 0xffffff81, v5
	v_lshrrev_b32_e32 v3, 23, v0
	s_mov_b32 s13, exec_lo
	s_delay_alu instid0(VALU_DEP_2) | instskip(NEXT) | instid1(VALU_DEP_1)
	v_cndmask_b32_e64 v1, v1, 0xffffff82, vcc_lo
	v_add3_u32 v5, v18, v1, v3
	v_and_b32_e32 v1, 0x1fffff, v2
                                        ; implicit-def: $vgpr2
	s_delay_alu instid0(VALU_DEP_1) | instskip(SKIP_1) | instid1(VALU_DEP_2)
	v_dual_add_nc_u32 v3, 14, v5 :: v_dual_add_nc_u32 v0, v1, v0
	v_mov_b32_e32 v1, v113
	v_cmpx_ne_u32_e32 0, v3
	s_xor_b32 s13, exec_lo, s13
; %bb.17386:                            ;   in Loop: Header=BB6_14192 Depth=3
	s_delay_alu instid0(VALU_DEP_2) | instskip(SKIP_1) | instid1(VALU_DEP_1)
	v_cmp_lt_u64_e32 vcc_lo, 0xffffff, v[0:1]
	v_add_nc_u32_e32 v2, 15, v5
	v_cndmask_b32_e32 v2, v3, v2, vcc_lo
	v_cndmask_b32_e64 v3, 0, 1, vcc_lo
	s_delay_alu instid0(VALU_DEP_1)
	v_lshrrev_b64 v[0:1], v3, v[0:1]
; %bb.17387:                            ;   in Loop: Header=BB6_14192 Depth=3
	s_and_not1_saveexec_b32 s13, s13
; %bb.17388:                            ;   in Loop: Header=BB6_14192 Depth=3
	s_delay_alu instid0(VALU_DEP_1)
	v_bfe_u32 v2, v0, 23, 1
; %bb.17389:                            ;   in Loop: Header=BB6_14192 Depth=3
	s_or_b32 exec_lo, exec_lo, s13
	s_delay_alu instid0(VALU_DEP_2) | instskip(NEXT) | instid1(VALU_DEP_2)
	v_lshrrev_b64 v[0:1], 21, v[0:1]
	v_cmp_gt_i32_e32 vcc_lo, 32, v2
	v_min_i32_e32 v3, 31, v2
	v_cmp_eq_u32_e64 s13, 0, v2
	s_delay_alu instid0(VALU_DEP_2) | instskip(SKIP_1) | instid1(VALU_DEP_2)
	v_dual_cndmask_b32 v1, 0, v1, vcc_lo :: v_dual_lshlrev_b32 v3, 2, v3
	v_cndmask_b32_e32 v0, 3, v0, vcc_lo
	v_and_b32_e32 v3, 0xfc, v3
	s_delay_alu instid0(VALU_DEP_2) | instskip(NEXT) | instid1(VALU_DEP_2)
	v_cmp_eq_u64_e32 vcc_lo, 0, v[0:1]
	v_and_or_b32 v0, v0, 3, v3
	s_and_b32 s13, s13, vcc_lo
	s_delay_alu instid0(VALU_DEP_1) | instid1(SALU_CYCLE_1)
	v_cndmask_b32_e64 v0, v0, 0, s13
	s_delay_alu instid0(VALU_DEP_1)
	v_or_b32_e32 v18, v0, v4
.LBB6_17390:                            ;   in Loop: Header=BB6_14192 Depth=3
	s_or_b32 exec_lo, exec_lo, s75
                                        ; implicit-def: $vgpr4
.LBB6_17391:                            ;   in Loop: Header=BB6_14192 Depth=3
	s_and_not1_saveexec_b32 s13, s74
; %bb.17392:                            ;   in Loop: Header=BB6_14192 Depth=3
	v_or_b32_e32 v18, 0x7b, v4
; %bb.17393:                            ;   in Loop: Header=BB6_14192 Depth=3
	s_or_b32 exec_lo, exec_lo, s13
                                        ; implicit-def: $vgpr2
                                        ; implicit-def: $vgpr0_vgpr1
                                        ; implicit-def: $vgpr3
.LBB6_17394:                            ;   in Loop: Header=BB6_14192 Depth=3
	s_and_not1_saveexec_b32 s13, s73
	s_cbranch_execz .LBB6_17400
; %bb.17395:                            ;   in Loop: Header=BB6_14192 Depth=3
	s_mov_b32 s73, exec_lo
                                        ; implicit-def: $vgpr18
	v_cmpx_ne_u64_e32 0, v[0:1]
	s_xor_b32 s73, exec_lo, s73
; %bb.17396:                            ;   in Loop: Header=BB6_14192 Depth=3
	v_or_b32_e32 v18, 0x7f, v3
                                        ; implicit-def: $vgpr2
; %bb.17397:                            ;   in Loop: Header=BB6_14192 Depth=3
	s_and_not1_saveexec_b32 s73, s73
; %bb.17398:                            ;   in Loop: Header=BB6_14192 Depth=3
	v_cmp_lt_i32_e32 vcc_lo, -1, v2
	v_mov_b32_e32 v0, 0x7c
	s_delay_alu instid0(VALU_DEP_1)
	v_cndmask_b32_e32 v18, 0xfc, v0, vcc_lo
; %bb.17399:                            ;   in Loop: Header=BB6_14192 Depth=3
	s_or_b32 exec_lo, exec_lo, s73
.LBB6_17400:                            ;   in Loop: Header=BB6_14192 Depth=3
	s_delay_alu instid0(SALU_CYCLE_1) | instskip(SKIP_4) | instid1(VALU_DEP_2)
	s_or_b32 exec_lo, exec_lo, s13
	v_lshl_or_b32 v84, v84, 8, v70
	v_dual_lshlrev_b32 v0, 16, v87 :: v_dual_lshlrev_b32 v2, 24, v97
	v_dual_mov_b32 v1, v113 :: v_dual_mov_b32 v3, 0
	s_mov_b32 s73, exec_lo
	v_or3_b32 v0, v0, v2, v84
	v_mov_b32_e32 v2, 0
	v_cmpx_ne_u32_e32 0, v70
	s_cbranch_execz .LBB6_17410
; %bb.17401:                            ;   in Loop: Header=BB6_14192 Depth=3
	v_bfrev_b32_e32 v3, 1
	s_mov_b32 s74, exec_lo
	v_cmpx_ne_u32_e32 0x80, v70
	s_cbranch_execz .LBB6_17409
; %bb.17402:                            ;   in Loop: Header=BB6_14192 Depth=3
	v_and_b32_e32 v3, 0x7c, v70
	v_and_b32_e32 v4, 3, v70
	s_delay_alu instid0(VALU_DEP_2) | instskip(SKIP_1) | instid1(SALU_CYCLE_1)
	v_cmp_ne_u32_e32 vcc_lo, 0x7c, v3
                                        ; implicit-def: $vgpr3
	s_and_saveexec_b32 s13, vcc_lo
	s_xor_b32 s13, exec_lo, s13
	s_cbranch_execz .LBB6_17406
; %bb.17403:                            ;   in Loop: Header=BB6_14192 Depth=3
	v_bfe_u32 v3, v70, 2, 5
	s_mov_b32 s75, exec_lo
	s_delay_alu instid0(VALU_DEP_1)
	v_cmpx_eq_u32_e32 0, v3
; %bb.17404:                            ;   in Loop: Header=BB6_14192 Depth=3
	v_clz_i32_u32_e32 v3, v4
	s_delay_alu instid0(VALU_DEP_1) | instskip(NEXT) | instid1(VALU_DEP_1)
	v_min_u32_e32 v3, 32, v3
	v_subrev_nc_u32_e32 v4, 29, v3
	s_delay_alu instid0(VALU_DEP_1) | instskip(NEXT) | instid1(VALU_DEP_1)
	v_lshlrev_b64_e32 v[4:5], v4, v[0:1]
	v_dual_sub_nc_u32 v3, 30, v3 :: v_dual_bitop2_b32 v4, 3, v4 bitop3:0x40
; %bb.17405:                            ;   in Loop: Header=BB6_14192 Depth=3
	s_or_b32 exec_lo, exec_lo, s75
	v_lshlrev_b32_e32 v1, 24, v70
                                        ; implicit-def: $vgpr70
	s_delay_alu instid0(VALU_DEP_1) | instskip(NEXT) | instid1(VALU_DEP_1)
	v_and_b32_e32 v1, 0x80000000, v1
	v_lshl_add_u32 v1, v3, 23, v1
	s_delay_alu instid0(VALU_DEP_1) | instskip(NEXT) | instid1(VALU_DEP_1)
	v_lshl_or_b32 v1, v4, 21, v1
                                        ; implicit-def: $vgpr4
	v_add_nc_u32_e32 v3, 0x38000000, v1
.LBB6_17406:                            ;   in Loop: Header=BB6_14192 Depth=3
	s_and_not1_saveexec_b32 s75, s13
; %bb.17407:                            ;   in Loop: Header=BB6_14192 Depth=3
	v_and_b32_e32 v1, 0x80, v70
	v_cmp_eq_u32_e32 vcc_lo, 0, v4
	s_delay_alu instid0(VALU_DEP_2) | instskip(SKIP_1) | instid1(VALU_DEP_1)
	v_cmp_eq_u32_e64 s13, 0, v1
	v_mov_b32_e32 v1, 0x7f800000
	v_cndmask_b32_e64 v1, 0xff800000, v1, s13
	s_delay_alu instid0(VALU_DEP_1)
	v_cndmask_b32_e32 v3, 0x7f800001, v1, vcc_lo
; %bb.17408:                            ;   in Loop: Header=BB6_14192 Depth=3
	s_or_b32 exec_lo, exec_lo, s75
.LBB6_17409:                            ;   in Loop: Header=BB6_14192 Depth=3
	s_delay_alu instid0(SALU_CYCLE_1)
	s_or_b32 exec_lo, exec_lo, s74
.LBB6_17410:                            ;   in Loop: Header=BB6_14192 Depth=3
	s_delay_alu instid0(SALU_CYCLE_1) | instskip(SKIP_3) | instid1(VALU_DEP_1)
	s_or_b32 exec_lo, exec_lo, s73
	s_wait_loadcnt 0x1
	v_and_b32_e32 v1, 0xff, v12
	s_mov_b32 s73, exec_lo
	v_cmpx_ne_u16_e32 0, v1
	s_cbranch_execz .LBB6_17420
; %bb.17411:                            ;   in Loop: Header=BB6_14192 Depth=3
	v_bfe_i32 v4, v12, 0, 8
	v_bfrev_b32_e32 v2, 1
	s_mov_b32 s74, exec_lo
	s_delay_alu instid0(VALU_DEP_2)
	v_cmpx_ne_u16_e32 0xff80, v4
	s_cbranch_execz .LBB6_17419
; %bb.17412:                            ;   in Loop: Header=BB6_14192 Depth=3
	v_and_b32_e32 v2, 0x7c, v12
	v_and_b32_e32 v1, 3, v12
	s_delay_alu instid0(VALU_DEP_2) | instskip(SKIP_1) | instid1(SALU_CYCLE_1)
	v_cmp_ne_u32_e32 vcc_lo, 0x7c, v2
                                        ; implicit-def: $vgpr2
	s_and_saveexec_b32 s13, vcc_lo
	s_xor_b32 s13, exec_lo, s13
	s_cbranch_execz .LBB6_17416
; %bb.17413:                            ;   in Loop: Header=BB6_14192 Depth=3
	v_bfe_u32 v2, v12, 2, 5
	s_mov_b32 s75, exec_lo
	s_delay_alu instid0(VALU_DEP_1)
	v_cmpx_eq_u32_e32 0, v2
; %bb.17414:                            ;   in Loop: Header=BB6_14192 Depth=3
	v_clz_i32_u32_e32 v1, v1
	s_delay_alu instid0(VALU_DEP_1) | instskip(NEXT) | instid1(VALU_DEP_1)
	v_min_u32_e32 v1, 32, v1
	v_subrev_nc_u32_e32 v2, 29, v1
	s_delay_alu instid0(VALU_DEP_1) | instskip(NEXT) | instid1(VALU_DEP_1)
	v_lshlrev_b64_e32 v[4:5], v2, v[12:13]
	v_dual_sub_nc_u32 v2, 30, v1 :: v_dual_bitop2_b32 v1, 3, v4 bitop3:0x40
; %bb.17415:                            ;   in Loop: Header=BB6_14192 Depth=3
	s_or_b32 exec_lo, exec_lo, s75
	v_lshlrev_b32_e32 v4, 24, v12
	s_delay_alu instid0(VALU_DEP_1) | instskip(NEXT) | instid1(VALU_DEP_1)
	v_and_b32_e32 v4, 0x80000000, v4
	v_lshl_add_u32 v2, v2, 23, v4
                                        ; implicit-def: $vgpr4
	s_delay_alu instid0(VALU_DEP_1) | instskip(NEXT) | instid1(VALU_DEP_1)
	v_lshl_or_b32 v1, v1, 21, v2
	v_add_nc_u32_e32 v2, 0x38000000, v1
                                        ; implicit-def: $vgpr1
.LBB6_17416:                            ;   in Loop: Header=BB6_14192 Depth=3
	s_and_not1_saveexec_b32 s75, s13
; %bb.17417:                            ;   in Loop: Header=BB6_14192 Depth=3
	v_cmp_eq_u32_e32 vcc_lo, 0, v1
	v_cmp_lt_i16_e64 s13, -1, v4
	v_mov_b32_e32 v1, 0x7f800000
	s_delay_alu instid0(VALU_DEP_1) | instskip(NEXT) | instid1(VALU_DEP_1)
	v_cndmask_b32_e64 v1, 0xff800000, v1, s13
	v_cndmask_b32_e32 v2, 0x7f800001, v1, vcc_lo
; %bb.17418:                            ;   in Loop: Header=BB6_14192 Depth=3
	s_or_b32 exec_lo, exec_lo, s75
.LBB6_17419:                            ;   in Loop: Header=BB6_14192 Depth=3
	s_delay_alu instid0(SALU_CYCLE_1)
	s_or_b32 exec_lo, exec_lo, s74
.LBB6_17420:                            ;   in Loop: Header=BB6_14192 Depth=3
	s_delay_alu instid0(SALU_CYCLE_1) | instskip(NEXT) | instid1(VALU_DEP_1)
	s_or_b32 exec_lo, exec_lo, s73
	v_dual_add_f32 v4, v3, v2 :: v_dual_mov_b32 v47, v113
	v_mov_b32_e32 v3, v113
                                        ; implicit-def: $vgpr19
	s_mov_b32 s13, exec_lo
	s_delay_alu instid0(VALU_DEP_2) | instskip(SKIP_2) | instid1(VALU_DEP_3)
	v_and_b32_e32 v46, 0x7f800000, v4
	v_and_b32_e32 v2, 0x7fffff, v4
	v_lshrrev_b32_e32 v1, 24, v4
	v_cmpx_ne_u64_e32 0x7f800000, v[46:47]
	s_xor_b32 s73, exec_lo, s13
	s_cbranch_execz .LBB6_17434
; %bb.17421:                            ;   in Loop: Header=BB6_14192 Depth=3
	v_and_b32_e32 v46, 0x7fffffff, v4
	v_mov_b32_e32 v47, v113
	v_and_b32_e32 v1, 0x80, v1
                                        ; implicit-def: $vgpr19
	s_mov_b32 s13, exec_lo
	s_delay_alu instid0(VALU_DEP_2)
	v_cmpx_gt_u64_e32 0x47600001, v[46:47]
	s_xor_b32 s74, exec_lo, s13
	s_cbranch_execz .LBB6_17431
; %bb.17422:                            ;   in Loop: Header=BB6_14192 Depth=3
	v_mov_b32_e32 v19, 0
	s_mov_b32 s75, exec_lo
	v_cmpx_ne_u32_e32 0, v4
	s_cbranch_execz .LBB6_17430
; %bb.17423:                            ;   in Loop: Header=BB6_14192 Depth=3
	v_bfe_u32 v19, v4, 23, 8
	v_or_b32_e32 v5, 0x800000, v2
	s_delay_alu instid0(VALU_DEP_2) | instskip(SKIP_2) | instid1(VALU_DEP_2)
	v_cmp_gt_u32_e64 s13, 0x72, v19
	v_sub_nc_u32_e32 v4, 0x71, v19
	v_cmp_eq_u32_e32 vcc_lo, 0, v19
	v_dual_cndmask_b32 v4, 0, v4, s13 :: v_dual_cndmask_b32 v2, v5, v2, vcc_lo
	s_delay_alu instid0(VALU_DEP_1) | instskip(NEXT) | instid1(VALU_DEP_1)
	v_cndmask_b32_e64 v70, v4, 0x70, vcc_lo
	v_dual_add_nc_u32 v4, 21, v70 :: v_dual_add_nc_u32 v87, 20, v70
	s_delay_alu instid0(VALU_DEP_1) | instskip(NEXT) | instid1(VALU_DEP_2)
	v_lshlrev_b64_e64 v[4:5], v4, -1
	v_lshlrev_b64_e64 v[46:47], v87, 1
	s_delay_alu instid0(VALU_DEP_2) | instskip(SKIP_1) | instid1(VALU_DEP_4)
	v_bfi_b32 v4, v4, 0, v2
	v_lshrrev_b64 v[2:3], v70, v[2:3]
	v_bfi_b32 v5, v5, 0, 0
	s_delay_alu instid0(VALU_DEP_1) | instskip(NEXT) | instid1(VALU_DEP_3)
	v_cmp_eq_u64_e64 s13, v[4:5], v[46:47]
	v_mov_b64_e32 v[4:5], v[2:3]
	s_and_saveexec_b32 s76, s13
; %bb.17424:                            ;   in Loop: Header=BB6_14192 Depth=3
	v_bfe_u32 v4, v2, 21, 1
	v_mov_b32_e32 v5, v113
	s_delay_alu instid0(VALU_DEP_1) | instskip(NEXT) | instid1(VALU_DEP_1)
	v_add_nc_u64_e32 v[4:5], v[2:3], v[4:5]
	v_add_nc_u64_e32 v[4:5], -1, v[4:5]
; %bb.17425:                            ;   in Loop: Header=BB6_14192 Depth=3
	s_or_b32 exec_lo, exec_lo, s76
	v_add_nc_u32_e32 v3, 0xffffff81, v19
	v_lshrrev_b32_e32 v5, 23, v2
	s_mov_b32 s13, exec_lo
	s_delay_alu instid0(VALU_DEP_2) | instskip(NEXT) | instid1(VALU_DEP_1)
	v_cndmask_b32_e64 v3, v3, 0xffffff82, vcc_lo
	v_add3_u32 v19, v70, v3, v5
	v_and_b32_e32 v3, 0x1fffff, v4
                                        ; implicit-def: $vgpr4
	s_delay_alu instid0(VALU_DEP_1) | instskip(SKIP_1) | instid1(VALU_DEP_2)
	v_dual_add_nc_u32 v5, 14, v19 :: v_dual_add_nc_u32 v2, v3, v2
	v_mov_b32_e32 v3, v113
	v_cmpx_ne_u32_e32 0, v5
	s_xor_b32 s13, exec_lo, s13
; %bb.17426:                            ;   in Loop: Header=BB6_14192 Depth=3
	s_delay_alu instid0(VALU_DEP_2) | instskip(SKIP_1) | instid1(VALU_DEP_1)
	v_cmp_lt_u64_e32 vcc_lo, 0xffffff, v[2:3]
	v_add_nc_u32_e32 v4, 15, v19
	v_cndmask_b32_e32 v4, v5, v4, vcc_lo
	v_cndmask_b32_e64 v5, 0, 1, vcc_lo
	s_delay_alu instid0(VALU_DEP_1)
	v_lshrrev_b64 v[2:3], v5, v[2:3]
; %bb.17427:                            ;   in Loop: Header=BB6_14192 Depth=3
	s_and_not1_saveexec_b32 s13, s13
; %bb.17428:                            ;   in Loop: Header=BB6_14192 Depth=3
	s_delay_alu instid0(VALU_DEP_1)
	v_bfe_u32 v4, v2, 23, 1
; %bb.17429:                            ;   in Loop: Header=BB6_14192 Depth=3
	s_or_b32 exec_lo, exec_lo, s13
	s_delay_alu instid0(VALU_DEP_2) | instskip(NEXT) | instid1(VALU_DEP_2)
	v_lshrrev_b64 v[2:3], 21, v[2:3]
	v_cmp_gt_i32_e32 vcc_lo, 32, v4
	v_min_i32_e32 v5, 31, v4
	v_cmp_eq_u32_e64 s13, 0, v4
	s_delay_alu instid0(VALU_DEP_2) | instskip(SKIP_1) | instid1(VALU_DEP_2)
	v_dual_cndmask_b32 v3, 0, v3, vcc_lo :: v_dual_lshlrev_b32 v5, 2, v5
	v_cndmask_b32_e32 v2, 3, v2, vcc_lo
	v_and_b32_e32 v5, 0xfc, v5
	s_delay_alu instid0(VALU_DEP_2) | instskip(NEXT) | instid1(VALU_DEP_2)
	v_cmp_eq_u64_e32 vcc_lo, 0, v[2:3]
	v_and_or_b32 v2, v2, 3, v5
	s_and_b32 s13, s13, vcc_lo
	s_delay_alu instid0(VALU_DEP_1) | instid1(SALU_CYCLE_1)
	v_cndmask_b32_e64 v2, v2, 0, s13
	s_delay_alu instid0(VALU_DEP_1)
	v_or_b32_e32 v19, v2, v1
.LBB6_17430:                            ;   in Loop: Header=BB6_14192 Depth=3
	s_or_b32 exec_lo, exec_lo, s75
                                        ; implicit-def: $vgpr1
.LBB6_17431:                            ;   in Loop: Header=BB6_14192 Depth=3
	s_and_not1_saveexec_b32 s13, s74
; %bb.17432:                            ;   in Loop: Header=BB6_14192 Depth=3
	v_or_b32_e32 v19, 0x7b, v1
; %bb.17433:                            ;   in Loop: Header=BB6_14192 Depth=3
	s_or_b32 exec_lo, exec_lo, s13
                                        ; implicit-def: $vgpr4
                                        ; implicit-def: $vgpr2_vgpr3
                                        ; implicit-def: $vgpr1
.LBB6_17434:                            ;   in Loop: Header=BB6_14192 Depth=3
	s_and_not1_saveexec_b32 s13, s73
	s_cbranch_execz .LBB6_17440
; %bb.17435:                            ;   in Loop: Header=BB6_14192 Depth=3
	s_mov_b32 s73, exec_lo
                                        ; implicit-def: $vgpr19
	v_cmpx_ne_u64_e32 0, v[2:3]
	s_xor_b32 s73, exec_lo, s73
; %bb.17436:                            ;   in Loop: Header=BB6_14192 Depth=3
	v_or_b32_e32 v19, 0x7f, v1
                                        ; implicit-def: $vgpr4
; %bb.17437:                            ;   in Loop: Header=BB6_14192 Depth=3
	s_and_not1_saveexec_b32 s73, s73
; %bb.17438:                            ;   in Loop: Header=BB6_14192 Depth=3
	v_cmp_lt_i32_e32 vcc_lo, -1, v4
	v_mov_b32_e32 v1, 0x7c
	s_delay_alu instid0(VALU_DEP_1)
	v_cndmask_b32_e32 v19, 0xfc, v1, vcc_lo
; %bb.17439:                            ;   in Loop: Header=BB6_14192 Depth=3
	s_or_b32 exec_lo, exec_lo, s73
.LBB6_17440:                            ;   in Loop: Header=BB6_14192 Depth=3
	s_delay_alu instid0(SALU_CYCLE_1) | instskip(SKIP_3) | instid1(VALU_DEP_2)
	s_or_b32 exec_lo, exec_lo, s13
	v_lshrrev_b16 v2, 8, v84
	v_dual_mov_b32 v1, 0 :: v_dual_mov_b32 v4, 0
	s_mov_b32 s73, exec_lo
	v_cmpx_ne_u16_e32 0, v2
	s_cbranch_execz .LBB6_17450
; %bb.17441:                            ;   in Loop: Header=BB6_14192 Depth=3
	v_bfrev_b32_e32 v4, 1
	s_mov_b32 s74, exec_lo
	v_cmpx_ne_u16_e32 0x80, v2
	s_cbranch_execz .LBB6_17449
; %bb.17442:                            ;   in Loop: Header=BB6_14192 Depth=3
	v_and_b32_e32 v5, 0xffff, v2
	s_delay_alu instid0(VALU_DEP_1) | instskip(SKIP_1) | instid1(VALU_DEP_2)
	v_and_b32_e32 v4, 0x7c, v5
	v_and_b32_e32 v3, 3, v5
	v_cmp_ne_u32_e32 vcc_lo, 0x7c, v4
                                        ; implicit-def: $vgpr4
	s_and_saveexec_b32 s13, vcc_lo
	s_delay_alu instid0(SALU_CYCLE_1)
	s_xor_b32 s13, exec_lo, s13
	s_cbranch_execz .LBB6_17446
; %bb.17443:                            ;   in Loop: Header=BB6_14192 Depth=3
	v_bfe_u32 v4, v5, 2, 5
	s_mov_b32 s75, exec_lo
	s_delay_alu instid0(VALU_DEP_1)
	v_cmpx_eq_u32_e32 0, v4
	s_cbranch_execz .LBB6_17445
; %bb.17444:                            ;   in Loop: Header=BB6_14192 Depth=3
	v_clz_i32_u32_e32 v3, v3
	s_delay_alu instid0(VALU_DEP_1) | instskip(SKIP_1) | instid1(VALU_DEP_2)
	v_min_u32_e32 v4, 32, v3
	v_mov_b32_e32 v3, v113
	v_subrev_nc_u32_e32 v5, 29, v4
	v_sub_nc_u32_e32 v4, 30, v4
	s_delay_alu instid0(VALU_DEP_2) | instskip(NEXT) | instid1(VALU_DEP_1)
	v_lshlrev_b64_e32 v[2:3], v5, v[2:3]
	v_and_b32_e32 v3, 3, v2
.LBB6_17445:                            ;   in Loop: Header=BB6_14192 Depth=3
	s_or_b32 exec_lo, exec_lo, s75
	v_lshlrev_b32_e32 v2, 16, v84
                                        ; implicit-def: $vgpr84
	s_delay_alu instid0(VALU_DEP_1) | instskip(NEXT) | instid1(VALU_DEP_1)
	v_and_b32_e32 v2, 0x80000000, v2
	v_lshl_add_u32 v2, v4, 23, v2
	s_delay_alu instid0(VALU_DEP_1) | instskip(NEXT) | instid1(VALU_DEP_1)
	v_lshl_or_b32 v2, v3, 21, v2
                                        ; implicit-def: $vgpr3
	v_add_nc_u32_e32 v4, 0x38000000, v2
.LBB6_17446:                            ;   in Loop: Header=BB6_14192 Depth=3
	s_and_not1_saveexec_b32 s75, s13
; %bb.17447:                            ;   in Loop: Header=BB6_14192 Depth=3
	v_cmp_lt_i16_e64 s13, -1, v84
	v_mov_b32_e32 v2, 0x7f800000
	v_cmp_eq_u32_e32 vcc_lo, 0, v3
	s_delay_alu instid0(VALU_DEP_2) | instskip(NEXT) | instid1(VALU_DEP_1)
	v_cndmask_b32_e64 v2, 0xff800000, v2, s13
	v_cndmask_b32_e32 v4, 0x7f800001, v2, vcc_lo
; %bb.17448:                            ;   in Loop: Header=BB6_14192 Depth=3
	s_or_b32 exec_lo, exec_lo, s75
.LBB6_17449:                            ;   in Loop: Header=BB6_14192 Depth=3
	s_delay_alu instid0(SALU_CYCLE_1)
	s_or_b32 exec_lo, exec_lo, s74
.LBB6_17450:                            ;   in Loop: Header=BB6_14192 Depth=3
	s_delay_alu instid0(SALU_CYCLE_1) | instskip(SKIP_2) | instid1(VALU_DEP_1)
	s_or_b32 exec_lo, exec_lo, s73
	v_lshrrev_b16 v2, 8, v12
	s_mov_b32 s73, exec_lo
	v_cmpx_ne_u16_e32 0, v2
	s_cbranch_execz .LBB6_17460
; %bb.17451:                            ;   in Loop: Header=BB6_14192 Depth=3
	v_bfrev_b32_e32 v1, 1
	s_mov_b32 s74, exec_lo
	v_cmpx_ne_u16_e32 0x80, v2
	s_cbranch_execz .LBB6_17459
; %bb.17452:                            ;   in Loop: Header=BB6_14192 Depth=3
	v_and_b32_e32 v5, 0xffff, v2
	s_delay_alu instid0(VALU_DEP_1) | instskip(SKIP_1) | instid1(VALU_DEP_2)
	v_and_b32_e32 v1, 0x7c, v5
	v_and_b32_e32 v3, 3, v5
	v_cmp_ne_u32_e32 vcc_lo, 0x7c, v1
                                        ; implicit-def: $vgpr1
	s_and_saveexec_b32 s13, vcc_lo
	s_delay_alu instid0(SALU_CYCLE_1)
	s_xor_b32 s13, exec_lo, s13
	s_cbranch_execz .LBB6_17456
; %bb.17453:                            ;   in Loop: Header=BB6_14192 Depth=3
	v_bfe_u32 v1, v5, 2, 5
	s_mov_b32 s75, exec_lo
	s_delay_alu instid0(VALU_DEP_1)
	v_cmpx_eq_u32_e32 0, v1
	s_cbranch_execz .LBB6_17455
; %bb.17454:                            ;   in Loop: Header=BB6_14192 Depth=3
	v_clz_i32_u32_e32 v1, v3
	s_delay_alu instid0(VALU_DEP_1) | instskip(SKIP_1) | instid1(VALU_DEP_2)
	v_min_u32_e32 v1, 32, v1
	v_mov_b32_e32 v3, v113
	v_subrev_nc_u32_e32 v5, 29, v1
	v_sub_nc_u32_e32 v1, 30, v1
	s_delay_alu instid0(VALU_DEP_2) | instskip(NEXT) | instid1(VALU_DEP_1)
	v_lshlrev_b64_e32 v[2:3], v5, v[2:3]
	v_and_b32_e32 v3, 3, v2
.LBB6_17455:                            ;   in Loop: Header=BB6_14192 Depth=3
	s_or_b32 exec_lo, exec_lo, s75
	v_lshlrev_b32_e32 v2, 16, v12
	s_delay_alu instid0(VALU_DEP_1) | instskip(NEXT) | instid1(VALU_DEP_1)
	v_and_b32_e32 v2, 0x80000000, v2
	v_lshl_add_u32 v1, v1, 23, v2
	s_delay_alu instid0(VALU_DEP_1) | instskip(NEXT) | instid1(VALU_DEP_1)
	v_lshl_or_b32 v1, v3, 21, v1
                                        ; implicit-def: $vgpr3
	v_add_nc_u32_e32 v1, 0x38000000, v1
.LBB6_17456:                            ;   in Loop: Header=BB6_14192 Depth=3
	s_and_not1_saveexec_b32 s75, s13
; %bb.17457:                            ;   in Loop: Header=BB6_14192 Depth=3
	v_cmp_lt_i16_e64 s13, -1, v12
	v_mov_b32_e32 v1, 0x7f800000
	v_cmp_eq_u32_e32 vcc_lo, 0, v3
	s_delay_alu instid0(VALU_DEP_2) | instskip(NEXT) | instid1(VALU_DEP_1)
	v_cndmask_b32_e64 v1, 0xff800000, v1, s13
	v_cndmask_b32_e32 v1, 0x7f800001, v1, vcc_lo
; %bb.17458:                            ;   in Loop: Header=BB6_14192 Depth=3
	s_or_b32 exec_lo, exec_lo, s75
.LBB6_17459:                            ;   in Loop: Header=BB6_14192 Depth=3
	s_delay_alu instid0(SALU_CYCLE_1)
	s_or_b32 exec_lo, exec_lo, s74
.LBB6_17460:                            ;   in Loop: Header=BB6_14192 Depth=3
	s_delay_alu instid0(SALU_CYCLE_1) | instskip(NEXT) | instid1(VALU_DEP_1)
	s_or_b32 exec_lo, exec_lo, s73
	v_dual_add_f32 v4, v4, v1 :: v_dual_mov_b32 v47, v113
	v_mov_b32_e32 v3, v113
                                        ; implicit-def: $vgpr70
	s_mov_b32 s13, exec_lo
	s_delay_alu instid0(VALU_DEP_2) | instskip(SKIP_2) | instid1(VALU_DEP_3)
	v_and_b32_e32 v46, 0x7f800000, v4
	v_and_b32_e32 v2, 0x7fffff, v4
	v_lshrrev_b32_e32 v1, 24, v4
	v_cmpx_ne_u64_e32 0x7f800000, v[46:47]
	s_xor_b32 s73, exec_lo, s13
	s_cbranch_execz .LBB6_17474
; %bb.17461:                            ;   in Loop: Header=BB6_14192 Depth=3
	v_and_b32_e32 v46, 0x7fffffff, v4
	v_mov_b32_e32 v47, v113
	v_and_b32_e32 v1, 0x80, v1
                                        ; implicit-def: $vgpr70
	s_mov_b32 s13, exec_lo
	s_delay_alu instid0(VALU_DEP_2)
	v_cmpx_gt_u64_e32 0x47600001, v[46:47]
	s_xor_b32 s74, exec_lo, s13
	s_cbranch_execz .LBB6_17471
; %bb.17462:                            ;   in Loop: Header=BB6_14192 Depth=3
	v_mov_b32_e32 v70, 0
	s_mov_b32 s75, exec_lo
	v_cmpx_ne_u32_e32 0, v4
	s_cbranch_execz .LBB6_17470
; %bb.17463:                            ;   in Loop: Header=BB6_14192 Depth=3
	v_bfe_u32 v70, v4, 23, 8
	v_or_b32_e32 v5, 0x800000, v2
	s_delay_alu instid0(VALU_DEP_2) | instskip(SKIP_2) | instid1(VALU_DEP_2)
	v_cmp_gt_u32_e64 s13, 0x72, v70
	v_sub_nc_u32_e32 v4, 0x71, v70
	v_cmp_eq_u32_e32 vcc_lo, 0, v70
	v_dual_cndmask_b32 v4, 0, v4, s13 :: v_dual_cndmask_b32 v2, v5, v2, vcc_lo
	s_delay_alu instid0(VALU_DEP_1) | instskip(NEXT) | instid1(VALU_DEP_1)
	v_cndmask_b32_e64 v84, v4, 0x70, vcc_lo
	v_dual_add_nc_u32 v4, 21, v84 :: v_dual_add_nc_u32 v87, 20, v84
	s_delay_alu instid0(VALU_DEP_1) | instskip(NEXT) | instid1(VALU_DEP_2)
	v_lshlrev_b64_e64 v[4:5], v4, -1
	v_lshlrev_b64_e64 v[46:47], v87, 1
	s_delay_alu instid0(VALU_DEP_2) | instskip(SKIP_1) | instid1(VALU_DEP_4)
	v_bfi_b32 v4, v4, 0, v2
	v_lshrrev_b64 v[2:3], v84, v[2:3]
	v_bfi_b32 v5, v5, 0, 0
	s_delay_alu instid0(VALU_DEP_1) | instskip(NEXT) | instid1(VALU_DEP_3)
	v_cmp_eq_u64_e64 s13, v[4:5], v[46:47]
	v_mov_b64_e32 v[4:5], v[2:3]
	s_and_saveexec_b32 s76, s13
; %bb.17464:                            ;   in Loop: Header=BB6_14192 Depth=3
	v_bfe_u32 v4, v2, 21, 1
	v_mov_b32_e32 v5, v113
	s_delay_alu instid0(VALU_DEP_1) | instskip(NEXT) | instid1(VALU_DEP_1)
	v_add_nc_u64_e32 v[4:5], v[2:3], v[4:5]
	v_add_nc_u64_e32 v[4:5], -1, v[4:5]
; %bb.17465:                            ;   in Loop: Header=BB6_14192 Depth=3
	s_or_b32 exec_lo, exec_lo, s76
	v_add_nc_u32_e32 v3, 0xffffff81, v70
	v_lshrrev_b32_e32 v5, 23, v2
	s_mov_b32 s13, exec_lo
	s_delay_alu instid0(VALU_DEP_2) | instskip(NEXT) | instid1(VALU_DEP_1)
	v_cndmask_b32_e64 v3, v3, 0xffffff82, vcc_lo
	v_add3_u32 v70, v84, v3, v5
	v_and_b32_e32 v3, 0x1fffff, v4
                                        ; implicit-def: $vgpr4
	s_delay_alu instid0(VALU_DEP_2) | instskip(NEXT) | instid1(VALU_DEP_2)
	v_add_nc_u32_e32 v5, 14, v70
	v_dual_mov_b32 v3, v113 :: v_dual_add_nc_u32 v2, v3, v2
	s_delay_alu instid0(VALU_DEP_2)
	v_cmpx_ne_u32_e32 0, v5
	s_xor_b32 s13, exec_lo, s13
; %bb.17466:                            ;   in Loop: Header=BB6_14192 Depth=3
	s_delay_alu instid0(VALU_DEP_2) | instskip(SKIP_1) | instid1(VALU_DEP_1)
	v_cmp_lt_u64_e32 vcc_lo, 0xffffff, v[2:3]
	v_add_nc_u32_e32 v4, 15, v70
	v_cndmask_b32_e32 v4, v5, v4, vcc_lo
	v_cndmask_b32_e64 v5, 0, 1, vcc_lo
	s_delay_alu instid0(VALU_DEP_1)
	v_lshrrev_b64 v[2:3], v5, v[2:3]
; %bb.17467:                            ;   in Loop: Header=BB6_14192 Depth=3
	s_and_not1_saveexec_b32 s13, s13
; %bb.17468:                            ;   in Loop: Header=BB6_14192 Depth=3
	s_delay_alu instid0(VALU_DEP_1)
	v_bfe_u32 v4, v2, 23, 1
; %bb.17469:                            ;   in Loop: Header=BB6_14192 Depth=3
	s_or_b32 exec_lo, exec_lo, s13
	s_delay_alu instid0(VALU_DEP_2) | instskip(NEXT) | instid1(VALU_DEP_2)
	v_lshrrev_b64 v[2:3], 21, v[2:3]
	v_cmp_gt_i32_e32 vcc_lo, 32, v4
	v_min_i32_e32 v5, 31, v4
	v_cmp_eq_u32_e64 s13, 0, v4
	s_delay_alu instid0(VALU_DEP_2) | instskip(SKIP_1) | instid1(VALU_DEP_2)
	v_dual_cndmask_b32 v3, 0, v3, vcc_lo :: v_dual_lshlrev_b32 v5, 2, v5
	v_cndmask_b32_e32 v2, 3, v2, vcc_lo
	v_and_b32_e32 v5, 0xfc, v5
	s_delay_alu instid0(VALU_DEP_2) | instskip(NEXT) | instid1(VALU_DEP_2)
	v_cmp_eq_u64_e32 vcc_lo, 0, v[2:3]
	v_and_or_b32 v2, v2, 3, v5
	s_and_b32 s13, s13, vcc_lo
	s_delay_alu instid0(VALU_DEP_1) | instid1(SALU_CYCLE_1)
	v_cndmask_b32_e64 v2, v2, 0, s13
	s_delay_alu instid0(VALU_DEP_1)
	v_or_b32_e32 v70, v2, v1
.LBB6_17470:                            ;   in Loop: Header=BB6_14192 Depth=3
	s_or_b32 exec_lo, exec_lo, s75
                                        ; implicit-def: $vgpr1
.LBB6_17471:                            ;   in Loop: Header=BB6_14192 Depth=3
	s_and_not1_saveexec_b32 s13, s74
; %bb.17472:                            ;   in Loop: Header=BB6_14192 Depth=3
	v_or_b32_e32 v70, 0x7b, v1
; %bb.17473:                            ;   in Loop: Header=BB6_14192 Depth=3
	s_or_b32 exec_lo, exec_lo, s13
                                        ; implicit-def: $vgpr4
                                        ; implicit-def: $vgpr2_vgpr3
                                        ; implicit-def: $vgpr1
.LBB6_17474:                            ;   in Loop: Header=BB6_14192 Depth=3
	s_and_not1_saveexec_b32 s13, s73
	s_cbranch_execz .LBB6_17480
; %bb.17475:                            ;   in Loop: Header=BB6_14192 Depth=3
	s_mov_b32 s73, exec_lo
                                        ; implicit-def: $vgpr70
	v_cmpx_ne_u64_e32 0, v[2:3]
	s_xor_b32 s73, exec_lo, s73
; %bb.17476:                            ;   in Loop: Header=BB6_14192 Depth=3
	v_or_b32_e32 v70, 0x7f, v1
                                        ; implicit-def: $vgpr4
; %bb.17477:                            ;   in Loop: Header=BB6_14192 Depth=3
	s_and_not1_saveexec_b32 s73, s73
; %bb.17478:                            ;   in Loop: Header=BB6_14192 Depth=3
	v_cmp_lt_i32_e32 vcc_lo, -1, v4
	v_mov_b32_e32 v1, 0x7c
	s_delay_alu instid0(VALU_DEP_1)
	v_cndmask_b32_e32 v70, 0xfc, v1, vcc_lo
; %bb.17479:                            ;   in Loop: Header=BB6_14192 Depth=3
	s_or_b32 exec_lo, exec_lo, s73
.LBB6_17480:                            ;   in Loop: Header=BB6_14192 Depth=3
	s_delay_alu instid0(SALU_CYCLE_1) | instskip(SKIP_3) | instid1(VALU_DEP_2)
	s_or_b32 exec_lo, exec_lo, s13
	v_dual_mov_b32 v1, 0 :: v_dual_lshrrev_b32 v2, 16, v0
	v_mov_b32_e32 v3, 0
	s_mov_b32 s73, exec_lo
	v_and_b32_e32 v4, 0xff, v2
	s_delay_alu instid0(VALU_DEP_1)
	v_cmpx_ne_u16_e32 0, v4
	s_cbranch_execz .LBB6_17490
; %bb.17481:                            ;   in Loop: Header=BB6_14192 Depth=3
	v_bfrev_b32_e32 v3, 1
	s_mov_b32 s74, exec_lo
	v_cmpx_ne_u16_e32 0x80, v4
	s_cbranch_execz .LBB6_17489
; %bb.17482:                            ;   in Loop: Header=BB6_14192 Depth=3
	v_and_b32_e32 v3, 0x7c0000, v0
	v_bfe_u32 v4, v0, 16, 2
	s_delay_alu instid0(VALU_DEP_2) | instskip(SKIP_1) | instid1(SALU_CYCLE_1)
	v_cmp_ne_u32_e32 vcc_lo, 0x7c0000, v3
                                        ; implicit-def: $vgpr3
	s_and_saveexec_b32 s13, vcc_lo
	s_xor_b32 s13, exec_lo, s13
	s_cbranch_execz .LBB6_17486
; %bb.17483:                            ;   in Loop: Header=BB6_14192 Depth=3
	v_bfe_u32 v3, v0, 18, 5
	s_mov_b32 s75, exec_lo
	s_delay_alu instid0(VALU_DEP_1)
	v_cmpx_eq_u32_e32 0, v3
; %bb.17484:                            ;   in Loop: Header=BB6_14192 Depth=3
	v_clz_i32_u32_e32 v3, v4
	s_delay_alu instid0(VALU_DEP_1) | instskip(NEXT) | instid1(VALU_DEP_1)
	v_min_u32_e32 v3, 32, v3
	v_subrev_nc_u32_e32 v4, 29, v3
	s_delay_alu instid0(VALU_DEP_1) | instskip(NEXT) | instid1(VALU_DEP_1)
	v_lshlrev_b64_e32 v[4:5], v4, v[2:3]
	v_dual_sub_nc_u32 v3, 30, v3 :: v_dual_bitop2_b32 v4, 3, v4 bitop3:0x40
; %bb.17485:                            ;   in Loop: Header=BB6_14192 Depth=3
	s_or_b32 exec_lo, exec_lo, s75
	v_lshlrev_b32_e32 v2, 24, v2
	s_delay_alu instid0(VALU_DEP_1) | instskip(NEXT) | instid1(VALU_DEP_1)
	v_and_b32_e32 v2, 0x80000000, v2
	v_lshl_add_u32 v2, v3, 23, v2
	s_delay_alu instid0(VALU_DEP_1) | instskip(NEXT) | instid1(VALU_DEP_1)
	v_lshl_or_b32 v2, v4, 21, v2
                                        ; implicit-def: $vgpr4
	v_add_nc_u32_e32 v3, 0x38000000, v2
                                        ; implicit-def: $vgpr2
.LBB6_17486:                            ;   in Loop: Header=BB6_14192 Depth=3
	s_and_not1_saveexec_b32 s75, s13
; %bb.17487:                            ;   in Loop: Header=BB6_14192 Depth=3
	v_bfe_i32 v2, v2, 0, 8
	v_cmp_eq_u32_e32 vcc_lo, 0, v4
	s_delay_alu instid0(VALU_DEP_2) | instskip(SKIP_1) | instid1(VALU_DEP_1)
	v_cmp_lt_i16_e64 s13, -1, v2
	v_mov_b32_e32 v2, 0x7f800000
	v_cndmask_b32_e64 v2, 0xff800000, v2, s13
	s_delay_alu instid0(VALU_DEP_1)
	v_cndmask_b32_e32 v3, 0x7f800001, v2, vcc_lo
; %bb.17488:                            ;   in Loop: Header=BB6_14192 Depth=3
	s_or_b32 exec_lo, exec_lo, s75
.LBB6_17489:                            ;   in Loop: Header=BB6_14192 Depth=3
	s_delay_alu instid0(SALU_CYCLE_1)
	s_or_b32 exec_lo, exec_lo, s74
.LBB6_17490:                            ;   in Loop: Header=BB6_14192 Depth=3
	s_delay_alu instid0(SALU_CYCLE_1) | instskip(SKIP_2) | instid1(VALU_DEP_1)
	s_or_b32 exec_lo, exec_lo, s73
	v_lshrrev_b32_e32 v2, 16, v12
	s_mov_b32 s73, exec_lo
	v_and_b32_e32 v4, 0xff, v2
	s_delay_alu instid0(VALU_DEP_1)
	v_cmpx_ne_u16_e32 0, v4
	s_cbranch_execz .LBB6_17500
; %bb.17491:                            ;   in Loop: Header=BB6_14192 Depth=3
	v_bfrev_b32_e32 v1, 1
	s_mov_b32 s74, exec_lo
	v_cmpx_ne_u16_e32 0x80, v4
	s_cbranch_execz .LBB6_17499
; %bb.17492:                            ;   in Loop: Header=BB6_14192 Depth=3
	v_and_b32_e32 v1, 0x7c0000, v12
	v_bfe_u32 v4, v12, 16, 2
	s_delay_alu instid0(VALU_DEP_2) | instskip(SKIP_1) | instid1(SALU_CYCLE_1)
	v_cmp_ne_u32_e32 vcc_lo, 0x7c0000, v1
                                        ; implicit-def: $vgpr1
	s_and_saveexec_b32 s13, vcc_lo
	s_xor_b32 s13, exec_lo, s13
	s_cbranch_execz .LBB6_17496
; %bb.17493:                            ;   in Loop: Header=BB6_14192 Depth=3
	v_bfe_u32 v1, v12, 18, 5
	s_mov_b32 s75, exec_lo
	s_delay_alu instid0(VALU_DEP_1)
	v_cmpx_eq_u32_e32 0, v1
; %bb.17494:                            ;   in Loop: Header=BB6_14192 Depth=3
	v_clz_i32_u32_e32 v1, v4
	s_delay_alu instid0(VALU_DEP_1) | instskip(NEXT) | instid1(VALU_DEP_1)
	v_min_u32_e32 v1, 32, v1
	v_subrev_nc_u32_e32 v4, 29, v1
	s_delay_alu instid0(VALU_DEP_1) | instskip(NEXT) | instid1(VALU_DEP_1)
	v_lshlrev_b64_e32 v[4:5], v4, v[2:3]
	v_dual_sub_nc_u32 v1, 30, v1 :: v_dual_bitop2_b32 v4, 3, v4 bitop3:0x40
; %bb.17495:                            ;   in Loop: Header=BB6_14192 Depth=3
	s_or_b32 exec_lo, exec_lo, s75
	v_lshlrev_b32_e32 v2, 24, v2
	s_delay_alu instid0(VALU_DEP_1) | instskip(NEXT) | instid1(VALU_DEP_1)
	v_and_b32_e32 v2, 0x80000000, v2
	v_lshl_add_u32 v1, v1, 23, v2
                                        ; implicit-def: $vgpr2
	s_delay_alu instid0(VALU_DEP_1) | instskip(NEXT) | instid1(VALU_DEP_1)
	v_lshl_or_b32 v1, v4, 21, v1
                                        ; implicit-def: $vgpr4
	v_add_nc_u32_e32 v1, 0x38000000, v1
.LBB6_17496:                            ;   in Loop: Header=BB6_14192 Depth=3
	s_and_not1_saveexec_b32 s75, s13
; %bb.17497:                            ;   in Loop: Header=BB6_14192 Depth=3
	v_bfe_i32 v1, v2, 0, 8
	v_cmp_eq_u32_e32 vcc_lo, 0, v4
	s_delay_alu instid0(VALU_DEP_2) | instskip(SKIP_1) | instid1(VALU_DEP_1)
	v_cmp_lt_i16_e64 s13, -1, v1
	v_mov_b32_e32 v1, 0x7f800000
	v_cndmask_b32_e64 v1, 0xff800000, v1, s13
	s_delay_alu instid0(VALU_DEP_1)
	v_cndmask_b32_e32 v1, 0x7f800001, v1, vcc_lo
; %bb.17498:                            ;   in Loop: Header=BB6_14192 Depth=3
	s_or_b32 exec_lo, exec_lo, s75
.LBB6_17499:                            ;   in Loop: Header=BB6_14192 Depth=3
	s_delay_alu instid0(SALU_CYCLE_1)
	s_or_b32 exec_lo, exec_lo, s74
.LBB6_17500:                            ;   in Loop: Header=BB6_14192 Depth=3
	s_delay_alu instid0(SALU_CYCLE_1) | instskip(NEXT) | instid1(VALU_DEP_1)
	s_or_b32 exec_lo, exec_lo, s73
	v_dual_add_f32 v4, v3, v1 :: v_dual_mov_b32 v47, v113
	v_mov_b32_e32 v3, v113
                                        ; implicit-def: $vgpr84
	s_mov_b32 s13, exec_lo
	s_delay_alu instid0(VALU_DEP_2) | instskip(SKIP_2) | instid1(VALU_DEP_3)
	v_and_b32_e32 v46, 0x7f800000, v4
	v_and_b32_e32 v2, 0x7fffff, v4
	v_lshrrev_b32_e32 v1, 24, v4
	v_cmpx_ne_u64_e32 0x7f800000, v[46:47]
	s_xor_b32 s73, exec_lo, s13
	s_cbranch_execz .LBB6_17514
; %bb.17501:                            ;   in Loop: Header=BB6_14192 Depth=3
	v_and_b32_e32 v46, 0x7fffffff, v4
	v_mov_b32_e32 v47, v113
	v_and_b32_e32 v1, 0x80, v1
                                        ; implicit-def: $vgpr84
	s_mov_b32 s13, exec_lo
	s_delay_alu instid0(VALU_DEP_2)
	v_cmpx_gt_u64_e32 0x47600001, v[46:47]
	s_xor_b32 s74, exec_lo, s13
	s_cbranch_execz .LBB6_17511
; %bb.17502:                            ;   in Loop: Header=BB6_14192 Depth=3
	v_mov_b32_e32 v84, 0
	s_mov_b32 s75, exec_lo
	v_cmpx_ne_u32_e32 0, v4
	s_cbranch_execz .LBB6_17510
; %bb.17503:                            ;   in Loop: Header=BB6_14192 Depth=3
	v_bfe_u32 v84, v4, 23, 8
	v_or_b32_e32 v5, 0x800000, v2
	s_delay_alu instid0(VALU_DEP_2) | instskip(SKIP_2) | instid1(VALU_DEP_2)
	v_cmp_gt_u32_e64 s13, 0x72, v84
	v_sub_nc_u32_e32 v4, 0x71, v84
	v_cmp_eq_u32_e32 vcc_lo, 0, v84
	v_dual_cndmask_b32 v4, 0, v4, s13 :: v_dual_cndmask_b32 v2, v5, v2, vcc_lo
	s_delay_alu instid0(VALU_DEP_1) | instskip(NEXT) | instid1(VALU_DEP_1)
	v_cndmask_b32_e64 v87, v4, 0x70, vcc_lo
	v_dual_add_nc_u32 v4, 21, v87 :: v_dual_add_nc_u32 v97, 20, v87
	s_delay_alu instid0(VALU_DEP_1) | instskip(NEXT) | instid1(VALU_DEP_2)
	v_lshlrev_b64_e64 v[4:5], v4, -1
	v_lshlrev_b64_e64 v[46:47], v97, 1
	s_delay_alu instid0(VALU_DEP_2) | instskip(SKIP_1) | instid1(VALU_DEP_4)
	v_bfi_b32 v4, v4, 0, v2
	v_lshrrev_b64 v[2:3], v87, v[2:3]
	v_bfi_b32 v5, v5, 0, 0
	s_delay_alu instid0(VALU_DEP_1) | instskip(NEXT) | instid1(VALU_DEP_3)
	v_cmp_eq_u64_e64 s13, v[4:5], v[46:47]
	v_mov_b64_e32 v[4:5], v[2:3]
	s_and_saveexec_b32 s76, s13
; %bb.17504:                            ;   in Loop: Header=BB6_14192 Depth=3
	v_bfe_u32 v4, v2, 21, 1
	v_mov_b32_e32 v5, v113
	s_delay_alu instid0(VALU_DEP_1) | instskip(NEXT) | instid1(VALU_DEP_1)
	v_add_nc_u64_e32 v[4:5], v[2:3], v[4:5]
	v_add_nc_u64_e32 v[4:5], -1, v[4:5]
; %bb.17505:                            ;   in Loop: Header=BB6_14192 Depth=3
	s_or_b32 exec_lo, exec_lo, s76
	v_add_nc_u32_e32 v3, 0xffffff81, v84
	v_lshrrev_b32_e32 v5, 23, v2
	s_mov_b32 s13, exec_lo
	s_delay_alu instid0(VALU_DEP_2) | instskip(NEXT) | instid1(VALU_DEP_1)
	v_cndmask_b32_e64 v3, v3, 0xffffff82, vcc_lo
	v_add3_u32 v84, v87, v3, v5
	v_and_b32_e32 v3, 0x1fffff, v4
                                        ; implicit-def: $vgpr4
	s_delay_alu instid0(VALU_DEP_1) | instskip(SKIP_1) | instid1(VALU_DEP_2)
	v_dual_add_nc_u32 v5, 14, v84 :: v_dual_add_nc_u32 v2, v3, v2
	v_mov_b32_e32 v3, v113
	v_cmpx_ne_u32_e32 0, v5
	s_xor_b32 s13, exec_lo, s13
; %bb.17506:                            ;   in Loop: Header=BB6_14192 Depth=3
	s_delay_alu instid0(VALU_DEP_2) | instskip(SKIP_1) | instid1(VALU_DEP_1)
	v_cmp_lt_u64_e32 vcc_lo, 0xffffff, v[2:3]
	v_add_nc_u32_e32 v4, 15, v84
	v_cndmask_b32_e32 v4, v5, v4, vcc_lo
	v_cndmask_b32_e64 v5, 0, 1, vcc_lo
	s_delay_alu instid0(VALU_DEP_1)
	v_lshrrev_b64 v[2:3], v5, v[2:3]
; %bb.17507:                            ;   in Loop: Header=BB6_14192 Depth=3
	s_and_not1_saveexec_b32 s13, s13
; %bb.17508:                            ;   in Loop: Header=BB6_14192 Depth=3
	s_delay_alu instid0(VALU_DEP_1)
	v_bfe_u32 v4, v2, 23, 1
; %bb.17509:                            ;   in Loop: Header=BB6_14192 Depth=3
	s_or_b32 exec_lo, exec_lo, s13
	s_delay_alu instid0(VALU_DEP_2) | instskip(NEXT) | instid1(VALU_DEP_2)
	v_lshrrev_b64 v[2:3], 21, v[2:3]
	v_cmp_gt_i32_e32 vcc_lo, 32, v4
	v_min_i32_e32 v5, 31, v4
	v_cmp_eq_u32_e64 s13, 0, v4
	s_delay_alu instid0(VALU_DEP_2) | instskip(SKIP_1) | instid1(VALU_DEP_2)
	v_dual_cndmask_b32 v3, 0, v3, vcc_lo :: v_dual_lshlrev_b32 v5, 2, v5
	v_cndmask_b32_e32 v2, 3, v2, vcc_lo
	v_and_b32_e32 v5, 0xfc, v5
	s_delay_alu instid0(VALU_DEP_2) | instskip(NEXT) | instid1(VALU_DEP_2)
	v_cmp_eq_u64_e32 vcc_lo, 0, v[2:3]
	v_and_or_b32 v2, v2, 3, v5
	s_and_b32 s13, s13, vcc_lo
	s_delay_alu instid0(VALU_DEP_1) | instid1(SALU_CYCLE_1)
	v_cndmask_b32_e64 v2, v2, 0, s13
	s_delay_alu instid0(VALU_DEP_1)
	v_or_b32_e32 v84, v2, v1
.LBB6_17510:                            ;   in Loop: Header=BB6_14192 Depth=3
	s_or_b32 exec_lo, exec_lo, s75
                                        ; implicit-def: $vgpr1
.LBB6_17511:                            ;   in Loop: Header=BB6_14192 Depth=3
	s_and_not1_saveexec_b32 s13, s74
; %bb.17512:                            ;   in Loop: Header=BB6_14192 Depth=3
	v_or_b32_e32 v84, 0x7b, v1
; %bb.17513:                            ;   in Loop: Header=BB6_14192 Depth=3
	s_or_b32 exec_lo, exec_lo, s13
                                        ; implicit-def: $vgpr4
                                        ; implicit-def: $vgpr2_vgpr3
                                        ; implicit-def: $vgpr1
.LBB6_17514:                            ;   in Loop: Header=BB6_14192 Depth=3
	s_and_not1_saveexec_b32 s13, s73
	s_cbranch_execz .LBB6_17520
; %bb.17515:                            ;   in Loop: Header=BB6_14192 Depth=3
	s_mov_b32 s73, exec_lo
                                        ; implicit-def: $vgpr84
	v_cmpx_ne_u64_e32 0, v[2:3]
	s_xor_b32 s73, exec_lo, s73
; %bb.17516:                            ;   in Loop: Header=BB6_14192 Depth=3
	v_or_b32_e32 v84, 0x7f, v1
                                        ; implicit-def: $vgpr4
; %bb.17517:                            ;   in Loop: Header=BB6_14192 Depth=3
	s_and_not1_saveexec_b32 s73, s73
; %bb.17518:                            ;   in Loop: Header=BB6_14192 Depth=3
	v_cmp_lt_i32_e32 vcc_lo, -1, v4
	v_mov_b32_e32 v1, 0x7c
	s_delay_alu instid0(VALU_DEP_1)
	v_cndmask_b32_e32 v84, 0xfc, v1, vcc_lo
; %bb.17519:                            ;   in Loop: Header=BB6_14192 Depth=3
	s_or_b32 exec_lo, exec_lo, s73
.LBB6_17520:                            ;   in Loop: Header=BB6_14192 Depth=3
	s_delay_alu instid0(SALU_CYCLE_1)
	s_or_b32 exec_lo, exec_lo, s13
	v_dual_mov_b32 v3, 0 :: v_dual_mov_b32 v4, 0
	s_mov_b32 s73, exec_lo
	v_cmpx_lt_u32_e32 0xffffff, v0
	s_cbranch_execz .LBB6_17530
; %bb.17521:                            ;   in Loop: Header=BB6_14192 Depth=3
	v_lshrrev_b32_e32 v2, 24, v0
	v_bfrev_b32_e32 v4, 1
	s_mov_b32 s74, exec_lo
	s_delay_alu instid0(VALU_DEP_2)
	v_cmpx_ne_u32_e32 0x80, v2
	s_cbranch_execz .LBB6_17529
; %bb.17522:                            ;   in Loop: Header=BB6_14192 Depth=3
	v_and_b32_e32 v1, 0x7c000000, v0
	v_bfe_u32 v5, v0, 24, 2
	s_mov_b32 s13, exec_lo
                                        ; implicit-def: $vgpr4
	s_delay_alu instid0(VALU_DEP_2)
	v_cmpx_ne_u32_e32 0x7c000000, v1
	s_xor_b32 s13, exec_lo, s13
	s_cbranch_execz .LBB6_17526
; %bb.17523:                            ;   in Loop: Header=BB6_14192 Depth=3
	v_bfe_u32 v1, v0, 26, 5
	s_mov_b32 s75, exec_lo
	s_delay_alu instid0(VALU_DEP_1)
	v_cmpx_eq_u32_e32 0, v1
; %bb.17524:                            ;   in Loop: Header=BB6_14192 Depth=3
	v_clz_i32_u32_e32 v1, v5
	s_delay_alu instid0(VALU_DEP_1) | instskip(NEXT) | instid1(VALU_DEP_1)
	v_min_u32_e32 v1, 32, v1
	v_subrev_nc_u32_e32 v4, 29, v1
	s_delay_alu instid0(VALU_DEP_1) | instskip(NEXT) | instid1(VALU_DEP_1)
	v_lshlrev_b64_e32 v[4:5], v4, v[2:3]
	v_dual_sub_nc_u32 v1, 30, v1 :: v_dual_bitop2_b32 v5, 3, v4 bitop3:0x40
; %bb.17525:                            ;   in Loop: Header=BB6_14192 Depth=3
	s_or_b32 exec_lo, exec_lo, s75
	v_and_b32_e32 v0, 0x80000000, v0
	s_delay_alu instid0(VALU_DEP_1) | instskip(NEXT) | instid1(VALU_DEP_1)
	v_lshl_add_u32 v0, v1, 23, v0
	v_lshl_or_b32 v0, v5, 21, v0
                                        ; implicit-def: $vgpr5
	s_delay_alu instid0(VALU_DEP_1)
	v_add_nc_u32_e32 v4, 0x38000000, v0
                                        ; implicit-def: $vgpr0_vgpr1
.LBB6_17526:                            ;   in Loop: Header=BB6_14192 Depth=3
	s_and_not1_saveexec_b32 s75, s13
; %bb.17527:                            ;   in Loop: Header=BB6_14192 Depth=3
	v_cmp_lt_i32_e64 s13, -1, v0
	v_mov_b32_e32 v0, 0x7f800000
	v_cmp_eq_u32_e32 vcc_lo, 0, v5
	s_delay_alu instid0(VALU_DEP_2) | instskip(NEXT) | instid1(VALU_DEP_1)
	v_cndmask_b32_e64 v0, 0xff800000, v0, s13
	v_cndmask_b32_e32 v4, 0x7f800001, v0, vcc_lo
; %bb.17528:                            ;   in Loop: Header=BB6_14192 Depth=3
	s_or_b32 exec_lo, exec_lo, s75
.LBB6_17529:                            ;   in Loop: Header=BB6_14192 Depth=3
	s_delay_alu instid0(SALU_CYCLE_1)
	s_or_b32 exec_lo, exec_lo, s74
.LBB6_17530:                            ;   in Loop: Header=BB6_14192 Depth=3
	s_delay_alu instid0(SALU_CYCLE_1) | instskip(NEXT) | instid1(SALU_CYCLE_1)
	s_or_b32 exec_lo, exec_lo, s73
	s_mov_b32 s73, exec_lo
	v_cmpx_lt_u32_e32 0xffffff, v12
	s_cbranch_execz .LBB6_17540
; %bb.17531:                            ;   in Loop: Header=BB6_14192 Depth=3
	v_lshrrev_b32_e32 v0, 24, v12
	v_bfrev_b32_e32 v3, 1
	s_mov_b32 s74, exec_lo
	s_delay_alu instid0(VALU_DEP_2)
	v_cmpx_ne_u32_e32 0x80, v0
	s_cbranch_execz .LBB6_17539
; %bb.17532:                            ;   in Loop: Header=BB6_14192 Depth=3
	v_and_b32_e32 v2, 0x7c000000, v12
	v_bfe_u32 v1, v12, 24, 2
	s_mov_b32 s13, exec_lo
                                        ; implicit-def: $vgpr3
	s_delay_alu instid0(VALU_DEP_2)
	v_cmpx_ne_u32_e32 0x7c000000, v2
	s_xor_b32 s13, exec_lo, s13
	s_cbranch_execz .LBB6_17536
; %bb.17533:                            ;   in Loop: Header=BB6_14192 Depth=3
	v_bfe_u32 v2, v12, 26, 5
	s_mov_b32 s75, exec_lo
	s_delay_alu instid0(VALU_DEP_1)
	v_cmpx_eq_u32_e32 0, v2
; %bb.17534:                            ;   in Loop: Header=BB6_14192 Depth=3
	v_clz_i32_u32_e32 v1, v1
	s_delay_alu instid0(VALU_DEP_1) | instskip(NEXT) | instid1(VALU_DEP_1)
	v_min_u32_e32 v2, 32, v1
	v_subrev_nc_u32_e32 v1, 29, v2
	s_delay_alu instid0(VALU_DEP_1) | instskip(NEXT) | instid1(VALU_DEP_1)
	v_lshlrev_b64_e32 v[0:1], v1, v[0:1]
	v_dual_sub_nc_u32 v2, 30, v2 :: v_dual_bitop2_b32 v1, 3, v0 bitop3:0x40
; %bb.17535:                            ;   in Loop: Header=BB6_14192 Depth=3
	s_or_b32 exec_lo, exec_lo, s75
	v_and_b32_e32 v0, 0x80000000, v12
	s_delay_alu instid0(VALU_DEP_1) | instskip(NEXT) | instid1(VALU_DEP_1)
	v_lshl_add_u32 v0, v2, 23, v0
	v_lshl_or_b32 v0, v1, 21, v0
                                        ; implicit-def: $vgpr1
	s_delay_alu instid0(VALU_DEP_1)
	v_add_nc_u32_e32 v3, 0x38000000, v0
.LBB6_17536:                            ;   in Loop: Header=BB6_14192 Depth=3
	s_and_not1_saveexec_b32 s75, s13
; %bb.17537:                            ;   in Loop: Header=BB6_14192 Depth=3
	v_cmp_lt_i32_e64 s13, -1, v12
	v_mov_b32_e32 v0, 0x7f800000
	v_cmp_eq_u32_e32 vcc_lo, 0, v1
	s_delay_alu instid0(VALU_DEP_2) | instskip(NEXT) | instid1(VALU_DEP_1)
	v_cndmask_b32_e64 v0, 0xff800000, v0, s13
	v_cndmask_b32_e32 v3, 0x7f800001, v0, vcc_lo
; %bb.17538:                            ;   in Loop: Header=BB6_14192 Depth=3
	s_or_b32 exec_lo, exec_lo, s75
.LBB6_17539:                            ;   in Loop: Header=BB6_14192 Depth=3
	s_delay_alu instid0(SALU_CYCLE_1)
	s_or_b32 exec_lo, exec_lo, s74
.LBB6_17540:                            ;   in Loop: Header=BB6_14192 Depth=3
	s_delay_alu instid0(SALU_CYCLE_1) | instskip(NEXT) | instid1(VALU_DEP_1)
	s_or_b32 exec_lo, exec_lo, s73
	v_dual_add_f32 v2, v4, v3 :: v_dual_mov_b32 v5, v113
	v_mov_b32_e32 v1, v113
                                        ; implicit-def: $vgpr87
	s_mov_b32 s13, exec_lo
	s_delay_alu instid0(VALU_DEP_2) | instskip(SKIP_2) | instid1(VALU_DEP_3)
	v_and_b32_e32 v4, 0x7f800000, v2
	v_and_b32_e32 v0, 0x7fffff, v2
	v_lshrrev_b32_e32 v3, 24, v2
	v_cmpx_ne_u64_e32 0x7f800000, v[4:5]
	s_xor_b32 s73, exec_lo, s13
	s_cbranch_execz .LBB6_17554
; %bb.17541:                            ;   in Loop: Header=BB6_14192 Depth=3
	v_and_b32_e32 v4, 0x7fffffff, v2
	v_mov_b32_e32 v5, v113
                                        ; implicit-def: $vgpr87
	s_delay_alu instid0(VALU_DEP_1) | instskip(SKIP_2) | instid1(SALU_CYCLE_1)
	v_cmp_gt_u64_e32 vcc_lo, 0x47600001, v[4:5]
	v_and_b32_e32 v4, 0x80, v3
	s_and_saveexec_b32 s13, vcc_lo
	s_xor_b32 s74, exec_lo, s13
	s_cbranch_execz .LBB6_17551
; %bb.17542:                            ;   in Loop: Header=BB6_14192 Depth=3
	v_mov_b32_e32 v87, 0
	s_mov_b32 s75, exec_lo
	v_cmpx_ne_u32_e32 0, v2
	s_cbranch_execz .LBB6_17550
; %bb.17543:                            ;   in Loop: Header=BB6_14192 Depth=3
	v_bfe_u32 v5, v2, 23, 8
	v_or_b32_e32 v3, 0x800000, v0
	s_delay_alu instid0(VALU_DEP_2) | instskip(SKIP_2) | instid1(VALU_DEP_2)
	v_cmp_gt_u32_e64 s13, 0x72, v5
	v_sub_nc_u32_e32 v2, 0x71, v5
	v_cmp_eq_u32_e32 vcc_lo, 0, v5
	v_dual_cndmask_b32 v2, 0, v2, s13 :: v_dual_cndmask_b32 v0, v3, v0, vcc_lo
	s_delay_alu instid0(VALU_DEP_1) | instskip(NEXT) | instid1(VALU_DEP_1)
	v_cndmask_b32_e64 v87, v2, 0x70, vcc_lo
	v_dual_add_nc_u32 v2, 21, v87 :: v_dual_add_nc_u32 v97, 20, v87
	s_delay_alu instid0(VALU_DEP_1) | instskip(NEXT) | instid1(VALU_DEP_2)
	v_lshlrev_b64_e64 v[2:3], v2, -1
	v_lshlrev_b64_e64 v[46:47], v97, 1
	s_delay_alu instid0(VALU_DEP_2) | instskip(SKIP_1) | instid1(VALU_DEP_4)
	v_bfi_b32 v2, v2, 0, v0
	v_lshrrev_b64 v[0:1], v87, v[0:1]
	v_bfi_b32 v3, v3, 0, 0
	s_delay_alu instid0(VALU_DEP_1) | instskip(NEXT) | instid1(VALU_DEP_3)
	v_cmp_eq_u64_e64 s13, v[2:3], v[46:47]
	v_mov_b64_e32 v[2:3], v[0:1]
	s_and_saveexec_b32 s76, s13
; %bb.17544:                            ;   in Loop: Header=BB6_14192 Depth=3
	v_bfe_u32 v2, v0, 21, 1
	v_mov_b32_e32 v3, v113
	s_delay_alu instid0(VALU_DEP_1) | instskip(NEXT) | instid1(VALU_DEP_1)
	v_add_nc_u64_e32 v[2:3], v[0:1], v[2:3]
	v_add_nc_u64_e32 v[2:3], -1, v[2:3]
; %bb.17545:                            ;   in Loop: Header=BB6_14192 Depth=3
	s_or_b32 exec_lo, exec_lo, s76
	v_add_nc_u32_e32 v1, 0xffffff81, v5
	v_lshrrev_b32_e32 v3, 23, v0
	s_mov_b32 s13, exec_lo
	s_delay_alu instid0(VALU_DEP_2) | instskip(NEXT) | instid1(VALU_DEP_1)
	v_cndmask_b32_e64 v1, v1, 0xffffff82, vcc_lo
	v_add3_u32 v5, v87, v1, v3
	v_and_b32_e32 v1, 0x1fffff, v2
                                        ; implicit-def: $vgpr2
	s_delay_alu instid0(VALU_DEP_1) | instskip(SKIP_1) | instid1(VALU_DEP_2)
	v_dual_add_nc_u32 v3, 14, v5 :: v_dual_add_nc_u32 v0, v1, v0
	v_mov_b32_e32 v1, v113
	v_cmpx_ne_u32_e32 0, v3
	s_xor_b32 s13, exec_lo, s13
; %bb.17546:                            ;   in Loop: Header=BB6_14192 Depth=3
	s_delay_alu instid0(VALU_DEP_2) | instskip(SKIP_1) | instid1(VALU_DEP_1)
	v_cmp_lt_u64_e32 vcc_lo, 0xffffff, v[0:1]
	v_add_nc_u32_e32 v2, 15, v5
	v_cndmask_b32_e32 v2, v3, v2, vcc_lo
	v_cndmask_b32_e64 v3, 0, 1, vcc_lo
	s_delay_alu instid0(VALU_DEP_1)
	v_lshrrev_b64 v[0:1], v3, v[0:1]
; %bb.17547:                            ;   in Loop: Header=BB6_14192 Depth=3
	s_and_not1_saveexec_b32 s13, s13
; %bb.17548:                            ;   in Loop: Header=BB6_14192 Depth=3
	s_delay_alu instid0(VALU_DEP_1)
	v_bfe_u32 v2, v0, 23, 1
; %bb.17549:                            ;   in Loop: Header=BB6_14192 Depth=3
	s_or_b32 exec_lo, exec_lo, s13
	s_delay_alu instid0(VALU_DEP_2) | instskip(NEXT) | instid1(VALU_DEP_2)
	v_lshrrev_b64 v[0:1], 21, v[0:1]
	v_cmp_gt_i32_e32 vcc_lo, 32, v2
	v_min_i32_e32 v3, 31, v2
	v_cmp_eq_u32_e64 s13, 0, v2
	s_delay_alu instid0(VALU_DEP_2) | instskip(SKIP_1) | instid1(VALU_DEP_2)
	v_dual_cndmask_b32 v1, 0, v1, vcc_lo :: v_dual_lshlrev_b32 v3, 2, v3
	v_cndmask_b32_e32 v0, 3, v0, vcc_lo
	v_and_b32_e32 v3, 0xfc, v3
	s_delay_alu instid0(VALU_DEP_2) | instskip(NEXT) | instid1(VALU_DEP_2)
	v_cmp_eq_u64_e32 vcc_lo, 0, v[0:1]
	v_and_or_b32 v0, v0, 3, v3
	s_and_b32 s13, s13, vcc_lo
	s_delay_alu instid0(VALU_DEP_1) | instid1(SALU_CYCLE_1)
	v_cndmask_b32_e64 v0, v0, 0, s13
	s_delay_alu instid0(VALU_DEP_1)
	v_or_b32_e32 v87, v0, v4
.LBB6_17550:                            ;   in Loop: Header=BB6_14192 Depth=3
	s_or_b32 exec_lo, exec_lo, s75
                                        ; implicit-def: $vgpr4
.LBB6_17551:                            ;   in Loop: Header=BB6_14192 Depth=3
	s_and_not1_saveexec_b32 s13, s74
; %bb.17552:                            ;   in Loop: Header=BB6_14192 Depth=3
	v_or_b32_e32 v87, 0x7b, v4
; %bb.17553:                            ;   in Loop: Header=BB6_14192 Depth=3
	s_or_b32 exec_lo, exec_lo, s13
                                        ; implicit-def: $vgpr2
                                        ; implicit-def: $vgpr0_vgpr1
                                        ; implicit-def: $vgpr3
.LBB6_17554:                            ;   in Loop: Header=BB6_14192 Depth=3
	s_and_not1_saveexec_b32 s13, s73
	s_cbranch_execz .LBB6_17560
; %bb.17555:                            ;   in Loop: Header=BB6_14192 Depth=3
	s_mov_b32 s73, exec_lo
                                        ; implicit-def: $vgpr87
	v_cmpx_ne_u64_e32 0, v[0:1]
	s_xor_b32 s73, exec_lo, s73
; %bb.17556:                            ;   in Loop: Header=BB6_14192 Depth=3
	v_or_b32_e32 v87, 0x7f, v3
                                        ; implicit-def: $vgpr2
; %bb.17557:                            ;   in Loop: Header=BB6_14192 Depth=3
	s_and_not1_saveexec_b32 s73, s73
; %bb.17558:                            ;   in Loop: Header=BB6_14192 Depth=3
	v_cmp_lt_i32_e32 vcc_lo, -1, v2
	v_mov_b32_e32 v0, 0x7c
	s_delay_alu instid0(VALU_DEP_1)
	v_cndmask_b32_e32 v87, 0xfc, v0, vcc_lo
; %bb.17559:                            ;   in Loop: Header=BB6_14192 Depth=3
	s_or_b32 exec_lo, exec_lo, s73
.LBB6_17560:                            ;   in Loop: Header=BB6_14192 Depth=3
	s_delay_alu instid0(SALU_CYCLE_1) | instskip(SKIP_4) | instid1(VALU_DEP_2)
	s_or_b32 exec_lo, exec_lo, s13
	v_lshl_or_b32 v80, v80, 8, v65
	v_dual_lshlrev_b32 v0, 16, v83 :: v_dual_lshlrev_b32 v2, 24, v85
	v_dual_mov_b32 v1, v113 :: v_dual_mov_b32 v3, 0
	s_mov_b32 s73, exec_lo
	v_or3_b32 v0, v0, v2, v80
	v_mov_b32_e32 v2, 0
	v_cmpx_ne_u32_e32 0, v65
	s_cbranch_execz .LBB6_17570
; %bb.17561:                            ;   in Loop: Header=BB6_14192 Depth=3
	v_bfrev_b32_e32 v2, 1
	s_mov_b32 s74, exec_lo
	v_cmpx_ne_u32_e32 0x80, v65
	s_cbranch_execz .LBB6_17569
; %bb.17562:                            ;   in Loop: Header=BB6_14192 Depth=3
	v_and_b32_e32 v2, 0x7c, v65
	v_and_b32_e32 v4, 3, v65
	s_delay_alu instid0(VALU_DEP_2) | instskip(SKIP_1) | instid1(SALU_CYCLE_1)
	v_cmp_ne_u32_e32 vcc_lo, 0x7c, v2
                                        ; implicit-def: $vgpr2
	s_and_saveexec_b32 s13, vcc_lo
	s_xor_b32 s13, exec_lo, s13
	s_cbranch_execz .LBB6_17566
; %bb.17563:                            ;   in Loop: Header=BB6_14192 Depth=3
	v_bfe_u32 v2, v65, 2, 5
	s_mov_b32 s75, exec_lo
	s_delay_alu instid0(VALU_DEP_1)
	v_cmpx_eq_u32_e32 0, v2
; %bb.17564:                            ;   in Loop: Header=BB6_14192 Depth=3
	v_clz_i32_u32_e32 v2, v4
	s_delay_alu instid0(VALU_DEP_1) | instskip(NEXT) | instid1(VALU_DEP_1)
	v_min_u32_e32 v2, 32, v2
	v_subrev_nc_u32_e32 v4, 29, v2
	s_delay_alu instid0(VALU_DEP_1) | instskip(NEXT) | instid1(VALU_DEP_1)
	v_lshlrev_b64_e32 v[4:5], v4, v[0:1]
	v_dual_sub_nc_u32 v2, 30, v2 :: v_dual_bitop2_b32 v4, 3, v4 bitop3:0x40
; %bb.17565:                            ;   in Loop: Header=BB6_14192 Depth=3
	s_or_b32 exec_lo, exec_lo, s75
	v_lshlrev_b32_e32 v1, 24, v65
                                        ; implicit-def: $vgpr65
	s_delay_alu instid0(VALU_DEP_1) | instskip(NEXT) | instid1(VALU_DEP_1)
	v_and_b32_e32 v1, 0x80000000, v1
	v_lshl_add_u32 v1, v2, 23, v1
	s_delay_alu instid0(VALU_DEP_1) | instskip(NEXT) | instid1(VALU_DEP_1)
	v_lshl_or_b32 v1, v4, 21, v1
                                        ; implicit-def: $vgpr4
	v_add_nc_u32_e32 v2, 0x38000000, v1
.LBB6_17566:                            ;   in Loop: Header=BB6_14192 Depth=3
	s_and_not1_saveexec_b32 s75, s13
; %bb.17567:                            ;   in Loop: Header=BB6_14192 Depth=3
	v_and_b32_e32 v1, 0x80, v65
	v_cmp_eq_u32_e32 vcc_lo, 0, v4
	s_delay_alu instid0(VALU_DEP_2) | instskip(SKIP_1) | instid1(VALU_DEP_1)
	v_cmp_eq_u32_e64 s13, 0, v1
	v_mov_b32_e32 v1, 0x7f800000
	v_cndmask_b32_e64 v1, 0xff800000, v1, s13
	s_delay_alu instid0(VALU_DEP_1)
	v_cndmask_b32_e32 v2, 0x7f800001, v1, vcc_lo
; %bb.17568:                            ;   in Loop: Header=BB6_14192 Depth=3
	s_or_b32 exec_lo, exec_lo, s75
.LBB6_17569:                            ;   in Loop: Header=BB6_14192 Depth=3
	s_delay_alu instid0(SALU_CYCLE_1)
	s_or_b32 exec_lo, exec_lo, s74
.LBB6_17570:                            ;   in Loop: Header=BB6_14192 Depth=3
	s_delay_alu instid0(SALU_CYCLE_1) | instskip(SKIP_2) | instid1(VALU_DEP_1)
	s_or_b32 exec_lo, exec_lo, s73
	v_and_b32_e32 v1, 0xff, v13
	s_mov_b32 s73, exec_lo
	v_cmpx_ne_u16_e32 0, v1
	s_cbranch_execz .LBB6_17580
; %bb.17571:                            ;   in Loop: Header=BB6_14192 Depth=3
	v_bfrev_b32_e32 v3, 1
	s_mov_b32 s74, exec_lo
	v_cmpx_ne_u16_e32 0x80, v1
	s_cbranch_execz .LBB6_17579
; %bb.17572:                            ;   in Loop: Header=BB6_14192 Depth=3
	v_and_b32_e32 v3, 0x7c, v13
	v_and_b32_e32 v1, 3, v13
	s_delay_alu instid0(VALU_DEP_2) | instskip(SKIP_1) | instid1(SALU_CYCLE_1)
	v_cmp_ne_u32_e32 vcc_lo, 0x7c, v3
                                        ; implicit-def: $vgpr3
	s_and_saveexec_b32 s13, vcc_lo
	s_xor_b32 s13, exec_lo, s13
	s_cbranch_execz .LBB6_17576
; %bb.17573:                            ;   in Loop: Header=BB6_14192 Depth=3
	v_bfe_u32 v3, v13, 2, 5
	s_mov_b32 s75, exec_lo
	s_delay_alu instid0(VALU_DEP_1)
	v_cmpx_eq_u32_e32 0, v3
; %bb.17574:                            ;   in Loop: Header=BB6_14192 Depth=3
	v_clz_i32_u32_e32 v1, v1
	v_dual_mov_b32 v4, v13 :: v_dual_mov_b32 v5, v113
	s_delay_alu instid0(VALU_DEP_2) | instskip(NEXT) | instid1(VALU_DEP_1)
	v_min_u32_e32 v1, 32, v1
	v_subrev_nc_u32_e32 v3, 29, v1
	s_delay_alu instid0(VALU_DEP_1) | instskip(NEXT) | instid1(VALU_DEP_1)
	v_lshlrev_b64_e32 v[4:5], v3, v[4:5]
	v_dual_sub_nc_u32 v3, 30, v1 :: v_dual_bitop2_b32 v1, 3, v4 bitop3:0x40
; %bb.17575:                            ;   in Loop: Header=BB6_14192 Depth=3
	s_or_b32 exec_lo, exec_lo, s75
	v_lshlrev_b32_e32 v4, 24, v13
	s_delay_alu instid0(VALU_DEP_1) | instskip(NEXT) | instid1(VALU_DEP_1)
	v_and_b32_e32 v4, 0x80000000, v4
	v_lshl_add_u32 v3, v3, 23, v4
	s_delay_alu instid0(VALU_DEP_1) | instskip(NEXT) | instid1(VALU_DEP_1)
	v_lshl_or_b32 v1, v1, 21, v3
	v_add_nc_u32_e32 v3, 0x38000000, v1
                                        ; implicit-def: $vgpr1
.LBB6_17576:                            ;   in Loop: Header=BB6_14192 Depth=3
	s_and_not1_saveexec_b32 s75, s13
; %bb.17577:                            ;   in Loop: Header=BB6_14192 Depth=3
	v_bfe_i32 v3, v13, 0, 8
	v_cmp_eq_u32_e32 vcc_lo, 0, v1
	v_mov_b32_e32 v1, 0x7f800000
	s_delay_alu instid0(VALU_DEP_3) | instskip(NEXT) | instid1(VALU_DEP_1)
	v_cmp_lt_i16_e64 s13, -1, v3
	v_cndmask_b32_e64 v1, 0xff800000, v1, s13
	s_delay_alu instid0(VALU_DEP_1)
	v_cndmask_b32_e32 v3, 0x7f800001, v1, vcc_lo
; %bb.17578:                            ;   in Loop: Header=BB6_14192 Depth=3
	s_or_b32 exec_lo, exec_lo, s75
.LBB6_17579:                            ;   in Loop: Header=BB6_14192 Depth=3
	s_delay_alu instid0(SALU_CYCLE_1)
	s_or_b32 exec_lo, exec_lo, s74
.LBB6_17580:                            ;   in Loop: Header=BB6_14192 Depth=3
	s_delay_alu instid0(SALU_CYCLE_1) | instskip(NEXT) | instid1(VALU_DEP_1)
	s_or_b32 exec_lo, exec_lo, s73
	v_dual_add_f32 v4, v2, v3 :: v_dual_mov_b32 v47, v113
	v_mov_b32_e32 v3, v113
                                        ; implicit-def: $vgpr65
	s_mov_b32 s13, exec_lo
	s_delay_alu instid0(VALU_DEP_2) | instskip(SKIP_2) | instid1(VALU_DEP_3)
	v_and_b32_e32 v46, 0x7f800000, v4
	v_and_b32_e32 v2, 0x7fffff, v4
	v_lshrrev_b32_e32 v1, 24, v4
	v_cmpx_ne_u64_e32 0x7f800000, v[46:47]
	s_xor_b32 s73, exec_lo, s13
	s_cbranch_execz .LBB6_17594
; %bb.17581:                            ;   in Loop: Header=BB6_14192 Depth=3
	v_and_b32_e32 v46, 0x7fffffff, v4
	v_mov_b32_e32 v47, v113
	v_and_b32_e32 v1, 0x80, v1
                                        ; implicit-def: $vgpr65
	s_mov_b32 s13, exec_lo
	s_delay_alu instid0(VALU_DEP_2)
	v_cmpx_gt_u64_e32 0x47600001, v[46:47]
	s_xor_b32 s74, exec_lo, s13
	s_cbranch_execz .LBB6_17591
; %bb.17582:                            ;   in Loop: Header=BB6_14192 Depth=3
	v_mov_b32_e32 v65, 0
	s_mov_b32 s75, exec_lo
	v_cmpx_ne_u32_e32 0, v4
	s_cbranch_execz .LBB6_17590
; %bb.17583:                            ;   in Loop: Header=BB6_14192 Depth=3
	v_bfe_u32 v65, v4, 23, 8
	v_or_b32_e32 v5, 0x800000, v2
	s_delay_alu instid0(VALU_DEP_2) | instskip(SKIP_2) | instid1(VALU_DEP_2)
	v_cmp_gt_u32_e64 s13, 0x72, v65
	v_sub_nc_u32_e32 v4, 0x71, v65
	v_cmp_eq_u32_e32 vcc_lo, 0, v65
	v_dual_cndmask_b32 v4, 0, v4, s13 :: v_dual_cndmask_b32 v2, v5, v2, vcc_lo
	s_delay_alu instid0(VALU_DEP_1) | instskip(NEXT) | instid1(VALU_DEP_1)
	v_cndmask_b32_e64 v83, v4, 0x70, vcc_lo
	v_dual_add_nc_u32 v4, 21, v83 :: v_dual_add_nc_u32 v85, 20, v83
	s_delay_alu instid0(VALU_DEP_1) | instskip(NEXT) | instid1(VALU_DEP_2)
	v_lshlrev_b64_e64 v[4:5], v4, -1
	v_lshlrev_b64_e64 v[46:47], v85, 1
	s_delay_alu instid0(VALU_DEP_2) | instskip(SKIP_1) | instid1(VALU_DEP_4)
	v_bfi_b32 v4, v4, 0, v2
	v_lshrrev_b64 v[2:3], v83, v[2:3]
	v_bfi_b32 v5, v5, 0, 0
	s_delay_alu instid0(VALU_DEP_1) | instskip(NEXT) | instid1(VALU_DEP_3)
	v_cmp_eq_u64_e64 s13, v[4:5], v[46:47]
	v_mov_b64_e32 v[4:5], v[2:3]
	s_and_saveexec_b32 s76, s13
; %bb.17584:                            ;   in Loop: Header=BB6_14192 Depth=3
	v_bfe_u32 v4, v2, 21, 1
	v_mov_b32_e32 v5, v113
	s_delay_alu instid0(VALU_DEP_1) | instskip(NEXT) | instid1(VALU_DEP_1)
	v_add_nc_u64_e32 v[4:5], v[2:3], v[4:5]
	v_add_nc_u64_e32 v[4:5], -1, v[4:5]
; %bb.17585:                            ;   in Loop: Header=BB6_14192 Depth=3
	s_or_b32 exec_lo, exec_lo, s76
	v_add_nc_u32_e32 v3, 0xffffff81, v65
	v_lshrrev_b32_e32 v5, 23, v2
	s_mov_b32 s13, exec_lo
	s_delay_alu instid0(VALU_DEP_2) | instskip(NEXT) | instid1(VALU_DEP_1)
	v_cndmask_b32_e64 v3, v3, 0xffffff82, vcc_lo
	v_add3_u32 v65, v83, v3, v5
	v_and_b32_e32 v3, 0x1fffff, v4
                                        ; implicit-def: $vgpr4
	s_delay_alu instid0(VALU_DEP_1) | instskip(SKIP_1) | instid1(VALU_DEP_2)
	v_dual_add_nc_u32 v5, 14, v65 :: v_dual_add_nc_u32 v2, v3, v2
	v_mov_b32_e32 v3, v113
	v_cmpx_ne_u32_e32 0, v5
	s_xor_b32 s13, exec_lo, s13
; %bb.17586:                            ;   in Loop: Header=BB6_14192 Depth=3
	s_delay_alu instid0(VALU_DEP_2) | instskip(SKIP_1) | instid1(VALU_DEP_1)
	v_cmp_lt_u64_e32 vcc_lo, 0xffffff, v[2:3]
	v_add_nc_u32_e32 v4, 15, v65
	v_cndmask_b32_e32 v4, v5, v4, vcc_lo
	v_cndmask_b32_e64 v5, 0, 1, vcc_lo
	s_delay_alu instid0(VALU_DEP_1)
	v_lshrrev_b64 v[2:3], v5, v[2:3]
; %bb.17587:                            ;   in Loop: Header=BB6_14192 Depth=3
	s_and_not1_saveexec_b32 s13, s13
; %bb.17588:                            ;   in Loop: Header=BB6_14192 Depth=3
	s_delay_alu instid0(VALU_DEP_1)
	v_bfe_u32 v4, v2, 23, 1
; %bb.17589:                            ;   in Loop: Header=BB6_14192 Depth=3
	s_or_b32 exec_lo, exec_lo, s13
	s_delay_alu instid0(VALU_DEP_2) | instskip(NEXT) | instid1(VALU_DEP_2)
	v_lshrrev_b64 v[2:3], 21, v[2:3]
	v_cmp_gt_i32_e32 vcc_lo, 32, v4
	v_min_i32_e32 v5, 31, v4
	v_cmp_eq_u32_e64 s13, 0, v4
	s_delay_alu instid0(VALU_DEP_2) | instskip(SKIP_1) | instid1(VALU_DEP_2)
	v_dual_cndmask_b32 v3, 0, v3, vcc_lo :: v_dual_lshlrev_b32 v5, 2, v5
	v_cndmask_b32_e32 v2, 3, v2, vcc_lo
	v_and_b32_e32 v5, 0xfc, v5
	s_delay_alu instid0(VALU_DEP_2) | instskip(NEXT) | instid1(VALU_DEP_2)
	v_cmp_eq_u64_e32 vcc_lo, 0, v[2:3]
	v_and_or_b32 v2, v2, 3, v5
	s_and_b32 s13, s13, vcc_lo
	s_delay_alu instid0(VALU_DEP_1) | instid1(SALU_CYCLE_1)
	v_cndmask_b32_e64 v2, v2, 0, s13
	s_delay_alu instid0(VALU_DEP_1)
	v_or_b32_e32 v65, v2, v1
.LBB6_17590:                            ;   in Loop: Header=BB6_14192 Depth=3
	s_or_b32 exec_lo, exec_lo, s75
                                        ; implicit-def: $vgpr1
.LBB6_17591:                            ;   in Loop: Header=BB6_14192 Depth=3
	s_and_not1_saveexec_b32 s13, s74
; %bb.17592:                            ;   in Loop: Header=BB6_14192 Depth=3
	v_or_b32_e32 v65, 0x7b, v1
; %bb.17593:                            ;   in Loop: Header=BB6_14192 Depth=3
	s_or_b32 exec_lo, exec_lo, s13
                                        ; implicit-def: $vgpr4
                                        ; implicit-def: $vgpr2_vgpr3
                                        ; implicit-def: $vgpr1
.LBB6_17594:                            ;   in Loop: Header=BB6_14192 Depth=3
	s_and_not1_saveexec_b32 s13, s73
	s_cbranch_execz .LBB6_17600
; %bb.17595:                            ;   in Loop: Header=BB6_14192 Depth=3
	s_mov_b32 s73, exec_lo
                                        ; implicit-def: $vgpr65
	v_cmpx_ne_u64_e32 0, v[2:3]
	s_xor_b32 s73, exec_lo, s73
; %bb.17596:                            ;   in Loop: Header=BB6_14192 Depth=3
	v_or_b32_e32 v65, 0x7f, v1
                                        ; implicit-def: $vgpr4
; %bb.17597:                            ;   in Loop: Header=BB6_14192 Depth=3
	s_and_not1_saveexec_b32 s73, s73
; %bb.17598:                            ;   in Loop: Header=BB6_14192 Depth=3
	v_cmp_lt_i32_e32 vcc_lo, -1, v4
	v_mov_b32_e32 v1, 0x7c
	s_delay_alu instid0(VALU_DEP_1)
	v_cndmask_b32_e32 v65, 0xfc, v1, vcc_lo
; %bb.17599:                            ;   in Loop: Header=BB6_14192 Depth=3
	s_or_b32 exec_lo, exec_lo, s73
.LBB6_17600:                            ;   in Loop: Header=BB6_14192 Depth=3
	s_delay_alu instid0(SALU_CYCLE_1) | instskip(SKIP_3) | instid1(VALU_DEP_2)
	s_or_b32 exec_lo, exec_lo, s13
	v_lshrrev_b16 v2, 8, v80
	v_dual_mov_b32 v1, 0 :: v_dual_mov_b32 v4, 0
	s_mov_b32 s73, exec_lo
	v_cmpx_ne_u16_e32 0, v2
	s_cbranch_execz .LBB6_17610
; %bb.17601:                            ;   in Loop: Header=BB6_14192 Depth=3
	v_bfrev_b32_e32 v4, 1
	s_mov_b32 s74, exec_lo
	v_cmpx_ne_u16_e32 0x80, v2
	s_cbranch_execz .LBB6_17609
; %bb.17602:                            ;   in Loop: Header=BB6_14192 Depth=3
	v_and_b32_e32 v5, 0xffff, v2
	s_delay_alu instid0(VALU_DEP_1) | instskip(SKIP_1) | instid1(VALU_DEP_2)
	v_and_b32_e32 v4, 0x7c, v5
	v_and_b32_e32 v3, 3, v5
	v_cmp_ne_u32_e32 vcc_lo, 0x7c, v4
                                        ; implicit-def: $vgpr4
	s_and_saveexec_b32 s13, vcc_lo
	s_delay_alu instid0(SALU_CYCLE_1)
	s_xor_b32 s13, exec_lo, s13
	s_cbranch_execz .LBB6_17606
; %bb.17603:                            ;   in Loop: Header=BB6_14192 Depth=3
	v_bfe_u32 v4, v5, 2, 5
	s_mov_b32 s75, exec_lo
	s_delay_alu instid0(VALU_DEP_1)
	v_cmpx_eq_u32_e32 0, v4
	s_cbranch_execz .LBB6_17605
; %bb.17604:                            ;   in Loop: Header=BB6_14192 Depth=3
	v_clz_i32_u32_e32 v3, v3
	s_delay_alu instid0(VALU_DEP_1) | instskip(SKIP_1) | instid1(VALU_DEP_2)
	v_min_u32_e32 v4, 32, v3
	v_mov_b32_e32 v3, v113
	v_subrev_nc_u32_e32 v5, 29, v4
	v_sub_nc_u32_e32 v4, 30, v4
	s_delay_alu instid0(VALU_DEP_2) | instskip(NEXT) | instid1(VALU_DEP_1)
	v_lshlrev_b64_e32 v[2:3], v5, v[2:3]
	v_and_b32_e32 v3, 3, v2
.LBB6_17605:                            ;   in Loop: Header=BB6_14192 Depth=3
	s_or_b32 exec_lo, exec_lo, s75
	v_lshlrev_b32_e32 v2, 16, v80
                                        ; implicit-def: $vgpr80
	s_delay_alu instid0(VALU_DEP_1) | instskip(NEXT) | instid1(VALU_DEP_1)
	v_and_b32_e32 v2, 0x80000000, v2
	v_lshl_add_u32 v2, v4, 23, v2
	s_delay_alu instid0(VALU_DEP_1) | instskip(NEXT) | instid1(VALU_DEP_1)
	v_lshl_or_b32 v2, v3, 21, v2
                                        ; implicit-def: $vgpr3
	v_add_nc_u32_e32 v4, 0x38000000, v2
.LBB6_17606:                            ;   in Loop: Header=BB6_14192 Depth=3
	s_and_not1_saveexec_b32 s75, s13
; %bb.17607:                            ;   in Loop: Header=BB6_14192 Depth=3
	v_cmp_lt_i16_e64 s13, -1, v80
	v_mov_b32_e32 v2, 0x7f800000
	v_cmp_eq_u32_e32 vcc_lo, 0, v3
	s_delay_alu instid0(VALU_DEP_2) | instskip(NEXT) | instid1(VALU_DEP_1)
	v_cndmask_b32_e64 v2, 0xff800000, v2, s13
	v_cndmask_b32_e32 v4, 0x7f800001, v2, vcc_lo
; %bb.17608:                            ;   in Loop: Header=BB6_14192 Depth=3
	s_or_b32 exec_lo, exec_lo, s75
.LBB6_17609:                            ;   in Loop: Header=BB6_14192 Depth=3
	s_delay_alu instid0(SALU_CYCLE_1)
	s_or_b32 exec_lo, exec_lo, s74
.LBB6_17610:                            ;   in Loop: Header=BB6_14192 Depth=3
	s_delay_alu instid0(SALU_CYCLE_1) | instskip(SKIP_2) | instid1(VALU_DEP_1)
	s_or_b32 exec_lo, exec_lo, s73
	v_lshrrev_b16 v2, 8, v13
	s_mov_b32 s73, exec_lo
	v_cmpx_ne_u16_e32 0, v2
	s_cbranch_execz .LBB6_17620
; %bb.17611:                            ;   in Loop: Header=BB6_14192 Depth=3
	v_bfrev_b32_e32 v1, 1
	s_mov_b32 s74, exec_lo
	v_cmpx_ne_u16_e32 0x80, v2
	s_cbranch_execz .LBB6_17619
; %bb.17612:                            ;   in Loop: Header=BB6_14192 Depth=3
	v_and_b32_e32 v5, 0xffff, v2
	s_delay_alu instid0(VALU_DEP_1) | instskip(SKIP_1) | instid1(VALU_DEP_2)
	v_and_b32_e32 v1, 0x7c, v5
	v_and_b32_e32 v3, 3, v5
	v_cmp_ne_u32_e32 vcc_lo, 0x7c, v1
                                        ; implicit-def: $vgpr1
	s_and_saveexec_b32 s13, vcc_lo
	s_delay_alu instid0(SALU_CYCLE_1)
	s_xor_b32 s13, exec_lo, s13
	s_cbranch_execz .LBB6_17616
; %bb.17613:                            ;   in Loop: Header=BB6_14192 Depth=3
	v_bfe_u32 v1, v5, 2, 5
	s_mov_b32 s75, exec_lo
	s_delay_alu instid0(VALU_DEP_1)
	v_cmpx_eq_u32_e32 0, v1
	s_cbranch_execz .LBB6_17615
; %bb.17614:                            ;   in Loop: Header=BB6_14192 Depth=3
	v_clz_i32_u32_e32 v1, v3
	s_delay_alu instid0(VALU_DEP_1) | instskip(SKIP_1) | instid1(VALU_DEP_2)
	v_min_u32_e32 v1, 32, v1
	v_mov_b32_e32 v3, v113
	v_subrev_nc_u32_e32 v5, 29, v1
	v_sub_nc_u32_e32 v1, 30, v1
	s_delay_alu instid0(VALU_DEP_2) | instskip(NEXT) | instid1(VALU_DEP_1)
	v_lshlrev_b64_e32 v[2:3], v5, v[2:3]
	v_and_b32_e32 v3, 3, v2
.LBB6_17615:                            ;   in Loop: Header=BB6_14192 Depth=3
	s_or_b32 exec_lo, exec_lo, s75
	v_lshlrev_b32_e32 v2, 16, v13
	s_delay_alu instid0(VALU_DEP_1) | instskip(NEXT) | instid1(VALU_DEP_1)
	v_and_b32_e32 v2, 0x80000000, v2
	v_lshl_add_u32 v1, v1, 23, v2
	s_delay_alu instid0(VALU_DEP_1) | instskip(NEXT) | instid1(VALU_DEP_1)
	v_lshl_or_b32 v1, v3, 21, v1
                                        ; implicit-def: $vgpr3
	v_add_nc_u32_e32 v1, 0x38000000, v1
.LBB6_17616:                            ;   in Loop: Header=BB6_14192 Depth=3
	s_and_not1_saveexec_b32 s75, s13
; %bb.17617:                            ;   in Loop: Header=BB6_14192 Depth=3
	v_cmp_lt_i16_e64 s13, -1, v13
	v_mov_b32_e32 v1, 0x7f800000
	v_cmp_eq_u32_e32 vcc_lo, 0, v3
	s_delay_alu instid0(VALU_DEP_2) | instskip(NEXT) | instid1(VALU_DEP_1)
	v_cndmask_b32_e64 v1, 0xff800000, v1, s13
	v_cndmask_b32_e32 v1, 0x7f800001, v1, vcc_lo
; %bb.17618:                            ;   in Loop: Header=BB6_14192 Depth=3
	s_or_b32 exec_lo, exec_lo, s75
.LBB6_17619:                            ;   in Loop: Header=BB6_14192 Depth=3
	s_delay_alu instid0(SALU_CYCLE_1)
	s_or_b32 exec_lo, exec_lo, s74
.LBB6_17620:                            ;   in Loop: Header=BB6_14192 Depth=3
	s_delay_alu instid0(SALU_CYCLE_1) | instskip(NEXT) | instid1(VALU_DEP_1)
	s_or_b32 exec_lo, exec_lo, s73
	v_dual_add_f32 v4, v4, v1 :: v_dual_mov_b32 v47, v113
	v_mov_b32_e32 v3, v113
                                        ; implicit-def: $vgpr80
	s_mov_b32 s13, exec_lo
	s_delay_alu instid0(VALU_DEP_2) | instskip(SKIP_2) | instid1(VALU_DEP_3)
	v_and_b32_e32 v46, 0x7f800000, v4
	v_and_b32_e32 v2, 0x7fffff, v4
	v_lshrrev_b32_e32 v1, 24, v4
	v_cmpx_ne_u64_e32 0x7f800000, v[46:47]
	s_xor_b32 s73, exec_lo, s13
	s_cbranch_execz .LBB6_17634
; %bb.17621:                            ;   in Loop: Header=BB6_14192 Depth=3
	v_and_b32_e32 v46, 0x7fffffff, v4
	v_mov_b32_e32 v47, v113
	v_and_b32_e32 v1, 0x80, v1
                                        ; implicit-def: $vgpr80
	s_mov_b32 s13, exec_lo
	s_delay_alu instid0(VALU_DEP_2)
	v_cmpx_gt_u64_e32 0x47600001, v[46:47]
	s_xor_b32 s74, exec_lo, s13
	s_cbranch_execz .LBB6_17631
; %bb.17622:                            ;   in Loop: Header=BB6_14192 Depth=3
	v_mov_b32_e32 v80, 0
	s_mov_b32 s75, exec_lo
	v_cmpx_ne_u32_e32 0, v4
	s_cbranch_execz .LBB6_17630
; %bb.17623:                            ;   in Loop: Header=BB6_14192 Depth=3
	v_bfe_u32 v80, v4, 23, 8
	v_or_b32_e32 v5, 0x800000, v2
	s_delay_alu instid0(VALU_DEP_2) | instskip(SKIP_2) | instid1(VALU_DEP_2)
	v_cmp_gt_u32_e64 s13, 0x72, v80
	v_sub_nc_u32_e32 v4, 0x71, v80
	v_cmp_eq_u32_e32 vcc_lo, 0, v80
	v_dual_cndmask_b32 v4, 0, v4, s13 :: v_dual_cndmask_b32 v2, v5, v2, vcc_lo
	s_delay_alu instid0(VALU_DEP_1) | instskip(NEXT) | instid1(VALU_DEP_1)
	v_cndmask_b32_e64 v83, v4, 0x70, vcc_lo
	v_dual_add_nc_u32 v4, 21, v83 :: v_dual_add_nc_u32 v85, 20, v83
	s_delay_alu instid0(VALU_DEP_1) | instskip(NEXT) | instid1(VALU_DEP_2)
	v_lshlrev_b64_e64 v[4:5], v4, -1
	v_lshlrev_b64_e64 v[46:47], v85, 1
	s_delay_alu instid0(VALU_DEP_2) | instskip(SKIP_1) | instid1(VALU_DEP_4)
	v_bfi_b32 v4, v4, 0, v2
	v_lshrrev_b64 v[2:3], v83, v[2:3]
	v_bfi_b32 v5, v5, 0, 0
	s_delay_alu instid0(VALU_DEP_1) | instskip(NEXT) | instid1(VALU_DEP_3)
	v_cmp_eq_u64_e64 s13, v[4:5], v[46:47]
	v_mov_b64_e32 v[4:5], v[2:3]
	s_and_saveexec_b32 s76, s13
; %bb.17624:                            ;   in Loop: Header=BB6_14192 Depth=3
	v_bfe_u32 v4, v2, 21, 1
	v_mov_b32_e32 v5, v113
	s_delay_alu instid0(VALU_DEP_1) | instskip(NEXT) | instid1(VALU_DEP_1)
	v_add_nc_u64_e32 v[4:5], v[2:3], v[4:5]
	v_add_nc_u64_e32 v[4:5], -1, v[4:5]
; %bb.17625:                            ;   in Loop: Header=BB6_14192 Depth=3
	s_or_b32 exec_lo, exec_lo, s76
	v_add_nc_u32_e32 v3, 0xffffff81, v80
	v_lshrrev_b32_e32 v5, 23, v2
	s_mov_b32 s13, exec_lo
	s_delay_alu instid0(VALU_DEP_2) | instskip(NEXT) | instid1(VALU_DEP_1)
	v_cndmask_b32_e64 v3, v3, 0xffffff82, vcc_lo
	v_add3_u32 v80, v83, v3, v5
	v_and_b32_e32 v3, 0x1fffff, v4
                                        ; implicit-def: $vgpr4
	s_delay_alu instid0(VALU_DEP_1) | instskip(SKIP_1) | instid1(VALU_DEP_2)
	v_dual_add_nc_u32 v5, 14, v80 :: v_dual_add_nc_u32 v2, v3, v2
	v_mov_b32_e32 v3, v113
	v_cmpx_ne_u32_e32 0, v5
	s_xor_b32 s13, exec_lo, s13
; %bb.17626:                            ;   in Loop: Header=BB6_14192 Depth=3
	s_delay_alu instid0(VALU_DEP_2) | instskip(SKIP_1) | instid1(VALU_DEP_1)
	v_cmp_lt_u64_e32 vcc_lo, 0xffffff, v[2:3]
	v_add_nc_u32_e32 v4, 15, v80
	v_cndmask_b32_e32 v4, v5, v4, vcc_lo
	v_cndmask_b32_e64 v5, 0, 1, vcc_lo
	s_delay_alu instid0(VALU_DEP_1)
	v_lshrrev_b64 v[2:3], v5, v[2:3]
; %bb.17627:                            ;   in Loop: Header=BB6_14192 Depth=3
	s_and_not1_saveexec_b32 s13, s13
; %bb.17628:                            ;   in Loop: Header=BB6_14192 Depth=3
	s_delay_alu instid0(VALU_DEP_1)
	v_bfe_u32 v4, v2, 23, 1
; %bb.17629:                            ;   in Loop: Header=BB6_14192 Depth=3
	s_or_b32 exec_lo, exec_lo, s13
	s_delay_alu instid0(VALU_DEP_2) | instskip(NEXT) | instid1(VALU_DEP_2)
	v_lshrrev_b64 v[2:3], 21, v[2:3]
	v_cmp_gt_i32_e32 vcc_lo, 32, v4
	v_min_i32_e32 v5, 31, v4
	v_cmp_eq_u32_e64 s13, 0, v4
	s_delay_alu instid0(VALU_DEP_2) | instskip(SKIP_1) | instid1(VALU_DEP_2)
	v_dual_cndmask_b32 v3, 0, v3, vcc_lo :: v_dual_lshlrev_b32 v5, 2, v5
	v_cndmask_b32_e32 v2, 3, v2, vcc_lo
	v_and_b32_e32 v5, 0xfc, v5
	s_delay_alu instid0(VALU_DEP_2) | instskip(NEXT) | instid1(VALU_DEP_2)
	v_cmp_eq_u64_e32 vcc_lo, 0, v[2:3]
	v_and_or_b32 v2, v2, 3, v5
	s_and_b32 s13, s13, vcc_lo
	s_delay_alu instid0(VALU_DEP_1) | instid1(SALU_CYCLE_1)
	v_cndmask_b32_e64 v2, v2, 0, s13
	s_delay_alu instid0(VALU_DEP_1)
	v_or_b32_e32 v80, v2, v1
.LBB6_17630:                            ;   in Loop: Header=BB6_14192 Depth=3
	s_or_b32 exec_lo, exec_lo, s75
                                        ; implicit-def: $vgpr1
.LBB6_17631:                            ;   in Loop: Header=BB6_14192 Depth=3
	s_and_not1_saveexec_b32 s13, s74
; %bb.17632:                            ;   in Loop: Header=BB6_14192 Depth=3
	v_or_b32_e32 v80, 0x7b, v1
; %bb.17633:                            ;   in Loop: Header=BB6_14192 Depth=3
	s_or_b32 exec_lo, exec_lo, s13
                                        ; implicit-def: $vgpr4
                                        ; implicit-def: $vgpr2_vgpr3
                                        ; implicit-def: $vgpr1
.LBB6_17634:                            ;   in Loop: Header=BB6_14192 Depth=3
	s_and_not1_saveexec_b32 s13, s73
	s_cbranch_execz .LBB6_17640
; %bb.17635:                            ;   in Loop: Header=BB6_14192 Depth=3
	s_mov_b32 s73, exec_lo
                                        ; implicit-def: $vgpr80
	v_cmpx_ne_u64_e32 0, v[2:3]
	s_xor_b32 s73, exec_lo, s73
; %bb.17636:                            ;   in Loop: Header=BB6_14192 Depth=3
	v_or_b32_e32 v80, 0x7f, v1
                                        ; implicit-def: $vgpr4
; %bb.17637:                            ;   in Loop: Header=BB6_14192 Depth=3
	s_and_not1_saveexec_b32 s73, s73
; %bb.17638:                            ;   in Loop: Header=BB6_14192 Depth=3
	v_cmp_lt_i32_e32 vcc_lo, -1, v4
	v_mov_b32_e32 v1, 0x7c
	s_delay_alu instid0(VALU_DEP_1)
	v_cndmask_b32_e32 v80, 0xfc, v1, vcc_lo
; %bb.17639:                            ;   in Loop: Header=BB6_14192 Depth=3
	s_or_b32 exec_lo, exec_lo, s73
.LBB6_17640:                            ;   in Loop: Header=BB6_14192 Depth=3
	s_delay_alu instid0(SALU_CYCLE_1) | instskip(SKIP_3) | instid1(VALU_DEP_2)
	s_or_b32 exec_lo, exec_lo, s13
	v_dual_mov_b32 v1, 0 :: v_dual_lshrrev_b32 v2, 16, v0
	v_mov_b32_e32 v3, 0
	s_mov_b32 s73, exec_lo
	v_and_b32_e32 v4, 0xff, v2
	s_delay_alu instid0(VALU_DEP_1)
	v_cmpx_ne_u16_e32 0, v4
	s_cbranch_execz .LBB6_17650
; %bb.17641:                            ;   in Loop: Header=BB6_14192 Depth=3
	v_bfrev_b32_e32 v3, 1
	s_mov_b32 s74, exec_lo
	v_cmpx_ne_u16_e32 0x80, v4
	s_cbranch_execz .LBB6_17649
; %bb.17642:                            ;   in Loop: Header=BB6_14192 Depth=3
	v_and_b32_e32 v3, 0x7c0000, v0
	v_bfe_u32 v4, v0, 16, 2
	s_delay_alu instid0(VALU_DEP_2) | instskip(SKIP_1) | instid1(SALU_CYCLE_1)
	v_cmp_ne_u32_e32 vcc_lo, 0x7c0000, v3
                                        ; implicit-def: $vgpr3
	s_and_saveexec_b32 s13, vcc_lo
	s_xor_b32 s13, exec_lo, s13
	s_cbranch_execz .LBB6_17646
; %bb.17643:                            ;   in Loop: Header=BB6_14192 Depth=3
	v_bfe_u32 v3, v0, 18, 5
	s_mov_b32 s75, exec_lo
	s_delay_alu instid0(VALU_DEP_1)
	v_cmpx_eq_u32_e32 0, v3
; %bb.17644:                            ;   in Loop: Header=BB6_14192 Depth=3
	v_clz_i32_u32_e32 v3, v4
	s_delay_alu instid0(VALU_DEP_1) | instskip(NEXT) | instid1(VALU_DEP_1)
	v_min_u32_e32 v3, 32, v3
	v_subrev_nc_u32_e32 v4, 29, v3
	s_delay_alu instid0(VALU_DEP_1) | instskip(NEXT) | instid1(VALU_DEP_1)
	v_lshlrev_b64_e32 v[4:5], v4, v[2:3]
	v_dual_sub_nc_u32 v3, 30, v3 :: v_dual_bitop2_b32 v4, 3, v4 bitop3:0x40
; %bb.17645:                            ;   in Loop: Header=BB6_14192 Depth=3
	s_or_b32 exec_lo, exec_lo, s75
	v_lshlrev_b32_e32 v2, 24, v2
	s_delay_alu instid0(VALU_DEP_1) | instskip(NEXT) | instid1(VALU_DEP_1)
	v_and_b32_e32 v2, 0x80000000, v2
	v_lshl_add_u32 v2, v3, 23, v2
	s_delay_alu instid0(VALU_DEP_1) | instskip(NEXT) | instid1(VALU_DEP_1)
	v_lshl_or_b32 v2, v4, 21, v2
                                        ; implicit-def: $vgpr4
	v_add_nc_u32_e32 v3, 0x38000000, v2
                                        ; implicit-def: $vgpr2
.LBB6_17646:                            ;   in Loop: Header=BB6_14192 Depth=3
	s_and_not1_saveexec_b32 s75, s13
; %bb.17647:                            ;   in Loop: Header=BB6_14192 Depth=3
	v_bfe_i32 v2, v2, 0, 8
	v_cmp_eq_u32_e32 vcc_lo, 0, v4
	s_delay_alu instid0(VALU_DEP_2) | instskip(SKIP_1) | instid1(VALU_DEP_1)
	v_cmp_lt_i16_e64 s13, -1, v2
	v_mov_b32_e32 v2, 0x7f800000
	v_cndmask_b32_e64 v2, 0xff800000, v2, s13
	s_delay_alu instid0(VALU_DEP_1)
	v_cndmask_b32_e32 v3, 0x7f800001, v2, vcc_lo
; %bb.17648:                            ;   in Loop: Header=BB6_14192 Depth=3
	s_or_b32 exec_lo, exec_lo, s75
.LBB6_17649:                            ;   in Loop: Header=BB6_14192 Depth=3
	s_delay_alu instid0(SALU_CYCLE_1)
	s_or_b32 exec_lo, exec_lo, s74
.LBB6_17650:                            ;   in Loop: Header=BB6_14192 Depth=3
	s_delay_alu instid0(SALU_CYCLE_1) | instskip(SKIP_2) | instid1(VALU_DEP_1)
	s_or_b32 exec_lo, exec_lo, s73
	v_lshrrev_b32_e32 v2, 16, v13
	s_mov_b32 s73, exec_lo
	v_and_b32_e32 v4, 0xff, v2
	s_delay_alu instid0(VALU_DEP_1)
	v_cmpx_ne_u16_e32 0, v4
	s_cbranch_execz .LBB6_17660
; %bb.17651:                            ;   in Loop: Header=BB6_14192 Depth=3
	v_bfrev_b32_e32 v1, 1
	s_mov_b32 s74, exec_lo
	v_cmpx_ne_u16_e32 0x80, v4
	s_cbranch_execz .LBB6_17659
; %bb.17652:                            ;   in Loop: Header=BB6_14192 Depth=3
	v_and_b32_e32 v1, 0x7c0000, v13
	v_bfe_u32 v4, v13, 16, 2
	s_delay_alu instid0(VALU_DEP_2) | instskip(SKIP_1) | instid1(SALU_CYCLE_1)
	v_cmp_ne_u32_e32 vcc_lo, 0x7c0000, v1
                                        ; implicit-def: $vgpr1
	s_and_saveexec_b32 s13, vcc_lo
	s_xor_b32 s13, exec_lo, s13
	s_cbranch_execz .LBB6_17656
; %bb.17653:                            ;   in Loop: Header=BB6_14192 Depth=3
	v_bfe_u32 v1, v13, 18, 5
	s_mov_b32 s75, exec_lo
	s_delay_alu instid0(VALU_DEP_1)
	v_cmpx_eq_u32_e32 0, v1
; %bb.17654:                            ;   in Loop: Header=BB6_14192 Depth=3
	v_clz_i32_u32_e32 v1, v4
	s_delay_alu instid0(VALU_DEP_1) | instskip(NEXT) | instid1(VALU_DEP_1)
	v_min_u32_e32 v1, 32, v1
	v_subrev_nc_u32_e32 v4, 29, v1
	s_delay_alu instid0(VALU_DEP_1) | instskip(NEXT) | instid1(VALU_DEP_1)
	v_lshlrev_b64_e32 v[4:5], v4, v[2:3]
	v_dual_sub_nc_u32 v1, 30, v1 :: v_dual_bitop2_b32 v4, 3, v4 bitop3:0x40
; %bb.17655:                            ;   in Loop: Header=BB6_14192 Depth=3
	s_or_b32 exec_lo, exec_lo, s75
	v_lshlrev_b32_e32 v2, 24, v2
	s_delay_alu instid0(VALU_DEP_1) | instskip(NEXT) | instid1(VALU_DEP_1)
	v_and_b32_e32 v2, 0x80000000, v2
	v_lshl_add_u32 v1, v1, 23, v2
                                        ; implicit-def: $vgpr2
	s_delay_alu instid0(VALU_DEP_1) | instskip(NEXT) | instid1(VALU_DEP_1)
	v_lshl_or_b32 v1, v4, 21, v1
                                        ; implicit-def: $vgpr4
	v_add_nc_u32_e32 v1, 0x38000000, v1
.LBB6_17656:                            ;   in Loop: Header=BB6_14192 Depth=3
	s_and_not1_saveexec_b32 s75, s13
; %bb.17657:                            ;   in Loop: Header=BB6_14192 Depth=3
	v_bfe_i32 v1, v2, 0, 8
	v_cmp_eq_u32_e32 vcc_lo, 0, v4
	s_delay_alu instid0(VALU_DEP_2) | instskip(SKIP_1) | instid1(VALU_DEP_1)
	v_cmp_lt_i16_e64 s13, -1, v1
	v_mov_b32_e32 v1, 0x7f800000
	v_cndmask_b32_e64 v1, 0xff800000, v1, s13
	s_delay_alu instid0(VALU_DEP_1)
	v_cndmask_b32_e32 v1, 0x7f800001, v1, vcc_lo
; %bb.17658:                            ;   in Loop: Header=BB6_14192 Depth=3
	s_or_b32 exec_lo, exec_lo, s75
.LBB6_17659:                            ;   in Loop: Header=BB6_14192 Depth=3
	s_delay_alu instid0(SALU_CYCLE_1)
	s_or_b32 exec_lo, exec_lo, s74
.LBB6_17660:                            ;   in Loop: Header=BB6_14192 Depth=3
	s_delay_alu instid0(SALU_CYCLE_1) | instskip(NEXT) | instid1(VALU_DEP_1)
	s_or_b32 exec_lo, exec_lo, s73
	v_dual_add_f32 v4, v3, v1 :: v_dual_mov_b32 v47, v113
	v_mov_b32_e32 v3, v113
                                        ; implicit-def: $vgpr83
	s_mov_b32 s13, exec_lo
	s_delay_alu instid0(VALU_DEP_2) | instskip(SKIP_2) | instid1(VALU_DEP_3)
	v_and_b32_e32 v46, 0x7f800000, v4
	v_and_b32_e32 v2, 0x7fffff, v4
	v_lshrrev_b32_e32 v1, 24, v4
	v_cmpx_ne_u64_e32 0x7f800000, v[46:47]
	s_xor_b32 s73, exec_lo, s13
	s_cbranch_execz .LBB6_17674
; %bb.17661:                            ;   in Loop: Header=BB6_14192 Depth=3
	v_and_b32_e32 v46, 0x7fffffff, v4
	v_mov_b32_e32 v47, v113
	v_and_b32_e32 v1, 0x80, v1
                                        ; implicit-def: $vgpr83
	s_mov_b32 s13, exec_lo
	s_delay_alu instid0(VALU_DEP_2)
	v_cmpx_gt_u64_e32 0x47600001, v[46:47]
	s_xor_b32 s74, exec_lo, s13
	s_cbranch_execz .LBB6_17671
; %bb.17662:                            ;   in Loop: Header=BB6_14192 Depth=3
	v_mov_b32_e32 v83, 0
	s_mov_b32 s75, exec_lo
	v_cmpx_ne_u32_e32 0, v4
	s_cbranch_execz .LBB6_17670
; %bb.17663:                            ;   in Loop: Header=BB6_14192 Depth=3
	v_bfe_u32 v83, v4, 23, 8
	v_or_b32_e32 v5, 0x800000, v2
	s_delay_alu instid0(VALU_DEP_2) | instskip(SKIP_2) | instid1(VALU_DEP_2)
	v_cmp_gt_u32_e64 s13, 0x72, v83
	v_sub_nc_u32_e32 v4, 0x71, v83
	v_cmp_eq_u32_e32 vcc_lo, 0, v83
	v_dual_cndmask_b32 v4, 0, v4, s13 :: v_dual_cndmask_b32 v2, v5, v2, vcc_lo
	s_delay_alu instid0(VALU_DEP_1) | instskip(NEXT) | instid1(VALU_DEP_1)
	v_cndmask_b32_e64 v85, v4, 0x70, vcc_lo
	v_dual_add_nc_u32 v4, 21, v85 :: v_dual_add_nc_u32 v97, 20, v85
	s_delay_alu instid0(VALU_DEP_1) | instskip(NEXT) | instid1(VALU_DEP_2)
	v_lshlrev_b64_e64 v[4:5], v4, -1
	v_lshlrev_b64_e64 v[46:47], v97, 1
	s_delay_alu instid0(VALU_DEP_2) | instskip(SKIP_1) | instid1(VALU_DEP_4)
	v_bfi_b32 v4, v4, 0, v2
	v_lshrrev_b64 v[2:3], v85, v[2:3]
	v_bfi_b32 v5, v5, 0, 0
	s_delay_alu instid0(VALU_DEP_1) | instskip(NEXT) | instid1(VALU_DEP_3)
	v_cmp_eq_u64_e64 s13, v[4:5], v[46:47]
	v_mov_b64_e32 v[4:5], v[2:3]
	s_and_saveexec_b32 s76, s13
; %bb.17664:                            ;   in Loop: Header=BB6_14192 Depth=3
	v_bfe_u32 v4, v2, 21, 1
	v_mov_b32_e32 v5, v113
	s_delay_alu instid0(VALU_DEP_1) | instskip(NEXT) | instid1(VALU_DEP_1)
	v_add_nc_u64_e32 v[4:5], v[2:3], v[4:5]
	v_add_nc_u64_e32 v[4:5], -1, v[4:5]
; %bb.17665:                            ;   in Loop: Header=BB6_14192 Depth=3
	s_or_b32 exec_lo, exec_lo, s76
	v_add_nc_u32_e32 v3, 0xffffff81, v83
	v_lshrrev_b32_e32 v5, 23, v2
	s_mov_b32 s13, exec_lo
	s_delay_alu instid0(VALU_DEP_2) | instskip(NEXT) | instid1(VALU_DEP_1)
	v_cndmask_b32_e64 v3, v3, 0xffffff82, vcc_lo
	v_add3_u32 v83, v85, v3, v5
	v_and_b32_e32 v3, 0x1fffff, v4
                                        ; implicit-def: $vgpr4
	s_delay_alu instid0(VALU_DEP_1) | instskip(SKIP_1) | instid1(VALU_DEP_2)
	v_dual_add_nc_u32 v5, 14, v83 :: v_dual_add_nc_u32 v2, v3, v2
	v_mov_b32_e32 v3, v113
	v_cmpx_ne_u32_e32 0, v5
	s_xor_b32 s13, exec_lo, s13
; %bb.17666:                            ;   in Loop: Header=BB6_14192 Depth=3
	s_delay_alu instid0(VALU_DEP_2) | instskip(SKIP_1) | instid1(VALU_DEP_1)
	v_cmp_lt_u64_e32 vcc_lo, 0xffffff, v[2:3]
	v_add_nc_u32_e32 v4, 15, v83
	v_cndmask_b32_e32 v4, v5, v4, vcc_lo
	v_cndmask_b32_e64 v5, 0, 1, vcc_lo
	s_delay_alu instid0(VALU_DEP_1)
	v_lshrrev_b64 v[2:3], v5, v[2:3]
; %bb.17667:                            ;   in Loop: Header=BB6_14192 Depth=3
	s_and_not1_saveexec_b32 s13, s13
; %bb.17668:                            ;   in Loop: Header=BB6_14192 Depth=3
	s_delay_alu instid0(VALU_DEP_1)
	v_bfe_u32 v4, v2, 23, 1
; %bb.17669:                            ;   in Loop: Header=BB6_14192 Depth=3
	s_or_b32 exec_lo, exec_lo, s13
	s_delay_alu instid0(VALU_DEP_2) | instskip(NEXT) | instid1(VALU_DEP_2)
	v_lshrrev_b64 v[2:3], 21, v[2:3]
	v_cmp_gt_i32_e32 vcc_lo, 32, v4
	v_min_i32_e32 v5, 31, v4
	v_cmp_eq_u32_e64 s13, 0, v4
	s_delay_alu instid0(VALU_DEP_2) | instskip(SKIP_1) | instid1(VALU_DEP_2)
	v_dual_cndmask_b32 v3, 0, v3, vcc_lo :: v_dual_lshlrev_b32 v5, 2, v5
	v_cndmask_b32_e32 v2, 3, v2, vcc_lo
	v_and_b32_e32 v5, 0xfc, v5
	s_delay_alu instid0(VALU_DEP_2) | instskip(NEXT) | instid1(VALU_DEP_2)
	v_cmp_eq_u64_e32 vcc_lo, 0, v[2:3]
	v_and_or_b32 v2, v2, 3, v5
	s_and_b32 s13, s13, vcc_lo
	s_delay_alu instid0(VALU_DEP_1) | instid1(SALU_CYCLE_1)
	v_cndmask_b32_e64 v2, v2, 0, s13
	s_delay_alu instid0(VALU_DEP_1)
	v_or_b32_e32 v83, v2, v1
.LBB6_17670:                            ;   in Loop: Header=BB6_14192 Depth=3
	s_or_b32 exec_lo, exec_lo, s75
                                        ; implicit-def: $vgpr1
.LBB6_17671:                            ;   in Loop: Header=BB6_14192 Depth=3
	s_and_not1_saveexec_b32 s13, s74
; %bb.17672:                            ;   in Loop: Header=BB6_14192 Depth=3
	v_or_b32_e32 v83, 0x7b, v1
; %bb.17673:                            ;   in Loop: Header=BB6_14192 Depth=3
	s_or_b32 exec_lo, exec_lo, s13
                                        ; implicit-def: $vgpr4
                                        ; implicit-def: $vgpr2_vgpr3
                                        ; implicit-def: $vgpr1
.LBB6_17674:                            ;   in Loop: Header=BB6_14192 Depth=3
	s_and_not1_saveexec_b32 s13, s73
	s_cbranch_execz .LBB6_17680
; %bb.17675:                            ;   in Loop: Header=BB6_14192 Depth=3
	s_mov_b32 s73, exec_lo
                                        ; implicit-def: $vgpr83
	v_cmpx_ne_u64_e32 0, v[2:3]
	s_xor_b32 s73, exec_lo, s73
; %bb.17676:                            ;   in Loop: Header=BB6_14192 Depth=3
	v_or_b32_e32 v83, 0x7f, v1
                                        ; implicit-def: $vgpr4
; %bb.17677:                            ;   in Loop: Header=BB6_14192 Depth=3
	s_and_not1_saveexec_b32 s73, s73
; %bb.17678:                            ;   in Loop: Header=BB6_14192 Depth=3
	v_cmp_lt_i32_e32 vcc_lo, -1, v4
	v_mov_b32_e32 v1, 0x7c
	s_delay_alu instid0(VALU_DEP_1)
	v_cndmask_b32_e32 v83, 0xfc, v1, vcc_lo
; %bb.17679:                            ;   in Loop: Header=BB6_14192 Depth=3
	s_or_b32 exec_lo, exec_lo, s73
.LBB6_17680:                            ;   in Loop: Header=BB6_14192 Depth=3
	s_delay_alu instid0(SALU_CYCLE_1)
	s_or_b32 exec_lo, exec_lo, s13
	v_dual_mov_b32 v3, 0 :: v_dual_mov_b32 v4, 0
	s_mov_b32 s73, exec_lo
	v_cmpx_lt_u32_e32 0xffffff, v0
	s_cbranch_execz .LBB6_17690
; %bb.17681:                            ;   in Loop: Header=BB6_14192 Depth=3
	v_lshrrev_b32_e32 v2, 24, v0
	v_bfrev_b32_e32 v4, 1
	s_mov_b32 s74, exec_lo
	s_delay_alu instid0(VALU_DEP_2)
	v_cmpx_ne_u32_e32 0x80, v2
	s_cbranch_execz .LBB6_17689
; %bb.17682:                            ;   in Loop: Header=BB6_14192 Depth=3
	v_and_b32_e32 v1, 0x7c000000, v0
	v_bfe_u32 v5, v0, 24, 2
	s_mov_b32 s13, exec_lo
                                        ; implicit-def: $vgpr4
	s_delay_alu instid0(VALU_DEP_2)
	v_cmpx_ne_u32_e32 0x7c000000, v1
	s_xor_b32 s13, exec_lo, s13
	s_cbranch_execz .LBB6_17686
; %bb.17683:                            ;   in Loop: Header=BB6_14192 Depth=3
	v_bfe_u32 v1, v0, 26, 5
	s_mov_b32 s75, exec_lo
	s_delay_alu instid0(VALU_DEP_1)
	v_cmpx_eq_u32_e32 0, v1
; %bb.17684:                            ;   in Loop: Header=BB6_14192 Depth=3
	v_clz_i32_u32_e32 v1, v5
	s_delay_alu instid0(VALU_DEP_1) | instskip(NEXT) | instid1(VALU_DEP_1)
	v_min_u32_e32 v1, 32, v1
	v_subrev_nc_u32_e32 v4, 29, v1
	s_delay_alu instid0(VALU_DEP_1) | instskip(NEXT) | instid1(VALU_DEP_1)
	v_lshlrev_b64_e32 v[4:5], v4, v[2:3]
	v_dual_sub_nc_u32 v1, 30, v1 :: v_dual_bitop2_b32 v5, 3, v4 bitop3:0x40
; %bb.17685:                            ;   in Loop: Header=BB6_14192 Depth=3
	s_or_b32 exec_lo, exec_lo, s75
	v_and_b32_e32 v0, 0x80000000, v0
	s_delay_alu instid0(VALU_DEP_1) | instskip(NEXT) | instid1(VALU_DEP_1)
	v_lshl_add_u32 v0, v1, 23, v0
	v_lshl_or_b32 v0, v5, 21, v0
                                        ; implicit-def: $vgpr5
	s_delay_alu instid0(VALU_DEP_1)
	v_add_nc_u32_e32 v4, 0x38000000, v0
                                        ; implicit-def: $vgpr0_vgpr1
.LBB6_17686:                            ;   in Loop: Header=BB6_14192 Depth=3
	s_and_not1_saveexec_b32 s75, s13
; %bb.17687:                            ;   in Loop: Header=BB6_14192 Depth=3
	v_cmp_lt_i32_e64 s13, -1, v0
	v_mov_b32_e32 v0, 0x7f800000
	v_cmp_eq_u32_e32 vcc_lo, 0, v5
	s_delay_alu instid0(VALU_DEP_2) | instskip(NEXT) | instid1(VALU_DEP_1)
	v_cndmask_b32_e64 v0, 0xff800000, v0, s13
	v_cndmask_b32_e32 v4, 0x7f800001, v0, vcc_lo
; %bb.17688:                            ;   in Loop: Header=BB6_14192 Depth=3
	s_or_b32 exec_lo, exec_lo, s75
.LBB6_17689:                            ;   in Loop: Header=BB6_14192 Depth=3
	s_delay_alu instid0(SALU_CYCLE_1)
	s_or_b32 exec_lo, exec_lo, s74
.LBB6_17690:                            ;   in Loop: Header=BB6_14192 Depth=3
	s_delay_alu instid0(SALU_CYCLE_1) | instskip(NEXT) | instid1(SALU_CYCLE_1)
	s_or_b32 exec_lo, exec_lo, s73
	s_mov_b32 s73, exec_lo
	v_cmpx_lt_u64_e64 s[22:23], v[12:13]
	s_cbranch_execz .LBB6_17700
; %bb.17691:                            ;   in Loop: Header=BB6_14192 Depth=3
	v_lshrrev_b32_e32 v0, 24, v13
	v_bfrev_b32_e32 v3, 1
	s_mov_b32 s74, exec_lo
	s_delay_alu instid0(VALU_DEP_2)
	v_cmpx_ne_u32_e32 0x80, v0
	s_cbranch_execz .LBB6_17699
; %bb.17692:                            ;   in Loop: Header=BB6_14192 Depth=3
	v_and_b32_e32 v2, 0x7c000000, v13
	v_bfe_u32 v1, v13, 24, 2
	s_mov_b32 s13, exec_lo
                                        ; implicit-def: $vgpr3
	s_delay_alu instid0(VALU_DEP_2)
	v_cmpx_ne_u32_e32 0x7c000000, v2
	s_xor_b32 s13, exec_lo, s13
	s_cbranch_execz .LBB6_17696
; %bb.17693:                            ;   in Loop: Header=BB6_14192 Depth=3
	v_bfe_u32 v2, v13, 26, 5
	s_mov_b32 s75, exec_lo
	s_delay_alu instid0(VALU_DEP_1)
	v_cmpx_eq_u32_e32 0, v2
; %bb.17694:                            ;   in Loop: Header=BB6_14192 Depth=3
	v_clz_i32_u32_e32 v1, v1
	s_delay_alu instid0(VALU_DEP_1) | instskip(NEXT) | instid1(VALU_DEP_1)
	v_min_u32_e32 v2, 32, v1
	v_subrev_nc_u32_e32 v1, 29, v2
	s_delay_alu instid0(VALU_DEP_1) | instskip(NEXT) | instid1(VALU_DEP_1)
	v_lshlrev_b64_e32 v[0:1], v1, v[0:1]
	v_dual_sub_nc_u32 v2, 30, v2 :: v_dual_bitop2_b32 v1, 3, v0 bitop3:0x40
; %bb.17695:                            ;   in Loop: Header=BB6_14192 Depth=3
	s_or_b32 exec_lo, exec_lo, s75
	v_and_b32_e32 v0, 0x80000000, v13
	s_delay_alu instid0(VALU_DEP_1) | instskip(NEXT) | instid1(VALU_DEP_1)
	v_lshl_add_u32 v0, v2, 23, v0
	v_lshl_or_b32 v0, v1, 21, v0
                                        ; implicit-def: $vgpr1
	s_delay_alu instid0(VALU_DEP_1)
	v_add_nc_u32_e32 v3, 0x38000000, v0
.LBB6_17696:                            ;   in Loop: Header=BB6_14192 Depth=3
	s_and_not1_saveexec_b32 s75, s13
; %bb.17697:                            ;   in Loop: Header=BB6_14192 Depth=3
	v_cmp_lt_i64_e64 s13, -1, v[12:13]
	v_mov_b32_e32 v0, 0x7f800000
	v_cmp_eq_u32_e32 vcc_lo, 0, v1
	s_delay_alu instid0(VALU_DEP_2) | instskip(NEXT) | instid1(VALU_DEP_1)
	v_cndmask_b32_e64 v0, 0xff800000, v0, s13
	v_cndmask_b32_e32 v3, 0x7f800001, v0, vcc_lo
; %bb.17698:                            ;   in Loop: Header=BB6_14192 Depth=3
	s_or_b32 exec_lo, exec_lo, s75
.LBB6_17699:                            ;   in Loop: Header=BB6_14192 Depth=3
	s_delay_alu instid0(SALU_CYCLE_1)
	s_or_b32 exec_lo, exec_lo, s74
.LBB6_17700:                            ;   in Loop: Header=BB6_14192 Depth=3
	s_delay_alu instid0(SALU_CYCLE_1) | instskip(NEXT) | instid1(VALU_DEP_1)
	s_or_b32 exec_lo, exec_lo, s73
	v_dual_add_f32 v2, v4, v3 :: v_dual_mov_b32 v5, v113
	v_mov_b32_e32 v1, v113
                                        ; implicit-def: $vgpr12
	s_mov_b32 s13, exec_lo
	s_delay_alu instid0(VALU_DEP_2) | instskip(SKIP_2) | instid1(VALU_DEP_3)
	v_and_b32_e32 v4, 0x7f800000, v2
	v_and_b32_e32 v0, 0x7fffff, v2
	v_lshrrev_b32_e32 v3, 24, v2
	v_cmpx_ne_u64_e32 0x7f800000, v[4:5]
	s_xor_b32 s73, exec_lo, s13
	s_cbranch_execz .LBB6_17714
; %bb.17701:                            ;   in Loop: Header=BB6_14192 Depth=3
	v_and_b32_e32 v4, 0x7fffffff, v2
	v_mov_b32_e32 v5, v113
                                        ; implicit-def: $vgpr12
	s_delay_alu instid0(VALU_DEP_1) | instskip(SKIP_2) | instid1(SALU_CYCLE_1)
	v_cmp_gt_u64_e32 vcc_lo, 0x47600001, v[4:5]
	v_and_b32_e32 v4, 0x80, v3
	s_and_saveexec_b32 s13, vcc_lo
	s_xor_b32 s74, exec_lo, s13
	s_cbranch_execz .LBB6_17711
; %bb.17702:                            ;   in Loop: Header=BB6_14192 Depth=3
	v_mov_b32_e32 v12, 0
	s_mov_b32 s75, exec_lo
	v_cmpx_ne_u32_e32 0, v2
	s_cbranch_execz .LBB6_17710
; %bb.17703:                            ;   in Loop: Header=BB6_14192 Depth=3
	v_bfe_u32 v5, v2, 23, 8
	v_or_b32_e32 v3, 0x800000, v0
	s_delay_alu instid0(VALU_DEP_2) | instskip(SKIP_2) | instid1(VALU_DEP_2)
	v_cmp_gt_u32_e64 s13, 0x72, v5
	v_sub_nc_u32_e32 v2, 0x71, v5
	v_cmp_eq_u32_e32 vcc_lo, 0, v5
	v_dual_cndmask_b32 v2, 0, v2, s13 :: v_dual_cndmask_b32 v0, v3, v0, vcc_lo
	s_delay_alu instid0(VALU_DEP_1) | instskip(NEXT) | instid1(VALU_DEP_1)
	v_cndmask_b32_e64 v12, v2, 0x70, vcc_lo
	v_dual_add_nc_u32 v2, 21, v12 :: v_dual_add_nc_u32 v13, 20, v12
	s_delay_alu instid0(VALU_DEP_1) | instskip(NEXT) | instid1(VALU_DEP_2)
	v_lshlrev_b64_e64 v[2:3], v2, -1
	v_lshlrev_b64_e64 v[46:47], v13, 1
	s_delay_alu instid0(VALU_DEP_2) | instskip(SKIP_1) | instid1(VALU_DEP_4)
	v_bfi_b32 v2, v2, 0, v0
	v_lshrrev_b64 v[0:1], v12, v[0:1]
	v_bfi_b32 v3, v3, 0, 0
	s_delay_alu instid0(VALU_DEP_1) | instskip(NEXT) | instid1(VALU_DEP_3)
	v_cmp_eq_u64_e64 s13, v[2:3], v[46:47]
	v_mov_b64_e32 v[2:3], v[0:1]
	s_and_saveexec_b32 s76, s13
; %bb.17704:                            ;   in Loop: Header=BB6_14192 Depth=3
	v_bfe_u32 v2, v0, 21, 1
	v_mov_b32_e32 v3, v113
	s_delay_alu instid0(VALU_DEP_1) | instskip(NEXT) | instid1(VALU_DEP_1)
	v_add_nc_u64_e32 v[2:3], v[0:1], v[2:3]
	v_add_nc_u64_e32 v[2:3], -1, v[2:3]
; %bb.17705:                            ;   in Loop: Header=BB6_14192 Depth=3
	s_or_b32 exec_lo, exec_lo, s76
	v_add_nc_u32_e32 v1, 0xffffff81, v5
	v_lshrrev_b32_e32 v3, 23, v0
	s_mov_b32 s13, exec_lo
	s_delay_alu instid0(VALU_DEP_2) | instskip(NEXT) | instid1(VALU_DEP_1)
	v_cndmask_b32_e64 v1, v1, 0xffffff82, vcc_lo
	v_add3_u32 v5, v12, v1, v3
	v_and_b32_e32 v1, 0x1fffff, v2
                                        ; implicit-def: $vgpr2
	s_delay_alu instid0(VALU_DEP_1) | instskip(SKIP_1) | instid1(VALU_DEP_2)
	v_dual_add_nc_u32 v3, 14, v5 :: v_dual_add_nc_u32 v0, v1, v0
	v_mov_b32_e32 v1, v113
	v_cmpx_ne_u32_e32 0, v3
	s_xor_b32 s13, exec_lo, s13
; %bb.17706:                            ;   in Loop: Header=BB6_14192 Depth=3
	s_delay_alu instid0(VALU_DEP_2) | instskip(SKIP_1) | instid1(VALU_DEP_1)
	v_cmp_lt_u64_e32 vcc_lo, 0xffffff, v[0:1]
	v_add_nc_u32_e32 v2, 15, v5
	v_cndmask_b32_e32 v2, v3, v2, vcc_lo
	v_cndmask_b32_e64 v3, 0, 1, vcc_lo
	s_delay_alu instid0(VALU_DEP_1)
	v_lshrrev_b64 v[0:1], v3, v[0:1]
; %bb.17707:                            ;   in Loop: Header=BB6_14192 Depth=3
	s_and_not1_saveexec_b32 s13, s13
; %bb.17708:                            ;   in Loop: Header=BB6_14192 Depth=3
	s_delay_alu instid0(VALU_DEP_1)
	v_bfe_u32 v2, v0, 23, 1
; %bb.17709:                            ;   in Loop: Header=BB6_14192 Depth=3
	s_or_b32 exec_lo, exec_lo, s13
	s_delay_alu instid0(VALU_DEP_2) | instskip(NEXT) | instid1(VALU_DEP_2)
	v_lshrrev_b64 v[0:1], 21, v[0:1]
	v_cmp_gt_i32_e32 vcc_lo, 32, v2
	v_min_i32_e32 v3, 31, v2
	v_cmp_eq_u32_e64 s13, 0, v2
	s_delay_alu instid0(VALU_DEP_2) | instskip(SKIP_1) | instid1(VALU_DEP_2)
	v_dual_cndmask_b32 v1, 0, v1, vcc_lo :: v_dual_lshlrev_b32 v3, 2, v3
	v_cndmask_b32_e32 v0, 3, v0, vcc_lo
	v_and_b32_e32 v3, 0xfc, v3
	s_delay_alu instid0(VALU_DEP_2) | instskip(NEXT) | instid1(VALU_DEP_2)
	v_cmp_eq_u64_e32 vcc_lo, 0, v[0:1]
	v_and_or_b32 v0, v0, 3, v3
	s_and_b32 s13, s13, vcc_lo
	s_delay_alu instid0(VALU_DEP_1) | instid1(SALU_CYCLE_1)
	v_cndmask_b32_e64 v0, v0, 0, s13
	s_delay_alu instid0(VALU_DEP_1)
	v_or_b32_e32 v12, v0, v4
.LBB6_17710:                            ;   in Loop: Header=BB6_14192 Depth=3
	s_or_b32 exec_lo, exec_lo, s75
                                        ; implicit-def: $vgpr4
.LBB6_17711:                            ;   in Loop: Header=BB6_14192 Depth=3
	s_and_not1_saveexec_b32 s13, s74
; %bb.17712:                            ;   in Loop: Header=BB6_14192 Depth=3
	v_or_b32_e32 v12, 0x7b, v4
; %bb.17713:                            ;   in Loop: Header=BB6_14192 Depth=3
	s_or_b32 exec_lo, exec_lo, s13
                                        ; implicit-def: $vgpr2
                                        ; implicit-def: $vgpr0_vgpr1
                                        ; implicit-def: $vgpr3
.LBB6_17714:                            ;   in Loop: Header=BB6_14192 Depth=3
	s_and_not1_saveexec_b32 s13, s73
	s_cbranch_execz .LBB6_17720
; %bb.17715:                            ;   in Loop: Header=BB6_14192 Depth=3
	s_mov_b32 s73, exec_lo
                                        ; implicit-def: $vgpr12
	v_cmpx_ne_u64_e32 0, v[0:1]
	s_xor_b32 s73, exec_lo, s73
; %bb.17716:                            ;   in Loop: Header=BB6_14192 Depth=3
	v_or_b32_e32 v12, 0x7f, v3
                                        ; implicit-def: $vgpr2
; %bb.17717:                            ;   in Loop: Header=BB6_14192 Depth=3
	s_and_not1_saveexec_b32 s73, s73
; %bb.17718:                            ;   in Loop: Header=BB6_14192 Depth=3
	v_cmp_lt_i32_e32 vcc_lo, -1, v2
	v_mov_b32_e32 v0, 0x7c
	s_delay_alu instid0(VALU_DEP_1)
	v_cndmask_b32_e32 v12, 0xfc, v0, vcc_lo
; %bb.17719:                            ;   in Loop: Header=BB6_14192 Depth=3
	s_or_b32 exec_lo, exec_lo, s73
.LBB6_17720:                            ;   in Loop: Header=BB6_14192 Depth=3
	s_delay_alu instid0(SALU_CYCLE_1) | instskip(SKIP_4) | instid1(VALU_DEP_2)
	s_or_b32 exec_lo, exec_lo, s13
	v_lshl_or_b32 v67, v67, 8, v52
	v_dual_lshlrev_b32 v0, 16, v71 :: v_dual_lshlrev_b32 v2, 24, v81
	v_dual_mov_b32 v1, v113 :: v_dual_mov_b32 v3, 0
	s_mov_b32 s73, exec_lo
	v_or3_b32 v0, v0, v2, v67
	v_mov_b32_e32 v2, 0
	v_cmpx_ne_u32_e32 0, v52
	s_cbranch_execz .LBB6_17730
; %bb.17721:                            ;   in Loop: Header=BB6_14192 Depth=3
	v_bfrev_b32_e32 v3, 1
	s_mov_b32 s74, exec_lo
	v_cmpx_ne_u32_e32 0x80, v52
	s_cbranch_execz .LBB6_17729
; %bb.17722:                            ;   in Loop: Header=BB6_14192 Depth=3
	v_and_b32_e32 v3, 0x7c, v52
	v_and_b32_e32 v4, 3, v52
	s_delay_alu instid0(VALU_DEP_2) | instskip(SKIP_1) | instid1(SALU_CYCLE_1)
	v_cmp_ne_u32_e32 vcc_lo, 0x7c, v3
                                        ; implicit-def: $vgpr3
	s_and_saveexec_b32 s13, vcc_lo
	s_xor_b32 s13, exec_lo, s13
	s_cbranch_execz .LBB6_17726
; %bb.17723:                            ;   in Loop: Header=BB6_14192 Depth=3
	v_bfe_u32 v3, v52, 2, 5
	s_mov_b32 s75, exec_lo
	s_delay_alu instid0(VALU_DEP_1)
	v_cmpx_eq_u32_e32 0, v3
; %bb.17724:                            ;   in Loop: Header=BB6_14192 Depth=3
	v_clz_i32_u32_e32 v3, v4
	s_delay_alu instid0(VALU_DEP_1) | instskip(NEXT) | instid1(VALU_DEP_1)
	v_min_u32_e32 v3, 32, v3
	v_subrev_nc_u32_e32 v4, 29, v3
	s_delay_alu instid0(VALU_DEP_1) | instskip(NEXT) | instid1(VALU_DEP_1)
	v_lshlrev_b64_e32 v[4:5], v4, v[0:1]
	v_dual_sub_nc_u32 v3, 30, v3 :: v_dual_bitop2_b32 v4, 3, v4 bitop3:0x40
; %bb.17725:                            ;   in Loop: Header=BB6_14192 Depth=3
	s_or_b32 exec_lo, exec_lo, s75
	v_lshlrev_b32_e32 v1, 24, v52
                                        ; implicit-def: $vgpr52
	s_delay_alu instid0(VALU_DEP_1) | instskip(NEXT) | instid1(VALU_DEP_1)
	v_and_b32_e32 v1, 0x80000000, v1
	v_lshl_add_u32 v1, v3, 23, v1
	s_delay_alu instid0(VALU_DEP_1) | instskip(NEXT) | instid1(VALU_DEP_1)
	v_lshl_or_b32 v1, v4, 21, v1
                                        ; implicit-def: $vgpr4
	v_add_nc_u32_e32 v3, 0x38000000, v1
.LBB6_17726:                            ;   in Loop: Header=BB6_14192 Depth=3
	s_and_not1_saveexec_b32 s75, s13
; %bb.17727:                            ;   in Loop: Header=BB6_14192 Depth=3
	v_and_b32_e32 v1, 0x80, v52
	v_cmp_eq_u32_e32 vcc_lo, 0, v4
	s_delay_alu instid0(VALU_DEP_2) | instskip(SKIP_1) | instid1(VALU_DEP_1)
	v_cmp_eq_u32_e64 s13, 0, v1
	v_mov_b32_e32 v1, 0x7f800000
	v_cndmask_b32_e64 v1, 0xff800000, v1, s13
	s_delay_alu instid0(VALU_DEP_1)
	v_cndmask_b32_e32 v3, 0x7f800001, v1, vcc_lo
; %bb.17728:                            ;   in Loop: Header=BB6_14192 Depth=3
	s_or_b32 exec_lo, exec_lo, s75
.LBB6_17729:                            ;   in Loop: Header=BB6_14192 Depth=3
	s_delay_alu instid0(SALU_CYCLE_1)
	s_or_b32 exec_lo, exec_lo, s74
.LBB6_17730:                            ;   in Loop: Header=BB6_14192 Depth=3
	s_delay_alu instid0(SALU_CYCLE_1) | instskip(SKIP_2) | instid1(VALU_DEP_1)
	s_or_b32 exec_lo, exec_lo, s73
	v_and_b32_e32 v1, 0xff, v14
	s_mov_b32 s73, exec_lo
	v_cmpx_ne_u16_e32 0, v1
	s_cbranch_execz .LBB6_17740
; %bb.17731:                            ;   in Loop: Header=BB6_14192 Depth=3
	v_bfe_i32 v4, v14, 0, 8
	v_bfrev_b32_e32 v2, 1
	s_mov_b32 s74, exec_lo
	s_delay_alu instid0(VALU_DEP_2)
	v_cmpx_ne_u16_e32 0xff80, v4
	s_cbranch_execz .LBB6_17739
; %bb.17732:                            ;   in Loop: Header=BB6_14192 Depth=3
	v_and_b32_e32 v2, 0x7c, v14
	v_and_b32_e32 v1, 3, v14
	s_delay_alu instid0(VALU_DEP_2) | instskip(SKIP_1) | instid1(SALU_CYCLE_1)
	v_cmp_ne_u32_e32 vcc_lo, 0x7c, v2
                                        ; implicit-def: $vgpr2
	s_and_saveexec_b32 s13, vcc_lo
	s_xor_b32 s13, exec_lo, s13
	s_cbranch_execz .LBB6_17736
; %bb.17733:                            ;   in Loop: Header=BB6_14192 Depth=3
	v_bfe_u32 v2, v14, 2, 5
	s_mov_b32 s75, exec_lo
	s_delay_alu instid0(VALU_DEP_1)
	v_cmpx_eq_u32_e32 0, v2
; %bb.17734:                            ;   in Loop: Header=BB6_14192 Depth=3
	v_clz_i32_u32_e32 v1, v1
	s_delay_alu instid0(VALU_DEP_1) | instskip(NEXT) | instid1(VALU_DEP_1)
	v_min_u32_e32 v1, 32, v1
	v_subrev_nc_u32_e32 v2, 29, v1
	s_delay_alu instid0(VALU_DEP_1) | instskip(NEXT) | instid1(VALU_DEP_1)
	v_lshlrev_b64_e32 v[4:5], v2, v[14:15]
	v_dual_sub_nc_u32 v2, 30, v1 :: v_dual_bitop2_b32 v1, 3, v4 bitop3:0x40
; %bb.17735:                            ;   in Loop: Header=BB6_14192 Depth=3
	s_or_b32 exec_lo, exec_lo, s75
	v_lshlrev_b32_e32 v4, 24, v14
	s_delay_alu instid0(VALU_DEP_1) | instskip(NEXT) | instid1(VALU_DEP_1)
	v_and_b32_e32 v4, 0x80000000, v4
	v_lshl_add_u32 v2, v2, 23, v4
                                        ; implicit-def: $vgpr4
	s_delay_alu instid0(VALU_DEP_1) | instskip(NEXT) | instid1(VALU_DEP_1)
	v_lshl_or_b32 v1, v1, 21, v2
	v_add_nc_u32_e32 v2, 0x38000000, v1
                                        ; implicit-def: $vgpr1
.LBB6_17736:                            ;   in Loop: Header=BB6_14192 Depth=3
	s_and_not1_saveexec_b32 s75, s13
; %bb.17737:                            ;   in Loop: Header=BB6_14192 Depth=3
	v_cmp_eq_u32_e32 vcc_lo, 0, v1
	v_cmp_lt_i16_e64 s13, -1, v4
	v_mov_b32_e32 v1, 0x7f800000
	s_delay_alu instid0(VALU_DEP_1) | instskip(NEXT) | instid1(VALU_DEP_1)
	v_cndmask_b32_e64 v1, 0xff800000, v1, s13
	v_cndmask_b32_e32 v2, 0x7f800001, v1, vcc_lo
; %bb.17738:                            ;   in Loop: Header=BB6_14192 Depth=3
	s_or_b32 exec_lo, exec_lo, s75
.LBB6_17739:                            ;   in Loop: Header=BB6_14192 Depth=3
	s_delay_alu instid0(SALU_CYCLE_1)
	s_or_b32 exec_lo, exec_lo, s74
.LBB6_17740:                            ;   in Loop: Header=BB6_14192 Depth=3
	s_delay_alu instid0(SALU_CYCLE_1) | instskip(NEXT) | instid1(VALU_DEP_1)
	s_or_b32 exec_lo, exec_lo, s73
	v_dual_add_f32 v4, v3, v2 :: v_dual_mov_b32 v47, v113
	v_mov_b32_e32 v3, v113
                                        ; implicit-def: $vgpr13
	s_mov_b32 s13, exec_lo
	s_delay_alu instid0(VALU_DEP_2) | instskip(SKIP_2) | instid1(VALU_DEP_3)
	v_and_b32_e32 v46, 0x7f800000, v4
	v_and_b32_e32 v2, 0x7fffff, v4
	v_lshrrev_b32_e32 v1, 24, v4
	v_cmpx_ne_u64_e32 0x7f800000, v[46:47]
	s_xor_b32 s73, exec_lo, s13
	s_cbranch_execz .LBB6_17754
; %bb.17741:                            ;   in Loop: Header=BB6_14192 Depth=3
	v_and_b32_e32 v46, 0x7fffffff, v4
	v_mov_b32_e32 v47, v113
	v_and_b32_e32 v1, 0x80, v1
                                        ; implicit-def: $vgpr13
	s_mov_b32 s13, exec_lo
	s_delay_alu instid0(VALU_DEP_2)
	v_cmpx_gt_u64_e32 0x47600001, v[46:47]
	s_xor_b32 s74, exec_lo, s13
	s_cbranch_execz .LBB6_17751
; %bb.17742:                            ;   in Loop: Header=BB6_14192 Depth=3
	v_mov_b32_e32 v13, 0
	s_mov_b32 s75, exec_lo
	v_cmpx_ne_u32_e32 0, v4
	s_cbranch_execz .LBB6_17750
; %bb.17743:                            ;   in Loop: Header=BB6_14192 Depth=3
	v_bfe_u32 v13, v4, 23, 8
	v_or_b32_e32 v5, 0x800000, v2
	s_delay_alu instid0(VALU_DEP_2) | instskip(SKIP_2) | instid1(VALU_DEP_2)
	v_cmp_gt_u32_e64 s13, 0x72, v13
	v_sub_nc_u32_e32 v4, 0x71, v13
	v_cmp_eq_u32_e32 vcc_lo, 0, v13
	v_dual_cndmask_b32 v4, 0, v4, s13 :: v_dual_cndmask_b32 v2, v5, v2, vcc_lo
	s_delay_alu instid0(VALU_DEP_1) | instskip(NEXT) | instid1(VALU_DEP_1)
	v_cndmask_b32_e64 v52, v4, 0x70, vcc_lo
	v_dual_add_nc_u32 v4, 21, v52 :: v_dual_add_nc_u32 v71, 20, v52
	s_delay_alu instid0(VALU_DEP_1) | instskip(NEXT) | instid1(VALU_DEP_2)
	v_lshlrev_b64_e64 v[4:5], v4, -1
	v_lshlrev_b64_e64 v[46:47], v71, 1
	s_delay_alu instid0(VALU_DEP_2) | instskip(SKIP_1) | instid1(VALU_DEP_4)
	v_bfi_b32 v4, v4, 0, v2
	v_lshrrev_b64 v[2:3], v52, v[2:3]
	v_bfi_b32 v5, v5, 0, 0
	s_delay_alu instid0(VALU_DEP_1) | instskip(NEXT) | instid1(VALU_DEP_3)
	v_cmp_eq_u64_e64 s13, v[4:5], v[46:47]
	v_mov_b64_e32 v[4:5], v[2:3]
	s_and_saveexec_b32 s76, s13
; %bb.17744:                            ;   in Loop: Header=BB6_14192 Depth=3
	v_bfe_u32 v4, v2, 21, 1
	v_mov_b32_e32 v5, v113
	s_delay_alu instid0(VALU_DEP_1) | instskip(NEXT) | instid1(VALU_DEP_1)
	v_add_nc_u64_e32 v[4:5], v[2:3], v[4:5]
	v_add_nc_u64_e32 v[4:5], -1, v[4:5]
; %bb.17745:                            ;   in Loop: Header=BB6_14192 Depth=3
	s_or_b32 exec_lo, exec_lo, s76
	v_add_nc_u32_e32 v3, 0xffffff81, v13
	v_lshrrev_b32_e32 v5, 23, v2
	s_mov_b32 s13, exec_lo
	s_delay_alu instid0(VALU_DEP_2) | instskip(NEXT) | instid1(VALU_DEP_1)
	v_cndmask_b32_e64 v3, v3, 0xffffff82, vcc_lo
	v_add3_u32 v13, v52, v3, v5
	v_and_b32_e32 v3, 0x1fffff, v4
                                        ; implicit-def: $vgpr4
	s_delay_alu instid0(VALU_DEP_1) | instskip(SKIP_1) | instid1(VALU_DEP_2)
	v_dual_add_nc_u32 v5, 14, v13 :: v_dual_add_nc_u32 v2, v3, v2
	v_mov_b32_e32 v3, v113
	v_cmpx_ne_u32_e32 0, v5
	s_xor_b32 s13, exec_lo, s13
; %bb.17746:                            ;   in Loop: Header=BB6_14192 Depth=3
	s_delay_alu instid0(VALU_DEP_2) | instskip(SKIP_1) | instid1(VALU_DEP_1)
	v_cmp_lt_u64_e32 vcc_lo, 0xffffff, v[2:3]
	v_add_nc_u32_e32 v4, 15, v13
	v_cndmask_b32_e32 v4, v5, v4, vcc_lo
	v_cndmask_b32_e64 v5, 0, 1, vcc_lo
	s_delay_alu instid0(VALU_DEP_1)
	v_lshrrev_b64 v[2:3], v5, v[2:3]
; %bb.17747:                            ;   in Loop: Header=BB6_14192 Depth=3
	s_and_not1_saveexec_b32 s13, s13
; %bb.17748:                            ;   in Loop: Header=BB6_14192 Depth=3
	s_delay_alu instid0(VALU_DEP_1)
	v_bfe_u32 v4, v2, 23, 1
; %bb.17749:                            ;   in Loop: Header=BB6_14192 Depth=3
	s_or_b32 exec_lo, exec_lo, s13
	s_delay_alu instid0(VALU_DEP_2) | instskip(NEXT) | instid1(VALU_DEP_2)
	v_lshrrev_b64 v[2:3], 21, v[2:3]
	v_cmp_gt_i32_e32 vcc_lo, 32, v4
	v_min_i32_e32 v5, 31, v4
	v_cmp_eq_u32_e64 s13, 0, v4
	s_delay_alu instid0(VALU_DEP_2) | instskip(SKIP_1) | instid1(VALU_DEP_2)
	v_dual_cndmask_b32 v3, 0, v3, vcc_lo :: v_dual_lshlrev_b32 v5, 2, v5
	v_cndmask_b32_e32 v2, 3, v2, vcc_lo
	v_and_b32_e32 v5, 0xfc, v5
	s_delay_alu instid0(VALU_DEP_2) | instskip(NEXT) | instid1(VALU_DEP_2)
	v_cmp_eq_u64_e32 vcc_lo, 0, v[2:3]
	v_and_or_b32 v2, v2, 3, v5
	s_and_b32 s13, s13, vcc_lo
	s_delay_alu instid0(VALU_DEP_1) | instid1(SALU_CYCLE_1)
	v_cndmask_b32_e64 v2, v2, 0, s13
	s_delay_alu instid0(VALU_DEP_1)
	v_or_b32_e32 v13, v2, v1
.LBB6_17750:                            ;   in Loop: Header=BB6_14192 Depth=3
	s_or_b32 exec_lo, exec_lo, s75
                                        ; implicit-def: $vgpr1
.LBB6_17751:                            ;   in Loop: Header=BB6_14192 Depth=3
	s_and_not1_saveexec_b32 s13, s74
; %bb.17752:                            ;   in Loop: Header=BB6_14192 Depth=3
	v_or_b32_e32 v13, 0x7b, v1
; %bb.17753:                            ;   in Loop: Header=BB6_14192 Depth=3
	s_or_b32 exec_lo, exec_lo, s13
                                        ; implicit-def: $vgpr4
                                        ; implicit-def: $vgpr2_vgpr3
                                        ; implicit-def: $vgpr1
.LBB6_17754:                            ;   in Loop: Header=BB6_14192 Depth=3
	s_and_not1_saveexec_b32 s13, s73
	s_cbranch_execz .LBB6_17760
; %bb.17755:                            ;   in Loop: Header=BB6_14192 Depth=3
	s_mov_b32 s73, exec_lo
                                        ; implicit-def: $vgpr13
	v_cmpx_ne_u64_e32 0, v[2:3]
	s_xor_b32 s73, exec_lo, s73
; %bb.17756:                            ;   in Loop: Header=BB6_14192 Depth=3
	v_or_b32_e32 v13, 0x7f, v1
                                        ; implicit-def: $vgpr4
; %bb.17757:                            ;   in Loop: Header=BB6_14192 Depth=3
	s_and_not1_saveexec_b32 s73, s73
; %bb.17758:                            ;   in Loop: Header=BB6_14192 Depth=3
	v_cmp_lt_i32_e32 vcc_lo, -1, v4
	v_mov_b32_e32 v1, 0x7c
	s_delay_alu instid0(VALU_DEP_1)
	v_cndmask_b32_e32 v13, 0xfc, v1, vcc_lo
; %bb.17759:                            ;   in Loop: Header=BB6_14192 Depth=3
	s_or_b32 exec_lo, exec_lo, s73
.LBB6_17760:                            ;   in Loop: Header=BB6_14192 Depth=3
	s_delay_alu instid0(SALU_CYCLE_1) | instskip(SKIP_3) | instid1(VALU_DEP_2)
	s_or_b32 exec_lo, exec_lo, s13
	v_lshrrev_b16 v2, 8, v67
	v_dual_mov_b32 v1, 0 :: v_dual_mov_b32 v4, 0
	s_mov_b32 s73, exec_lo
	v_cmpx_ne_u16_e32 0, v2
	s_cbranch_execz .LBB6_17770
; %bb.17761:                            ;   in Loop: Header=BB6_14192 Depth=3
	v_bfrev_b32_e32 v4, 1
	s_mov_b32 s74, exec_lo
	v_cmpx_ne_u16_e32 0x80, v2
	s_cbranch_execz .LBB6_17769
; %bb.17762:                            ;   in Loop: Header=BB6_14192 Depth=3
	v_and_b32_e32 v5, 0xffff, v2
	s_delay_alu instid0(VALU_DEP_1) | instskip(SKIP_1) | instid1(VALU_DEP_2)
	v_and_b32_e32 v4, 0x7c, v5
	v_and_b32_e32 v3, 3, v5
	v_cmp_ne_u32_e32 vcc_lo, 0x7c, v4
                                        ; implicit-def: $vgpr4
	s_and_saveexec_b32 s13, vcc_lo
	s_delay_alu instid0(SALU_CYCLE_1)
	s_xor_b32 s13, exec_lo, s13
	s_cbranch_execz .LBB6_17766
; %bb.17763:                            ;   in Loop: Header=BB6_14192 Depth=3
	v_bfe_u32 v4, v5, 2, 5
	s_mov_b32 s75, exec_lo
	s_delay_alu instid0(VALU_DEP_1)
	v_cmpx_eq_u32_e32 0, v4
	s_cbranch_execz .LBB6_17765
; %bb.17764:                            ;   in Loop: Header=BB6_14192 Depth=3
	v_clz_i32_u32_e32 v3, v3
	s_delay_alu instid0(VALU_DEP_1) | instskip(SKIP_1) | instid1(VALU_DEP_2)
	v_min_u32_e32 v4, 32, v3
	v_mov_b32_e32 v3, v113
	v_subrev_nc_u32_e32 v5, 29, v4
	v_sub_nc_u32_e32 v4, 30, v4
	s_delay_alu instid0(VALU_DEP_2) | instskip(NEXT) | instid1(VALU_DEP_1)
	v_lshlrev_b64_e32 v[2:3], v5, v[2:3]
	v_and_b32_e32 v3, 3, v2
.LBB6_17765:                            ;   in Loop: Header=BB6_14192 Depth=3
	s_or_b32 exec_lo, exec_lo, s75
	v_lshlrev_b32_e32 v2, 16, v67
                                        ; implicit-def: $vgpr67
	s_delay_alu instid0(VALU_DEP_1) | instskip(NEXT) | instid1(VALU_DEP_1)
	v_and_b32_e32 v2, 0x80000000, v2
	v_lshl_add_u32 v2, v4, 23, v2
	s_delay_alu instid0(VALU_DEP_1) | instskip(NEXT) | instid1(VALU_DEP_1)
	v_lshl_or_b32 v2, v3, 21, v2
                                        ; implicit-def: $vgpr3
	v_add_nc_u32_e32 v4, 0x38000000, v2
.LBB6_17766:                            ;   in Loop: Header=BB6_14192 Depth=3
	s_and_not1_saveexec_b32 s75, s13
; %bb.17767:                            ;   in Loop: Header=BB6_14192 Depth=3
	v_cmp_lt_i16_e64 s13, -1, v67
	v_mov_b32_e32 v2, 0x7f800000
	v_cmp_eq_u32_e32 vcc_lo, 0, v3
	s_delay_alu instid0(VALU_DEP_2) | instskip(NEXT) | instid1(VALU_DEP_1)
	v_cndmask_b32_e64 v2, 0xff800000, v2, s13
	v_cndmask_b32_e32 v4, 0x7f800001, v2, vcc_lo
; %bb.17768:                            ;   in Loop: Header=BB6_14192 Depth=3
	s_or_b32 exec_lo, exec_lo, s75
.LBB6_17769:                            ;   in Loop: Header=BB6_14192 Depth=3
	s_delay_alu instid0(SALU_CYCLE_1)
	s_or_b32 exec_lo, exec_lo, s74
.LBB6_17770:                            ;   in Loop: Header=BB6_14192 Depth=3
	s_delay_alu instid0(SALU_CYCLE_1) | instskip(SKIP_2) | instid1(VALU_DEP_1)
	s_or_b32 exec_lo, exec_lo, s73
	v_lshrrev_b16 v2, 8, v14
	s_mov_b32 s73, exec_lo
	v_cmpx_ne_u16_e32 0, v2
	s_cbranch_execz .LBB6_17780
; %bb.17771:                            ;   in Loop: Header=BB6_14192 Depth=3
	v_bfrev_b32_e32 v1, 1
	s_mov_b32 s74, exec_lo
	v_cmpx_ne_u16_e32 0x80, v2
	s_cbranch_execz .LBB6_17779
; %bb.17772:                            ;   in Loop: Header=BB6_14192 Depth=3
	v_and_b32_e32 v5, 0xffff, v2
	s_delay_alu instid0(VALU_DEP_1) | instskip(SKIP_1) | instid1(VALU_DEP_2)
	v_and_b32_e32 v1, 0x7c, v5
	v_and_b32_e32 v3, 3, v5
	v_cmp_ne_u32_e32 vcc_lo, 0x7c, v1
                                        ; implicit-def: $vgpr1
	s_and_saveexec_b32 s13, vcc_lo
	s_delay_alu instid0(SALU_CYCLE_1)
	s_xor_b32 s13, exec_lo, s13
	s_cbranch_execz .LBB6_17776
; %bb.17773:                            ;   in Loop: Header=BB6_14192 Depth=3
	v_bfe_u32 v1, v5, 2, 5
	s_mov_b32 s75, exec_lo
	s_delay_alu instid0(VALU_DEP_1)
	v_cmpx_eq_u32_e32 0, v1
	s_cbranch_execz .LBB6_17775
; %bb.17774:                            ;   in Loop: Header=BB6_14192 Depth=3
	v_clz_i32_u32_e32 v1, v3
	s_delay_alu instid0(VALU_DEP_1) | instskip(SKIP_1) | instid1(VALU_DEP_2)
	v_min_u32_e32 v1, 32, v1
	v_mov_b32_e32 v3, v113
	v_subrev_nc_u32_e32 v5, 29, v1
	v_sub_nc_u32_e32 v1, 30, v1
	s_delay_alu instid0(VALU_DEP_2) | instskip(NEXT) | instid1(VALU_DEP_1)
	v_lshlrev_b64_e32 v[2:3], v5, v[2:3]
	v_and_b32_e32 v3, 3, v2
.LBB6_17775:                            ;   in Loop: Header=BB6_14192 Depth=3
	s_or_b32 exec_lo, exec_lo, s75
	v_lshlrev_b32_e32 v2, 16, v14
	s_delay_alu instid0(VALU_DEP_1) | instskip(NEXT) | instid1(VALU_DEP_1)
	v_and_b32_e32 v2, 0x80000000, v2
	v_lshl_add_u32 v1, v1, 23, v2
	s_delay_alu instid0(VALU_DEP_1) | instskip(NEXT) | instid1(VALU_DEP_1)
	v_lshl_or_b32 v1, v3, 21, v1
                                        ; implicit-def: $vgpr3
	v_add_nc_u32_e32 v1, 0x38000000, v1
.LBB6_17776:                            ;   in Loop: Header=BB6_14192 Depth=3
	s_and_not1_saveexec_b32 s75, s13
; %bb.17777:                            ;   in Loop: Header=BB6_14192 Depth=3
	v_cmp_lt_i16_e64 s13, -1, v14
	v_mov_b32_e32 v1, 0x7f800000
	v_cmp_eq_u32_e32 vcc_lo, 0, v3
	s_delay_alu instid0(VALU_DEP_2) | instskip(NEXT) | instid1(VALU_DEP_1)
	v_cndmask_b32_e64 v1, 0xff800000, v1, s13
	v_cndmask_b32_e32 v1, 0x7f800001, v1, vcc_lo
; %bb.17778:                            ;   in Loop: Header=BB6_14192 Depth=3
	s_or_b32 exec_lo, exec_lo, s75
.LBB6_17779:                            ;   in Loop: Header=BB6_14192 Depth=3
	s_delay_alu instid0(SALU_CYCLE_1)
	s_or_b32 exec_lo, exec_lo, s74
.LBB6_17780:                            ;   in Loop: Header=BB6_14192 Depth=3
	s_delay_alu instid0(SALU_CYCLE_1) | instskip(NEXT) | instid1(VALU_DEP_1)
	s_or_b32 exec_lo, exec_lo, s73
	v_dual_add_f32 v4, v4, v1 :: v_dual_mov_b32 v47, v113
	v_mov_b32_e32 v3, v113
                                        ; implicit-def: $vgpr52
	s_mov_b32 s13, exec_lo
	s_delay_alu instid0(VALU_DEP_2) | instskip(SKIP_2) | instid1(VALU_DEP_3)
	v_and_b32_e32 v46, 0x7f800000, v4
	v_and_b32_e32 v2, 0x7fffff, v4
	v_lshrrev_b32_e32 v1, 24, v4
	v_cmpx_ne_u64_e32 0x7f800000, v[46:47]
	s_xor_b32 s73, exec_lo, s13
	s_cbranch_execz .LBB6_17794
; %bb.17781:                            ;   in Loop: Header=BB6_14192 Depth=3
	v_and_b32_e32 v46, 0x7fffffff, v4
	v_mov_b32_e32 v47, v113
	v_and_b32_e32 v1, 0x80, v1
                                        ; implicit-def: $vgpr52
	s_mov_b32 s13, exec_lo
	s_delay_alu instid0(VALU_DEP_2)
	v_cmpx_gt_u64_e32 0x47600001, v[46:47]
	s_xor_b32 s74, exec_lo, s13
	s_cbranch_execz .LBB6_17791
; %bb.17782:                            ;   in Loop: Header=BB6_14192 Depth=3
	v_mov_b32_e32 v52, 0
	s_mov_b32 s75, exec_lo
	v_cmpx_ne_u32_e32 0, v4
	s_cbranch_execz .LBB6_17790
; %bb.17783:                            ;   in Loop: Header=BB6_14192 Depth=3
	v_bfe_u32 v52, v4, 23, 8
	v_or_b32_e32 v5, 0x800000, v2
	s_delay_alu instid0(VALU_DEP_2) | instskip(SKIP_2) | instid1(VALU_DEP_2)
	v_cmp_gt_u32_e64 s13, 0x72, v52
	v_sub_nc_u32_e32 v4, 0x71, v52
	v_cmp_eq_u32_e32 vcc_lo, 0, v52
	v_dual_cndmask_b32 v4, 0, v4, s13 :: v_dual_cndmask_b32 v2, v5, v2, vcc_lo
	s_delay_alu instid0(VALU_DEP_1) | instskip(NEXT) | instid1(VALU_DEP_1)
	v_cndmask_b32_e64 v67, v4, 0x70, vcc_lo
	v_dual_add_nc_u32 v4, 21, v67 :: v_dual_add_nc_u32 v71, 20, v67
	s_delay_alu instid0(VALU_DEP_1) | instskip(NEXT) | instid1(VALU_DEP_2)
	v_lshlrev_b64_e64 v[4:5], v4, -1
	v_lshlrev_b64_e64 v[46:47], v71, 1
	s_delay_alu instid0(VALU_DEP_2) | instskip(SKIP_1) | instid1(VALU_DEP_4)
	v_bfi_b32 v4, v4, 0, v2
	v_lshrrev_b64 v[2:3], v67, v[2:3]
	v_bfi_b32 v5, v5, 0, 0
	s_delay_alu instid0(VALU_DEP_1) | instskip(NEXT) | instid1(VALU_DEP_3)
	v_cmp_eq_u64_e64 s13, v[4:5], v[46:47]
	v_mov_b64_e32 v[4:5], v[2:3]
	s_and_saveexec_b32 s76, s13
; %bb.17784:                            ;   in Loop: Header=BB6_14192 Depth=3
	v_bfe_u32 v4, v2, 21, 1
	v_mov_b32_e32 v5, v113
	s_delay_alu instid0(VALU_DEP_1) | instskip(NEXT) | instid1(VALU_DEP_1)
	v_add_nc_u64_e32 v[4:5], v[2:3], v[4:5]
	v_add_nc_u64_e32 v[4:5], -1, v[4:5]
; %bb.17785:                            ;   in Loop: Header=BB6_14192 Depth=3
	s_or_b32 exec_lo, exec_lo, s76
	v_add_nc_u32_e32 v3, 0xffffff81, v52
	v_lshrrev_b32_e32 v5, 23, v2
	s_mov_b32 s13, exec_lo
	s_delay_alu instid0(VALU_DEP_2) | instskip(NEXT) | instid1(VALU_DEP_1)
	v_cndmask_b32_e64 v3, v3, 0xffffff82, vcc_lo
	v_add3_u32 v52, v67, v3, v5
	v_and_b32_e32 v3, 0x1fffff, v4
                                        ; implicit-def: $vgpr4
	s_delay_alu instid0(VALU_DEP_1) | instskip(SKIP_1) | instid1(VALU_DEP_2)
	v_dual_add_nc_u32 v5, 14, v52 :: v_dual_add_nc_u32 v2, v3, v2
	v_mov_b32_e32 v3, v113
	v_cmpx_ne_u32_e32 0, v5
	s_xor_b32 s13, exec_lo, s13
; %bb.17786:                            ;   in Loop: Header=BB6_14192 Depth=3
	s_delay_alu instid0(VALU_DEP_2) | instskip(SKIP_1) | instid1(VALU_DEP_1)
	v_cmp_lt_u64_e32 vcc_lo, 0xffffff, v[2:3]
	v_add_nc_u32_e32 v4, 15, v52
	v_cndmask_b32_e32 v4, v5, v4, vcc_lo
	v_cndmask_b32_e64 v5, 0, 1, vcc_lo
	s_delay_alu instid0(VALU_DEP_1)
	v_lshrrev_b64 v[2:3], v5, v[2:3]
; %bb.17787:                            ;   in Loop: Header=BB6_14192 Depth=3
	s_and_not1_saveexec_b32 s13, s13
; %bb.17788:                            ;   in Loop: Header=BB6_14192 Depth=3
	s_delay_alu instid0(VALU_DEP_1)
	v_bfe_u32 v4, v2, 23, 1
; %bb.17789:                            ;   in Loop: Header=BB6_14192 Depth=3
	s_or_b32 exec_lo, exec_lo, s13
	s_delay_alu instid0(VALU_DEP_2) | instskip(NEXT) | instid1(VALU_DEP_2)
	v_lshrrev_b64 v[2:3], 21, v[2:3]
	v_cmp_gt_i32_e32 vcc_lo, 32, v4
	v_min_i32_e32 v5, 31, v4
	v_cmp_eq_u32_e64 s13, 0, v4
	s_delay_alu instid0(VALU_DEP_2) | instskip(SKIP_1) | instid1(VALU_DEP_2)
	v_dual_cndmask_b32 v3, 0, v3, vcc_lo :: v_dual_lshlrev_b32 v5, 2, v5
	v_cndmask_b32_e32 v2, 3, v2, vcc_lo
	v_and_b32_e32 v5, 0xfc, v5
	s_delay_alu instid0(VALU_DEP_2) | instskip(NEXT) | instid1(VALU_DEP_2)
	v_cmp_eq_u64_e32 vcc_lo, 0, v[2:3]
	v_and_or_b32 v2, v2, 3, v5
	s_and_b32 s13, s13, vcc_lo
	s_delay_alu instid0(VALU_DEP_1) | instid1(SALU_CYCLE_1)
	v_cndmask_b32_e64 v2, v2, 0, s13
	s_delay_alu instid0(VALU_DEP_1)
	v_or_b32_e32 v52, v2, v1
.LBB6_17790:                            ;   in Loop: Header=BB6_14192 Depth=3
	s_or_b32 exec_lo, exec_lo, s75
                                        ; implicit-def: $vgpr1
.LBB6_17791:                            ;   in Loop: Header=BB6_14192 Depth=3
	s_and_not1_saveexec_b32 s13, s74
; %bb.17792:                            ;   in Loop: Header=BB6_14192 Depth=3
	v_or_b32_e32 v52, 0x7b, v1
; %bb.17793:                            ;   in Loop: Header=BB6_14192 Depth=3
	s_or_b32 exec_lo, exec_lo, s13
                                        ; implicit-def: $vgpr4
                                        ; implicit-def: $vgpr2_vgpr3
                                        ; implicit-def: $vgpr1
.LBB6_17794:                            ;   in Loop: Header=BB6_14192 Depth=3
	s_and_not1_saveexec_b32 s13, s73
	s_cbranch_execz .LBB6_17800
; %bb.17795:                            ;   in Loop: Header=BB6_14192 Depth=3
	s_mov_b32 s73, exec_lo
                                        ; implicit-def: $vgpr52
	v_cmpx_ne_u64_e32 0, v[2:3]
	s_xor_b32 s73, exec_lo, s73
; %bb.17796:                            ;   in Loop: Header=BB6_14192 Depth=3
	v_or_b32_e32 v52, 0x7f, v1
                                        ; implicit-def: $vgpr4
; %bb.17797:                            ;   in Loop: Header=BB6_14192 Depth=3
	s_and_not1_saveexec_b32 s73, s73
; %bb.17798:                            ;   in Loop: Header=BB6_14192 Depth=3
	v_cmp_lt_i32_e32 vcc_lo, -1, v4
	v_mov_b32_e32 v1, 0x7c
	s_delay_alu instid0(VALU_DEP_1)
	v_cndmask_b32_e32 v52, 0xfc, v1, vcc_lo
; %bb.17799:                            ;   in Loop: Header=BB6_14192 Depth=3
	s_or_b32 exec_lo, exec_lo, s73
.LBB6_17800:                            ;   in Loop: Header=BB6_14192 Depth=3
	s_delay_alu instid0(SALU_CYCLE_1) | instskip(SKIP_3) | instid1(VALU_DEP_2)
	s_or_b32 exec_lo, exec_lo, s13
	v_dual_mov_b32 v1, 0 :: v_dual_lshrrev_b32 v2, 16, v0
	v_mov_b32_e32 v3, 0
	s_mov_b32 s73, exec_lo
	v_and_b32_e32 v4, 0xff, v2
	s_delay_alu instid0(VALU_DEP_1)
	v_cmpx_ne_u16_e32 0, v4
	s_cbranch_execz .LBB6_17810
; %bb.17801:                            ;   in Loop: Header=BB6_14192 Depth=3
	v_bfrev_b32_e32 v3, 1
	s_mov_b32 s74, exec_lo
	v_cmpx_ne_u16_e32 0x80, v4
	s_cbranch_execz .LBB6_17809
; %bb.17802:                            ;   in Loop: Header=BB6_14192 Depth=3
	v_and_b32_e32 v3, 0x7c0000, v0
	v_bfe_u32 v4, v0, 16, 2
	s_delay_alu instid0(VALU_DEP_2) | instskip(SKIP_1) | instid1(SALU_CYCLE_1)
	v_cmp_ne_u32_e32 vcc_lo, 0x7c0000, v3
                                        ; implicit-def: $vgpr3
	s_and_saveexec_b32 s13, vcc_lo
	s_xor_b32 s13, exec_lo, s13
	s_cbranch_execz .LBB6_17806
; %bb.17803:                            ;   in Loop: Header=BB6_14192 Depth=3
	v_bfe_u32 v3, v0, 18, 5
	s_mov_b32 s75, exec_lo
	s_delay_alu instid0(VALU_DEP_1)
	v_cmpx_eq_u32_e32 0, v3
; %bb.17804:                            ;   in Loop: Header=BB6_14192 Depth=3
	v_clz_i32_u32_e32 v3, v4
	s_delay_alu instid0(VALU_DEP_1) | instskip(NEXT) | instid1(VALU_DEP_1)
	v_min_u32_e32 v3, 32, v3
	v_subrev_nc_u32_e32 v4, 29, v3
	s_delay_alu instid0(VALU_DEP_1) | instskip(NEXT) | instid1(VALU_DEP_1)
	v_lshlrev_b64_e32 v[4:5], v4, v[2:3]
	v_dual_sub_nc_u32 v3, 30, v3 :: v_dual_bitop2_b32 v4, 3, v4 bitop3:0x40
; %bb.17805:                            ;   in Loop: Header=BB6_14192 Depth=3
	s_or_b32 exec_lo, exec_lo, s75
	v_lshlrev_b32_e32 v2, 24, v2
	s_delay_alu instid0(VALU_DEP_1) | instskip(NEXT) | instid1(VALU_DEP_1)
	v_and_b32_e32 v2, 0x80000000, v2
	v_lshl_add_u32 v2, v3, 23, v2
	s_delay_alu instid0(VALU_DEP_1) | instskip(NEXT) | instid1(VALU_DEP_1)
	v_lshl_or_b32 v2, v4, 21, v2
                                        ; implicit-def: $vgpr4
	v_add_nc_u32_e32 v3, 0x38000000, v2
                                        ; implicit-def: $vgpr2
.LBB6_17806:                            ;   in Loop: Header=BB6_14192 Depth=3
	s_and_not1_saveexec_b32 s75, s13
; %bb.17807:                            ;   in Loop: Header=BB6_14192 Depth=3
	v_bfe_i32 v2, v2, 0, 8
	v_cmp_eq_u32_e32 vcc_lo, 0, v4
	s_delay_alu instid0(VALU_DEP_2) | instskip(SKIP_1) | instid1(VALU_DEP_1)
	v_cmp_lt_i16_e64 s13, -1, v2
	v_mov_b32_e32 v2, 0x7f800000
	v_cndmask_b32_e64 v2, 0xff800000, v2, s13
	s_delay_alu instid0(VALU_DEP_1)
	v_cndmask_b32_e32 v3, 0x7f800001, v2, vcc_lo
; %bb.17808:                            ;   in Loop: Header=BB6_14192 Depth=3
	s_or_b32 exec_lo, exec_lo, s75
.LBB6_17809:                            ;   in Loop: Header=BB6_14192 Depth=3
	s_delay_alu instid0(SALU_CYCLE_1)
	s_or_b32 exec_lo, exec_lo, s74
.LBB6_17810:                            ;   in Loop: Header=BB6_14192 Depth=3
	s_delay_alu instid0(SALU_CYCLE_1) | instskip(SKIP_2) | instid1(VALU_DEP_1)
	s_or_b32 exec_lo, exec_lo, s73
	v_lshrrev_b32_e32 v2, 16, v14
	s_mov_b32 s73, exec_lo
	v_and_b32_e32 v4, 0xff, v2
	s_delay_alu instid0(VALU_DEP_1)
	v_cmpx_ne_u16_e32 0, v4
	s_cbranch_execz .LBB6_17820
; %bb.17811:                            ;   in Loop: Header=BB6_14192 Depth=3
	v_bfrev_b32_e32 v1, 1
	s_mov_b32 s74, exec_lo
	v_cmpx_ne_u16_e32 0x80, v4
	s_cbranch_execz .LBB6_17819
; %bb.17812:                            ;   in Loop: Header=BB6_14192 Depth=3
	v_and_b32_e32 v1, 0x7c0000, v14
	v_bfe_u32 v4, v14, 16, 2
	s_delay_alu instid0(VALU_DEP_2) | instskip(SKIP_1) | instid1(SALU_CYCLE_1)
	v_cmp_ne_u32_e32 vcc_lo, 0x7c0000, v1
                                        ; implicit-def: $vgpr1
	s_and_saveexec_b32 s13, vcc_lo
	s_xor_b32 s13, exec_lo, s13
	s_cbranch_execz .LBB6_17816
; %bb.17813:                            ;   in Loop: Header=BB6_14192 Depth=3
	v_bfe_u32 v1, v14, 18, 5
	s_mov_b32 s75, exec_lo
	s_delay_alu instid0(VALU_DEP_1)
	v_cmpx_eq_u32_e32 0, v1
; %bb.17814:                            ;   in Loop: Header=BB6_14192 Depth=3
	v_clz_i32_u32_e32 v1, v4
	s_delay_alu instid0(VALU_DEP_1) | instskip(NEXT) | instid1(VALU_DEP_1)
	v_min_u32_e32 v1, 32, v1
	v_subrev_nc_u32_e32 v4, 29, v1
	s_delay_alu instid0(VALU_DEP_1) | instskip(NEXT) | instid1(VALU_DEP_1)
	v_lshlrev_b64_e32 v[4:5], v4, v[2:3]
	v_dual_sub_nc_u32 v1, 30, v1 :: v_dual_bitop2_b32 v4, 3, v4 bitop3:0x40
; %bb.17815:                            ;   in Loop: Header=BB6_14192 Depth=3
	s_or_b32 exec_lo, exec_lo, s75
	v_lshlrev_b32_e32 v2, 24, v2
	s_delay_alu instid0(VALU_DEP_1) | instskip(NEXT) | instid1(VALU_DEP_1)
	v_and_b32_e32 v2, 0x80000000, v2
	v_lshl_add_u32 v1, v1, 23, v2
                                        ; implicit-def: $vgpr2
	s_delay_alu instid0(VALU_DEP_1) | instskip(NEXT) | instid1(VALU_DEP_1)
	v_lshl_or_b32 v1, v4, 21, v1
                                        ; implicit-def: $vgpr4
	v_add_nc_u32_e32 v1, 0x38000000, v1
.LBB6_17816:                            ;   in Loop: Header=BB6_14192 Depth=3
	s_and_not1_saveexec_b32 s75, s13
; %bb.17817:                            ;   in Loop: Header=BB6_14192 Depth=3
	v_bfe_i32 v1, v2, 0, 8
	v_cmp_eq_u32_e32 vcc_lo, 0, v4
	s_delay_alu instid0(VALU_DEP_2) | instskip(SKIP_1) | instid1(VALU_DEP_1)
	v_cmp_lt_i16_e64 s13, -1, v1
	v_mov_b32_e32 v1, 0x7f800000
	v_cndmask_b32_e64 v1, 0xff800000, v1, s13
	s_delay_alu instid0(VALU_DEP_1)
	v_cndmask_b32_e32 v1, 0x7f800001, v1, vcc_lo
; %bb.17818:                            ;   in Loop: Header=BB6_14192 Depth=3
	s_or_b32 exec_lo, exec_lo, s75
.LBB6_17819:                            ;   in Loop: Header=BB6_14192 Depth=3
	s_delay_alu instid0(SALU_CYCLE_1)
	s_or_b32 exec_lo, exec_lo, s74
.LBB6_17820:                            ;   in Loop: Header=BB6_14192 Depth=3
	s_delay_alu instid0(SALU_CYCLE_1) | instskip(NEXT) | instid1(VALU_DEP_1)
	s_or_b32 exec_lo, exec_lo, s73
	v_dual_add_f32 v4, v3, v1 :: v_dual_mov_b32 v47, v113
	v_mov_b32_e32 v3, v113
                                        ; implicit-def: $vgpr67
	s_mov_b32 s13, exec_lo
	s_delay_alu instid0(VALU_DEP_2) | instskip(SKIP_2) | instid1(VALU_DEP_3)
	v_and_b32_e32 v46, 0x7f800000, v4
	v_and_b32_e32 v2, 0x7fffff, v4
	v_lshrrev_b32_e32 v1, 24, v4
	v_cmpx_ne_u64_e32 0x7f800000, v[46:47]
	s_xor_b32 s73, exec_lo, s13
	s_cbranch_execz .LBB6_17834
; %bb.17821:                            ;   in Loop: Header=BB6_14192 Depth=3
	v_and_b32_e32 v46, 0x7fffffff, v4
	v_mov_b32_e32 v47, v113
	v_and_b32_e32 v1, 0x80, v1
                                        ; implicit-def: $vgpr67
	s_mov_b32 s13, exec_lo
	s_delay_alu instid0(VALU_DEP_2)
	v_cmpx_gt_u64_e32 0x47600001, v[46:47]
	s_xor_b32 s74, exec_lo, s13
	s_cbranch_execz .LBB6_17831
; %bb.17822:                            ;   in Loop: Header=BB6_14192 Depth=3
	v_mov_b32_e32 v67, 0
	s_mov_b32 s75, exec_lo
	v_cmpx_ne_u32_e32 0, v4
	s_cbranch_execz .LBB6_17830
; %bb.17823:                            ;   in Loop: Header=BB6_14192 Depth=3
	v_bfe_u32 v67, v4, 23, 8
	v_or_b32_e32 v5, 0x800000, v2
	s_delay_alu instid0(VALU_DEP_2) | instskip(SKIP_2) | instid1(VALU_DEP_2)
	v_cmp_gt_u32_e64 s13, 0x72, v67
	v_sub_nc_u32_e32 v4, 0x71, v67
	v_cmp_eq_u32_e32 vcc_lo, 0, v67
	v_dual_cndmask_b32 v4, 0, v4, s13 :: v_dual_cndmask_b32 v2, v5, v2, vcc_lo
	s_delay_alu instid0(VALU_DEP_1) | instskip(NEXT) | instid1(VALU_DEP_1)
	v_cndmask_b32_e64 v71, v4, 0x70, vcc_lo
	v_dual_add_nc_u32 v4, 21, v71 :: v_dual_add_nc_u32 v81, 20, v71
	s_delay_alu instid0(VALU_DEP_1) | instskip(NEXT) | instid1(VALU_DEP_2)
	v_lshlrev_b64_e64 v[4:5], v4, -1
	v_lshlrev_b64_e64 v[46:47], v81, 1
	s_delay_alu instid0(VALU_DEP_2) | instskip(SKIP_1) | instid1(VALU_DEP_4)
	v_bfi_b32 v4, v4, 0, v2
	v_lshrrev_b64 v[2:3], v71, v[2:3]
	v_bfi_b32 v5, v5, 0, 0
	s_delay_alu instid0(VALU_DEP_1) | instskip(NEXT) | instid1(VALU_DEP_3)
	v_cmp_eq_u64_e64 s13, v[4:5], v[46:47]
	v_mov_b64_e32 v[4:5], v[2:3]
	s_and_saveexec_b32 s76, s13
; %bb.17824:                            ;   in Loop: Header=BB6_14192 Depth=3
	v_bfe_u32 v4, v2, 21, 1
	v_mov_b32_e32 v5, v113
	s_delay_alu instid0(VALU_DEP_1) | instskip(NEXT) | instid1(VALU_DEP_1)
	v_add_nc_u64_e32 v[4:5], v[2:3], v[4:5]
	v_add_nc_u64_e32 v[4:5], -1, v[4:5]
; %bb.17825:                            ;   in Loop: Header=BB6_14192 Depth=3
	s_or_b32 exec_lo, exec_lo, s76
	v_add_nc_u32_e32 v3, 0xffffff81, v67
	v_lshrrev_b32_e32 v5, 23, v2
	s_mov_b32 s13, exec_lo
	s_delay_alu instid0(VALU_DEP_2) | instskip(NEXT) | instid1(VALU_DEP_1)
	v_cndmask_b32_e64 v3, v3, 0xffffff82, vcc_lo
	v_add3_u32 v67, v71, v3, v5
	v_and_b32_e32 v3, 0x1fffff, v4
                                        ; implicit-def: $vgpr4
	s_delay_alu instid0(VALU_DEP_1) | instskip(SKIP_1) | instid1(VALU_DEP_2)
	v_dual_add_nc_u32 v5, 14, v67 :: v_dual_add_nc_u32 v2, v3, v2
	v_mov_b32_e32 v3, v113
	v_cmpx_ne_u32_e32 0, v5
	s_xor_b32 s13, exec_lo, s13
; %bb.17826:                            ;   in Loop: Header=BB6_14192 Depth=3
	s_delay_alu instid0(VALU_DEP_2) | instskip(SKIP_1) | instid1(VALU_DEP_1)
	v_cmp_lt_u64_e32 vcc_lo, 0xffffff, v[2:3]
	v_add_nc_u32_e32 v4, 15, v67
	v_cndmask_b32_e32 v4, v5, v4, vcc_lo
	v_cndmask_b32_e64 v5, 0, 1, vcc_lo
	s_delay_alu instid0(VALU_DEP_1)
	v_lshrrev_b64 v[2:3], v5, v[2:3]
; %bb.17827:                            ;   in Loop: Header=BB6_14192 Depth=3
	s_and_not1_saveexec_b32 s13, s13
; %bb.17828:                            ;   in Loop: Header=BB6_14192 Depth=3
	s_delay_alu instid0(VALU_DEP_1)
	v_bfe_u32 v4, v2, 23, 1
; %bb.17829:                            ;   in Loop: Header=BB6_14192 Depth=3
	s_or_b32 exec_lo, exec_lo, s13
	s_delay_alu instid0(VALU_DEP_2) | instskip(NEXT) | instid1(VALU_DEP_2)
	v_lshrrev_b64 v[2:3], 21, v[2:3]
	v_cmp_gt_i32_e32 vcc_lo, 32, v4
	v_min_i32_e32 v5, 31, v4
	v_cmp_eq_u32_e64 s13, 0, v4
	s_delay_alu instid0(VALU_DEP_2) | instskip(SKIP_1) | instid1(VALU_DEP_2)
	v_dual_cndmask_b32 v3, 0, v3, vcc_lo :: v_dual_lshlrev_b32 v5, 2, v5
	v_cndmask_b32_e32 v2, 3, v2, vcc_lo
	v_and_b32_e32 v5, 0xfc, v5
	s_delay_alu instid0(VALU_DEP_2) | instskip(NEXT) | instid1(VALU_DEP_2)
	v_cmp_eq_u64_e32 vcc_lo, 0, v[2:3]
	v_and_or_b32 v2, v2, 3, v5
	s_and_b32 s13, s13, vcc_lo
	s_delay_alu instid0(VALU_DEP_1) | instid1(SALU_CYCLE_1)
	v_cndmask_b32_e64 v2, v2, 0, s13
	s_delay_alu instid0(VALU_DEP_1)
	v_or_b32_e32 v67, v2, v1
.LBB6_17830:                            ;   in Loop: Header=BB6_14192 Depth=3
	s_or_b32 exec_lo, exec_lo, s75
                                        ; implicit-def: $vgpr1
.LBB6_17831:                            ;   in Loop: Header=BB6_14192 Depth=3
	s_and_not1_saveexec_b32 s13, s74
; %bb.17832:                            ;   in Loop: Header=BB6_14192 Depth=3
	v_or_b32_e32 v67, 0x7b, v1
; %bb.17833:                            ;   in Loop: Header=BB6_14192 Depth=3
	s_or_b32 exec_lo, exec_lo, s13
                                        ; implicit-def: $vgpr4
                                        ; implicit-def: $vgpr2_vgpr3
                                        ; implicit-def: $vgpr1
.LBB6_17834:                            ;   in Loop: Header=BB6_14192 Depth=3
	s_and_not1_saveexec_b32 s13, s73
	s_cbranch_execz .LBB6_17840
; %bb.17835:                            ;   in Loop: Header=BB6_14192 Depth=3
	s_mov_b32 s73, exec_lo
                                        ; implicit-def: $vgpr67
	v_cmpx_ne_u64_e32 0, v[2:3]
	s_xor_b32 s73, exec_lo, s73
; %bb.17836:                            ;   in Loop: Header=BB6_14192 Depth=3
	v_or_b32_e32 v67, 0x7f, v1
                                        ; implicit-def: $vgpr4
; %bb.17837:                            ;   in Loop: Header=BB6_14192 Depth=3
	s_and_not1_saveexec_b32 s73, s73
; %bb.17838:                            ;   in Loop: Header=BB6_14192 Depth=3
	v_cmp_lt_i32_e32 vcc_lo, -1, v4
	v_mov_b32_e32 v1, 0x7c
	s_delay_alu instid0(VALU_DEP_1)
	v_cndmask_b32_e32 v67, 0xfc, v1, vcc_lo
; %bb.17839:                            ;   in Loop: Header=BB6_14192 Depth=3
	s_or_b32 exec_lo, exec_lo, s73
.LBB6_17840:                            ;   in Loop: Header=BB6_14192 Depth=3
	s_delay_alu instid0(SALU_CYCLE_1)
	s_or_b32 exec_lo, exec_lo, s13
	v_dual_mov_b32 v3, 0 :: v_dual_mov_b32 v4, 0
	s_mov_b32 s73, exec_lo
	v_cmpx_lt_u32_e32 0xffffff, v0
	s_cbranch_execz .LBB6_17850
; %bb.17841:                            ;   in Loop: Header=BB6_14192 Depth=3
	v_lshrrev_b32_e32 v2, 24, v0
	v_bfrev_b32_e32 v4, 1
	s_mov_b32 s74, exec_lo
	s_delay_alu instid0(VALU_DEP_2)
	v_cmpx_ne_u32_e32 0x80, v2
	s_cbranch_execz .LBB6_17849
; %bb.17842:                            ;   in Loop: Header=BB6_14192 Depth=3
	v_and_b32_e32 v1, 0x7c000000, v0
	v_bfe_u32 v5, v0, 24, 2
	s_mov_b32 s13, exec_lo
                                        ; implicit-def: $vgpr4
	s_delay_alu instid0(VALU_DEP_2)
	v_cmpx_ne_u32_e32 0x7c000000, v1
	s_xor_b32 s13, exec_lo, s13
	s_cbranch_execz .LBB6_17846
; %bb.17843:                            ;   in Loop: Header=BB6_14192 Depth=3
	v_bfe_u32 v1, v0, 26, 5
	s_mov_b32 s75, exec_lo
	s_delay_alu instid0(VALU_DEP_1)
	v_cmpx_eq_u32_e32 0, v1
; %bb.17844:                            ;   in Loop: Header=BB6_14192 Depth=3
	v_clz_i32_u32_e32 v1, v5
	s_delay_alu instid0(VALU_DEP_1) | instskip(NEXT) | instid1(VALU_DEP_1)
	v_min_u32_e32 v1, 32, v1
	v_subrev_nc_u32_e32 v4, 29, v1
	s_delay_alu instid0(VALU_DEP_1) | instskip(NEXT) | instid1(VALU_DEP_1)
	v_lshlrev_b64_e32 v[4:5], v4, v[2:3]
	v_dual_sub_nc_u32 v1, 30, v1 :: v_dual_bitop2_b32 v5, 3, v4 bitop3:0x40
; %bb.17845:                            ;   in Loop: Header=BB6_14192 Depth=3
	s_or_b32 exec_lo, exec_lo, s75
	v_and_b32_e32 v0, 0x80000000, v0
	s_delay_alu instid0(VALU_DEP_1) | instskip(NEXT) | instid1(VALU_DEP_1)
	v_lshl_add_u32 v0, v1, 23, v0
	v_lshl_or_b32 v0, v5, 21, v0
                                        ; implicit-def: $vgpr5
	s_delay_alu instid0(VALU_DEP_1)
	v_add_nc_u32_e32 v4, 0x38000000, v0
                                        ; implicit-def: $vgpr0_vgpr1
.LBB6_17846:                            ;   in Loop: Header=BB6_14192 Depth=3
	s_and_not1_saveexec_b32 s75, s13
; %bb.17847:                            ;   in Loop: Header=BB6_14192 Depth=3
	v_cmp_lt_i32_e64 s13, -1, v0
	v_mov_b32_e32 v0, 0x7f800000
	v_cmp_eq_u32_e32 vcc_lo, 0, v5
	s_delay_alu instid0(VALU_DEP_2) | instskip(NEXT) | instid1(VALU_DEP_1)
	v_cndmask_b32_e64 v0, 0xff800000, v0, s13
	v_cndmask_b32_e32 v4, 0x7f800001, v0, vcc_lo
; %bb.17848:                            ;   in Loop: Header=BB6_14192 Depth=3
	s_or_b32 exec_lo, exec_lo, s75
.LBB6_17849:                            ;   in Loop: Header=BB6_14192 Depth=3
	s_delay_alu instid0(SALU_CYCLE_1)
	s_or_b32 exec_lo, exec_lo, s74
.LBB6_17850:                            ;   in Loop: Header=BB6_14192 Depth=3
	s_delay_alu instid0(SALU_CYCLE_1) | instskip(NEXT) | instid1(SALU_CYCLE_1)
	s_or_b32 exec_lo, exec_lo, s73
	s_mov_b32 s73, exec_lo
	v_cmpx_lt_u32_e32 0xffffff, v14
	s_cbranch_execz .LBB6_17860
; %bb.17851:                            ;   in Loop: Header=BB6_14192 Depth=3
	v_lshrrev_b32_e32 v0, 24, v14
	v_bfrev_b32_e32 v3, 1
	s_mov_b32 s74, exec_lo
	s_delay_alu instid0(VALU_DEP_2)
	v_cmpx_ne_u32_e32 0x80, v0
	s_cbranch_execz .LBB6_17859
; %bb.17852:                            ;   in Loop: Header=BB6_14192 Depth=3
	v_and_b32_e32 v2, 0x7c000000, v14
	v_bfe_u32 v1, v14, 24, 2
	s_mov_b32 s13, exec_lo
                                        ; implicit-def: $vgpr3
	s_delay_alu instid0(VALU_DEP_2)
	v_cmpx_ne_u32_e32 0x7c000000, v2
	s_xor_b32 s13, exec_lo, s13
	s_cbranch_execz .LBB6_17856
; %bb.17853:                            ;   in Loop: Header=BB6_14192 Depth=3
	v_bfe_u32 v2, v14, 26, 5
	s_mov_b32 s75, exec_lo
	s_delay_alu instid0(VALU_DEP_1)
	v_cmpx_eq_u32_e32 0, v2
; %bb.17854:                            ;   in Loop: Header=BB6_14192 Depth=3
	v_clz_i32_u32_e32 v1, v1
	s_delay_alu instid0(VALU_DEP_1) | instskip(NEXT) | instid1(VALU_DEP_1)
	v_min_u32_e32 v2, 32, v1
	v_subrev_nc_u32_e32 v1, 29, v2
	s_delay_alu instid0(VALU_DEP_1) | instskip(NEXT) | instid1(VALU_DEP_1)
	v_lshlrev_b64_e32 v[0:1], v1, v[0:1]
	v_dual_sub_nc_u32 v2, 30, v2 :: v_dual_bitop2_b32 v1, 3, v0 bitop3:0x40
; %bb.17855:                            ;   in Loop: Header=BB6_14192 Depth=3
	s_or_b32 exec_lo, exec_lo, s75
	v_and_b32_e32 v0, 0x80000000, v14
	s_delay_alu instid0(VALU_DEP_1) | instskip(NEXT) | instid1(VALU_DEP_1)
	v_lshl_add_u32 v0, v2, 23, v0
	v_lshl_or_b32 v0, v1, 21, v0
                                        ; implicit-def: $vgpr1
	s_delay_alu instid0(VALU_DEP_1)
	v_add_nc_u32_e32 v3, 0x38000000, v0
.LBB6_17856:                            ;   in Loop: Header=BB6_14192 Depth=3
	s_and_not1_saveexec_b32 s75, s13
; %bb.17857:                            ;   in Loop: Header=BB6_14192 Depth=3
	v_cmp_lt_i32_e64 s13, -1, v14
	v_mov_b32_e32 v0, 0x7f800000
	v_cmp_eq_u32_e32 vcc_lo, 0, v1
	s_delay_alu instid0(VALU_DEP_2) | instskip(NEXT) | instid1(VALU_DEP_1)
	v_cndmask_b32_e64 v0, 0xff800000, v0, s13
	v_cndmask_b32_e32 v3, 0x7f800001, v0, vcc_lo
; %bb.17858:                            ;   in Loop: Header=BB6_14192 Depth=3
	s_or_b32 exec_lo, exec_lo, s75
.LBB6_17859:                            ;   in Loop: Header=BB6_14192 Depth=3
	s_delay_alu instid0(SALU_CYCLE_1)
	s_or_b32 exec_lo, exec_lo, s74
.LBB6_17860:                            ;   in Loop: Header=BB6_14192 Depth=3
	s_delay_alu instid0(SALU_CYCLE_1) | instskip(NEXT) | instid1(VALU_DEP_1)
	s_or_b32 exec_lo, exec_lo, s73
	v_dual_add_f32 v2, v4, v3 :: v_dual_mov_b32 v5, v113
	v_mov_b32_e32 v1, v113
                                        ; implicit-def: $vgpr71
	s_mov_b32 s13, exec_lo
	s_delay_alu instid0(VALU_DEP_2) | instskip(SKIP_2) | instid1(VALU_DEP_3)
	v_and_b32_e32 v4, 0x7f800000, v2
	v_and_b32_e32 v0, 0x7fffff, v2
	v_lshrrev_b32_e32 v3, 24, v2
	v_cmpx_ne_u64_e32 0x7f800000, v[4:5]
	s_xor_b32 s73, exec_lo, s13
	s_cbranch_execz .LBB6_17874
; %bb.17861:                            ;   in Loop: Header=BB6_14192 Depth=3
	v_and_b32_e32 v4, 0x7fffffff, v2
	v_mov_b32_e32 v5, v113
                                        ; implicit-def: $vgpr71
	s_delay_alu instid0(VALU_DEP_1) | instskip(SKIP_2) | instid1(SALU_CYCLE_1)
	v_cmp_gt_u64_e32 vcc_lo, 0x47600001, v[4:5]
	v_and_b32_e32 v4, 0x80, v3
	s_and_saveexec_b32 s13, vcc_lo
	s_xor_b32 s74, exec_lo, s13
	s_cbranch_execz .LBB6_17871
; %bb.17862:                            ;   in Loop: Header=BB6_14192 Depth=3
	v_mov_b32_e32 v71, 0
	s_mov_b32 s75, exec_lo
	v_cmpx_ne_u32_e32 0, v2
	s_cbranch_execz .LBB6_17870
; %bb.17863:                            ;   in Loop: Header=BB6_14192 Depth=3
	v_bfe_u32 v5, v2, 23, 8
	v_or_b32_e32 v3, 0x800000, v0
	s_delay_alu instid0(VALU_DEP_2) | instskip(SKIP_2) | instid1(VALU_DEP_2)
	v_cmp_gt_u32_e64 s13, 0x72, v5
	v_sub_nc_u32_e32 v2, 0x71, v5
	v_cmp_eq_u32_e32 vcc_lo, 0, v5
	v_dual_cndmask_b32 v2, 0, v2, s13 :: v_dual_cndmask_b32 v0, v3, v0, vcc_lo
	s_delay_alu instid0(VALU_DEP_1) | instskip(NEXT) | instid1(VALU_DEP_1)
	v_cndmask_b32_e64 v71, v2, 0x70, vcc_lo
	v_dual_add_nc_u32 v2, 21, v71 :: v_dual_add_nc_u32 v81, 20, v71
	s_delay_alu instid0(VALU_DEP_1) | instskip(NEXT) | instid1(VALU_DEP_2)
	v_lshlrev_b64_e64 v[2:3], v2, -1
	v_lshlrev_b64_e64 v[46:47], v81, 1
	s_delay_alu instid0(VALU_DEP_2) | instskip(SKIP_1) | instid1(VALU_DEP_4)
	v_bfi_b32 v2, v2, 0, v0
	v_lshrrev_b64 v[0:1], v71, v[0:1]
	v_bfi_b32 v3, v3, 0, 0
	s_delay_alu instid0(VALU_DEP_1) | instskip(NEXT) | instid1(VALU_DEP_3)
	v_cmp_eq_u64_e64 s13, v[2:3], v[46:47]
	v_mov_b64_e32 v[2:3], v[0:1]
	s_and_saveexec_b32 s76, s13
; %bb.17864:                            ;   in Loop: Header=BB6_14192 Depth=3
	v_bfe_u32 v2, v0, 21, 1
	v_mov_b32_e32 v3, v113
	s_delay_alu instid0(VALU_DEP_1) | instskip(NEXT) | instid1(VALU_DEP_1)
	v_add_nc_u64_e32 v[2:3], v[0:1], v[2:3]
	v_add_nc_u64_e32 v[2:3], -1, v[2:3]
; %bb.17865:                            ;   in Loop: Header=BB6_14192 Depth=3
	s_or_b32 exec_lo, exec_lo, s76
	v_add_nc_u32_e32 v1, 0xffffff81, v5
	v_lshrrev_b32_e32 v3, 23, v0
	s_mov_b32 s13, exec_lo
	s_delay_alu instid0(VALU_DEP_2) | instskip(NEXT) | instid1(VALU_DEP_1)
	v_cndmask_b32_e64 v1, v1, 0xffffff82, vcc_lo
	v_add3_u32 v5, v71, v1, v3
	v_and_b32_e32 v1, 0x1fffff, v2
                                        ; implicit-def: $vgpr2
	s_delay_alu instid0(VALU_DEP_1) | instskip(SKIP_1) | instid1(VALU_DEP_2)
	v_dual_add_nc_u32 v3, 14, v5 :: v_dual_add_nc_u32 v0, v1, v0
	v_mov_b32_e32 v1, v113
	v_cmpx_ne_u32_e32 0, v3
	s_xor_b32 s13, exec_lo, s13
; %bb.17866:                            ;   in Loop: Header=BB6_14192 Depth=3
	s_delay_alu instid0(VALU_DEP_2) | instskip(SKIP_1) | instid1(VALU_DEP_1)
	v_cmp_lt_u64_e32 vcc_lo, 0xffffff, v[0:1]
	v_add_nc_u32_e32 v2, 15, v5
	v_cndmask_b32_e32 v2, v3, v2, vcc_lo
	v_cndmask_b32_e64 v3, 0, 1, vcc_lo
	s_delay_alu instid0(VALU_DEP_1)
	v_lshrrev_b64 v[0:1], v3, v[0:1]
; %bb.17867:                            ;   in Loop: Header=BB6_14192 Depth=3
	s_and_not1_saveexec_b32 s13, s13
; %bb.17868:                            ;   in Loop: Header=BB6_14192 Depth=3
	s_delay_alu instid0(VALU_DEP_1)
	v_bfe_u32 v2, v0, 23, 1
; %bb.17869:                            ;   in Loop: Header=BB6_14192 Depth=3
	s_or_b32 exec_lo, exec_lo, s13
	s_delay_alu instid0(VALU_DEP_2) | instskip(NEXT) | instid1(VALU_DEP_2)
	v_lshrrev_b64 v[0:1], 21, v[0:1]
	v_cmp_gt_i32_e32 vcc_lo, 32, v2
	v_min_i32_e32 v3, 31, v2
	v_cmp_eq_u32_e64 s13, 0, v2
	s_delay_alu instid0(VALU_DEP_2) | instskip(SKIP_1) | instid1(VALU_DEP_2)
	v_dual_cndmask_b32 v1, 0, v1, vcc_lo :: v_dual_lshlrev_b32 v3, 2, v3
	v_cndmask_b32_e32 v0, 3, v0, vcc_lo
	v_and_b32_e32 v3, 0xfc, v3
	s_delay_alu instid0(VALU_DEP_2) | instskip(NEXT) | instid1(VALU_DEP_2)
	v_cmp_eq_u64_e32 vcc_lo, 0, v[0:1]
	v_and_or_b32 v0, v0, 3, v3
	s_and_b32 s13, s13, vcc_lo
	s_delay_alu instid0(VALU_DEP_1) | instid1(SALU_CYCLE_1)
	v_cndmask_b32_e64 v0, v0, 0, s13
	s_delay_alu instid0(VALU_DEP_1)
	v_or_b32_e32 v71, v0, v4
.LBB6_17870:                            ;   in Loop: Header=BB6_14192 Depth=3
	s_or_b32 exec_lo, exec_lo, s75
                                        ; implicit-def: $vgpr4
.LBB6_17871:                            ;   in Loop: Header=BB6_14192 Depth=3
	s_and_not1_saveexec_b32 s13, s74
; %bb.17872:                            ;   in Loop: Header=BB6_14192 Depth=3
	v_or_b32_e32 v71, 0x7b, v4
; %bb.17873:                            ;   in Loop: Header=BB6_14192 Depth=3
	s_or_b32 exec_lo, exec_lo, s13
                                        ; implicit-def: $vgpr2
                                        ; implicit-def: $vgpr0_vgpr1
                                        ; implicit-def: $vgpr3
.LBB6_17874:                            ;   in Loop: Header=BB6_14192 Depth=3
	s_and_not1_saveexec_b32 s13, s73
	s_cbranch_execz .LBB6_17880
; %bb.17875:                            ;   in Loop: Header=BB6_14192 Depth=3
	s_mov_b32 s73, exec_lo
                                        ; implicit-def: $vgpr71
	v_cmpx_ne_u64_e32 0, v[0:1]
	s_xor_b32 s73, exec_lo, s73
; %bb.17876:                            ;   in Loop: Header=BB6_14192 Depth=3
	v_or_b32_e32 v71, 0x7f, v3
                                        ; implicit-def: $vgpr2
; %bb.17877:                            ;   in Loop: Header=BB6_14192 Depth=3
	s_and_not1_saveexec_b32 s73, s73
; %bb.17878:                            ;   in Loop: Header=BB6_14192 Depth=3
	v_cmp_lt_i32_e32 vcc_lo, -1, v2
	v_mov_b32_e32 v0, 0x7c
	s_delay_alu instid0(VALU_DEP_1)
	v_cndmask_b32_e32 v71, 0xfc, v0, vcc_lo
; %bb.17879:                            ;   in Loop: Header=BB6_14192 Depth=3
	s_or_b32 exec_lo, exec_lo, s73
.LBB6_17880:                            ;   in Loop: Header=BB6_14192 Depth=3
	s_delay_alu instid0(SALU_CYCLE_1) | instskip(SKIP_4) | instid1(VALU_DEP_2)
	s_or_b32 exec_lo, exec_lo, s13
	v_dual_lshlrev_b32 v0, 24, v69 :: v_dual_lshlrev_b32 v2, 16, v66
	v_lshl_or_b32 v54, v54, 8, v39
	v_dual_mov_b32 v1, v113 :: v_dual_mov_b32 v3, 0
	s_mov_b32 s73, exec_lo
	v_or3_b32 v0, v2, v0, v54
	v_mov_b32_e32 v2, 0
	v_cmpx_ne_u32_e32 0, v39
	s_cbranch_execz .LBB6_17890
; %bb.17881:                            ;   in Loop: Header=BB6_14192 Depth=3
	v_bfrev_b32_e32 v2, 1
	s_mov_b32 s74, exec_lo
	v_cmpx_ne_u32_e32 0x80, v39
	s_cbranch_execz .LBB6_17889
; %bb.17882:                            ;   in Loop: Header=BB6_14192 Depth=3
	v_and_b32_e32 v2, 0x7c, v39
	v_and_b32_e32 v4, 3, v39
	s_delay_alu instid0(VALU_DEP_2) | instskip(SKIP_1) | instid1(SALU_CYCLE_1)
	v_cmp_ne_u32_e32 vcc_lo, 0x7c, v2
                                        ; implicit-def: $vgpr2
	s_and_saveexec_b32 s13, vcc_lo
	s_xor_b32 s13, exec_lo, s13
	s_cbranch_execz .LBB6_17886
; %bb.17883:                            ;   in Loop: Header=BB6_14192 Depth=3
	v_bfe_u32 v2, v39, 2, 5
	s_mov_b32 s75, exec_lo
	s_delay_alu instid0(VALU_DEP_1)
	v_cmpx_eq_u32_e32 0, v2
; %bb.17884:                            ;   in Loop: Header=BB6_14192 Depth=3
	v_clz_i32_u32_e32 v2, v4
	s_delay_alu instid0(VALU_DEP_1) | instskip(NEXT) | instid1(VALU_DEP_1)
	v_min_u32_e32 v2, 32, v2
	v_subrev_nc_u32_e32 v4, 29, v2
	s_delay_alu instid0(VALU_DEP_1) | instskip(NEXT) | instid1(VALU_DEP_1)
	v_lshlrev_b64_e32 v[4:5], v4, v[0:1]
	v_dual_sub_nc_u32 v2, 30, v2 :: v_dual_bitop2_b32 v4, 3, v4 bitop3:0x40
; %bb.17885:                            ;   in Loop: Header=BB6_14192 Depth=3
	s_or_b32 exec_lo, exec_lo, s75
	v_lshlrev_b32_e32 v1, 24, v39
                                        ; implicit-def: $vgpr39
	s_delay_alu instid0(VALU_DEP_1) | instskip(NEXT) | instid1(VALU_DEP_1)
	v_and_b32_e32 v1, 0x80000000, v1
	v_lshl_add_u32 v1, v2, 23, v1
	s_delay_alu instid0(VALU_DEP_1) | instskip(NEXT) | instid1(VALU_DEP_1)
	v_lshl_or_b32 v1, v4, 21, v1
                                        ; implicit-def: $vgpr4
	v_add_nc_u32_e32 v2, 0x38000000, v1
.LBB6_17886:                            ;   in Loop: Header=BB6_14192 Depth=3
	s_and_not1_saveexec_b32 s75, s13
; %bb.17887:                            ;   in Loop: Header=BB6_14192 Depth=3
	v_and_b32_e32 v1, 0x80, v39
	v_cmp_eq_u32_e32 vcc_lo, 0, v4
	s_delay_alu instid0(VALU_DEP_2) | instskip(SKIP_1) | instid1(VALU_DEP_1)
	v_cmp_eq_u32_e64 s13, 0, v1
	v_mov_b32_e32 v1, 0x7f800000
	v_cndmask_b32_e64 v1, 0xff800000, v1, s13
	s_delay_alu instid0(VALU_DEP_1)
	v_cndmask_b32_e32 v2, 0x7f800001, v1, vcc_lo
; %bb.17888:                            ;   in Loop: Header=BB6_14192 Depth=3
	s_or_b32 exec_lo, exec_lo, s75
.LBB6_17889:                            ;   in Loop: Header=BB6_14192 Depth=3
	s_delay_alu instid0(SALU_CYCLE_1)
	s_or_b32 exec_lo, exec_lo, s74
.LBB6_17890:                            ;   in Loop: Header=BB6_14192 Depth=3
	s_delay_alu instid0(SALU_CYCLE_1) | instskip(SKIP_2) | instid1(VALU_DEP_1)
	s_or_b32 exec_lo, exec_lo, s73
	v_and_b32_e32 v1, 0xff, v15
	s_mov_b32 s73, exec_lo
	v_cmpx_ne_u16_e32 0, v1
	s_cbranch_execz .LBB6_17900
; %bb.17891:                            ;   in Loop: Header=BB6_14192 Depth=3
	v_bfrev_b32_e32 v3, 1
	s_mov_b32 s74, exec_lo
	v_cmpx_ne_u16_e32 0x80, v1
	s_cbranch_execz .LBB6_17899
; %bb.17892:                            ;   in Loop: Header=BB6_14192 Depth=3
	v_and_b32_e32 v3, 0x7c, v15
	v_and_b32_e32 v1, 3, v15
	s_delay_alu instid0(VALU_DEP_2) | instskip(SKIP_1) | instid1(SALU_CYCLE_1)
	v_cmp_ne_u32_e32 vcc_lo, 0x7c, v3
                                        ; implicit-def: $vgpr3
	s_and_saveexec_b32 s13, vcc_lo
	s_xor_b32 s13, exec_lo, s13
	s_cbranch_execz .LBB6_17896
; %bb.17893:                            ;   in Loop: Header=BB6_14192 Depth=3
	v_bfe_u32 v3, v15, 2, 5
	s_mov_b32 s75, exec_lo
	s_delay_alu instid0(VALU_DEP_1)
	v_cmpx_eq_u32_e32 0, v3
; %bb.17894:                            ;   in Loop: Header=BB6_14192 Depth=3
	v_clz_i32_u32_e32 v1, v1
	v_dual_mov_b32 v4, v15 :: v_dual_mov_b32 v5, v113
	s_delay_alu instid0(VALU_DEP_2) | instskip(NEXT) | instid1(VALU_DEP_1)
	v_min_u32_e32 v1, 32, v1
	v_subrev_nc_u32_e32 v3, 29, v1
	s_delay_alu instid0(VALU_DEP_1) | instskip(NEXT) | instid1(VALU_DEP_1)
	v_lshlrev_b64_e32 v[4:5], v3, v[4:5]
	v_dual_sub_nc_u32 v3, 30, v1 :: v_dual_bitop2_b32 v1, 3, v4 bitop3:0x40
; %bb.17895:                            ;   in Loop: Header=BB6_14192 Depth=3
	s_or_b32 exec_lo, exec_lo, s75
	v_lshlrev_b32_e32 v4, 24, v15
	s_delay_alu instid0(VALU_DEP_1) | instskip(NEXT) | instid1(VALU_DEP_1)
	v_and_b32_e32 v4, 0x80000000, v4
	v_lshl_add_u32 v3, v3, 23, v4
	s_delay_alu instid0(VALU_DEP_1) | instskip(NEXT) | instid1(VALU_DEP_1)
	v_lshl_or_b32 v1, v1, 21, v3
	v_add_nc_u32_e32 v3, 0x38000000, v1
                                        ; implicit-def: $vgpr1
.LBB6_17896:                            ;   in Loop: Header=BB6_14192 Depth=3
	s_and_not1_saveexec_b32 s75, s13
; %bb.17897:                            ;   in Loop: Header=BB6_14192 Depth=3
	v_bfe_i32 v3, v15, 0, 8
	v_cmp_eq_u32_e32 vcc_lo, 0, v1
	v_mov_b32_e32 v1, 0x7f800000
	s_delay_alu instid0(VALU_DEP_3) | instskip(NEXT) | instid1(VALU_DEP_1)
	v_cmp_lt_i16_e64 s13, -1, v3
	v_cndmask_b32_e64 v1, 0xff800000, v1, s13
	s_delay_alu instid0(VALU_DEP_1)
	v_cndmask_b32_e32 v3, 0x7f800001, v1, vcc_lo
; %bb.17898:                            ;   in Loop: Header=BB6_14192 Depth=3
	s_or_b32 exec_lo, exec_lo, s75
.LBB6_17899:                            ;   in Loop: Header=BB6_14192 Depth=3
	s_delay_alu instid0(SALU_CYCLE_1)
	s_or_b32 exec_lo, exec_lo, s74
.LBB6_17900:                            ;   in Loop: Header=BB6_14192 Depth=3
	s_delay_alu instid0(SALU_CYCLE_1) | instskip(NEXT) | instid1(VALU_DEP_1)
	s_or_b32 exec_lo, exec_lo, s73
	v_dual_add_f32 v4, v2, v3 :: v_dual_mov_b32 v47, v113
	v_mov_b32_e32 v3, v113
                                        ; implicit-def: $vgpr39
	s_mov_b32 s13, exec_lo
	s_delay_alu instid0(VALU_DEP_2) | instskip(SKIP_2) | instid1(VALU_DEP_3)
	v_and_b32_e32 v46, 0x7f800000, v4
	v_and_b32_e32 v2, 0x7fffff, v4
	v_lshrrev_b32_e32 v1, 24, v4
	v_cmpx_ne_u64_e32 0x7f800000, v[46:47]
	s_xor_b32 s73, exec_lo, s13
	s_cbranch_execz .LBB6_17914
; %bb.17901:                            ;   in Loop: Header=BB6_14192 Depth=3
	v_and_b32_e32 v46, 0x7fffffff, v4
	v_mov_b32_e32 v47, v113
	v_and_b32_e32 v1, 0x80, v1
                                        ; implicit-def: $vgpr39
	s_mov_b32 s13, exec_lo
	s_delay_alu instid0(VALU_DEP_2)
	v_cmpx_gt_u64_e32 0x47600001, v[46:47]
	s_xor_b32 s74, exec_lo, s13
	s_cbranch_execz .LBB6_17911
; %bb.17902:                            ;   in Loop: Header=BB6_14192 Depth=3
	v_mov_b32_e32 v39, 0
	s_mov_b32 s75, exec_lo
	v_cmpx_ne_u32_e32 0, v4
	s_cbranch_execz .LBB6_17910
; %bb.17903:                            ;   in Loop: Header=BB6_14192 Depth=3
	v_bfe_u32 v39, v4, 23, 8
	v_or_b32_e32 v5, 0x800000, v2
	s_delay_alu instid0(VALU_DEP_2) | instskip(SKIP_2) | instid1(VALU_DEP_2)
	v_cmp_gt_u32_e64 s13, 0x72, v39
	v_sub_nc_u32_e32 v4, 0x71, v39
	v_cmp_eq_u32_e32 vcc_lo, 0, v39
	v_dual_cndmask_b32 v4, 0, v4, s13 :: v_dual_cndmask_b32 v2, v5, v2, vcc_lo
	s_delay_alu instid0(VALU_DEP_1) | instskip(NEXT) | instid1(VALU_DEP_1)
	v_cndmask_b32_e64 v66, v4, 0x70, vcc_lo
	v_dual_add_nc_u32 v4, 21, v66 :: v_dual_add_nc_u32 v69, 20, v66
	s_delay_alu instid0(VALU_DEP_1) | instskip(NEXT) | instid1(VALU_DEP_2)
	v_lshlrev_b64_e64 v[4:5], v4, -1
	v_lshlrev_b64_e64 v[46:47], v69, 1
	s_delay_alu instid0(VALU_DEP_2) | instskip(SKIP_1) | instid1(VALU_DEP_4)
	v_bfi_b32 v4, v4, 0, v2
	v_lshrrev_b64 v[2:3], v66, v[2:3]
	v_bfi_b32 v5, v5, 0, 0
	s_delay_alu instid0(VALU_DEP_1) | instskip(NEXT) | instid1(VALU_DEP_3)
	v_cmp_eq_u64_e64 s13, v[4:5], v[46:47]
	v_mov_b64_e32 v[4:5], v[2:3]
	s_and_saveexec_b32 s76, s13
; %bb.17904:                            ;   in Loop: Header=BB6_14192 Depth=3
	v_bfe_u32 v4, v2, 21, 1
	v_mov_b32_e32 v5, v113
	s_delay_alu instid0(VALU_DEP_1) | instskip(NEXT) | instid1(VALU_DEP_1)
	v_add_nc_u64_e32 v[4:5], v[2:3], v[4:5]
	v_add_nc_u64_e32 v[4:5], -1, v[4:5]
; %bb.17905:                            ;   in Loop: Header=BB6_14192 Depth=3
	s_or_b32 exec_lo, exec_lo, s76
	v_add_nc_u32_e32 v3, 0xffffff81, v39
	v_lshrrev_b32_e32 v5, 23, v2
	s_mov_b32 s13, exec_lo
	s_delay_alu instid0(VALU_DEP_2) | instskip(NEXT) | instid1(VALU_DEP_1)
	v_cndmask_b32_e64 v3, v3, 0xffffff82, vcc_lo
	v_add3_u32 v39, v66, v3, v5
	v_and_b32_e32 v3, 0x1fffff, v4
                                        ; implicit-def: $vgpr4
	s_delay_alu instid0(VALU_DEP_1) | instskip(SKIP_1) | instid1(VALU_DEP_2)
	v_dual_add_nc_u32 v5, 14, v39 :: v_dual_add_nc_u32 v2, v3, v2
	v_mov_b32_e32 v3, v113
	v_cmpx_ne_u32_e32 0, v5
	s_xor_b32 s13, exec_lo, s13
; %bb.17906:                            ;   in Loop: Header=BB6_14192 Depth=3
	s_delay_alu instid0(VALU_DEP_2) | instskip(SKIP_1) | instid1(VALU_DEP_1)
	v_cmp_lt_u64_e32 vcc_lo, 0xffffff, v[2:3]
	v_add_nc_u32_e32 v4, 15, v39
	v_cndmask_b32_e32 v4, v5, v4, vcc_lo
	v_cndmask_b32_e64 v5, 0, 1, vcc_lo
	s_delay_alu instid0(VALU_DEP_1)
	v_lshrrev_b64 v[2:3], v5, v[2:3]
; %bb.17907:                            ;   in Loop: Header=BB6_14192 Depth=3
	s_and_not1_saveexec_b32 s13, s13
; %bb.17908:                            ;   in Loop: Header=BB6_14192 Depth=3
	s_delay_alu instid0(VALU_DEP_1)
	v_bfe_u32 v4, v2, 23, 1
; %bb.17909:                            ;   in Loop: Header=BB6_14192 Depth=3
	s_or_b32 exec_lo, exec_lo, s13
	s_delay_alu instid0(VALU_DEP_2) | instskip(NEXT) | instid1(VALU_DEP_2)
	v_lshrrev_b64 v[2:3], 21, v[2:3]
	v_cmp_gt_i32_e32 vcc_lo, 32, v4
	v_min_i32_e32 v5, 31, v4
	v_cmp_eq_u32_e64 s13, 0, v4
	s_delay_alu instid0(VALU_DEP_2) | instskip(SKIP_1) | instid1(VALU_DEP_2)
	v_dual_cndmask_b32 v3, 0, v3, vcc_lo :: v_dual_lshlrev_b32 v5, 2, v5
	v_cndmask_b32_e32 v2, 3, v2, vcc_lo
	v_and_b32_e32 v5, 0xfc, v5
	s_delay_alu instid0(VALU_DEP_2) | instskip(NEXT) | instid1(VALU_DEP_2)
	v_cmp_eq_u64_e32 vcc_lo, 0, v[2:3]
	v_and_or_b32 v2, v2, 3, v5
	s_and_b32 s13, s13, vcc_lo
	s_delay_alu instid0(VALU_DEP_1) | instid1(SALU_CYCLE_1)
	v_cndmask_b32_e64 v2, v2, 0, s13
	s_delay_alu instid0(VALU_DEP_1)
	v_or_b32_e32 v39, v2, v1
.LBB6_17910:                            ;   in Loop: Header=BB6_14192 Depth=3
	s_or_b32 exec_lo, exec_lo, s75
                                        ; implicit-def: $vgpr1
.LBB6_17911:                            ;   in Loop: Header=BB6_14192 Depth=3
	s_and_not1_saveexec_b32 s13, s74
; %bb.17912:                            ;   in Loop: Header=BB6_14192 Depth=3
	v_or_b32_e32 v39, 0x7b, v1
; %bb.17913:                            ;   in Loop: Header=BB6_14192 Depth=3
	s_or_b32 exec_lo, exec_lo, s13
                                        ; implicit-def: $vgpr4
                                        ; implicit-def: $vgpr2_vgpr3
                                        ; implicit-def: $vgpr1
.LBB6_17914:                            ;   in Loop: Header=BB6_14192 Depth=3
	s_and_not1_saveexec_b32 s13, s73
	s_cbranch_execz .LBB6_17920
; %bb.17915:                            ;   in Loop: Header=BB6_14192 Depth=3
	s_mov_b32 s73, exec_lo
                                        ; implicit-def: $vgpr39
	v_cmpx_ne_u64_e32 0, v[2:3]
	s_xor_b32 s73, exec_lo, s73
; %bb.17916:                            ;   in Loop: Header=BB6_14192 Depth=3
	v_or_b32_e32 v39, 0x7f, v1
                                        ; implicit-def: $vgpr4
; %bb.17917:                            ;   in Loop: Header=BB6_14192 Depth=3
	s_and_not1_saveexec_b32 s73, s73
; %bb.17918:                            ;   in Loop: Header=BB6_14192 Depth=3
	v_cmp_lt_i32_e32 vcc_lo, -1, v4
	v_mov_b32_e32 v1, 0x7c
	s_delay_alu instid0(VALU_DEP_1)
	v_cndmask_b32_e32 v39, 0xfc, v1, vcc_lo
; %bb.17919:                            ;   in Loop: Header=BB6_14192 Depth=3
	s_or_b32 exec_lo, exec_lo, s73
.LBB6_17920:                            ;   in Loop: Header=BB6_14192 Depth=3
	s_delay_alu instid0(SALU_CYCLE_1) | instskip(SKIP_3) | instid1(VALU_DEP_2)
	s_or_b32 exec_lo, exec_lo, s13
	v_lshrrev_b16 v2, 8, v54
	v_dual_mov_b32 v1, 0 :: v_dual_mov_b32 v4, 0
	s_mov_b32 s73, exec_lo
	v_cmpx_ne_u16_e32 0, v2
	s_cbranch_execz .LBB6_17930
; %bb.17921:                            ;   in Loop: Header=BB6_14192 Depth=3
	v_bfrev_b32_e32 v4, 1
	s_mov_b32 s74, exec_lo
	v_cmpx_ne_u16_e32 0x80, v2
	s_cbranch_execz .LBB6_17929
; %bb.17922:                            ;   in Loop: Header=BB6_14192 Depth=3
	v_and_b32_e32 v5, 0xffff, v2
	s_delay_alu instid0(VALU_DEP_1) | instskip(SKIP_1) | instid1(VALU_DEP_2)
	v_and_b32_e32 v4, 0x7c, v5
	v_and_b32_e32 v3, 3, v5
	v_cmp_ne_u32_e32 vcc_lo, 0x7c, v4
                                        ; implicit-def: $vgpr4
	s_and_saveexec_b32 s13, vcc_lo
	s_delay_alu instid0(SALU_CYCLE_1)
	s_xor_b32 s13, exec_lo, s13
	s_cbranch_execz .LBB6_17926
; %bb.17923:                            ;   in Loop: Header=BB6_14192 Depth=3
	v_bfe_u32 v4, v5, 2, 5
	s_mov_b32 s75, exec_lo
	s_delay_alu instid0(VALU_DEP_1)
	v_cmpx_eq_u32_e32 0, v4
	s_cbranch_execz .LBB6_17925
; %bb.17924:                            ;   in Loop: Header=BB6_14192 Depth=3
	v_clz_i32_u32_e32 v3, v3
	s_delay_alu instid0(VALU_DEP_1) | instskip(SKIP_1) | instid1(VALU_DEP_2)
	v_min_u32_e32 v4, 32, v3
	v_mov_b32_e32 v3, v113
	v_subrev_nc_u32_e32 v5, 29, v4
	v_sub_nc_u32_e32 v4, 30, v4
	s_delay_alu instid0(VALU_DEP_2) | instskip(NEXT) | instid1(VALU_DEP_1)
	v_lshlrev_b64_e32 v[2:3], v5, v[2:3]
	v_and_b32_e32 v3, 3, v2
.LBB6_17925:                            ;   in Loop: Header=BB6_14192 Depth=3
	s_or_b32 exec_lo, exec_lo, s75
	v_lshlrev_b32_e32 v2, 16, v54
                                        ; implicit-def: $vgpr54
	s_delay_alu instid0(VALU_DEP_1) | instskip(NEXT) | instid1(VALU_DEP_1)
	v_and_b32_e32 v2, 0x80000000, v2
	v_lshl_add_u32 v2, v4, 23, v2
	s_delay_alu instid0(VALU_DEP_1) | instskip(NEXT) | instid1(VALU_DEP_1)
	v_lshl_or_b32 v2, v3, 21, v2
                                        ; implicit-def: $vgpr3
	v_add_nc_u32_e32 v4, 0x38000000, v2
.LBB6_17926:                            ;   in Loop: Header=BB6_14192 Depth=3
	s_and_not1_saveexec_b32 s75, s13
; %bb.17927:                            ;   in Loop: Header=BB6_14192 Depth=3
	v_cmp_lt_i16_e64 s13, -1, v54
	v_mov_b32_e32 v2, 0x7f800000
	v_cmp_eq_u32_e32 vcc_lo, 0, v3
	s_delay_alu instid0(VALU_DEP_2) | instskip(NEXT) | instid1(VALU_DEP_1)
	v_cndmask_b32_e64 v2, 0xff800000, v2, s13
	v_cndmask_b32_e32 v4, 0x7f800001, v2, vcc_lo
; %bb.17928:                            ;   in Loop: Header=BB6_14192 Depth=3
	s_or_b32 exec_lo, exec_lo, s75
.LBB6_17929:                            ;   in Loop: Header=BB6_14192 Depth=3
	s_delay_alu instid0(SALU_CYCLE_1)
	s_or_b32 exec_lo, exec_lo, s74
.LBB6_17930:                            ;   in Loop: Header=BB6_14192 Depth=3
	s_delay_alu instid0(SALU_CYCLE_1) | instskip(SKIP_2) | instid1(VALU_DEP_1)
	s_or_b32 exec_lo, exec_lo, s73
	v_lshrrev_b16 v2, 8, v15
	s_mov_b32 s73, exec_lo
	v_cmpx_ne_u16_e32 0, v2
	s_cbranch_execz .LBB6_17940
; %bb.17931:                            ;   in Loop: Header=BB6_14192 Depth=3
	v_bfrev_b32_e32 v1, 1
	s_mov_b32 s74, exec_lo
	v_cmpx_ne_u16_e32 0x80, v2
	s_cbranch_execz .LBB6_17939
; %bb.17932:                            ;   in Loop: Header=BB6_14192 Depth=3
	v_and_b32_e32 v5, 0xffff, v2
	s_delay_alu instid0(VALU_DEP_1) | instskip(SKIP_1) | instid1(VALU_DEP_2)
	v_and_b32_e32 v1, 0x7c, v5
	v_and_b32_e32 v3, 3, v5
	v_cmp_ne_u32_e32 vcc_lo, 0x7c, v1
                                        ; implicit-def: $vgpr1
	s_and_saveexec_b32 s13, vcc_lo
	s_delay_alu instid0(SALU_CYCLE_1)
	s_xor_b32 s13, exec_lo, s13
	s_cbranch_execz .LBB6_17936
; %bb.17933:                            ;   in Loop: Header=BB6_14192 Depth=3
	v_bfe_u32 v1, v5, 2, 5
	s_mov_b32 s75, exec_lo
	s_delay_alu instid0(VALU_DEP_1)
	v_cmpx_eq_u32_e32 0, v1
	s_cbranch_execz .LBB6_17935
; %bb.17934:                            ;   in Loop: Header=BB6_14192 Depth=3
	v_clz_i32_u32_e32 v1, v3
	s_delay_alu instid0(VALU_DEP_1) | instskip(SKIP_1) | instid1(VALU_DEP_2)
	v_min_u32_e32 v1, 32, v1
	v_mov_b32_e32 v3, v113
	v_subrev_nc_u32_e32 v5, 29, v1
	v_sub_nc_u32_e32 v1, 30, v1
	s_delay_alu instid0(VALU_DEP_2) | instskip(NEXT) | instid1(VALU_DEP_1)
	v_lshlrev_b64_e32 v[2:3], v5, v[2:3]
	v_and_b32_e32 v3, 3, v2
.LBB6_17935:                            ;   in Loop: Header=BB6_14192 Depth=3
	s_or_b32 exec_lo, exec_lo, s75
	v_lshlrev_b32_e32 v2, 16, v15
	s_delay_alu instid0(VALU_DEP_1) | instskip(NEXT) | instid1(VALU_DEP_1)
	v_and_b32_e32 v2, 0x80000000, v2
	v_lshl_add_u32 v1, v1, 23, v2
	s_delay_alu instid0(VALU_DEP_1) | instskip(NEXT) | instid1(VALU_DEP_1)
	v_lshl_or_b32 v1, v3, 21, v1
                                        ; implicit-def: $vgpr3
	v_add_nc_u32_e32 v1, 0x38000000, v1
.LBB6_17936:                            ;   in Loop: Header=BB6_14192 Depth=3
	s_and_not1_saveexec_b32 s75, s13
; %bb.17937:                            ;   in Loop: Header=BB6_14192 Depth=3
	v_cmp_lt_i16_e64 s13, -1, v15
	v_mov_b32_e32 v1, 0x7f800000
	v_cmp_eq_u32_e32 vcc_lo, 0, v3
	s_delay_alu instid0(VALU_DEP_2) | instskip(NEXT) | instid1(VALU_DEP_1)
	v_cndmask_b32_e64 v1, 0xff800000, v1, s13
	v_cndmask_b32_e32 v1, 0x7f800001, v1, vcc_lo
; %bb.17938:                            ;   in Loop: Header=BB6_14192 Depth=3
	s_or_b32 exec_lo, exec_lo, s75
.LBB6_17939:                            ;   in Loop: Header=BB6_14192 Depth=3
	s_delay_alu instid0(SALU_CYCLE_1)
	s_or_b32 exec_lo, exec_lo, s74
.LBB6_17940:                            ;   in Loop: Header=BB6_14192 Depth=3
	s_delay_alu instid0(SALU_CYCLE_1) | instskip(NEXT) | instid1(VALU_DEP_1)
	s_or_b32 exec_lo, exec_lo, s73
	v_dual_add_f32 v4, v4, v1 :: v_dual_mov_b32 v47, v113
	v_mov_b32_e32 v3, v113
                                        ; implicit-def: $vgpr54
	s_mov_b32 s13, exec_lo
	s_delay_alu instid0(VALU_DEP_2) | instskip(SKIP_2) | instid1(VALU_DEP_3)
	v_and_b32_e32 v46, 0x7f800000, v4
	v_and_b32_e32 v2, 0x7fffff, v4
	v_lshrrev_b32_e32 v1, 24, v4
	v_cmpx_ne_u64_e32 0x7f800000, v[46:47]
	s_xor_b32 s73, exec_lo, s13
	s_cbranch_execz .LBB6_17954
; %bb.17941:                            ;   in Loop: Header=BB6_14192 Depth=3
	v_and_b32_e32 v46, 0x7fffffff, v4
	v_mov_b32_e32 v47, v113
	v_and_b32_e32 v1, 0x80, v1
                                        ; implicit-def: $vgpr54
	s_mov_b32 s13, exec_lo
	s_delay_alu instid0(VALU_DEP_2)
	v_cmpx_gt_u64_e32 0x47600001, v[46:47]
	s_xor_b32 s74, exec_lo, s13
	s_cbranch_execz .LBB6_17951
; %bb.17942:                            ;   in Loop: Header=BB6_14192 Depth=3
	v_mov_b32_e32 v54, 0
	s_mov_b32 s75, exec_lo
	v_cmpx_ne_u32_e32 0, v4
	s_cbranch_execz .LBB6_17950
; %bb.17943:                            ;   in Loop: Header=BB6_14192 Depth=3
	v_bfe_u32 v54, v4, 23, 8
	v_or_b32_e32 v5, 0x800000, v2
	s_delay_alu instid0(VALU_DEP_2) | instskip(SKIP_2) | instid1(VALU_DEP_2)
	v_cmp_gt_u32_e64 s13, 0x72, v54
	v_sub_nc_u32_e32 v4, 0x71, v54
	v_cmp_eq_u32_e32 vcc_lo, 0, v54
	v_dual_cndmask_b32 v4, 0, v4, s13 :: v_dual_cndmask_b32 v2, v5, v2, vcc_lo
	s_delay_alu instid0(VALU_DEP_1) | instskip(NEXT) | instid1(VALU_DEP_1)
	v_cndmask_b32_e64 v66, v4, 0x70, vcc_lo
	v_dual_add_nc_u32 v4, 21, v66 :: v_dual_add_nc_u32 v69, 20, v66
	s_delay_alu instid0(VALU_DEP_1) | instskip(NEXT) | instid1(VALU_DEP_2)
	v_lshlrev_b64_e64 v[4:5], v4, -1
	v_lshlrev_b64_e64 v[46:47], v69, 1
	s_delay_alu instid0(VALU_DEP_2) | instskip(SKIP_1) | instid1(VALU_DEP_4)
	v_bfi_b32 v4, v4, 0, v2
	v_lshrrev_b64 v[2:3], v66, v[2:3]
	v_bfi_b32 v5, v5, 0, 0
	s_delay_alu instid0(VALU_DEP_1) | instskip(NEXT) | instid1(VALU_DEP_3)
	v_cmp_eq_u64_e64 s13, v[4:5], v[46:47]
	v_mov_b64_e32 v[4:5], v[2:3]
	s_and_saveexec_b32 s76, s13
; %bb.17944:                            ;   in Loop: Header=BB6_14192 Depth=3
	v_bfe_u32 v4, v2, 21, 1
	v_mov_b32_e32 v5, v113
	s_delay_alu instid0(VALU_DEP_1) | instskip(NEXT) | instid1(VALU_DEP_1)
	v_add_nc_u64_e32 v[4:5], v[2:3], v[4:5]
	v_add_nc_u64_e32 v[4:5], -1, v[4:5]
; %bb.17945:                            ;   in Loop: Header=BB6_14192 Depth=3
	s_or_b32 exec_lo, exec_lo, s76
	v_add_nc_u32_e32 v3, 0xffffff81, v54
	v_lshrrev_b32_e32 v5, 23, v2
	s_mov_b32 s13, exec_lo
	s_delay_alu instid0(VALU_DEP_2) | instskip(NEXT) | instid1(VALU_DEP_1)
	v_cndmask_b32_e64 v3, v3, 0xffffff82, vcc_lo
	v_add3_u32 v54, v66, v3, v5
	v_and_b32_e32 v3, 0x1fffff, v4
                                        ; implicit-def: $vgpr4
	s_delay_alu instid0(VALU_DEP_2) | instskip(NEXT) | instid1(VALU_DEP_2)
	v_add_nc_u32_e32 v5, 14, v54
	v_dual_mov_b32 v3, v113 :: v_dual_add_nc_u32 v2, v3, v2
	s_delay_alu instid0(VALU_DEP_2)
	v_cmpx_ne_u32_e32 0, v5
	s_xor_b32 s13, exec_lo, s13
; %bb.17946:                            ;   in Loop: Header=BB6_14192 Depth=3
	s_delay_alu instid0(VALU_DEP_2) | instskip(SKIP_1) | instid1(VALU_DEP_1)
	v_cmp_lt_u64_e32 vcc_lo, 0xffffff, v[2:3]
	v_add_nc_u32_e32 v4, 15, v54
	v_cndmask_b32_e32 v4, v5, v4, vcc_lo
	v_cndmask_b32_e64 v5, 0, 1, vcc_lo
	s_delay_alu instid0(VALU_DEP_1)
	v_lshrrev_b64 v[2:3], v5, v[2:3]
; %bb.17947:                            ;   in Loop: Header=BB6_14192 Depth=3
	s_and_not1_saveexec_b32 s13, s13
; %bb.17948:                            ;   in Loop: Header=BB6_14192 Depth=3
	s_delay_alu instid0(VALU_DEP_1)
	v_bfe_u32 v4, v2, 23, 1
; %bb.17949:                            ;   in Loop: Header=BB6_14192 Depth=3
	s_or_b32 exec_lo, exec_lo, s13
	s_delay_alu instid0(VALU_DEP_2) | instskip(NEXT) | instid1(VALU_DEP_2)
	v_lshrrev_b64 v[2:3], 21, v[2:3]
	v_cmp_gt_i32_e32 vcc_lo, 32, v4
	v_min_i32_e32 v5, 31, v4
	v_cmp_eq_u32_e64 s13, 0, v4
	s_delay_alu instid0(VALU_DEP_2) | instskip(SKIP_1) | instid1(VALU_DEP_2)
	v_dual_cndmask_b32 v3, 0, v3, vcc_lo :: v_dual_lshlrev_b32 v5, 2, v5
	v_cndmask_b32_e32 v2, 3, v2, vcc_lo
	v_and_b32_e32 v5, 0xfc, v5
	s_delay_alu instid0(VALU_DEP_2) | instskip(NEXT) | instid1(VALU_DEP_2)
	v_cmp_eq_u64_e32 vcc_lo, 0, v[2:3]
	v_and_or_b32 v2, v2, 3, v5
	s_and_b32 s13, s13, vcc_lo
	s_delay_alu instid0(VALU_DEP_1) | instid1(SALU_CYCLE_1)
	v_cndmask_b32_e64 v2, v2, 0, s13
	s_delay_alu instid0(VALU_DEP_1)
	v_or_b32_e32 v54, v2, v1
.LBB6_17950:                            ;   in Loop: Header=BB6_14192 Depth=3
	s_or_b32 exec_lo, exec_lo, s75
                                        ; implicit-def: $vgpr1
.LBB6_17951:                            ;   in Loop: Header=BB6_14192 Depth=3
	s_and_not1_saveexec_b32 s13, s74
; %bb.17952:                            ;   in Loop: Header=BB6_14192 Depth=3
	v_or_b32_e32 v54, 0x7b, v1
; %bb.17953:                            ;   in Loop: Header=BB6_14192 Depth=3
	s_or_b32 exec_lo, exec_lo, s13
                                        ; implicit-def: $vgpr4
                                        ; implicit-def: $vgpr2_vgpr3
                                        ; implicit-def: $vgpr1
.LBB6_17954:                            ;   in Loop: Header=BB6_14192 Depth=3
	s_and_not1_saveexec_b32 s13, s73
	s_cbranch_execz .LBB6_17960
; %bb.17955:                            ;   in Loop: Header=BB6_14192 Depth=3
	s_mov_b32 s73, exec_lo
                                        ; implicit-def: $vgpr54
	v_cmpx_ne_u64_e32 0, v[2:3]
	s_xor_b32 s73, exec_lo, s73
; %bb.17956:                            ;   in Loop: Header=BB6_14192 Depth=3
	v_or_b32_e32 v54, 0x7f, v1
                                        ; implicit-def: $vgpr4
; %bb.17957:                            ;   in Loop: Header=BB6_14192 Depth=3
	s_and_not1_saveexec_b32 s73, s73
; %bb.17958:                            ;   in Loop: Header=BB6_14192 Depth=3
	v_cmp_lt_i32_e32 vcc_lo, -1, v4
	v_mov_b32_e32 v1, 0x7c
	s_delay_alu instid0(VALU_DEP_1)
	v_cndmask_b32_e32 v54, 0xfc, v1, vcc_lo
; %bb.17959:                            ;   in Loop: Header=BB6_14192 Depth=3
	s_or_b32 exec_lo, exec_lo, s73
.LBB6_17960:                            ;   in Loop: Header=BB6_14192 Depth=3
	s_delay_alu instid0(SALU_CYCLE_1) | instskip(SKIP_3) | instid1(VALU_DEP_2)
	s_or_b32 exec_lo, exec_lo, s13
	v_dual_mov_b32 v1, 0 :: v_dual_lshrrev_b32 v2, 16, v0
	v_mov_b32_e32 v3, 0
	s_mov_b32 s73, exec_lo
	v_and_b32_e32 v4, 0xff, v2
	s_delay_alu instid0(VALU_DEP_1)
	v_cmpx_ne_u16_e32 0, v4
	s_cbranch_execz .LBB6_17970
; %bb.17961:                            ;   in Loop: Header=BB6_14192 Depth=3
	v_bfrev_b32_e32 v3, 1
	s_mov_b32 s74, exec_lo
	v_cmpx_ne_u16_e32 0x80, v4
	s_cbranch_execz .LBB6_17969
; %bb.17962:                            ;   in Loop: Header=BB6_14192 Depth=3
	v_and_b32_e32 v3, 0x7c0000, v0
	v_bfe_u32 v4, v0, 16, 2
	s_delay_alu instid0(VALU_DEP_2) | instskip(SKIP_1) | instid1(SALU_CYCLE_1)
	v_cmp_ne_u32_e32 vcc_lo, 0x7c0000, v3
                                        ; implicit-def: $vgpr3
	s_and_saveexec_b32 s13, vcc_lo
	s_xor_b32 s13, exec_lo, s13
	s_cbranch_execz .LBB6_17966
; %bb.17963:                            ;   in Loop: Header=BB6_14192 Depth=3
	v_bfe_u32 v3, v0, 18, 5
	s_mov_b32 s75, exec_lo
	s_delay_alu instid0(VALU_DEP_1)
	v_cmpx_eq_u32_e32 0, v3
; %bb.17964:                            ;   in Loop: Header=BB6_14192 Depth=3
	v_clz_i32_u32_e32 v3, v4
	s_delay_alu instid0(VALU_DEP_1) | instskip(NEXT) | instid1(VALU_DEP_1)
	v_min_u32_e32 v3, 32, v3
	v_subrev_nc_u32_e32 v4, 29, v3
	s_delay_alu instid0(VALU_DEP_1) | instskip(NEXT) | instid1(VALU_DEP_1)
	v_lshlrev_b64_e32 v[4:5], v4, v[2:3]
	v_dual_sub_nc_u32 v3, 30, v3 :: v_dual_bitop2_b32 v4, 3, v4 bitop3:0x40
; %bb.17965:                            ;   in Loop: Header=BB6_14192 Depth=3
	s_or_b32 exec_lo, exec_lo, s75
	v_lshlrev_b32_e32 v2, 24, v2
	s_delay_alu instid0(VALU_DEP_1) | instskip(NEXT) | instid1(VALU_DEP_1)
	v_and_b32_e32 v2, 0x80000000, v2
	v_lshl_add_u32 v2, v3, 23, v2
	s_delay_alu instid0(VALU_DEP_1) | instskip(NEXT) | instid1(VALU_DEP_1)
	v_lshl_or_b32 v2, v4, 21, v2
                                        ; implicit-def: $vgpr4
	v_add_nc_u32_e32 v3, 0x38000000, v2
                                        ; implicit-def: $vgpr2
.LBB6_17966:                            ;   in Loop: Header=BB6_14192 Depth=3
	s_and_not1_saveexec_b32 s75, s13
; %bb.17967:                            ;   in Loop: Header=BB6_14192 Depth=3
	v_bfe_i32 v2, v2, 0, 8
	v_cmp_eq_u32_e32 vcc_lo, 0, v4
	s_delay_alu instid0(VALU_DEP_2) | instskip(SKIP_1) | instid1(VALU_DEP_1)
	v_cmp_lt_i16_e64 s13, -1, v2
	v_mov_b32_e32 v2, 0x7f800000
	v_cndmask_b32_e64 v2, 0xff800000, v2, s13
	s_delay_alu instid0(VALU_DEP_1)
	v_cndmask_b32_e32 v3, 0x7f800001, v2, vcc_lo
; %bb.17968:                            ;   in Loop: Header=BB6_14192 Depth=3
	s_or_b32 exec_lo, exec_lo, s75
.LBB6_17969:                            ;   in Loop: Header=BB6_14192 Depth=3
	s_delay_alu instid0(SALU_CYCLE_1)
	s_or_b32 exec_lo, exec_lo, s74
.LBB6_17970:                            ;   in Loop: Header=BB6_14192 Depth=3
	s_delay_alu instid0(SALU_CYCLE_1) | instskip(SKIP_2) | instid1(VALU_DEP_1)
	s_or_b32 exec_lo, exec_lo, s73
	v_lshrrev_b32_e32 v2, 16, v15
	s_mov_b32 s73, exec_lo
	v_and_b32_e32 v4, 0xff, v2
	s_delay_alu instid0(VALU_DEP_1)
	v_cmpx_ne_u16_e32 0, v4
	s_cbranch_execz .LBB6_17980
; %bb.17971:                            ;   in Loop: Header=BB6_14192 Depth=3
	v_bfrev_b32_e32 v1, 1
	s_mov_b32 s74, exec_lo
	v_cmpx_ne_u16_e32 0x80, v4
	s_cbranch_execz .LBB6_17979
; %bb.17972:                            ;   in Loop: Header=BB6_14192 Depth=3
	v_and_b32_e32 v1, 0x7c0000, v15
	v_bfe_u32 v4, v15, 16, 2
	s_delay_alu instid0(VALU_DEP_2) | instskip(SKIP_1) | instid1(SALU_CYCLE_1)
	v_cmp_ne_u32_e32 vcc_lo, 0x7c0000, v1
                                        ; implicit-def: $vgpr1
	s_and_saveexec_b32 s13, vcc_lo
	s_xor_b32 s13, exec_lo, s13
	s_cbranch_execz .LBB6_17976
; %bb.17973:                            ;   in Loop: Header=BB6_14192 Depth=3
	v_bfe_u32 v1, v15, 18, 5
	s_mov_b32 s75, exec_lo
	s_delay_alu instid0(VALU_DEP_1)
	v_cmpx_eq_u32_e32 0, v1
; %bb.17974:                            ;   in Loop: Header=BB6_14192 Depth=3
	v_clz_i32_u32_e32 v1, v4
	s_delay_alu instid0(VALU_DEP_1) | instskip(NEXT) | instid1(VALU_DEP_1)
	v_min_u32_e32 v1, 32, v1
	v_subrev_nc_u32_e32 v4, 29, v1
	s_delay_alu instid0(VALU_DEP_1) | instskip(NEXT) | instid1(VALU_DEP_1)
	v_lshlrev_b64_e32 v[4:5], v4, v[2:3]
	v_dual_sub_nc_u32 v1, 30, v1 :: v_dual_bitop2_b32 v4, 3, v4 bitop3:0x40
; %bb.17975:                            ;   in Loop: Header=BB6_14192 Depth=3
	s_or_b32 exec_lo, exec_lo, s75
	v_lshlrev_b32_e32 v2, 24, v2
	s_delay_alu instid0(VALU_DEP_1) | instskip(NEXT) | instid1(VALU_DEP_1)
	v_and_b32_e32 v2, 0x80000000, v2
	v_lshl_add_u32 v1, v1, 23, v2
                                        ; implicit-def: $vgpr2
	s_delay_alu instid0(VALU_DEP_1) | instskip(NEXT) | instid1(VALU_DEP_1)
	v_lshl_or_b32 v1, v4, 21, v1
                                        ; implicit-def: $vgpr4
	v_add_nc_u32_e32 v1, 0x38000000, v1
.LBB6_17976:                            ;   in Loop: Header=BB6_14192 Depth=3
	s_and_not1_saveexec_b32 s75, s13
; %bb.17977:                            ;   in Loop: Header=BB6_14192 Depth=3
	v_bfe_i32 v1, v2, 0, 8
	v_cmp_eq_u32_e32 vcc_lo, 0, v4
	s_delay_alu instid0(VALU_DEP_2) | instskip(SKIP_1) | instid1(VALU_DEP_1)
	v_cmp_lt_i16_e64 s13, -1, v1
	v_mov_b32_e32 v1, 0x7f800000
	v_cndmask_b32_e64 v1, 0xff800000, v1, s13
	s_delay_alu instid0(VALU_DEP_1)
	v_cndmask_b32_e32 v1, 0x7f800001, v1, vcc_lo
; %bb.17978:                            ;   in Loop: Header=BB6_14192 Depth=3
	s_or_b32 exec_lo, exec_lo, s75
.LBB6_17979:                            ;   in Loop: Header=BB6_14192 Depth=3
	s_delay_alu instid0(SALU_CYCLE_1)
	s_or_b32 exec_lo, exec_lo, s74
.LBB6_17980:                            ;   in Loop: Header=BB6_14192 Depth=3
	s_delay_alu instid0(SALU_CYCLE_1) | instskip(NEXT) | instid1(VALU_DEP_1)
	s_or_b32 exec_lo, exec_lo, s73
	v_dual_add_f32 v4, v3, v1 :: v_dual_mov_b32 v47, v113
	v_mov_b32_e32 v3, v113
                                        ; implicit-def: $vgpr66
	s_mov_b32 s13, exec_lo
	s_delay_alu instid0(VALU_DEP_2) | instskip(SKIP_2) | instid1(VALU_DEP_3)
	v_and_b32_e32 v46, 0x7f800000, v4
	v_and_b32_e32 v2, 0x7fffff, v4
	v_lshrrev_b32_e32 v1, 24, v4
	v_cmpx_ne_u64_e32 0x7f800000, v[46:47]
	s_xor_b32 s73, exec_lo, s13
	s_cbranch_execz .LBB6_17994
; %bb.17981:                            ;   in Loop: Header=BB6_14192 Depth=3
	v_and_b32_e32 v46, 0x7fffffff, v4
	v_mov_b32_e32 v47, v113
	v_and_b32_e32 v1, 0x80, v1
                                        ; implicit-def: $vgpr66
	s_mov_b32 s13, exec_lo
	s_delay_alu instid0(VALU_DEP_2)
	v_cmpx_gt_u64_e32 0x47600001, v[46:47]
	s_xor_b32 s74, exec_lo, s13
	s_cbranch_execz .LBB6_17991
; %bb.17982:                            ;   in Loop: Header=BB6_14192 Depth=3
	v_mov_b32_e32 v66, 0
	s_mov_b32 s75, exec_lo
	v_cmpx_ne_u32_e32 0, v4
	s_cbranch_execz .LBB6_17990
; %bb.17983:                            ;   in Loop: Header=BB6_14192 Depth=3
	v_bfe_u32 v66, v4, 23, 8
	v_or_b32_e32 v5, 0x800000, v2
	s_delay_alu instid0(VALU_DEP_2) | instskip(SKIP_2) | instid1(VALU_DEP_2)
	v_cmp_gt_u32_e64 s13, 0x72, v66
	v_sub_nc_u32_e32 v4, 0x71, v66
	v_cmp_eq_u32_e32 vcc_lo, 0, v66
	v_dual_cndmask_b32 v4, 0, v4, s13 :: v_dual_cndmask_b32 v2, v5, v2, vcc_lo
	s_delay_alu instid0(VALU_DEP_1) | instskip(NEXT) | instid1(VALU_DEP_1)
	v_cndmask_b32_e64 v69, v4, 0x70, vcc_lo
	v_dual_add_nc_u32 v4, 21, v69 :: v_dual_add_nc_u32 v81, 20, v69
	s_delay_alu instid0(VALU_DEP_1) | instskip(NEXT) | instid1(VALU_DEP_2)
	v_lshlrev_b64_e64 v[4:5], v4, -1
	v_lshlrev_b64_e64 v[46:47], v81, 1
	s_delay_alu instid0(VALU_DEP_2) | instskip(SKIP_1) | instid1(VALU_DEP_4)
	v_bfi_b32 v4, v4, 0, v2
	v_lshrrev_b64 v[2:3], v69, v[2:3]
	v_bfi_b32 v5, v5, 0, 0
	s_delay_alu instid0(VALU_DEP_1) | instskip(NEXT) | instid1(VALU_DEP_3)
	v_cmp_eq_u64_e64 s13, v[4:5], v[46:47]
	v_mov_b64_e32 v[4:5], v[2:3]
	s_and_saveexec_b32 s76, s13
; %bb.17984:                            ;   in Loop: Header=BB6_14192 Depth=3
	v_bfe_u32 v4, v2, 21, 1
	v_mov_b32_e32 v5, v113
	s_delay_alu instid0(VALU_DEP_1) | instskip(NEXT) | instid1(VALU_DEP_1)
	v_add_nc_u64_e32 v[4:5], v[2:3], v[4:5]
	v_add_nc_u64_e32 v[4:5], -1, v[4:5]
; %bb.17985:                            ;   in Loop: Header=BB6_14192 Depth=3
	s_or_b32 exec_lo, exec_lo, s76
	v_add_nc_u32_e32 v3, 0xffffff81, v66
	v_lshrrev_b32_e32 v5, 23, v2
	s_mov_b32 s13, exec_lo
	s_delay_alu instid0(VALU_DEP_2) | instskip(NEXT) | instid1(VALU_DEP_1)
	v_cndmask_b32_e64 v3, v3, 0xffffff82, vcc_lo
	v_add3_u32 v66, v69, v3, v5
	v_and_b32_e32 v3, 0x1fffff, v4
                                        ; implicit-def: $vgpr4
	s_delay_alu instid0(VALU_DEP_2) | instskip(NEXT) | instid1(VALU_DEP_2)
	v_add_nc_u32_e32 v5, 14, v66
	v_dual_mov_b32 v3, v113 :: v_dual_add_nc_u32 v2, v3, v2
	s_delay_alu instid0(VALU_DEP_2)
	v_cmpx_ne_u32_e32 0, v5
	s_xor_b32 s13, exec_lo, s13
; %bb.17986:                            ;   in Loop: Header=BB6_14192 Depth=3
	s_delay_alu instid0(VALU_DEP_2) | instskip(SKIP_1) | instid1(VALU_DEP_1)
	v_cmp_lt_u64_e32 vcc_lo, 0xffffff, v[2:3]
	v_add_nc_u32_e32 v4, 15, v66
	v_cndmask_b32_e32 v4, v5, v4, vcc_lo
	v_cndmask_b32_e64 v5, 0, 1, vcc_lo
	s_delay_alu instid0(VALU_DEP_1)
	v_lshrrev_b64 v[2:3], v5, v[2:3]
; %bb.17987:                            ;   in Loop: Header=BB6_14192 Depth=3
	s_and_not1_saveexec_b32 s13, s13
; %bb.17988:                            ;   in Loop: Header=BB6_14192 Depth=3
	s_delay_alu instid0(VALU_DEP_1)
	v_bfe_u32 v4, v2, 23, 1
; %bb.17989:                            ;   in Loop: Header=BB6_14192 Depth=3
	s_or_b32 exec_lo, exec_lo, s13
	s_delay_alu instid0(VALU_DEP_2) | instskip(NEXT) | instid1(VALU_DEP_2)
	v_lshrrev_b64 v[2:3], 21, v[2:3]
	v_cmp_gt_i32_e32 vcc_lo, 32, v4
	v_min_i32_e32 v5, 31, v4
	v_cmp_eq_u32_e64 s13, 0, v4
	s_delay_alu instid0(VALU_DEP_2) | instskip(SKIP_1) | instid1(VALU_DEP_2)
	v_dual_cndmask_b32 v3, 0, v3, vcc_lo :: v_dual_lshlrev_b32 v5, 2, v5
	v_cndmask_b32_e32 v2, 3, v2, vcc_lo
	v_and_b32_e32 v5, 0xfc, v5
	s_delay_alu instid0(VALU_DEP_2) | instskip(NEXT) | instid1(VALU_DEP_2)
	v_cmp_eq_u64_e32 vcc_lo, 0, v[2:3]
	v_and_or_b32 v2, v2, 3, v5
	s_and_b32 s13, s13, vcc_lo
	s_delay_alu instid0(VALU_DEP_1) | instid1(SALU_CYCLE_1)
	v_cndmask_b32_e64 v2, v2, 0, s13
	s_delay_alu instid0(VALU_DEP_1)
	v_or_b32_e32 v66, v2, v1
.LBB6_17990:                            ;   in Loop: Header=BB6_14192 Depth=3
	s_or_b32 exec_lo, exec_lo, s75
                                        ; implicit-def: $vgpr1
.LBB6_17991:                            ;   in Loop: Header=BB6_14192 Depth=3
	s_and_not1_saveexec_b32 s13, s74
; %bb.17992:                            ;   in Loop: Header=BB6_14192 Depth=3
	v_or_b32_e32 v66, 0x7b, v1
; %bb.17993:                            ;   in Loop: Header=BB6_14192 Depth=3
	s_or_b32 exec_lo, exec_lo, s13
                                        ; implicit-def: $vgpr4
                                        ; implicit-def: $vgpr2_vgpr3
                                        ; implicit-def: $vgpr1
.LBB6_17994:                            ;   in Loop: Header=BB6_14192 Depth=3
	s_and_not1_saveexec_b32 s13, s73
	s_cbranch_execz .LBB6_18000
; %bb.17995:                            ;   in Loop: Header=BB6_14192 Depth=3
	s_mov_b32 s73, exec_lo
                                        ; implicit-def: $vgpr66
	v_cmpx_ne_u64_e32 0, v[2:3]
	s_xor_b32 s73, exec_lo, s73
; %bb.17996:                            ;   in Loop: Header=BB6_14192 Depth=3
	v_or_b32_e32 v66, 0x7f, v1
                                        ; implicit-def: $vgpr4
; %bb.17997:                            ;   in Loop: Header=BB6_14192 Depth=3
	s_and_not1_saveexec_b32 s73, s73
; %bb.17998:                            ;   in Loop: Header=BB6_14192 Depth=3
	v_cmp_lt_i32_e32 vcc_lo, -1, v4
	v_mov_b32_e32 v1, 0x7c
	s_delay_alu instid0(VALU_DEP_1)
	v_cndmask_b32_e32 v66, 0xfc, v1, vcc_lo
; %bb.17999:                            ;   in Loop: Header=BB6_14192 Depth=3
	s_or_b32 exec_lo, exec_lo, s73
.LBB6_18000:                            ;   in Loop: Header=BB6_14192 Depth=3
	s_delay_alu instid0(SALU_CYCLE_1)
	s_or_b32 exec_lo, exec_lo, s13
	v_dual_mov_b32 v3, 0 :: v_dual_mov_b32 v4, 0
	s_mov_b32 s73, exec_lo
	v_cmpx_lt_u32_e32 0xffffff, v0
	s_cbranch_execz .LBB6_18010
; %bb.18001:                            ;   in Loop: Header=BB6_14192 Depth=3
	v_lshrrev_b32_e32 v2, 24, v0
	v_bfrev_b32_e32 v4, 1
	s_mov_b32 s74, exec_lo
	s_delay_alu instid0(VALU_DEP_2)
	v_cmpx_ne_u32_e32 0x80, v2
	s_cbranch_execz .LBB6_18009
; %bb.18002:                            ;   in Loop: Header=BB6_14192 Depth=3
	v_and_b32_e32 v1, 0x7c000000, v0
	v_bfe_u32 v5, v0, 24, 2
	s_mov_b32 s13, exec_lo
                                        ; implicit-def: $vgpr4
	s_delay_alu instid0(VALU_DEP_2)
	v_cmpx_ne_u32_e32 0x7c000000, v1
	s_xor_b32 s13, exec_lo, s13
	s_cbranch_execz .LBB6_18006
; %bb.18003:                            ;   in Loop: Header=BB6_14192 Depth=3
	v_bfe_u32 v1, v0, 26, 5
	s_mov_b32 s75, exec_lo
	s_delay_alu instid0(VALU_DEP_1)
	v_cmpx_eq_u32_e32 0, v1
; %bb.18004:                            ;   in Loop: Header=BB6_14192 Depth=3
	v_clz_i32_u32_e32 v1, v5
	s_delay_alu instid0(VALU_DEP_1) | instskip(NEXT) | instid1(VALU_DEP_1)
	v_min_u32_e32 v1, 32, v1
	v_subrev_nc_u32_e32 v4, 29, v1
	s_delay_alu instid0(VALU_DEP_1) | instskip(NEXT) | instid1(VALU_DEP_1)
	v_lshlrev_b64_e32 v[4:5], v4, v[2:3]
	v_dual_sub_nc_u32 v1, 30, v1 :: v_dual_bitop2_b32 v5, 3, v4 bitop3:0x40
; %bb.18005:                            ;   in Loop: Header=BB6_14192 Depth=3
	s_or_b32 exec_lo, exec_lo, s75
	v_and_b32_e32 v0, 0x80000000, v0
	s_delay_alu instid0(VALU_DEP_1) | instskip(NEXT) | instid1(VALU_DEP_1)
	v_lshl_add_u32 v0, v1, 23, v0
	v_lshl_or_b32 v0, v5, 21, v0
                                        ; implicit-def: $vgpr5
	s_delay_alu instid0(VALU_DEP_1)
	v_add_nc_u32_e32 v4, 0x38000000, v0
                                        ; implicit-def: $vgpr0_vgpr1
.LBB6_18006:                            ;   in Loop: Header=BB6_14192 Depth=3
	s_and_not1_saveexec_b32 s75, s13
; %bb.18007:                            ;   in Loop: Header=BB6_14192 Depth=3
	v_cmp_lt_i32_e64 s13, -1, v0
	v_mov_b32_e32 v0, 0x7f800000
	v_cmp_eq_u32_e32 vcc_lo, 0, v5
	s_delay_alu instid0(VALU_DEP_2) | instskip(NEXT) | instid1(VALU_DEP_1)
	v_cndmask_b32_e64 v0, 0xff800000, v0, s13
	v_cndmask_b32_e32 v4, 0x7f800001, v0, vcc_lo
; %bb.18008:                            ;   in Loop: Header=BB6_14192 Depth=3
	s_or_b32 exec_lo, exec_lo, s75
.LBB6_18009:                            ;   in Loop: Header=BB6_14192 Depth=3
	s_delay_alu instid0(SALU_CYCLE_1)
	s_or_b32 exec_lo, exec_lo, s74
.LBB6_18010:                            ;   in Loop: Header=BB6_14192 Depth=3
	s_delay_alu instid0(SALU_CYCLE_1) | instskip(NEXT) | instid1(SALU_CYCLE_1)
	s_or_b32 exec_lo, exec_lo, s73
	s_mov_b32 s73, exec_lo
	v_cmpx_lt_u64_e64 s[22:23], v[14:15]
	s_cbranch_execz .LBB6_18020
; %bb.18011:                            ;   in Loop: Header=BB6_14192 Depth=3
	v_lshrrev_b32_e32 v0, 24, v15
	v_bfrev_b32_e32 v3, 1
	s_mov_b32 s74, exec_lo
	s_delay_alu instid0(VALU_DEP_2)
	v_cmpx_ne_u32_e32 0x80, v0
	s_cbranch_execz .LBB6_18019
; %bb.18012:                            ;   in Loop: Header=BB6_14192 Depth=3
	v_and_b32_e32 v2, 0x7c000000, v15
	v_bfe_u32 v1, v15, 24, 2
	s_mov_b32 s13, exec_lo
                                        ; implicit-def: $vgpr3
	s_delay_alu instid0(VALU_DEP_2)
	v_cmpx_ne_u32_e32 0x7c000000, v2
	s_xor_b32 s13, exec_lo, s13
	s_cbranch_execz .LBB6_18016
; %bb.18013:                            ;   in Loop: Header=BB6_14192 Depth=3
	v_bfe_u32 v2, v15, 26, 5
	s_mov_b32 s75, exec_lo
	s_delay_alu instid0(VALU_DEP_1)
	v_cmpx_eq_u32_e32 0, v2
; %bb.18014:                            ;   in Loop: Header=BB6_14192 Depth=3
	v_clz_i32_u32_e32 v1, v1
	s_delay_alu instid0(VALU_DEP_1) | instskip(NEXT) | instid1(VALU_DEP_1)
	v_min_u32_e32 v2, 32, v1
	v_subrev_nc_u32_e32 v1, 29, v2
	s_delay_alu instid0(VALU_DEP_1) | instskip(NEXT) | instid1(VALU_DEP_1)
	v_lshlrev_b64_e32 v[0:1], v1, v[0:1]
	v_dual_sub_nc_u32 v2, 30, v2 :: v_dual_bitop2_b32 v1, 3, v0 bitop3:0x40
; %bb.18015:                            ;   in Loop: Header=BB6_14192 Depth=3
	s_or_b32 exec_lo, exec_lo, s75
	v_and_b32_e32 v0, 0x80000000, v15
                                        ; implicit-def: $vgpr14_vgpr15
	s_delay_alu instid0(VALU_DEP_1) | instskip(NEXT) | instid1(VALU_DEP_1)
	v_lshl_add_u32 v0, v2, 23, v0
	v_lshl_or_b32 v0, v1, 21, v0
                                        ; implicit-def: $vgpr1
	s_delay_alu instid0(VALU_DEP_1)
	v_add_nc_u32_e32 v3, 0x38000000, v0
.LBB6_18016:                            ;   in Loop: Header=BB6_14192 Depth=3
	s_and_not1_saveexec_b32 s75, s13
; %bb.18017:                            ;   in Loop: Header=BB6_14192 Depth=3
	v_cmp_lt_i64_e64 s13, -1, v[14:15]
	v_mov_b32_e32 v0, 0x7f800000
	v_cmp_eq_u32_e32 vcc_lo, 0, v1
	s_delay_alu instid0(VALU_DEP_2) | instskip(NEXT) | instid1(VALU_DEP_1)
	v_cndmask_b32_e64 v0, 0xff800000, v0, s13
	v_cndmask_b32_e32 v3, 0x7f800001, v0, vcc_lo
; %bb.18018:                            ;   in Loop: Header=BB6_14192 Depth=3
	s_or_b32 exec_lo, exec_lo, s75
.LBB6_18019:                            ;   in Loop: Header=BB6_14192 Depth=3
	s_delay_alu instid0(SALU_CYCLE_1)
	s_or_b32 exec_lo, exec_lo, s74
.LBB6_18020:                            ;   in Loop: Header=BB6_14192 Depth=3
	s_delay_alu instid0(SALU_CYCLE_1) | instskip(NEXT) | instid1(VALU_DEP_1)
	s_or_b32 exec_lo, exec_lo, s73
	v_dual_add_f32 v2, v4, v3 :: v_dual_mov_b32 v5, v113
	v_mov_b32_e32 v1, v113
                                        ; implicit-def: $vgpr14
	s_mov_b32 s13, exec_lo
	s_delay_alu instid0(VALU_DEP_2) | instskip(SKIP_2) | instid1(VALU_DEP_3)
	v_and_b32_e32 v4, 0x7f800000, v2
	v_and_b32_e32 v0, 0x7fffff, v2
	v_lshrrev_b32_e32 v3, 24, v2
	v_cmpx_ne_u64_e32 0x7f800000, v[4:5]
	s_xor_b32 s73, exec_lo, s13
	s_cbranch_execz .LBB6_18034
; %bb.18021:                            ;   in Loop: Header=BB6_14192 Depth=3
	v_and_b32_e32 v4, 0x7fffffff, v2
	v_mov_b32_e32 v5, v113
                                        ; implicit-def: $vgpr14
	s_delay_alu instid0(VALU_DEP_1) | instskip(SKIP_2) | instid1(SALU_CYCLE_1)
	v_cmp_gt_u64_e32 vcc_lo, 0x47600001, v[4:5]
	v_and_b32_e32 v4, 0x80, v3
	s_and_saveexec_b32 s13, vcc_lo
	s_xor_b32 s74, exec_lo, s13
	s_cbranch_execz .LBB6_18031
; %bb.18022:                            ;   in Loop: Header=BB6_14192 Depth=3
	v_mov_b32_e32 v14, 0
	s_mov_b32 s75, exec_lo
	v_cmpx_ne_u32_e32 0, v2
	s_cbranch_execz .LBB6_18030
; %bb.18023:                            ;   in Loop: Header=BB6_14192 Depth=3
	v_bfe_u32 v5, v2, 23, 8
	v_or_b32_e32 v3, 0x800000, v0
	s_delay_alu instid0(VALU_DEP_2) | instskip(SKIP_2) | instid1(VALU_DEP_2)
	v_cmp_gt_u32_e64 s13, 0x72, v5
	v_sub_nc_u32_e32 v2, 0x71, v5
	v_cmp_eq_u32_e32 vcc_lo, 0, v5
	v_dual_cndmask_b32 v2, 0, v2, s13 :: v_dual_cndmask_b32 v0, v3, v0, vcc_lo
	s_delay_alu instid0(VALU_DEP_1) | instskip(NEXT) | instid1(VALU_DEP_1)
	v_cndmask_b32_e64 v14, v2, 0x70, vcc_lo
	v_dual_add_nc_u32 v2, 21, v14 :: v_dual_add_nc_u32 v15, 20, v14
	s_delay_alu instid0(VALU_DEP_1) | instskip(NEXT) | instid1(VALU_DEP_2)
	v_lshlrev_b64_e64 v[2:3], v2, -1
	v_lshlrev_b64_e64 v[46:47], v15, 1
	s_delay_alu instid0(VALU_DEP_2) | instskip(SKIP_1) | instid1(VALU_DEP_4)
	v_bfi_b32 v2, v2, 0, v0
	v_lshrrev_b64 v[0:1], v14, v[0:1]
	v_bfi_b32 v3, v3, 0, 0
	s_delay_alu instid0(VALU_DEP_1) | instskip(NEXT) | instid1(VALU_DEP_3)
	v_cmp_eq_u64_e64 s13, v[2:3], v[46:47]
	v_mov_b64_e32 v[2:3], v[0:1]
	s_and_saveexec_b32 s76, s13
; %bb.18024:                            ;   in Loop: Header=BB6_14192 Depth=3
	v_bfe_u32 v2, v0, 21, 1
	v_mov_b32_e32 v3, v113
	s_delay_alu instid0(VALU_DEP_1) | instskip(NEXT) | instid1(VALU_DEP_1)
	v_add_nc_u64_e32 v[2:3], v[0:1], v[2:3]
	v_add_nc_u64_e32 v[2:3], -1, v[2:3]
; %bb.18025:                            ;   in Loop: Header=BB6_14192 Depth=3
	s_or_b32 exec_lo, exec_lo, s76
	v_add_nc_u32_e32 v1, 0xffffff81, v5
	v_lshrrev_b32_e32 v3, 23, v0
	s_mov_b32 s13, exec_lo
	s_delay_alu instid0(VALU_DEP_2) | instskip(NEXT) | instid1(VALU_DEP_1)
	v_cndmask_b32_e64 v1, v1, 0xffffff82, vcc_lo
	v_add3_u32 v5, v14, v1, v3
	v_and_b32_e32 v1, 0x1fffff, v2
                                        ; implicit-def: $vgpr2
	s_delay_alu instid0(VALU_DEP_1) | instskip(SKIP_1) | instid1(VALU_DEP_2)
	v_dual_add_nc_u32 v3, 14, v5 :: v_dual_add_nc_u32 v0, v1, v0
	v_mov_b32_e32 v1, v113
	v_cmpx_ne_u32_e32 0, v3
	s_xor_b32 s13, exec_lo, s13
; %bb.18026:                            ;   in Loop: Header=BB6_14192 Depth=3
	s_delay_alu instid0(VALU_DEP_2) | instskip(SKIP_1) | instid1(VALU_DEP_1)
	v_cmp_lt_u64_e32 vcc_lo, 0xffffff, v[0:1]
	v_add_nc_u32_e32 v2, 15, v5
	v_cndmask_b32_e32 v2, v3, v2, vcc_lo
	v_cndmask_b32_e64 v3, 0, 1, vcc_lo
	s_delay_alu instid0(VALU_DEP_1)
	v_lshrrev_b64 v[0:1], v3, v[0:1]
; %bb.18027:                            ;   in Loop: Header=BB6_14192 Depth=3
	s_and_not1_saveexec_b32 s13, s13
; %bb.18028:                            ;   in Loop: Header=BB6_14192 Depth=3
	s_delay_alu instid0(VALU_DEP_1)
	v_bfe_u32 v2, v0, 23, 1
; %bb.18029:                            ;   in Loop: Header=BB6_14192 Depth=3
	s_or_b32 exec_lo, exec_lo, s13
	s_delay_alu instid0(VALU_DEP_2) | instskip(NEXT) | instid1(VALU_DEP_2)
	v_lshrrev_b64 v[0:1], 21, v[0:1]
	v_cmp_gt_i32_e32 vcc_lo, 32, v2
	v_min_i32_e32 v3, 31, v2
	v_cmp_eq_u32_e64 s13, 0, v2
	s_delay_alu instid0(VALU_DEP_2) | instskip(SKIP_1) | instid1(VALU_DEP_2)
	v_dual_cndmask_b32 v1, 0, v1, vcc_lo :: v_dual_lshlrev_b32 v3, 2, v3
	v_cndmask_b32_e32 v0, 3, v0, vcc_lo
	v_and_b32_e32 v3, 0xfc, v3
	s_delay_alu instid0(VALU_DEP_2) | instskip(NEXT) | instid1(VALU_DEP_2)
	v_cmp_eq_u64_e32 vcc_lo, 0, v[0:1]
	v_and_or_b32 v0, v0, 3, v3
	s_and_b32 s13, s13, vcc_lo
	s_delay_alu instid0(VALU_DEP_1) | instid1(SALU_CYCLE_1)
	v_cndmask_b32_e64 v0, v0, 0, s13
	s_delay_alu instid0(VALU_DEP_1)
	v_or_b32_e32 v14, v0, v4
.LBB6_18030:                            ;   in Loop: Header=BB6_14192 Depth=3
	s_or_b32 exec_lo, exec_lo, s75
                                        ; implicit-def: $vgpr4
.LBB6_18031:                            ;   in Loop: Header=BB6_14192 Depth=3
	s_and_not1_saveexec_b32 s13, s74
; %bb.18032:                            ;   in Loop: Header=BB6_14192 Depth=3
	v_or_b32_e32 v14, 0x7b, v4
; %bb.18033:                            ;   in Loop: Header=BB6_14192 Depth=3
	s_or_b32 exec_lo, exec_lo, s13
                                        ; implicit-def: $vgpr2
                                        ; implicit-def: $vgpr0_vgpr1
                                        ; implicit-def: $vgpr3
.LBB6_18034:                            ;   in Loop: Header=BB6_14192 Depth=3
	s_and_not1_saveexec_b32 s13, s73
	s_cbranch_execz .LBB6_18040
; %bb.18035:                            ;   in Loop: Header=BB6_14192 Depth=3
	s_mov_b32 s73, exec_lo
                                        ; implicit-def: $vgpr14
	v_cmpx_ne_u64_e32 0, v[0:1]
	s_xor_b32 s73, exec_lo, s73
; %bb.18036:                            ;   in Loop: Header=BB6_14192 Depth=3
	v_or_b32_e32 v14, 0x7f, v3
                                        ; implicit-def: $vgpr2
; %bb.18037:                            ;   in Loop: Header=BB6_14192 Depth=3
	s_and_not1_saveexec_b32 s73, s73
; %bb.18038:                            ;   in Loop: Header=BB6_14192 Depth=3
	v_cmp_lt_i32_e32 vcc_lo, -1, v2
	v_mov_b32_e32 v0, 0x7c
	s_delay_alu instid0(VALU_DEP_1)
	v_cndmask_b32_e32 v14, 0xfc, v0, vcc_lo
; %bb.18039:                            ;   in Loop: Header=BB6_14192 Depth=3
	s_or_b32 exec_lo, exec_lo, s73
.LBB6_18040:                            ;   in Loop: Header=BB6_14192 Depth=3
	s_delay_alu instid0(SALU_CYCLE_1) | instskip(SKIP_4) | instid1(VALU_DEP_2)
	s_or_b32 exec_lo, exec_lo, s13
	v_lshl_or_b32 v49, v49, 8, v35
	v_dual_lshlrev_b32 v0, 16, v53 :: v_dual_lshlrev_b32 v2, 24, v64
	v_dual_mov_b32 v1, v113 :: v_dual_mov_b32 v3, 0
	s_mov_b32 s73, exec_lo
	v_or3_b32 v0, v0, v2, v49
	v_mov_b32_e32 v2, 0
	v_cmpx_ne_u32_e32 0, v35
	s_cbranch_execz .LBB6_18050
; %bb.18041:                            ;   in Loop: Header=BB6_14192 Depth=3
	v_bfrev_b32_e32 v3, 1
	s_mov_b32 s74, exec_lo
	v_cmpx_ne_u32_e32 0x80, v35
	s_cbranch_execz .LBB6_18049
; %bb.18042:                            ;   in Loop: Header=BB6_14192 Depth=3
	v_and_b32_e32 v3, 0x7c, v35
	v_and_b32_e32 v4, 3, v35
	s_delay_alu instid0(VALU_DEP_2) | instskip(SKIP_1) | instid1(SALU_CYCLE_1)
	v_cmp_ne_u32_e32 vcc_lo, 0x7c, v3
                                        ; implicit-def: $vgpr3
	s_and_saveexec_b32 s13, vcc_lo
	s_xor_b32 s13, exec_lo, s13
	s_cbranch_execz .LBB6_18046
; %bb.18043:                            ;   in Loop: Header=BB6_14192 Depth=3
	v_bfe_u32 v3, v35, 2, 5
	s_mov_b32 s75, exec_lo
	s_delay_alu instid0(VALU_DEP_1)
	v_cmpx_eq_u32_e32 0, v3
; %bb.18044:                            ;   in Loop: Header=BB6_14192 Depth=3
	v_clz_i32_u32_e32 v3, v4
	s_delay_alu instid0(VALU_DEP_1) | instskip(NEXT) | instid1(VALU_DEP_1)
	v_min_u32_e32 v3, 32, v3
	v_subrev_nc_u32_e32 v4, 29, v3
	s_delay_alu instid0(VALU_DEP_1) | instskip(NEXT) | instid1(VALU_DEP_1)
	v_lshlrev_b64_e32 v[4:5], v4, v[0:1]
	v_dual_sub_nc_u32 v3, 30, v3 :: v_dual_bitop2_b32 v4, 3, v4 bitop3:0x40
; %bb.18045:                            ;   in Loop: Header=BB6_14192 Depth=3
	s_or_b32 exec_lo, exec_lo, s75
	v_lshlrev_b32_e32 v1, 24, v35
                                        ; implicit-def: $vgpr35
	s_delay_alu instid0(VALU_DEP_1) | instskip(NEXT) | instid1(VALU_DEP_1)
	v_and_b32_e32 v1, 0x80000000, v1
	v_lshl_add_u32 v1, v3, 23, v1
	s_delay_alu instid0(VALU_DEP_1) | instskip(NEXT) | instid1(VALU_DEP_1)
	v_lshl_or_b32 v1, v4, 21, v1
                                        ; implicit-def: $vgpr4
	v_add_nc_u32_e32 v3, 0x38000000, v1
.LBB6_18046:                            ;   in Loop: Header=BB6_14192 Depth=3
	s_and_not1_saveexec_b32 s75, s13
; %bb.18047:                            ;   in Loop: Header=BB6_14192 Depth=3
	v_and_b32_e32 v1, 0x80, v35
	v_cmp_eq_u32_e32 vcc_lo, 0, v4
	s_delay_alu instid0(VALU_DEP_2) | instskip(SKIP_1) | instid1(VALU_DEP_1)
	v_cmp_eq_u32_e64 s13, 0, v1
	v_mov_b32_e32 v1, 0x7f800000
	v_cndmask_b32_e64 v1, 0xff800000, v1, s13
	s_delay_alu instid0(VALU_DEP_1)
	v_cndmask_b32_e32 v3, 0x7f800001, v1, vcc_lo
; %bb.18048:                            ;   in Loop: Header=BB6_14192 Depth=3
	s_or_b32 exec_lo, exec_lo, s75
.LBB6_18049:                            ;   in Loop: Header=BB6_14192 Depth=3
	s_delay_alu instid0(SALU_CYCLE_1)
	s_or_b32 exec_lo, exec_lo, s74
.LBB6_18050:                            ;   in Loop: Header=BB6_14192 Depth=3
	s_delay_alu instid0(SALU_CYCLE_1) | instskip(SKIP_3) | instid1(VALU_DEP_1)
	s_or_b32 exec_lo, exec_lo, s73
	s_wait_loadcnt 0x0
	v_and_b32_e32 v1, 0xff, v8
	s_mov_b32 s73, exec_lo
	v_cmpx_ne_u16_e32 0, v1
	s_cbranch_execz .LBB6_18060
; %bb.18051:                            ;   in Loop: Header=BB6_14192 Depth=3
	v_bfe_i32 v4, v8, 0, 8
	v_bfrev_b32_e32 v2, 1
	s_mov_b32 s74, exec_lo
	s_delay_alu instid0(VALU_DEP_2)
	v_cmpx_ne_u16_e32 0xff80, v4
	s_cbranch_execz .LBB6_18059
; %bb.18052:                            ;   in Loop: Header=BB6_14192 Depth=3
	v_and_b32_e32 v2, 0x7c, v8
	v_and_b32_e32 v1, 3, v8
	s_delay_alu instid0(VALU_DEP_2) | instskip(SKIP_1) | instid1(SALU_CYCLE_1)
	v_cmp_ne_u32_e32 vcc_lo, 0x7c, v2
                                        ; implicit-def: $vgpr2
	s_and_saveexec_b32 s13, vcc_lo
	s_xor_b32 s13, exec_lo, s13
	s_cbranch_execz .LBB6_18056
; %bb.18053:                            ;   in Loop: Header=BB6_14192 Depth=3
	v_bfe_u32 v2, v8, 2, 5
	s_mov_b32 s75, exec_lo
	s_delay_alu instid0(VALU_DEP_1)
	v_cmpx_eq_u32_e32 0, v2
; %bb.18054:                            ;   in Loop: Header=BB6_14192 Depth=3
	v_clz_i32_u32_e32 v1, v1
	s_delay_alu instid0(VALU_DEP_1) | instskip(NEXT) | instid1(VALU_DEP_1)
	v_min_u32_e32 v1, 32, v1
	v_subrev_nc_u32_e32 v2, 29, v1
	s_delay_alu instid0(VALU_DEP_1) | instskip(NEXT) | instid1(VALU_DEP_1)
	v_lshlrev_b64_e32 v[4:5], v2, v[8:9]
	v_dual_sub_nc_u32 v2, 30, v1 :: v_dual_bitop2_b32 v1, 3, v4 bitop3:0x40
; %bb.18055:                            ;   in Loop: Header=BB6_14192 Depth=3
	s_or_b32 exec_lo, exec_lo, s75
	v_lshlrev_b32_e32 v4, 24, v8
	s_delay_alu instid0(VALU_DEP_1) | instskip(NEXT) | instid1(VALU_DEP_1)
	v_and_b32_e32 v4, 0x80000000, v4
	v_lshl_add_u32 v2, v2, 23, v4
                                        ; implicit-def: $vgpr4
	s_delay_alu instid0(VALU_DEP_1) | instskip(NEXT) | instid1(VALU_DEP_1)
	v_lshl_or_b32 v1, v1, 21, v2
	v_add_nc_u32_e32 v2, 0x38000000, v1
                                        ; implicit-def: $vgpr1
.LBB6_18056:                            ;   in Loop: Header=BB6_14192 Depth=3
	s_and_not1_saveexec_b32 s75, s13
; %bb.18057:                            ;   in Loop: Header=BB6_14192 Depth=3
	v_cmp_eq_u32_e32 vcc_lo, 0, v1
	v_cmp_lt_i16_e64 s13, -1, v4
	v_mov_b32_e32 v1, 0x7f800000
	s_delay_alu instid0(VALU_DEP_1) | instskip(NEXT) | instid1(VALU_DEP_1)
	v_cndmask_b32_e64 v1, 0xff800000, v1, s13
	v_cndmask_b32_e32 v2, 0x7f800001, v1, vcc_lo
; %bb.18058:                            ;   in Loop: Header=BB6_14192 Depth=3
	s_or_b32 exec_lo, exec_lo, s75
.LBB6_18059:                            ;   in Loop: Header=BB6_14192 Depth=3
	s_delay_alu instid0(SALU_CYCLE_1)
	s_or_b32 exec_lo, exec_lo, s74
.LBB6_18060:                            ;   in Loop: Header=BB6_14192 Depth=3
	s_delay_alu instid0(SALU_CYCLE_1) | instskip(NEXT) | instid1(VALU_DEP_1)
	s_or_b32 exec_lo, exec_lo, s73
	v_dual_add_f32 v4, v3, v2 :: v_dual_mov_b32 v47, v113
	v_mov_b32_e32 v3, v113
                                        ; implicit-def: $vgpr15
	s_mov_b32 s13, exec_lo
	s_delay_alu instid0(VALU_DEP_2) | instskip(SKIP_2) | instid1(VALU_DEP_3)
	v_and_b32_e32 v46, 0x7f800000, v4
	v_and_b32_e32 v2, 0x7fffff, v4
	v_lshrrev_b32_e32 v1, 24, v4
	v_cmpx_ne_u64_e32 0x7f800000, v[46:47]
	s_xor_b32 s73, exec_lo, s13
	s_cbranch_execz .LBB6_18074
; %bb.18061:                            ;   in Loop: Header=BB6_14192 Depth=3
	v_and_b32_e32 v46, 0x7fffffff, v4
	v_mov_b32_e32 v47, v113
	v_and_b32_e32 v1, 0x80, v1
                                        ; implicit-def: $vgpr15
	s_mov_b32 s13, exec_lo
	s_delay_alu instid0(VALU_DEP_2)
	v_cmpx_gt_u64_e32 0x47600001, v[46:47]
	s_xor_b32 s74, exec_lo, s13
	s_cbranch_execz .LBB6_18071
; %bb.18062:                            ;   in Loop: Header=BB6_14192 Depth=3
	v_mov_b32_e32 v15, 0
	s_mov_b32 s75, exec_lo
	v_cmpx_ne_u32_e32 0, v4
	s_cbranch_execz .LBB6_18070
; %bb.18063:                            ;   in Loop: Header=BB6_14192 Depth=3
	v_bfe_u32 v15, v4, 23, 8
	v_or_b32_e32 v5, 0x800000, v2
	s_delay_alu instid0(VALU_DEP_2) | instskip(SKIP_2) | instid1(VALU_DEP_2)
	v_cmp_gt_u32_e64 s13, 0x72, v15
	v_sub_nc_u32_e32 v4, 0x71, v15
	v_cmp_eq_u32_e32 vcc_lo, 0, v15
	v_dual_cndmask_b32 v4, 0, v4, s13 :: v_dual_cndmask_b32 v2, v5, v2, vcc_lo
	s_delay_alu instid0(VALU_DEP_1) | instskip(NEXT) | instid1(VALU_DEP_1)
	v_cndmask_b32_e64 v35, v4, 0x70, vcc_lo
	v_dual_add_nc_u32 v4, 21, v35 :: v_dual_add_nc_u32 v53, 20, v35
	s_delay_alu instid0(VALU_DEP_1) | instskip(NEXT) | instid1(VALU_DEP_2)
	v_lshlrev_b64_e64 v[4:5], v4, -1
	v_lshlrev_b64_e64 v[46:47], v53, 1
	s_delay_alu instid0(VALU_DEP_2) | instskip(SKIP_1) | instid1(VALU_DEP_4)
	v_bfi_b32 v4, v4, 0, v2
	v_lshrrev_b64 v[2:3], v35, v[2:3]
	v_bfi_b32 v5, v5, 0, 0
	s_delay_alu instid0(VALU_DEP_1) | instskip(NEXT) | instid1(VALU_DEP_3)
	v_cmp_eq_u64_e64 s13, v[4:5], v[46:47]
	v_mov_b64_e32 v[4:5], v[2:3]
	s_and_saveexec_b32 s76, s13
; %bb.18064:                            ;   in Loop: Header=BB6_14192 Depth=3
	v_bfe_u32 v4, v2, 21, 1
	v_mov_b32_e32 v5, v113
	s_delay_alu instid0(VALU_DEP_1) | instskip(NEXT) | instid1(VALU_DEP_1)
	v_add_nc_u64_e32 v[4:5], v[2:3], v[4:5]
	v_add_nc_u64_e32 v[4:5], -1, v[4:5]
; %bb.18065:                            ;   in Loop: Header=BB6_14192 Depth=3
	s_or_b32 exec_lo, exec_lo, s76
	v_add_nc_u32_e32 v3, 0xffffff81, v15
	v_lshrrev_b32_e32 v5, 23, v2
	s_mov_b32 s13, exec_lo
	s_delay_alu instid0(VALU_DEP_2) | instskip(NEXT) | instid1(VALU_DEP_1)
	v_cndmask_b32_e64 v3, v3, 0xffffff82, vcc_lo
	v_add3_u32 v15, v35, v3, v5
	v_and_b32_e32 v3, 0x1fffff, v4
                                        ; implicit-def: $vgpr4
	s_delay_alu instid0(VALU_DEP_1) | instskip(SKIP_1) | instid1(VALU_DEP_2)
	v_dual_add_nc_u32 v5, 14, v15 :: v_dual_add_nc_u32 v2, v3, v2
	v_mov_b32_e32 v3, v113
	v_cmpx_ne_u32_e32 0, v5
	s_xor_b32 s13, exec_lo, s13
; %bb.18066:                            ;   in Loop: Header=BB6_14192 Depth=3
	s_delay_alu instid0(VALU_DEP_2) | instskip(SKIP_1) | instid1(VALU_DEP_1)
	v_cmp_lt_u64_e32 vcc_lo, 0xffffff, v[2:3]
	v_add_nc_u32_e32 v4, 15, v15
	v_cndmask_b32_e32 v4, v5, v4, vcc_lo
	v_cndmask_b32_e64 v5, 0, 1, vcc_lo
	s_delay_alu instid0(VALU_DEP_1)
	v_lshrrev_b64 v[2:3], v5, v[2:3]
; %bb.18067:                            ;   in Loop: Header=BB6_14192 Depth=3
	s_and_not1_saveexec_b32 s13, s13
; %bb.18068:                            ;   in Loop: Header=BB6_14192 Depth=3
	s_delay_alu instid0(VALU_DEP_1)
	v_bfe_u32 v4, v2, 23, 1
; %bb.18069:                            ;   in Loop: Header=BB6_14192 Depth=3
	s_or_b32 exec_lo, exec_lo, s13
	s_delay_alu instid0(VALU_DEP_2) | instskip(NEXT) | instid1(VALU_DEP_2)
	v_lshrrev_b64 v[2:3], 21, v[2:3]
	v_cmp_gt_i32_e32 vcc_lo, 32, v4
	v_min_i32_e32 v5, 31, v4
	v_cmp_eq_u32_e64 s13, 0, v4
	s_delay_alu instid0(VALU_DEP_2) | instskip(SKIP_1) | instid1(VALU_DEP_2)
	v_dual_cndmask_b32 v3, 0, v3, vcc_lo :: v_dual_lshlrev_b32 v5, 2, v5
	v_cndmask_b32_e32 v2, 3, v2, vcc_lo
	v_and_b32_e32 v5, 0xfc, v5
	s_delay_alu instid0(VALU_DEP_2) | instskip(NEXT) | instid1(VALU_DEP_2)
	v_cmp_eq_u64_e32 vcc_lo, 0, v[2:3]
	v_and_or_b32 v2, v2, 3, v5
	s_and_b32 s13, s13, vcc_lo
	s_delay_alu instid0(VALU_DEP_1) | instid1(SALU_CYCLE_1)
	v_cndmask_b32_e64 v2, v2, 0, s13
	s_delay_alu instid0(VALU_DEP_1)
	v_or_b32_e32 v15, v2, v1
.LBB6_18070:                            ;   in Loop: Header=BB6_14192 Depth=3
	s_or_b32 exec_lo, exec_lo, s75
                                        ; implicit-def: $vgpr1
.LBB6_18071:                            ;   in Loop: Header=BB6_14192 Depth=3
	s_and_not1_saveexec_b32 s13, s74
; %bb.18072:                            ;   in Loop: Header=BB6_14192 Depth=3
	v_or_b32_e32 v15, 0x7b, v1
; %bb.18073:                            ;   in Loop: Header=BB6_14192 Depth=3
	s_or_b32 exec_lo, exec_lo, s13
                                        ; implicit-def: $vgpr4
                                        ; implicit-def: $vgpr2_vgpr3
                                        ; implicit-def: $vgpr1
.LBB6_18074:                            ;   in Loop: Header=BB6_14192 Depth=3
	s_and_not1_saveexec_b32 s13, s73
	s_cbranch_execz .LBB6_18080
; %bb.18075:                            ;   in Loop: Header=BB6_14192 Depth=3
	s_mov_b32 s73, exec_lo
                                        ; implicit-def: $vgpr15
	v_cmpx_ne_u64_e32 0, v[2:3]
	s_xor_b32 s73, exec_lo, s73
; %bb.18076:                            ;   in Loop: Header=BB6_14192 Depth=3
	v_or_b32_e32 v15, 0x7f, v1
                                        ; implicit-def: $vgpr4
; %bb.18077:                            ;   in Loop: Header=BB6_14192 Depth=3
	s_and_not1_saveexec_b32 s73, s73
; %bb.18078:                            ;   in Loop: Header=BB6_14192 Depth=3
	v_cmp_lt_i32_e32 vcc_lo, -1, v4
	v_mov_b32_e32 v1, 0x7c
	s_delay_alu instid0(VALU_DEP_1)
	v_cndmask_b32_e32 v15, 0xfc, v1, vcc_lo
; %bb.18079:                            ;   in Loop: Header=BB6_14192 Depth=3
	s_or_b32 exec_lo, exec_lo, s73
.LBB6_18080:                            ;   in Loop: Header=BB6_14192 Depth=3
	s_delay_alu instid0(SALU_CYCLE_1) | instskip(SKIP_3) | instid1(VALU_DEP_2)
	s_or_b32 exec_lo, exec_lo, s13
	v_lshrrev_b16 v2, 8, v49
	v_dual_mov_b32 v1, 0 :: v_dual_mov_b32 v4, 0
	s_mov_b32 s73, exec_lo
	v_cmpx_ne_u16_e32 0, v2
	s_cbranch_execz .LBB6_18090
; %bb.18081:                            ;   in Loop: Header=BB6_14192 Depth=3
	v_bfrev_b32_e32 v4, 1
	s_mov_b32 s74, exec_lo
	v_cmpx_ne_u16_e32 0x80, v2
	s_cbranch_execz .LBB6_18089
; %bb.18082:                            ;   in Loop: Header=BB6_14192 Depth=3
	v_and_b32_e32 v5, 0xffff, v2
	s_delay_alu instid0(VALU_DEP_1) | instskip(SKIP_1) | instid1(VALU_DEP_2)
	v_and_b32_e32 v4, 0x7c, v5
	v_and_b32_e32 v3, 3, v5
	v_cmp_ne_u32_e32 vcc_lo, 0x7c, v4
                                        ; implicit-def: $vgpr4
	s_and_saveexec_b32 s13, vcc_lo
	s_delay_alu instid0(SALU_CYCLE_1)
	s_xor_b32 s13, exec_lo, s13
	s_cbranch_execz .LBB6_18086
; %bb.18083:                            ;   in Loop: Header=BB6_14192 Depth=3
	v_bfe_u32 v4, v5, 2, 5
	s_mov_b32 s75, exec_lo
	s_delay_alu instid0(VALU_DEP_1)
	v_cmpx_eq_u32_e32 0, v4
	s_cbranch_execz .LBB6_18085
; %bb.18084:                            ;   in Loop: Header=BB6_14192 Depth=3
	v_clz_i32_u32_e32 v3, v3
	s_delay_alu instid0(VALU_DEP_1) | instskip(SKIP_1) | instid1(VALU_DEP_2)
	v_min_u32_e32 v4, 32, v3
	v_mov_b32_e32 v3, v113
	v_subrev_nc_u32_e32 v5, 29, v4
	v_sub_nc_u32_e32 v4, 30, v4
	s_delay_alu instid0(VALU_DEP_2) | instskip(NEXT) | instid1(VALU_DEP_1)
	v_lshlrev_b64_e32 v[2:3], v5, v[2:3]
	v_and_b32_e32 v3, 3, v2
.LBB6_18085:                            ;   in Loop: Header=BB6_14192 Depth=3
	s_or_b32 exec_lo, exec_lo, s75
	v_lshlrev_b32_e32 v2, 16, v49
                                        ; implicit-def: $vgpr49
	s_delay_alu instid0(VALU_DEP_1) | instskip(NEXT) | instid1(VALU_DEP_1)
	v_and_b32_e32 v2, 0x80000000, v2
	v_lshl_add_u32 v2, v4, 23, v2
	s_delay_alu instid0(VALU_DEP_1) | instskip(NEXT) | instid1(VALU_DEP_1)
	v_lshl_or_b32 v2, v3, 21, v2
                                        ; implicit-def: $vgpr3
	v_add_nc_u32_e32 v4, 0x38000000, v2
.LBB6_18086:                            ;   in Loop: Header=BB6_14192 Depth=3
	s_and_not1_saveexec_b32 s75, s13
; %bb.18087:                            ;   in Loop: Header=BB6_14192 Depth=3
	v_cmp_lt_i16_e64 s13, -1, v49
	v_mov_b32_e32 v2, 0x7f800000
	v_cmp_eq_u32_e32 vcc_lo, 0, v3
	s_delay_alu instid0(VALU_DEP_2) | instskip(NEXT) | instid1(VALU_DEP_1)
	v_cndmask_b32_e64 v2, 0xff800000, v2, s13
	v_cndmask_b32_e32 v4, 0x7f800001, v2, vcc_lo
; %bb.18088:                            ;   in Loop: Header=BB6_14192 Depth=3
	s_or_b32 exec_lo, exec_lo, s75
.LBB6_18089:                            ;   in Loop: Header=BB6_14192 Depth=3
	s_delay_alu instid0(SALU_CYCLE_1)
	s_or_b32 exec_lo, exec_lo, s74
.LBB6_18090:                            ;   in Loop: Header=BB6_14192 Depth=3
	s_delay_alu instid0(SALU_CYCLE_1) | instskip(SKIP_2) | instid1(VALU_DEP_1)
	s_or_b32 exec_lo, exec_lo, s73
	v_lshrrev_b16 v2, 8, v8
	s_mov_b32 s73, exec_lo
	v_cmpx_ne_u16_e32 0, v2
	s_cbranch_execz .LBB6_18100
; %bb.18091:                            ;   in Loop: Header=BB6_14192 Depth=3
	v_bfrev_b32_e32 v1, 1
	s_mov_b32 s74, exec_lo
	v_cmpx_ne_u16_e32 0x80, v2
	s_cbranch_execz .LBB6_18099
; %bb.18092:                            ;   in Loop: Header=BB6_14192 Depth=3
	v_and_b32_e32 v5, 0xffff, v2
	s_delay_alu instid0(VALU_DEP_1) | instskip(SKIP_1) | instid1(VALU_DEP_2)
	v_and_b32_e32 v1, 0x7c, v5
	v_and_b32_e32 v3, 3, v5
	v_cmp_ne_u32_e32 vcc_lo, 0x7c, v1
                                        ; implicit-def: $vgpr1
	s_and_saveexec_b32 s13, vcc_lo
	s_delay_alu instid0(SALU_CYCLE_1)
	s_xor_b32 s13, exec_lo, s13
	s_cbranch_execz .LBB6_18096
; %bb.18093:                            ;   in Loop: Header=BB6_14192 Depth=3
	v_bfe_u32 v1, v5, 2, 5
	s_mov_b32 s75, exec_lo
	s_delay_alu instid0(VALU_DEP_1)
	v_cmpx_eq_u32_e32 0, v1
	s_cbranch_execz .LBB6_18095
; %bb.18094:                            ;   in Loop: Header=BB6_14192 Depth=3
	v_clz_i32_u32_e32 v1, v3
	s_delay_alu instid0(VALU_DEP_1) | instskip(SKIP_1) | instid1(VALU_DEP_2)
	v_min_u32_e32 v1, 32, v1
	v_mov_b32_e32 v3, v113
	v_subrev_nc_u32_e32 v5, 29, v1
	v_sub_nc_u32_e32 v1, 30, v1
	s_delay_alu instid0(VALU_DEP_2) | instskip(NEXT) | instid1(VALU_DEP_1)
	v_lshlrev_b64_e32 v[2:3], v5, v[2:3]
	v_and_b32_e32 v3, 3, v2
.LBB6_18095:                            ;   in Loop: Header=BB6_14192 Depth=3
	s_or_b32 exec_lo, exec_lo, s75
	v_lshlrev_b32_e32 v2, 16, v8
	s_delay_alu instid0(VALU_DEP_1) | instskip(NEXT) | instid1(VALU_DEP_1)
	v_and_b32_e32 v2, 0x80000000, v2
	v_lshl_add_u32 v1, v1, 23, v2
	s_delay_alu instid0(VALU_DEP_1) | instskip(NEXT) | instid1(VALU_DEP_1)
	v_lshl_or_b32 v1, v3, 21, v1
                                        ; implicit-def: $vgpr3
	v_add_nc_u32_e32 v1, 0x38000000, v1
.LBB6_18096:                            ;   in Loop: Header=BB6_14192 Depth=3
	s_and_not1_saveexec_b32 s75, s13
; %bb.18097:                            ;   in Loop: Header=BB6_14192 Depth=3
	v_cmp_lt_i16_e64 s13, -1, v8
	v_mov_b32_e32 v1, 0x7f800000
	v_cmp_eq_u32_e32 vcc_lo, 0, v3
	s_delay_alu instid0(VALU_DEP_2) | instskip(NEXT) | instid1(VALU_DEP_1)
	v_cndmask_b32_e64 v1, 0xff800000, v1, s13
	v_cndmask_b32_e32 v1, 0x7f800001, v1, vcc_lo
; %bb.18098:                            ;   in Loop: Header=BB6_14192 Depth=3
	s_or_b32 exec_lo, exec_lo, s75
.LBB6_18099:                            ;   in Loop: Header=BB6_14192 Depth=3
	s_delay_alu instid0(SALU_CYCLE_1)
	s_or_b32 exec_lo, exec_lo, s74
.LBB6_18100:                            ;   in Loop: Header=BB6_14192 Depth=3
	s_delay_alu instid0(SALU_CYCLE_1) | instskip(NEXT) | instid1(VALU_DEP_1)
	s_or_b32 exec_lo, exec_lo, s73
	v_dual_add_f32 v4, v4, v1 :: v_dual_mov_b32 v47, v113
	v_mov_b32_e32 v3, v113
                                        ; implicit-def: $vgpr35
	s_mov_b32 s13, exec_lo
	s_delay_alu instid0(VALU_DEP_2) | instskip(SKIP_2) | instid1(VALU_DEP_3)
	v_and_b32_e32 v46, 0x7f800000, v4
	v_and_b32_e32 v2, 0x7fffff, v4
	v_lshrrev_b32_e32 v1, 24, v4
	v_cmpx_ne_u64_e32 0x7f800000, v[46:47]
	s_xor_b32 s73, exec_lo, s13
	s_cbranch_execz .LBB6_18114
; %bb.18101:                            ;   in Loop: Header=BB6_14192 Depth=3
	v_and_b32_e32 v46, 0x7fffffff, v4
	v_mov_b32_e32 v47, v113
	v_and_b32_e32 v1, 0x80, v1
                                        ; implicit-def: $vgpr35
	s_mov_b32 s13, exec_lo
	s_delay_alu instid0(VALU_DEP_2)
	v_cmpx_gt_u64_e32 0x47600001, v[46:47]
	s_xor_b32 s74, exec_lo, s13
	s_cbranch_execz .LBB6_18111
; %bb.18102:                            ;   in Loop: Header=BB6_14192 Depth=3
	v_mov_b32_e32 v35, 0
	s_mov_b32 s75, exec_lo
	v_cmpx_ne_u32_e32 0, v4
	s_cbranch_execz .LBB6_18110
; %bb.18103:                            ;   in Loop: Header=BB6_14192 Depth=3
	v_bfe_u32 v35, v4, 23, 8
	v_or_b32_e32 v5, 0x800000, v2
	s_delay_alu instid0(VALU_DEP_2) | instskip(SKIP_2) | instid1(VALU_DEP_2)
	v_cmp_gt_u32_e64 s13, 0x72, v35
	v_sub_nc_u32_e32 v4, 0x71, v35
	v_cmp_eq_u32_e32 vcc_lo, 0, v35
	v_dual_cndmask_b32 v4, 0, v4, s13 :: v_dual_cndmask_b32 v2, v5, v2, vcc_lo
	s_delay_alu instid0(VALU_DEP_1) | instskip(NEXT) | instid1(VALU_DEP_1)
	v_cndmask_b32_e64 v49, v4, 0x70, vcc_lo
	v_dual_add_nc_u32 v4, 21, v49 :: v_dual_add_nc_u32 v53, 20, v49
	s_delay_alu instid0(VALU_DEP_1) | instskip(NEXT) | instid1(VALU_DEP_2)
	v_lshlrev_b64_e64 v[4:5], v4, -1
	v_lshlrev_b64_e64 v[46:47], v53, 1
	s_delay_alu instid0(VALU_DEP_2) | instskip(SKIP_1) | instid1(VALU_DEP_4)
	v_bfi_b32 v4, v4, 0, v2
	v_lshrrev_b64 v[2:3], v49, v[2:3]
	v_bfi_b32 v5, v5, 0, 0
	s_delay_alu instid0(VALU_DEP_1) | instskip(NEXT) | instid1(VALU_DEP_3)
	v_cmp_eq_u64_e64 s13, v[4:5], v[46:47]
	v_mov_b64_e32 v[4:5], v[2:3]
	s_and_saveexec_b32 s76, s13
; %bb.18104:                            ;   in Loop: Header=BB6_14192 Depth=3
	v_bfe_u32 v4, v2, 21, 1
	v_mov_b32_e32 v5, v113
	s_delay_alu instid0(VALU_DEP_1) | instskip(NEXT) | instid1(VALU_DEP_1)
	v_add_nc_u64_e32 v[4:5], v[2:3], v[4:5]
	v_add_nc_u64_e32 v[4:5], -1, v[4:5]
; %bb.18105:                            ;   in Loop: Header=BB6_14192 Depth=3
	s_or_b32 exec_lo, exec_lo, s76
	v_add_nc_u32_e32 v3, 0xffffff81, v35
	v_lshrrev_b32_e32 v5, 23, v2
	s_mov_b32 s13, exec_lo
	s_delay_alu instid0(VALU_DEP_2) | instskip(NEXT) | instid1(VALU_DEP_1)
	v_cndmask_b32_e64 v3, v3, 0xffffff82, vcc_lo
	v_add3_u32 v35, v49, v3, v5
	v_and_b32_e32 v3, 0x1fffff, v4
                                        ; implicit-def: $vgpr4
	s_delay_alu instid0(VALU_DEP_1) | instskip(SKIP_1) | instid1(VALU_DEP_2)
	v_dual_add_nc_u32 v5, 14, v35 :: v_dual_add_nc_u32 v2, v3, v2
	v_mov_b32_e32 v3, v113
	v_cmpx_ne_u32_e32 0, v5
	s_xor_b32 s13, exec_lo, s13
; %bb.18106:                            ;   in Loop: Header=BB6_14192 Depth=3
	s_delay_alu instid0(VALU_DEP_2) | instskip(SKIP_1) | instid1(VALU_DEP_1)
	v_cmp_lt_u64_e32 vcc_lo, 0xffffff, v[2:3]
	v_add_nc_u32_e32 v4, 15, v35
	v_cndmask_b32_e32 v4, v5, v4, vcc_lo
	v_cndmask_b32_e64 v5, 0, 1, vcc_lo
	s_delay_alu instid0(VALU_DEP_1)
	v_lshrrev_b64 v[2:3], v5, v[2:3]
; %bb.18107:                            ;   in Loop: Header=BB6_14192 Depth=3
	s_and_not1_saveexec_b32 s13, s13
; %bb.18108:                            ;   in Loop: Header=BB6_14192 Depth=3
	s_delay_alu instid0(VALU_DEP_1)
	v_bfe_u32 v4, v2, 23, 1
; %bb.18109:                            ;   in Loop: Header=BB6_14192 Depth=3
	s_or_b32 exec_lo, exec_lo, s13
	s_delay_alu instid0(VALU_DEP_2) | instskip(NEXT) | instid1(VALU_DEP_2)
	v_lshrrev_b64 v[2:3], 21, v[2:3]
	v_cmp_gt_i32_e32 vcc_lo, 32, v4
	v_min_i32_e32 v5, 31, v4
	v_cmp_eq_u32_e64 s13, 0, v4
	s_delay_alu instid0(VALU_DEP_2) | instskip(SKIP_1) | instid1(VALU_DEP_2)
	v_dual_cndmask_b32 v3, 0, v3, vcc_lo :: v_dual_lshlrev_b32 v5, 2, v5
	v_cndmask_b32_e32 v2, 3, v2, vcc_lo
	v_and_b32_e32 v5, 0xfc, v5
	s_delay_alu instid0(VALU_DEP_2) | instskip(NEXT) | instid1(VALU_DEP_2)
	v_cmp_eq_u64_e32 vcc_lo, 0, v[2:3]
	v_and_or_b32 v2, v2, 3, v5
	s_and_b32 s13, s13, vcc_lo
	s_delay_alu instid0(VALU_DEP_1) | instid1(SALU_CYCLE_1)
	v_cndmask_b32_e64 v2, v2, 0, s13
	s_delay_alu instid0(VALU_DEP_1)
	v_or_b32_e32 v35, v2, v1
.LBB6_18110:                            ;   in Loop: Header=BB6_14192 Depth=3
	s_or_b32 exec_lo, exec_lo, s75
                                        ; implicit-def: $vgpr1
.LBB6_18111:                            ;   in Loop: Header=BB6_14192 Depth=3
	s_and_not1_saveexec_b32 s13, s74
; %bb.18112:                            ;   in Loop: Header=BB6_14192 Depth=3
	v_or_b32_e32 v35, 0x7b, v1
; %bb.18113:                            ;   in Loop: Header=BB6_14192 Depth=3
	s_or_b32 exec_lo, exec_lo, s13
                                        ; implicit-def: $vgpr4
                                        ; implicit-def: $vgpr2_vgpr3
                                        ; implicit-def: $vgpr1
.LBB6_18114:                            ;   in Loop: Header=BB6_14192 Depth=3
	s_and_not1_saveexec_b32 s13, s73
	s_cbranch_execz .LBB6_18120
; %bb.18115:                            ;   in Loop: Header=BB6_14192 Depth=3
	s_mov_b32 s73, exec_lo
                                        ; implicit-def: $vgpr35
	v_cmpx_ne_u64_e32 0, v[2:3]
	s_xor_b32 s73, exec_lo, s73
; %bb.18116:                            ;   in Loop: Header=BB6_14192 Depth=3
	v_or_b32_e32 v35, 0x7f, v1
                                        ; implicit-def: $vgpr4
; %bb.18117:                            ;   in Loop: Header=BB6_14192 Depth=3
	s_and_not1_saveexec_b32 s73, s73
; %bb.18118:                            ;   in Loop: Header=BB6_14192 Depth=3
	v_cmp_lt_i32_e32 vcc_lo, -1, v4
	v_mov_b32_e32 v1, 0x7c
	s_delay_alu instid0(VALU_DEP_1)
	v_cndmask_b32_e32 v35, 0xfc, v1, vcc_lo
; %bb.18119:                            ;   in Loop: Header=BB6_14192 Depth=3
	s_or_b32 exec_lo, exec_lo, s73
.LBB6_18120:                            ;   in Loop: Header=BB6_14192 Depth=3
	s_delay_alu instid0(SALU_CYCLE_1) | instskip(SKIP_3) | instid1(VALU_DEP_2)
	s_or_b32 exec_lo, exec_lo, s13
	v_dual_mov_b32 v1, 0 :: v_dual_lshrrev_b32 v2, 16, v0
	v_mov_b32_e32 v3, 0
	s_mov_b32 s73, exec_lo
	v_and_b32_e32 v4, 0xff, v2
	s_delay_alu instid0(VALU_DEP_1)
	v_cmpx_ne_u16_e32 0, v4
	s_cbranch_execz .LBB6_18130
; %bb.18121:                            ;   in Loop: Header=BB6_14192 Depth=3
	v_bfrev_b32_e32 v3, 1
	s_mov_b32 s74, exec_lo
	v_cmpx_ne_u16_e32 0x80, v4
	s_cbranch_execz .LBB6_18129
; %bb.18122:                            ;   in Loop: Header=BB6_14192 Depth=3
	v_and_b32_e32 v3, 0x7c0000, v0
	v_bfe_u32 v4, v0, 16, 2
	s_delay_alu instid0(VALU_DEP_2) | instskip(SKIP_1) | instid1(SALU_CYCLE_1)
	v_cmp_ne_u32_e32 vcc_lo, 0x7c0000, v3
                                        ; implicit-def: $vgpr3
	s_and_saveexec_b32 s13, vcc_lo
	s_xor_b32 s13, exec_lo, s13
	s_cbranch_execz .LBB6_18126
; %bb.18123:                            ;   in Loop: Header=BB6_14192 Depth=3
	v_bfe_u32 v3, v0, 18, 5
	s_mov_b32 s75, exec_lo
	s_delay_alu instid0(VALU_DEP_1)
	v_cmpx_eq_u32_e32 0, v3
; %bb.18124:                            ;   in Loop: Header=BB6_14192 Depth=3
	v_clz_i32_u32_e32 v3, v4
	s_delay_alu instid0(VALU_DEP_1) | instskip(NEXT) | instid1(VALU_DEP_1)
	v_min_u32_e32 v3, 32, v3
	v_subrev_nc_u32_e32 v4, 29, v3
	s_delay_alu instid0(VALU_DEP_1) | instskip(NEXT) | instid1(VALU_DEP_1)
	v_lshlrev_b64_e32 v[4:5], v4, v[2:3]
	v_dual_sub_nc_u32 v3, 30, v3 :: v_dual_bitop2_b32 v4, 3, v4 bitop3:0x40
; %bb.18125:                            ;   in Loop: Header=BB6_14192 Depth=3
	s_or_b32 exec_lo, exec_lo, s75
	v_lshlrev_b32_e32 v2, 24, v2
	s_delay_alu instid0(VALU_DEP_1) | instskip(NEXT) | instid1(VALU_DEP_1)
	v_and_b32_e32 v2, 0x80000000, v2
	v_lshl_add_u32 v2, v3, 23, v2
	s_delay_alu instid0(VALU_DEP_1) | instskip(NEXT) | instid1(VALU_DEP_1)
	v_lshl_or_b32 v2, v4, 21, v2
                                        ; implicit-def: $vgpr4
	v_add_nc_u32_e32 v3, 0x38000000, v2
                                        ; implicit-def: $vgpr2
.LBB6_18126:                            ;   in Loop: Header=BB6_14192 Depth=3
	s_and_not1_saveexec_b32 s75, s13
; %bb.18127:                            ;   in Loop: Header=BB6_14192 Depth=3
	v_bfe_i32 v2, v2, 0, 8
	v_cmp_eq_u32_e32 vcc_lo, 0, v4
	s_delay_alu instid0(VALU_DEP_2) | instskip(SKIP_1) | instid1(VALU_DEP_1)
	v_cmp_lt_i16_e64 s13, -1, v2
	v_mov_b32_e32 v2, 0x7f800000
	v_cndmask_b32_e64 v2, 0xff800000, v2, s13
	s_delay_alu instid0(VALU_DEP_1)
	v_cndmask_b32_e32 v3, 0x7f800001, v2, vcc_lo
; %bb.18128:                            ;   in Loop: Header=BB6_14192 Depth=3
	s_or_b32 exec_lo, exec_lo, s75
.LBB6_18129:                            ;   in Loop: Header=BB6_14192 Depth=3
	s_delay_alu instid0(SALU_CYCLE_1)
	s_or_b32 exec_lo, exec_lo, s74
.LBB6_18130:                            ;   in Loop: Header=BB6_14192 Depth=3
	s_delay_alu instid0(SALU_CYCLE_1) | instskip(SKIP_2) | instid1(VALU_DEP_1)
	s_or_b32 exec_lo, exec_lo, s73
	v_lshrrev_b32_e32 v2, 16, v8
	s_mov_b32 s73, exec_lo
	v_and_b32_e32 v4, 0xff, v2
	s_delay_alu instid0(VALU_DEP_1)
	v_cmpx_ne_u16_e32 0, v4
	s_cbranch_execz .LBB6_18140
; %bb.18131:                            ;   in Loop: Header=BB6_14192 Depth=3
	v_bfrev_b32_e32 v1, 1
	s_mov_b32 s74, exec_lo
	v_cmpx_ne_u16_e32 0x80, v4
	s_cbranch_execz .LBB6_18139
; %bb.18132:                            ;   in Loop: Header=BB6_14192 Depth=3
	v_and_b32_e32 v1, 0x7c0000, v8
	v_bfe_u32 v4, v8, 16, 2
	s_delay_alu instid0(VALU_DEP_2) | instskip(SKIP_1) | instid1(SALU_CYCLE_1)
	v_cmp_ne_u32_e32 vcc_lo, 0x7c0000, v1
                                        ; implicit-def: $vgpr1
	s_and_saveexec_b32 s13, vcc_lo
	s_xor_b32 s13, exec_lo, s13
	s_cbranch_execz .LBB6_18136
; %bb.18133:                            ;   in Loop: Header=BB6_14192 Depth=3
	v_bfe_u32 v1, v8, 18, 5
	s_mov_b32 s75, exec_lo
	s_delay_alu instid0(VALU_DEP_1)
	v_cmpx_eq_u32_e32 0, v1
; %bb.18134:                            ;   in Loop: Header=BB6_14192 Depth=3
	v_clz_i32_u32_e32 v1, v4
	s_delay_alu instid0(VALU_DEP_1) | instskip(NEXT) | instid1(VALU_DEP_1)
	v_min_u32_e32 v1, 32, v1
	v_subrev_nc_u32_e32 v4, 29, v1
	s_delay_alu instid0(VALU_DEP_1) | instskip(NEXT) | instid1(VALU_DEP_1)
	v_lshlrev_b64_e32 v[4:5], v4, v[2:3]
	v_dual_sub_nc_u32 v1, 30, v1 :: v_dual_bitop2_b32 v4, 3, v4 bitop3:0x40
; %bb.18135:                            ;   in Loop: Header=BB6_14192 Depth=3
	s_or_b32 exec_lo, exec_lo, s75
	v_lshlrev_b32_e32 v2, 24, v2
	s_delay_alu instid0(VALU_DEP_1) | instskip(NEXT) | instid1(VALU_DEP_1)
	v_and_b32_e32 v2, 0x80000000, v2
	v_lshl_add_u32 v1, v1, 23, v2
                                        ; implicit-def: $vgpr2
	s_delay_alu instid0(VALU_DEP_1) | instskip(NEXT) | instid1(VALU_DEP_1)
	v_lshl_or_b32 v1, v4, 21, v1
                                        ; implicit-def: $vgpr4
	v_add_nc_u32_e32 v1, 0x38000000, v1
.LBB6_18136:                            ;   in Loop: Header=BB6_14192 Depth=3
	s_and_not1_saveexec_b32 s75, s13
; %bb.18137:                            ;   in Loop: Header=BB6_14192 Depth=3
	v_bfe_i32 v1, v2, 0, 8
	v_cmp_eq_u32_e32 vcc_lo, 0, v4
	s_delay_alu instid0(VALU_DEP_2) | instskip(SKIP_1) | instid1(VALU_DEP_1)
	v_cmp_lt_i16_e64 s13, -1, v1
	v_mov_b32_e32 v1, 0x7f800000
	v_cndmask_b32_e64 v1, 0xff800000, v1, s13
	s_delay_alu instid0(VALU_DEP_1)
	v_cndmask_b32_e32 v1, 0x7f800001, v1, vcc_lo
; %bb.18138:                            ;   in Loop: Header=BB6_14192 Depth=3
	s_or_b32 exec_lo, exec_lo, s75
.LBB6_18139:                            ;   in Loop: Header=BB6_14192 Depth=3
	s_delay_alu instid0(SALU_CYCLE_1)
	s_or_b32 exec_lo, exec_lo, s74
.LBB6_18140:                            ;   in Loop: Header=BB6_14192 Depth=3
	s_delay_alu instid0(SALU_CYCLE_1) | instskip(NEXT) | instid1(VALU_DEP_1)
	s_or_b32 exec_lo, exec_lo, s73
	v_dual_add_f32 v4, v3, v1 :: v_dual_mov_b32 v47, v113
	v_mov_b32_e32 v3, v113
                                        ; implicit-def: $vgpr49
	s_mov_b32 s13, exec_lo
	s_delay_alu instid0(VALU_DEP_2) | instskip(SKIP_2) | instid1(VALU_DEP_3)
	v_and_b32_e32 v46, 0x7f800000, v4
	v_and_b32_e32 v2, 0x7fffff, v4
	v_lshrrev_b32_e32 v1, 24, v4
	v_cmpx_ne_u64_e32 0x7f800000, v[46:47]
	s_xor_b32 s73, exec_lo, s13
	s_cbranch_execz .LBB6_18154
; %bb.18141:                            ;   in Loop: Header=BB6_14192 Depth=3
	v_and_b32_e32 v46, 0x7fffffff, v4
	v_mov_b32_e32 v47, v113
	v_and_b32_e32 v1, 0x80, v1
                                        ; implicit-def: $vgpr49
	s_mov_b32 s13, exec_lo
	s_delay_alu instid0(VALU_DEP_2)
	v_cmpx_gt_u64_e32 0x47600001, v[46:47]
	s_xor_b32 s74, exec_lo, s13
	s_cbranch_execz .LBB6_18151
; %bb.18142:                            ;   in Loop: Header=BB6_14192 Depth=3
	v_mov_b32_e32 v49, 0
	s_mov_b32 s75, exec_lo
	v_cmpx_ne_u32_e32 0, v4
	s_cbranch_execz .LBB6_18150
; %bb.18143:                            ;   in Loop: Header=BB6_14192 Depth=3
	v_bfe_u32 v49, v4, 23, 8
	v_or_b32_e32 v5, 0x800000, v2
	s_delay_alu instid0(VALU_DEP_2) | instskip(SKIP_2) | instid1(VALU_DEP_2)
	v_cmp_gt_u32_e64 s13, 0x72, v49
	v_sub_nc_u32_e32 v4, 0x71, v49
	v_cmp_eq_u32_e32 vcc_lo, 0, v49
	v_dual_cndmask_b32 v4, 0, v4, s13 :: v_dual_cndmask_b32 v2, v5, v2, vcc_lo
	s_delay_alu instid0(VALU_DEP_1) | instskip(NEXT) | instid1(VALU_DEP_1)
	v_cndmask_b32_e64 v53, v4, 0x70, vcc_lo
	v_dual_add_nc_u32 v4, 21, v53 :: v_dual_add_nc_u32 v64, 20, v53
	s_delay_alu instid0(VALU_DEP_1) | instskip(NEXT) | instid1(VALU_DEP_2)
	v_lshlrev_b64_e64 v[4:5], v4, -1
	v_lshlrev_b64_e64 v[46:47], v64, 1
	s_delay_alu instid0(VALU_DEP_2) | instskip(SKIP_1) | instid1(VALU_DEP_4)
	v_bfi_b32 v4, v4, 0, v2
	v_lshrrev_b64 v[2:3], v53, v[2:3]
	v_bfi_b32 v5, v5, 0, 0
	s_delay_alu instid0(VALU_DEP_1) | instskip(NEXT) | instid1(VALU_DEP_3)
	v_cmp_eq_u64_e64 s13, v[4:5], v[46:47]
	v_mov_b64_e32 v[4:5], v[2:3]
	s_and_saveexec_b32 s76, s13
; %bb.18144:                            ;   in Loop: Header=BB6_14192 Depth=3
	v_bfe_u32 v4, v2, 21, 1
	v_mov_b32_e32 v5, v113
	s_delay_alu instid0(VALU_DEP_1) | instskip(NEXT) | instid1(VALU_DEP_1)
	v_add_nc_u64_e32 v[4:5], v[2:3], v[4:5]
	v_add_nc_u64_e32 v[4:5], -1, v[4:5]
; %bb.18145:                            ;   in Loop: Header=BB6_14192 Depth=3
	s_or_b32 exec_lo, exec_lo, s76
	v_add_nc_u32_e32 v3, 0xffffff81, v49
	v_lshrrev_b32_e32 v5, 23, v2
	s_mov_b32 s13, exec_lo
	s_delay_alu instid0(VALU_DEP_2) | instskip(NEXT) | instid1(VALU_DEP_1)
	v_cndmask_b32_e64 v3, v3, 0xffffff82, vcc_lo
	v_add3_u32 v49, v53, v3, v5
	v_and_b32_e32 v3, 0x1fffff, v4
                                        ; implicit-def: $vgpr4
	s_delay_alu instid0(VALU_DEP_1) | instskip(SKIP_1) | instid1(VALU_DEP_2)
	v_dual_add_nc_u32 v5, 14, v49 :: v_dual_add_nc_u32 v2, v3, v2
	v_mov_b32_e32 v3, v113
	v_cmpx_ne_u32_e32 0, v5
	s_xor_b32 s13, exec_lo, s13
; %bb.18146:                            ;   in Loop: Header=BB6_14192 Depth=3
	s_delay_alu instid0(VALU_DEP_2) | instskip(SKIP_1) | instid1(VALU_DEP_1)
	v_cmp_lt_u64_e32 vcc_lo, 0xffffff, v[2:3]
	v_add_nc_u32_e32 v4, 15, v49
	v_cndmask_b32_e32 v4, v5, v4, vcc_lo
	v_cndmask_b32_e64 v5, 0, 1, vcc_lo
	s_delay_alu instid0(VALU_DEP_1)
	v_lshrrev_b64 v[2:3], v5, v[2:3]
; %bb.18147:                            ;   in Loop: Header=BB6_14192 Depth=3
	s_and_not1_saveexec_b32 s13, s13
; %bb.18148:                            ;   in Loop: Header=BB6_14192 Depth=3
	s_delay_alu instid0(VALU_DEP_1)
	v_bfe_u32 v4, v2, 23, 1
; %bb.18149:                            ;   in Loop: Header=BB6_14192 Depth=3
	s_or_b32 exec_lo, exec_lo, s13
	s_delay_alu instid0(VALU_DEP_2) | instskip(NEXT) | instid1(VALU_DEP_2)
	v_lshrrev_b64 v[2:3], 21, v[2:3]
	v_cmp_gt_i32_e32 vcc_lo, 32, v4
	v_min_i32_e32 v5, 31, v4
	v_cmp_eq_u32_e64 s13, 0, v4
	s_delay_alu instid0(VALU_DEP_2) | instskip(SKIP_1) | instid1(VALU_DEP_2)
	v_dual_cndmask_b32 v3, 0, v3, vcc_lo :: v_dual_lshlrev_b32 v5, 2, v5
	v_cndmask_b32_e32 v2, 3, v2, vcc_lo
	v_and_b32_e32 v5, 0xfc, v5
	s_delay_alu instid0(VALU_DEP_2) | instskip(NEXT) | instid1(VALU_DEP_2)
	v_cmp_eq_u64_e32 vcc_lo, 0, v[2:3]
	v_and_or_b32 v2, v2, 3, v5
	s_and_b32 s13, s13, vcc_lo
	s_delay_alu instid0(VALU_DEP_1) | instid1(SALU_CYCLE_1)
	v_cndmask_b32_e64 v2, v2, 0, s13
	s_delay_alu instid0(VALU_DEP_1)
	v_or_b32_e32 v49, v2, v1
.LBB6_18150:                            ;   in Loop: Header=BB6_14192 Depth=3
	s_or_b32 exec_lo, exec_lo, s75
                                        ; implicit-def: $vgpr1
.LBB6_18151:                            ;   in Loop: Header=BB6_14192 Depth=3
	s_and_not1_saveexec_b32 s13, s74
; %bb.18152:                            ;   in Loop: Header=BB6_14192 Depth=3
	v_or_b32_e32 v49, 0x7b, v1
; %bb.18153:                            ;   in Loop: Header=BB6_14192 Depth=3
	s_or_b32 exec_lo, exec_lo, s13
                                        ; implicit-def: $vgpr4
                                        ; implicit-def: $vgpr2_vgpr3
                                        ; implicit-def: $vgpr1
.LBB6_18154:                            ;   in Loop: Header=BB6_14192 Depth=3
	s_and_not1_saveexec_b32 s13, s73
	s_cbranch_execz .LBB6_18160
; %bb.18155:                            ;   in Loop: Header=BB6_14192 Depth=3
	s_mov_b32 s73, exec_lo
                                        ; implicit-def: $vgpr49
	v_cmpx_ne_u64_e32 0, v[2:3]
	s_xor_b32 s73, exec_lo, s73
; %bb.18156:                            ;   in Loop: Header=BB6_14192 Depth=3
	v_or_b32_e32 v49, 0x7f, v1
                                        ; implicit-def: $vgpr4
; %bb.18157:                            ;   in Loop: Header=BB6_14192 Depth=3
	s_and_not1_saveexec_b32 s73, s73
; %bb.18158:                            ;   in Loop: Header=BB6_14192 Depth=3
	v_cmp_lt_i32_e32 vcc_lo, -1, v4
	v_mov_b32_e32 v1, 0x7c
	s_delay_alu instid0(VALU_DEP_1)
	v_cndmask_b32_e32 v49, 0xfc, v1, vcc_lo
; %bb.18159:                            ;   in Loop: Header=BB6_14192 Depth=3
	s_or_b32 exec_lo, exec_lo, s73
.LBB6_18160:                            ;   in Loop: Header=BB6_14192 Depth=3
	s_delay_alu instid0(SALU_CYCLE_1)
	s_or_b32 exec_lo, exec_lo, s13
	v_dual_mov_b32 v3, 0 :: v_dual_mov_b32 v4, 0
	s_mov_b32 s73, exec_lo
	v_cmpx_lt_u32_e32 0xffffff, v0
	s_cbranch_execz .LBB6_18170
; %bb.18161:                            ;   in Loop: Header=BB6_14192 Depth=3
	v_lshrrev_b32_e32 v2, 24, v0
	v_bfrev_b32_e32 v4, 1
	s_mov_b32 s74, exec_lo
	s_delay_alu instid0(VALU_DEP_2)
	v_cmpx_ne_u32_e32 0x80, v2
	s_cbranch_execz .LBB6_18169
; %bb.18162:                            ;   in Loop: Header=BB6_14192 Depth=3
	v_and_b32_e32 v1, 0x7c000000, v0
	v_bfe_u32 v5, v0, 24, 2
	s_mov_b32 s13, exec_lo
                                        ; implicit-def: $vgpr4
	s_delay_alu instid0(VALU_DEP_2)
	v_cmpx_ne_u32_e32 0x7c000000, v1
	s_xor_b32 s13, exec_lo, s13
	s_cbranch_execz .LBB6_18166
; %bb.18163:                            ;   in Loop: Header=BB6_14192 Depth=3
	v_bfe_u32 v1, v0, 26, 5
	s_mov_b32 s75, exec_lo
	s_delay_alu instid0(VALU_DEP_1)
	v_cmpx_eq_u32_e32 0, v1
; %bb.18164:                            ;   in Loop: Header=BB6_14192 Depth=3
	v_clz_i32_u32_e32 v1, v5
	s_delay_alu instid0(VALU_DEP_1) | instskip(NEXT) | instid1(VALU_DEP_1)
	v_min_u32_e32 v1, 32, v1
	v_subrev_nc_u32_e32 v4, 29, v1
	s_delay_alu instid0(VALU_DEP_1) | instskip(NEXT) | instid1(VALU_DEP_1)
	v_lshlrev_b64_e32 v[4:5], v4, v[2:3]
	v_dual_sub_nc_u32 v1, 30, v1 :: v_dual_bitop2_b32 v5, 3, v4 bitop3:0x40
; %bb.18165:                            ;   in Loop: Header=BB6_14192 Depth=3
	s_or_b32 exec_lo, exec_lo, s75
	v_and_b32_e32 v0, 0x80000000, v0
	s_delay_alu instid0(VALU_DEP_1) | instskip(NEXT) | instid1(VALU_DEP_1)
	v_lshl_add_u32 v0, v1, 23, v0
	v_lshl_or_b32 v0, v5, 21, v0
                                        ; implicit-def: $vgpr5
	s_delay_alu instid0(VALU_DEP_1)
	v_add_nc_u32_e32 v4, 0x38000000, v0
                                        ; implicit-def: $vgpr0_vgpr1
.LBB6_18166:                            ;   in Loop: Header=BB6_14192 Depth=3
	s_and_not1_saveexec_b32 s75, s13
; %bb.18167:                            ;   in Loop: Header=BB6_14192 Depth=3
	v_cmp_lt_i32_e64 s13, -1, v0
	v_mov_b32_e32 v0, 0x7f800000
	v_cmp_eq_u32_e32 vcc_lo, 0, v5
	s_delay_alu instid0(VALU_DEP_2) | instskip(NEXT) | instid1(VALU_DEP_1)
	v_cndmask_b32_e64 v0, 0xff800000, v0, s13
	v_cndmask_b32_e32 v4, 0x7f800001, v0, vcc_lo
; %bb.18168:                            ;   in Loop: Header=BB6_14192 Depth=3
	s_or_b32 exec_lo, exec_lo, s75
.LBB6_18169:                            ;   in Loop: Header=BB6_14192 Depth=3
	s_delay_alu instid0(SALU_CYCLE_1)
	s_or_b32 exec_lo, exec_lo, s74
.LBB6_18170:                            ;   in Loop: Header=BB6_14192 Depth=3
	s_delay_alu instid0(SALU_CYCLE_1) | instskip(NEXT) | instid1(SALU_CYCLE_1)
	s_or_b32 exec_lo, exec_lo, s73
	s_mov_b32 s73, exec_lo
	v_cmpx_lt_u32_e32 0xffffff, v8
	s_cbranch_execz .LBB6_18180
; %bb.18171:                            ;   in Loop: Header=BB6_14192 Depth=3
	v_lshrrev_b32_e32 v0, 24, v8
	v_bfrev_b32_e32 v3, 1
	s_mov_b32 s74, exec_lo
	s_delay_alu instid0(VALU_DEP_2)
	v_cmpx_ne_u32_e32 0x80, v0
	s_cbranch_execz .LBB6_18179
; %bb.18172:                            ;   in Loop: Header=BB6_14192 Depth=3
	v_and_b32_e32 v2, 0x7c000000, v8
	v_bfe_u32 v1, v8, 24, 2
	s_mov_b32 s13, exec_lo
                                        ; implicit-def: $vgpr3
	s_delay_alu instid0(VALU_DEP_2)
	v_cmpx_ne_u32_e32 0x7c000000, v2
	s_xor_b32 s13, exec_lo, s13
	s_cbranch_execz .LBB6_18176
; %bb.18173:                            ;   in Loop: Header=BB6_14192 Depth=3
	v_bfe_u32 v2, v8, 26, 5
	s_mov_b32 s75, exec_lo
	s_delay_alu instid0(VALU_DEP_1)
	v_cmpx_eq_u32_e32 0, v2
; %bb.18174:                            ;   in Loop: Header=BB6_14192 Depth=3
	v_clz_i32_u32_e32 v1, v1
	s_delay_alu instid0(VALU_DEP_1) | instskip(NEXT) | instid1(VALU_DEP_1)
	v_min_u32_e32 v2, 32, v1
	v_subrev_nc_u32_e32 v1, 29, v2
	s_delay_alu instid0(VALU_DEP_1) | instskip(NEXT) | instid1(VALU_DEP_1)
	v_lshlrev_b64_e32 v[0:1], v1, v[0:1]
	v_dual_sub_nc_u32 v2, 30, v2 :: v_dual_bitop2_b32 v1, 3, v0 bitop3:0x40
; %bb.18175:                            ;   in Loop: Header=BB6_14192 Depth=3
	s_or_b32 exec_lo, exec_lo, s75
	v_and_b32_e32 v0, 0x80000000, v8
	s_delay_alu instid0(VALU_DEP_1) | instskip(NEXT) | instid1(VALU_DEP_1)
	v_lshl_add_u32 v0, v2, 23, v0
	v_lshl_or_b32 v0, v1, 21, v0
                                        ; implicit-def: $vgpr1
	s_delay_alu instid0(VALU_DEP_1)
	v_add_nc_u32_e32 v3, 0x38000000, v0
.LBB6_18176:                            ;   in Loop: Header=BB6_14192 Depth=3
	s_and_not1_saveexec_b32 s75, s13
; %bb.18177:                            ;   in Loop: Header=BB6_14192 Depth=3
	v_cmp_lt_i32_e64 s13, -1, v8
	v_mov_b32_e32 v0, 0x7f800000
	v_cmp_eq_u32_e32 vcc_lo, 0, v1
	s_delay_alu instid0(VALU_DEP_2) | instskip(NEXT) | instid1(VALU_DEP_1)
	v_cndmask_b32_e64 v0, 0xff800000, v0, s13
	v_cndmask_b32_e32 v3, 0x7f800001, v0, vcc_lo
; %bb.18178:                            ;   in Loop: Header=BB6_14192 Depth=3
	s_or_b32 exec_lo, exec_lo, s75
.LBB6_18179:                            ;   in Loop: Header=BB6_14192 Depth=3
	s_delay_alu instid0(SALU_CYCLE_1)
	s_or_b32 exec_lo, exec_lo, s74
.LBB6_18180:                            ;   in Loop: Header=BB6_14192 Depth=3
	s_delay_alu instid0(SALU_CYCLE_1) | instskip(NEXT) | instid1(VALU_DEP_1)
	s_or_b32 exec_lo, exec_lo, s73
	v_dual_add_f32 v2, v4, v3 :: v_dual_mov_b32 v5, v113
	v_mov_b32_e32 v1, v113
                                        ; implicit-def: $vgpr53
	s_mov_b32 s13, exec_lo
	s_delay_alu instid0(VALU_DEP_2) | instskip(SKIP_2) | instid1(VALU_DEP_3)
	v_and_b32_e32 v4, 0x7f800000, v2
	v_and_b32_e32 v0, 0x7fffff, v2
	v_lshrrev_b32_e32 v3, 24, v2
	v_cmpx_ne_u64_e32 0x7f800000, v[4:5]
	s_xor_b32 s73, exec_lo, s13
	s_cbranch_execz .LBB6_18194
; %bb.18181:                            ;   in Loop: Header=BB6_14192 Depth=3
	v_and_b32_e32 v4, 0x7fffffff, v2
	v_mov_b32_e32 v5, v113
                                        ; implicit-def: $vgpr53
	s_delay_alu instid0(VALU_DEP_1) | instskip(SKIP_2) | instid1(SALU_CYCLE_1)
	v_cmp_gt_u64_e32 vcc_lo, 0x47600001, v[4:5]
	v_and_b32_e32 v4, 0x80, v3
	s_and_saveexec_b32 s13, vcc_lo
	s_xor_b32 s74, exec_lo, s13
	s_cbranch_execz .LBB6_18191
; %bb.18182:                            ;   in Loop: Header=BB6_14192 Depth=3
	v_mov_b32_e32 v53, 0
	s_mov_b32 s75, exec_lo
	v_cmpx_ne_u32_e32 0, v2
	s_cbranch_execz .LBB6_18190
; %bb.18183:                            ;   in Loop: Header=BB6_14192 Depth=3
	v_bfe_u32 v5, v2, 23, 8
	v_or_b32_e32 v3, 0x800000, v0
	s_delay_alu instid0(VALU_DEP_2) | instskip(SKIP_2) | instid1(VALU_DEP_2)
	v_cmp_gt_u32_e64 s13, 0x72, v5
	v_sub_nc_u32_e32 v2, 0x71, v5
	v_cmp_eq_u32_e32 vcc_lo, 0, v5
	v_dual_cndmask_b32 v2, 0, v2, s13 :: v_dual_cndmask_b32 v0, v3, v0, vcc_lo
	s_delay_alu instid0(VALU_DEP_1) | instskip(NEXT) | instid1(VALU_DEP_1)
	v_cndmask_b32_e64 v53, v2, 0x70, vcc_lo
	v_dual_add_nc_u32 v2, 21, v53 :: v_dual_add_nc_u32 v64, 20, v53
	s_delay_alu instid0(VALU_DEP_1) | instskip(NEXT) | instid1(VALU_DEP_2)
	v_lshlrev_b64_e64 v[2:3], v2, -1
	v_lshlrev_b64_e64 v[46:47], v64, 1
	s_delay_alu instid0(VALU_DEP_2) | instskip(SKIP_1) | instid1(VALU_DEP_4)
	v_bfi_b32 v2, v2, 0, v0
	v_lshrrev_b64 v[0:1], v53, v[0:1]
	v_bfi_b32 v3, v3, 0, 0
	s_delay_alu instid0(VALU_DEP_1) | instskip(NEXT) | instid1(VALU_DEP_3)
	v_cmp_eq_u64_e64 s13, v[2:3], v[46:47]
	v_mov_b64_e32 v[2:3], v[0:1]
	s_and_saveexec_b32 s76, s13
; %bb.18184:                            ;   in Loop: Header=BB6_14192 Depth=3
	v_bfe_u32 v2, v0, 21, 1
	v_mov_b32_e32 v3, v113
	s_delay_alu instid0(VALU_DEP_1) | instskip(NEXT) | instid1(VALU_DEP_1)
	v_add_nc_u64_e32 v[2:3], v[0:1], v[2:3]
	v_add_nc_u64_e32 v[2:3], -1, v[2:3]
; %bb.18185:                            ;   in Loop: Header=BB6_14192 Depth=3
	s_or_b32 exec_lo, exec_lo, s76
	v_add_nc_u32_e32 v1, 0xffffff81, v5
	v_lshrrev_b32_e32 v3, 23, v0
	s_mov_b32 s13, exec_lo
	s_delay_alu instid0(VALU_DEP_2) | instskip(NEXT) | instid1(VALU_DEP_1)
	v_cndmask_b32_e64 v1, v1, 0xffffff82, vcc_lo
	v_add3_u32 v5, v53, v1, v3
	v_and_b32_e32 v1, 0x1fffff, v2
                                        ; implicit-def: $vgpr2
	s_delay_alu instid0(VALU_DEP_1) | instskip(SKIP_1) | instid1(VALU_DEP_2)
	v_dual_add_nc_u32 v3, 14, v5 :: v_dual_add_nc_u32 v0, v1, v0
	v_mov_b32_e32 v1, v113
	v_cmpx_ne_u32_e32 0, v3
	s_xor_b32 s13, exec_lo, s13
; %bb.18186:                            ;   in Loop: Header=BB6_14192 Depth=3
	s_delay_alu instid0(VALU_DEP_2) | instskip(SKIP_1) | instid1(VALU_DEP_1)
	v_cmp_lt_u64_e32 vcc_lo, 0xffffff, v[0:1]
	v_add_nc_u32_e32 v2, 15, v5
	v_cndmask_b32_e32 v2, v3, v2, vcc_lo
	v_cndmask_b32_e64 v3, 0, 1, vcc_lo
	s_delay_alu instid0(VALU_DEP_1)
	v_lshrrev_b64 v[0:1], v3, v[0:1]
; %bb.18187:                            ;   in Loop: Header=BB6_14192 Depth=3
	s_and_not1_saveexec_b32 s13, s13
; %bb.18188:                            ;   in Loop: Header=BB6_14192 Depth=3
	s_delay_alu instid0(VALU_DEP_1)
	v_bfe_u32 v2, v0, 23, 1
; %bb.18189:                            ;   in Loop: Header=BB6_14192 Depth=3
	s_or_b32 exec_lo, exec_lo, s13
	s_delay_alu instid0(VALU_DEP_2) | instskip(NEXT) | instid1(VALU_DEP_2)
	v_lshrrev_b64 v[0:1], 21, v[0:1]
	v_cmp_gt_i32_e32 vcc_lo, 32, v2
	v_min_i32_e32 v3, 31, v2
	v_cmp_eq_u32_e64 s13, 0, v2
	s_delay_alu instid0(VALU_DEP_2) | instskip(SKIP_1) | instid1(VALU_DEP_2)
	v_dual_cndmask_b32 v1, 0, v1, vcc_lo :: v_dual_lshlrev_b32 v3, 2, v3
	v_cndmask_b32_e32 v0, 3, v0, vcc_lo
	v_and_b32_e32 v3, 0xfc, v3
	s_delay_alu instid0(VALU_DEP_2) | instskip(NEXT) | instid1(VALU_DEP_2)
	v_cmp_eq_u64_e32 vcc_lo, 0, v[0:1]
	v_and_or_b32 v0, v0, 3, v3
	s_and_b32 s13, s13, vcc_lo
	s_delay_alu instid0(VALU_DEP_1) | instid1(SALU_CYCLE_1)
	v_cndmask_b32_e64 v0, v0, 0, s13
	s_delay_alu instid0(VALU_DEP_1)
	v_or_b32_e32 v53, v0, v4
.LBB6_18190:                            ;   in Loop: Header=BB6_14192 Depth=3
	s_or_b32 exec_lo, exec_lo, s75
                                        ; implicit-def: $vgpr4
.LBB6_18191:                            ;   in Loop: Header=BB6_14192 Depth=3
	s_and_not1_saveexec_b32 s13, s74
; %bb.18192:                            ;   in Loop: Header=BB6_14192 Depth=3
	v_or_b32_e32 v53, 0x7b, v4
; %bb.18193:                            ;   in Loop: Header=BB6_14192 Depth=3
	s_or_b32 exec_lo, exec_lo, s13
                                        ; implicit-def: $vgpr2
                                        ; implicit-def: $vgpr0_vgpr1
                                        ; implicit-def: $vgpr3
.LBB6_18194:                            ;   in Loop: Header=BB6_14192 Depth=3
	s_and_not1_saveexec_b32 s13, s73
	s_cbranch_execz .LBB6_18200
; %bb.18195:                            ;   in Loop: Header=BB6_14192 Depth=3
	s_mov_b32 s73, exec_lo
                                        ; implicit-def: $vgpr53
	v_cmpx_ne_u64_e32 0, v[0:1]
	s_xor_b32 s73, exec_lo, s73
; %bb.18196:                            ;   in Loop: Header=BB6_14192 Depth=3
	v_or_b32_e32 v53, 0x7f, v3
                                        ; implicit-def: $vgpr2
; %bb.18197:                            ;   in Loop: Header=BB6_14192 Depth=3
	s_and_not1_saveexec_b32 s73, s73
; %bb.18198:                            ;   in Loop: Header=BB6_14192 Depth=3
	v_cmp_lt_i32_e32 vcc_lo, -1, v2
	v_mov_b32_e32 v0, 0x7c
	s_delay_alu instid0(VALU_DEP_1)
	v_cndmask_b32_e32 v53, 0xfc, v0, vcc_lo
; %bb.18199:                            ;   in Loop: Header=BB6_14192 Depth=3
	s_or_b32 exec_lo, exec_lo, s73
.LBB6_18200:                            ;   in Loop: Header=BB6_14192 Depth=3
	s_delay_alu instid0(SALU_CYCLE_1) | instskip(SKIP_4) | instid1(VALU_DEP_2)
	s_or_b32 exec_lo, exec_lo, s13
	v_lshl_or_b32 v37, v37, 8, v30
	v_dual_lshlrev_b32 v0, 16, v48 :: v_dual_lshlrev_b32 v2, 24, v51
	v_dual_mov_b32 v1, v113 :: v_dual_mov_b32 v3, 0
	s_mov_b32 s73, exec_lo
	v_or3_b32 v0, v0, v2, v37
	v_mov_b32_e32 v2, 0
	v_cmpx_ne_u32_e32 0, v30
	s_cbranch_execz .LBB6_18210
; %bb.18201:                            ;   in Loop: Header=BB6_14192 Depth=3
	v_bfrev_b32_e32 v2, 1
	s_mov_b32 s74, exec_lo
	v_cmpx_ne_u32_e32 0x80, v30
	s_cbranch_execz .LBB6_18209
; %bb.18202:                            ;   in Loop: Header=BB6_14192 Depth=3
	v_and_b32_e32 v2, 0x7c, v30
	v_and_b32_e32 v4, 3, v30
	s_delay_alu instid0(VALU_DEP_2) | instskip(SKIP_1) | instid1(SALU_CYCLE_1)
	v_cmp_ne_u32_e32 vcc_lo, 0x7c, v2
                                        ; implicit-def: $vgpr2
	s_and_saveexec_b32 s13, vcc_lo
	s_xor_b32 s13, exec_lo, s13
	s_cbranch_execz .LBB6_18206
; %bb.18203:                            ;   in Loop: Header=BB6_14192 Depth=3
	v_bfe_u32 v2, v30, 2, 5
	s_mov_b32 s75, exec_lo
	s_delay_alu instid0(VALU_DEP_1)
	v_cmpx_eq_u32_e32 0, v2
; %bb.18204:                            ;   in Loop: Header=BB6_14192 Depth=3
	v_clz_i32_u32_e32 v2, v4
	s_delay_alu instid0(VALU_DEP_1) | instskip(NEXT) | instid1(VALU_DEP_1)
	v_min_u32_e32 v2, 32, v2
	v_subrev_nc_u32_e32 v4, 29, v2
	s_delay_alu instid0(VALU_DEP_1) | instskip(NEXT) | instid1(VALU_DEP_1)
	v_lshlrev_b64_e32 v[4:5], v4, v[0:1]
	v_dual_sub_nc_u32 v2, 30, v2 :: v_dual_bitop2_b32 v4, 3, v4 bitop3:0x40
; %bb.18205:                            ;   in Loop: Header=BB6_14192 Depth=3
	s_or_b32 exec_lo, exec_lo, s75
	v_lshlrev_b32_e32 v1, 24, v30
                                        ; implicit-def: $vgpr30
	s_delay_alu instid0(VALU_DEP_1) | instskip(NEXT) | instid1(VALU_DEP_1)
	v_and_b32_e32 v1, 0x80000000, v1
	v_lshl_add_u32 v1, v2, 23, v1
	s_delay_alu instid0(VALU_DEP_1) | instskip(NEXT) | instid1(VALU_DEP_1)
	v_lshl_or_b32 v1, v4, 21, v1
                                        ; implicit-def: $vgpr4
	v_add_nc_u32_e32 v2, 0x38000000, v1
.LBB6_18206:                            ;   in Loop: Header=BB6_14192 Depth=3
	s_and_not1_saveexec_b32 s75, s13
; %bb.18207:                            ;   in Loop: Header=BB6_14192 Depth=3
	v_and_b32_e32 v1, 0x80, v30
	v_cmp_eq_u32_e32 vcc_lo, 0, v4
	s_delay_alu instid0(VALU_DEP_2) | instskip(SKIP_1) | instid1(VALU_DEP_1)
	v_cmp_eq_u32_e64 s13, 0, v1
	v_mov_b32_e32 v1, 0x7f800000
	v_cndmask_b32_e64 v1, 0xff800000, v1, s13
	s_delay_alu instid0(VALU_DEP_1)
	v_cndmask_b32_e32 v2, 0x7f800001, v1, vcc_lo
; %bb.18208:                            ;   in Loop: Header=BB6_14192 Depth=3
	s_or_b32 exec_lo, exec_lo, s75
.LBB6_18209:                            ;   in Loop: Header=BB6_14192 Depth=3
	s_delay_alu instid0(SALU_CYCLE_1)
	s_or_b32 exec_lo, exec_lo, s74
.LBB6_18210:                            ;   in Loop: Header=BB6_14192 Depth=3
	s_delay_alu instid0(SALU_CYCLE_1) | instskip(SKIP_2) | instid1(VALU_DEP_1)
	s_or_b32 exec_lo, exec_lo, s73
	v_and_b32_e32 v1, 0xff, v9
	s_mov_b32 s73, exec_lo
	v_cmpx_ne_u16_e32 0, v1
	s_cbranch_execz .LBB6_18220
; %bb.18211:                            ;   in Loop: Header=BB6_14192 Depth=3
	v_bfrev_b32_e32 v3, 1
	s_mov_b32 s74, exec_lo
	v_cmpx_ne_u16_e32 0x80, v1
	s_cbranch_execz .LBB6_18219
; %bb.18212:                            ;   in Loop: Header=BB6_14192 Depth=3
	v_and_b32_e32 v3, 0x7c, v9
	v_and_b32_e32 v1, 3, v9
	s_delay_alu instid0(VALU_DEP_2) | instskip(SKIP_1) | instid1(SALU_CYCLE_1)
	v_cmp_ne_u32_e32 vcc_lo, 0x7c, v3
                                        ; implicit-def: $vgpr3
	s_and_saveexec_b32 s13, vcc_lo
	s_xor_b32 s13, exec_lo, s13
	s_cbranch_execz .LBB6_18216
; %bb.18213:                            ;   in Loop: Header=BB6_14192 Depth=3
	v_bfe_u32 v3, v9, 2, 5
	s_mov_b32 s75, exec_lo
	s_delay_alu instid0(VALU_DEP_1)
	v_cmpx_eq_u32_e32 0, v3
; %bb.18214:                            ;   in Loop: Header=BB6_14192 Depth=3
	v_clz_i32_u32_e32 v1, v1
	v_dual_mov_b32 v4, v9 :: v_dual_mov_b32 v5, v113
	s_delay_alu instid0(VALU_DEP_2) | instskip(NEXT) | instid1(VALU_DEP_1)
	v_min_u32_e32 v1, 32, v1
	v_subrev_nc_u32_e32 v3, 29, v1
	s_delay_alu instid0(VALU_DEP_1) | instskip(NEXT) | instid1(VALU_DEP_1)
	v_lshlrev_b64_e32 v[4:5], v3, v[4:5]
	v_dual_sub_nc_u32 v3, 30, v1 :: v_dual_bitop2_b32 v1, 3, v4 bitop3:0x40
; %bb.18215:                            ;   in Loop: Header=BB6_14192 Depth=3
	s_or_b32 exec_lo, exec_lo, s75
	v_lshlrev_b32_e32 v4, 24, v9
	s_delay_alu instid0(VALU_DEP_1) | instskip(NEXT) | instid1(VALU_DEP_1)
	v_and_b32_e32 v4, 0x80000000, v4
	v_lshl_add_u32 v3, v3, 23, v4
	s_delay_alu instid0(VALU_DEP_1) | instskip(NEXT) | instid1(VALU_DEP_1)
	v_lshl_or_b32 v1, v1, 21, v3
	v_add_nc_u32_e32 v3, 0x38000000, v1
                                        ; implicit-def: $vgpr1
.LBB6_18216:                            ;   in Loop: Header=BB6_14192 Depth=3
	s_and_not1_saveexec_b32 s75, s13
; %bb.18217:                            ;   in Loop: Header=BB6_14192 Depth=3
	v_bfe_i32 v3, v9, 0, 8
	v_cmp_eq_u32_e32 vcc_lo, 0, v1
	v_mov_b32_e32 v1, 0x7f800000
	s_delay_alu instid0(VALU_DEP_3) | instskip(NEXT) | instid1(VALU_DEP_1)
	v_cmp_lt_i16_e64 s13, -1, v3
	v_cndmask_b32_e64 v1, 0xff800000, v1, s13
	s_delay_alu instid0(VALU_DEP_1)
	v_cndmask_b32_e32 v3, 0x7f800001, v1, vcc_lo
; %bb.18218:                            ;   in Loop: Header=BB6_14192 Depth=3
	s_or_b32 exec_lo, exec_lo, s75
.LBB6_18219:                            ;   in Loop: Header=BB6_14192 Depth=3
	s_delay_alu instid0(SALU_CYCLE_1)
	s_or_b32 exec_lo, exec_lo, s74
.LBB6_18220:                            ;   in Loop: Header=BB6_14192 Depth=3
	s_delay_alu instid0(SALU_CYCLE_1) | instskip(NEXT) | instid1(VALU_DEP_1)
	s_or_b32 exec_lo, exec_lo, s73
	v_dual_add_f32 v4, v2, v3 :: v_dual_mov_b32 v47, v113
	v_mov_b32_e32 v3, v113
                                        ; implicit-def: $vgpr30
	s_mov_b32 s13, exec_lo
	s_delay_alu instid0(VALU_DEP_2) | instskip(SKIP_2) | instid1(VALU_DEP_3)
	v_and_b32_e32 v46, 0x7f800000, v4
	v_and_b32_e32 v2, 0x7fffff, v4
	v_lshrrev_b32_e32 v1, 24, v4
	v_cmpx_ne_u64_e32 0x7f800000, v[46:47]
	s_xor_b32 s73, exec_lo, s13
	s_cbranch_execz .LBB6_18234
; %bb.18221:                            ;   in Loop: Header=BB6_14192 Depth=3
	v_and_b32_e32 v46, 0x7fffffff, v4
	v_mov_b32_e32 v47, v113
	v_and_b32_e32 v1, 0x80, v1
                                        ; implicit-def: $vgpr30
	s_mov_b32 s13, exec_lo
	s_delay_alu instid0(VALU_DEP_2)
	v_cmpx_gt_u64_e32 0x47600001, v[46:47]
	s_xor_b32 s74, exec_lo, s13
	s_cbranch_execz .LBB6_18231
; %bb.18222:                            ;   in Loop: Header=BB6_14192 Depth=3
	v_mov_b32_e32 v30, 0
	s_mov_b32 s75, exec_lo
	v_cmpx_ne_u32_e32 0, v4
	s_cbranch_execz .LBB6_18230
; %bb.18223:                            ;   in Loop: Header=BB6_14192 Depth=3
	v_bfe_u32 v30, v4, 23, 8
	v_or_b32_e32 v5, 0x800000, v2
	s_delay_alu instid0(VALU_DEP_2) | instskip(SKIP_2) | instid1(VALU_DEP_2)
	v_cmp_gt_u32_e64 s13, 0x72, v30
	v_sub_nc_u32_e32 v4, 0x71, v30
	v_cmp_eq_u32_e32 vcc_lo, 0, v30
	v_dual_cndmask_b32 v4, 0, v4, s13 :: v_dual_cndmask_b32 v2, v5, v2, vcc_lo
	s_delay_alu instid0(VALU_DEP_1) | instskip(NEXT) | instid1(VALU_DEP_1)
	v_cndmask_b32_e64 v48, v4, 0x70, vcc_lo
	v_dual_add_nc_u32 v4, 21, v48 :: v_dual_add_nc_u32 v51, 20, v48
	s_delay_alu instid0(VALU_DEP_1) | instskip(NEXT) | instid1(VALU_DEP_2)
	v_lshlrev_b64_e64 v[4:5], v4, -1
	v_lshlrev_b64_e64 v[46:47], v51, 1
	s_delay_alu instid0(VALU_DEP_2) | instskip(SKIP_1) | instid1(VALU_DEP_4)
	v_bfi_b32 v4, v4, 0, v2
	v_lshrrev_b64 v[2:3], v48, v[2:3]
	v_bfi_b32 v5, v5, 0, 0
	s_delay_alu instid0(VALU_DEP_1) | instskip(NEXT) | instid1(VALU_DEP_3)
	v_cmp_eq_u64_e64 s13, v[4:5], v[46:47]
	v_mov_b64_e32 v[4:5], v[2:3]
	s_and_saveexec_b32 s76, s13
; %bb.18224:                            ;   in Loop: Header=BB6_14192 Depth=3
	v_bfe_u32 v4, v2, 21, 1
	v_mov_b32_e32 v5, v113
	s_delay_alu instid0(VALU_DEP_1) | instskip(NEXT) | instid1(VALU_DEP_1)
	v_add_nc_u64_e32 v[4:5], v[2:3], v[4:5]
	v_add_nc_u64_e32 v[4:5], -1, v[4:5]
; %bb.18225:                            ;   in Loop: Header=BB6_14192 Depth=3
	s_or_b32 exec_lo, exec_lo, s76
	v_add_nc_u32_e32 v3, 0xffffff81, v30
	v_lshrrev_b32_e32 v5, 23, v2
	s_mov_b32 s13, exec_lo
	s_delay_alu instid0(VALU_DEP_2) | instskip(NEXT) | instid1(VALU_DEP_1)
	v_cndmask_b32_e64 v3, v3, 0xffffff82, vcc_lo
	v_add3_u32 v30, v48, v3, v5
	v_and_b32_e32 v3, 0x1fffff, v4
                                        ; implicit-def: $vgpr4
	s_delay_alu instid0(VALU_DEP_2) | instskip(NEXT) | instid1(VALU_DEP_2)
	v_add_nc_u32_e32 v5, 14, v30
	v_dual_mov_b32 v3, v113 :: v_dual_add_nc_u32 v2, v3, v2
	s_delay_alu instid0(VALU_DEP_2)
	v_cmpx_ne_u32_e32 0, v5
	s_xor_b32 s13, exec_lo, s13
; %bb.18226:                            ;   in Loop: Header=BB6_14192 Depth=3
	s_delay_alu instid0(VALU_DEP_2) | instskip(SKIP_1) | instid1(VALU_DEP_1)
	v_cmp_lt_u64_e32 vcc_lo, 0xffffff, v[2:3]
	v_add_nc_u32_e32 v4, 15, v30
	v_cndmask_b32_e32 v4, v5, v4, vcc_lo
	v_cndmask_b32_e64 v5, 0, 1, vcc_lo
	s_delay_alu instid0(VALU_DEP_1)
	v_lshrrev_b64 v[2:3], v5, v[2:3]
; %bb.18227:                            ;   in Loop: Header=BB6_14192 Depth=3
	s_and_not1_saveexec_b32 s13, s13
; %bb.18228:                            ;   in Loop: Header=BB6_14192 Depth=3
	s_delay_alu instid0(VALU_DEP_1)
	v_bfe_u32 v4, v2, 23, 1
; %bb.18229:                            ;   in Loop: Header=BB6_14192 Depth=3
	s_or_b32 exec_lo, exec_lo, s13
	s_delay_alu instid0(VALU_DEP_2) | instskip(NEXT) | instid1(VALU_DEP_2)
	v_lshrrev_b64 v[2:3], 21, v[2:3]
	v_cmp_gt_i32_e32 vcc_lo, 32, v4
	v_min_i32_e32 v5, 31, v4
	v_cmp_eq_u32_e64 s13, 0, v4
	s_delay_alu instid0(VALU_DEP_2) | instskip(SKIP_1) | instid1(VALU_DEP_2)
	v_dual_cndmask_b32 v3, 0, v3, vcc_lo :: v_dual_lshlrev_b32 v5, 2, v5
	v_cndmask_b32_e32 v2, 3, v2, vcc_lo
	v_and_b32_e32 v5, 0xfc, v5
	s_delay_alu instid0(VALU_DEP_2) | instskip(NEXT) | instid1(VALU_DEP_2)
	v_cmp_eq_u64_e32 vcc_lo, 0, v[2:3]
	v_and_or_b32 v2, v2, 3, v5
	s_and_b32 s13, s13, vcc_lo
	s_delay_alu instid0(VALU_DEP_1) | instid1(SALU_CYCLE_1)
	v_cndmask_b32_e64 v2, v2, 0, s13
	s_delay_alu instid0(VALU_DEP_1)
	v_or_b32_e32 v30, v2, v1
.LBB6_18230:                            ;   in Loop: Header=BB6_14192 Depth=3
	s_or_b32 exec_lo, exec_lo, s75
                                        ; implicit-def: $vgpr1
.LBB6_18231:                            ;   in Loop: Header=BB6_14192 Depth=3
	s_and_not1_saveexec_b32 s13, s74
; %bb.18232:                            ;   in Loop: Header=BB6_14192 Depth=3
	v_or_b32_e32 v30, 0x7b, v1
; %bb.18233:                            ;   in Loop: Header=BB6_14192 Depth=3
	s_or_b32 exec_lo, exec_lo, s13
                                        ; implicit-def: $vgpr4
                                        ; implicit-def: $vgpr2_vgpr3
                                        ; implicit-def: $vgpr1
.LBB6_18234:                            ;   in Loop: Header=BB6_14192 Depth=3
	s_and_not1_saveexec_b32 s13, s73
	s_cbranch_execz .LBB6_18240
; %bb.18235:                            ;   in Loop: Header=BB6_14192 Depth=3
	s_mov_b32 s73, exec_lo
                                        ; implicit-def: $vgpr30
	v_cmpx_ne_u64_e32 0, v[2:3]
	s_xor_b32 s73, exec_lo, s73
; %bb.18236:                            ;   in Loop: Header=BB6_14192 Depth=3
	v_or_b32_e32 v30, 0x7f, v1
                                        ; implicit-def: $vgpr4
; %bb.18237:                            ;   in Loop: Header=BB6_14192 Depth=3
	s_and_not1_saveexec_b32 s73, s73
; %bb.18238:                            ;   in Loop: Header=BB6_14192 Depth=3
	v_cmp_lt_i32_e32 vcc_lo, -1, v4
	v_mov_b32_e32 v1, 0x7c
	s_delay_alu instid0(VALU_DEP_1)
	v_cndmask_b32_e32 v30, 0xfc, v1, vcc_lo
; %bb.18239:                            ;   in Loop: Header=BB6_14192 Depth=3
	s_or_b32 exec_lo, exec_lo, s73
.LBB6_18240:                            ;   in Loop: Header=BB6_14192 Depth=3
	s_delay_alu instid0(SALU_CYCLE_1) | instskip(SKIP_3) | instid1(VALU_DEP_2)
	s_or_b32 exec_lo, exec_lo, s13
	v_lshrrev_b16 v2, 8, v37
	v_dual_mov_b32 v1, 0 :: v_dual_mov_b32 v4, 0
	s_mov_b32 s73, exec_lo
	v_cmpx_ne_u16_e32 0, v2
	s_cbranch_execz .LBB6_18250
; %bb.18241:                            ;   in Loop: Header=BB6_14192 Depth=3
	v_bfrev_b32_e32 v4, 1
	s_mov_b32 s74, exec_lo
	v_cmpx_ne_u16_e32 0x80, v2
	s_cbranch_execz .LBB6_18249
; %bb.18242:                            ;   in Loop: Header=BB6_14192 Depth=3
	v_and_b32_e32 v5, 0xffff, v2
	s_delay_alu instid0(VALU_DEP_1) | instskip(SKIP_1) | instid1(VALU_DEP_2)
	v_and_b32_e32 v4, 0x7c, v5
	v_and_b32_e32 v3, 3, v5
	v_cmp_ne_u32_e32 vcc_lo, 0x7c, v4
                                        ; implicit-def: $vgpr4
	s_and_saveexec_b32 s13, vcc_lo
	s_delay_alu instid0(SALU_CYCLE_1)
	s_xor_b32 s13, exec_lo, s13
	s_cbranch_execz .LBB6_18246
; %bb.18243:                            ;   in Loop: Header=BB6_14192 Depth=3
	v_bfe_u32 v4, v5, 2, 5
	s_mov_b32 s75, exec_lo
	s_delay_alu instid0(VALU_DEP_1)
	v_cmpx_eq_u32_e32 0, v4
	s_cbranch_execz .LBB6_18245
; %bb.18244:                            ;   in Loop: Header=BB6_14192 Depth=3
	v_clz_i32_u32_e32 v3, v3
	s_delay_alu instid0(VALU_DEP_1) | instskip(SKIP_1) | instid1(VALU_DEP_2)
	v_min_u32_e32 v4, 32, v3
	v_mov_b32_e32 v3, v113
	v_subrev_nc_u32_e32 v5, 29, v4
	v_sub_nc_u32_e32 v4, 30, v4
	s_delay_alu instid0(VALU_DEP_2) | instskip(NEXT) | instid1(VALU_DEP_1)
	v_lshlrev_b64_e32 v[2:3], v5, v[2:3]
	v_and_b32_e32 v3, 3, v2
.LBB6_18245:                            ;   in Loop: Header=BB6_14192 Depth=3
	s_or_b32 exec_lo, exec_lo, s75
	v_lshlrev_b32_e32 v2, 16, v37
                                        ; implicit-def: $vgpr37
	s_delay_alu instid0(VALU_DEP_1) | instskip(NEXT) | instid1(VALU_DEP_1)
	v_and_b32_e32 v2, 0x80000000, v2
	v_lshl_add_u32 v2, v4, 23, v2
	s_delay_alu instid0(VALU_DEP_1) | instskip(NEXT) | instid1(VALU_DEP_1)
	v_lshl_or_b32 v2, v3, 21, v2
                                        ; implicit-def: $vgpr3
	v_add_nc_u32_e32 v4, 0x38000000, v2
.LBB6_18246:                            ;   in Loop: Header=BB6_14192 Depth=3
	s_and_not1_saveexec_b32 s75, s13
; %bb.18247:                            ;   in Loop: Header=BB6_14192 Depth=3
	v_cmp_lt_i16_e64 s13, -1, v37
	v_mov_b32_e32 v2, 0x7f800000
	v_cmp_eq_u32_e32 vcc_lo, 0, v3
	s_delay_alu instid0(VALU_DEP_2) | instskip(NEXT) | instid1(VALU_DEP_1)
	v_cndmask_b32_e64 v2, 0xff800000, v2, s13
	v_cndmask_b32_e32 v4, 0x7f800001, v2, vcc_lo
; %bb.18248:                            ;   in Loop: Header=BB6_14192 Depth=3
	s_or_b32 exec_lo, exec_lo, s75
.LBB6_18249:                            ;   in Loop: Header=BB6_14192 Depth=3
	s_delay_alu instid0(SALU_CYCLE_1)
	s_or_b32 exec_lo, exec_lo, s74
.LBB6_18250:                            ;   in Loop: Header=BB6_14192 Depth=3
	s_delay_alu instid0(SALU_CYCLE_1) | instskip(SKIP_2) | instid1(VALU_DEP_1)
	s_or_b32 exec_lo, exec_lo, s73
	v_lshrrev_b16 v2, 8, v9
	s_mov_b32 s73, exec_lo
	v_cmpx_ne_u16_e32 0, v2
	s_cbranch_execz .LBB6_18260
; %bb.18251:                            ;   in Loop: Header=BB6_14192 Depth=3
	v_bfrev_b32_e32 v1, 1
	s_mov_b32 s74, exec_lo
	v_cmpx_ne_u16_e32 0x80, v2
	s_cbranch_execz .LBB6_18259
; %bb.18252:                            ;   in Loop: Header=BB6_14192 Depth=3
	v_and_b32_e32 v5, 0xffff, v2
	s_delay_alu instid0(VALU_DEP_1) | instskip(SKIP_1) | instid1(VALU_DEP_2)
	v_and_b32_e32 v1, 0x7c, v5
	v_and_b32_e32 v3, 3, v5
	v_cmp_ne_u32_e32 vcc_lo, 0x7c, v1
                                        ; implicit-def: $vgpr1
	s_and_saveexec_b32 s13, vcc_lo
	s_delay_alu instid0(SALU_CYCLE_1)
	s_xor_b32 s13, exec_lo, s13
	s_cbranch_execz .LBB6_18256
; %bb.18253:                            ;   in Loop: Header=BB6_14192 Depth=3
	v_bfe_u32 v1, v5, 2, 5
	s_mov_b32 s75, exec_lo
	s_delay_alu instid0(VALU_DEP_1)
	v_cmpx_eq_u32_e32 0, v1
	s_cbranch_execz .LBB6_18255
; %bb.18254:                            ;   in Loop: Header=BB6_14192 Depth=3
	v_clz_i32_u32_e32 v1, v3
	s_delay_alu instid0(VALU_DEP_1) | instskip(SKIP_1) | instid1(VALU_DEP_2)
	v_min_u32_e32 v1, 32, v1
	v_mov_b32_e32 v3, v113
	v_subrev_nc_u32_e32 v5, 29, v1
	v_sub_nc_u32_e32 v1, 30, v1
	s_delay_alu instid0(VALU_DEP_2) | instskip(NEXT) | instid1(VALU_DEP_1)
	v_lshlrev_b64_e32 v[2:3], v5, v[2:3]
	v_and_b32_e32 v3, 3, v2
.LBB6_18255:                            ;   in Loop: Header=BB6_14192 Depth=3
	s_or_b32 exec_lo, exec_lo, s75
	v_lshlrev_b32_e32 v2, 16, v9
	s_delay_alu instid0(VALU_DEP_1) | instskip(NEXT) | instid1(VALU_DEP_1)
	v_and_b32_e32 v2, 0x80000000, v2
	v_lshl_add_u32 v1, v1, 23, v2
	s_delay_alu instid0(VALU_DEP_1) | instskip(NEXT) | instid1(VALU_DEP_1)
	v_lshl_or_b32 v1, v3, 21, v1
                                        ; implicit-def: $vgpr3
	v_add_nc_u32_e32 v1, 0x38000000, v1
.LBB6_18256:                            ;   in Loop: Header=BB6_14192 Depth=3
	s_and_not1_saveexec_b32 s75, s13
; %bb.18257:                            ;   in Loop: Header=BB6_14192 Depth=3
	v_cmp_lt_i16_e64 s13, -1, v9
	v_mov_b32_e32 v1, 0x7f800000
	v_cmp_eq_u32_e32 vcc_lo, 0, v3
	s_delay_alu instid0(VALU_DEP_2) | instskip(NEXT) | instid1(VALU_DEP_1)
	v_cndmask_b32_e64 v1, 0xff800000, v1, s13
	v_cndmask_b32_e32 v1, 0x7f800001, v1, vcc_lo
; %bb.18258:                            ;   in Loop: Header=BB6_14192 Depth=3
	s_or_b32 exec_lo, exec_lo, s75
.LBB6_18259:                            ;   in Loop: Header=BB6_14192 Depth=3
	s_delay_alu instid0(SALU_CYCLE_1)
	s_or_b32 exec_lo, exec_lo, s74
.LBB6_18260:                            ;   in Loop: Header=BB6_14192 Depth=3
	s_delay_alu instid0(SALU_CYCLE_1) | instskip(NEXT) | instid1(VALU_DEP_1)
	s_or_b32 exec_lo, exec_lo, s73
	v_dual_add_f32 v4, v4, v1 :: v_dual_mov_b32 v47, v113
	v_mov_b32_e32 v3, v113
                                        ; implicit-def: $vgpr37
	s_mov_b32 s13, exec_lo
	s_delay_alu instid0(VALU_DEP_2) | instskip(SKIP_2) | instid1(VALU_DEP_3)
	v_and_b32_e32 v46, 0x7f800000, v4
	v_and_b32_e32 v2, 0x7fffff, v4
	v_lshrrev_b32_e32 v1, 24, v4
	v_cmpx_ne_u64_e32 0x7f800000, v[46:47]
	s_xor_b32 s73, exec_lo, s13
	s_cbranch_execz .LBB6_18274
; %bb.18261:                            ;   in Loop: Header=BB6_14192 Depth=3
	v_and_b32_e32 v46, 0x7fffffff, v4
	v_mov_b32_e32 v47, v113
	v_and_b32_e32 v1, 0x80, v1
                                        ; implicit-def: $vgpr37
	s_mov_b32 s13, exec_lo
	s_delay_alu instid0(VALU_DEP_2)
	v_cmpx_gt_u64_e32 0x47600001, v[46:47]
	s_xor_b32 s74, exec_lo, s13
	s_cbranch_execz .LBB6_18271
; %bb.18262:                            ;   in Loop: Header=BB6_14192 Depth=3
	v_mov_b32_e32 v37, 0
	s_mov_b32 s75, exec_lo
	v_cmpx_ne_u32_e32 0, v4
	s_cbranch_execz .LBB6_18270
; %bb.18263:                            ;   in Loop: Header=BB6_14192 Depth=3
	v_bfe_u32 v37, v4, 23, 8
	v_or_b32_e32 v5, 0x800000, v2
	s_delay_alu instid0(VALU_DEP_2) | instskip(SKIP_2) | instid1(VALU_DEP_2)
	v_cmp_gt_u32_e64 s13, 0x72, v37
	v_sub_nc_u32_e32 v4, 0x71, v37
	v_cmp_eq_u32_e32 vcc_lo, 0, v37
	v_dual_cndmask_b32 v4, 0, v4, s13 :: v_dual_cndmask_b32 v2, v5, v2, vcc_lo
	s_delay_alu instid0(VALU_DEP_1) | instskip(NEXT) | instid1(VALU_DEP_1)
	v_cndmask_b32_e64 v48, v4, 0x70, vcc_lo
	v_dual_add_nc_u32 v4, 21, v48 :: v_dual_add_nc_u32 v51, 20, v48
	s_delay_alu instid0(VALU_DEP_1) | instskip(NEXT) | instid1(VALU_DEP_2)
	v_lshlrev_b64_e64 v[4:5], v4, -1
	v_lshlrev_b64_e64 v[46:47], v51, 1
	s_delay_alu instid0(VALU_DEP_2) | instskip(SKIP_1) | instid1(VALU_DEP_4)
	v_bfi_b32 v4, v4, 0, v2
	v_lshrrev_b64 v[2:3], v48, v[2:3]
	v_bfi_b32 v5, v5, 0, 0
	s_delay_alu instid0(VALU_DEP_1) | instskip(NEXT) | instid1(VALU_DEP_3)
	v_cmp_eq_u64_e64 s13, v[4:5], v[46:47]
	v_mov_b64_e32 v[4:5], v[2:3]
	s_and_saveexec_b32 s76, s13
; %bb.18264:                            ;   in Loop: Header=BB6_14192 Depth=3
	v_bfe_u32 v4, v2, 21, 1
	v_mov_b32_e32 v5, v113
	s_delay_alu instid0(VALU_DEP_1) | instskip(NEXT) | instid1(VALU_DEP_1)
	v_add_nc_u64_e32 v[4:5], v[2:3], v[4:5]
	v_add_nc_u64_e32 v[4:5], -1, v[4:5]
; %bb.18265:                            ;   in Loop: Header=BB6_14192 Depth=3
	s_or_b32 exec_lo, exec_lo, s76
	v_add_nc_u32_e32 v3, 0xffffff81, v37
	v_lshrrev_b32_e32 v5, 23, v2
	s_mov_b32 s13, exec_lo
	s_delay_alu instid0(VALU_DEP_2) | instskip(NEXT) | instid1(VALU_DEP_1)
	v_cndmask_b32_e64 v3, v3, 0xffffff82, vcc_lo
	v_add3_u32 v37, v48, v3, v5
	v_and_b32_e32 v3, 0x1fffff, v4
                                        ; implicit-def: $vgpr4
	s_delay_alu instid0(VALU_DEP_1) | instskip(SKIP_1) | instid1(VALU_DEP_2)
	v_dual_add_nc_u32 v5, 14, v37 :: v_dual_add_nc_u32 v2, v3, v2
	v_mov_b32_e32 v3, v113
	v_cmpx_ne_u32_e32 0, v5
	s_xor_b32 s13, exec_lo, s13
; %bb.18266:                            ;   in Loop: Header=BB6_14192 Depth=3
	s_delay_alu instid0(VALU_DEP_2) | instskip(SKIP_1) | instid1(VALU_DEP_1)
	v_cmp_lt_u64_e32 vcc_lo, 0xffffff, v[2:3]
	v_add_nc_u32_e32 v4, 15, v37
	v_cndmask_b32_e32 v4, v5, v4, vcc_lo
	v_cndmask_b32_e64 v5, 0, 1, vcc_lo
	s_delay_alu instid0(VALU_DEP_1)
	v_lshrrev_b64 v[2:3], v5, v[2:3]
; %bb.18267:                            ;   in Loop: Header=BB6_14192 Depth=3
	s_and_not1_saveexec_b32 s13, s13
; %bb.18268:                            ;   in Loop: Header=BB6_14192 Depth=3
	s_delay_alu instid0(VALU_DEP_1)
	v_bfe_u32 v4, v2, 23, 1
; %bb.18269:                            ;   in Loop: Header=BB6_14192 Depth=3
	s_or_b32 exec_lo, exec_lo, s13
	s_delay_alu instid0(VALU_DEP_2) | instskip(NEXT) | instid1(VALU_DEP_2)
	v_lshrrev_b64 v[2:3], 21, v[2:3]
	v_cmp_gt_i32_e32 vcc_lo, 32, v4
	v_min_i32_e32 v5, 31, v4
	v_cmp_eq_u32_e64 s13, 0, v4
	s_delay_alu instid0(VALU_DEP_2) | instskip(SKIP_1) | instid1(VALU_DEP_2)
	v_dual_cndmask_b32 v3, 0, v3, vcc_lo :: v_dual_lshlrev_b32 v5, 2, v5
	v_cndmask_b32_e32 v2, 3, v2, vcc_lo
	v_and_b32_e32 v5, 0xfc, v5
	s_delay_alu instid0(VALU_DEP_2) | instskip(NEXT) | instid1(VALU_DEP_2)
	v_cmp_eq_u64_e32 vcc_lo, 0, v[2:3]
	v_and_or_b32 v2, v2, 3, v5
	s_and_b32 s13, s13, vcc_lo
	s_delay_alu instid0(VALU_DEP_1) | instid1(SALU_CYCLE_1)
	v_cndmask_b32_e64 v2, v2, 0, s13
	s_delay_alu instid0(VALU_DEP_1)
	v_or_b32_e32 v37, v2, v1
.LBB6_18270:                            ;   in Loop: Header=BB6_14192 Depth=3
	s_or_b32 exec_lo, exec_lo, s75
                                        ; implicit-def: $vgpr1
.LBB6_18271:                            ;   in Loop: Header=BB6_14192 Depth=3
	s_and_not1_saveexec_b32 s13, s74
; %bb.18272:                            ;   in Loop: Header=BB6_14192 Depth=3
	v_or_b32_e32 v37, 0x7b, v1
; %bb.18273:                            ;   in Loop: Header=BB6_14192 Depth=3
	s_or_b32 exec_lo, exec_lo, s13
                                        ; implicit-def: $vgpr4
                                        ; implicit-def: $vgpr2_vgpr3
                                        ; implicit-def: $vgpr1
.LBB6_18274:                            ;   in Loop: Header=BB6_14192 Depth=3
	s_and_not1_saveexec_b32 s13, s73
	s_cbranch_execz .LBB6_18280
; %bb.18275:                            ;   in Loop: Header=BB6_14192 Depth=3
	s_mov_b32 s73, exec_lo
                                        ; implicit-def: $vgpr37
	v_cmpx_ne_u64_e32 0, v[2:3]
	s_xor_b32 s73, exec_lo, s73
; %bb.18276:                            ;   in Loop: Header=BB6_14192 Depth=3
	v_or_b32_e32 v37, 0x7f, v1
                                        ; implicit-def: $vgpr4
; %bb.18277:                            ;   in Loop: Header=BB6_14192 Depth=3
	s_and_not1_saveexec_b32 s73, s73
; %bb.18278:                            ;   in Loop: Header=BB6_14192 Depth=3
	v_cmp_lt_i32_e32 vcc_lo, -1, v4
	v_mov_b32_e32 v1, 0x7c
	s_delay_alu instid0(VALU_DEP_1)
	v_cndmask_b32_e32 v37, 0xfc, v1, vcc_lo
; %bb.18279:                            ;   in Loop: Header=BB6_14192 Depth=3
	s_or_b32 exec_lo, exec_lo, s73
.LBB6_18280:                            ;   in Loop: Header=BB6_14192 Depth=3
	s_delay_alu instid0(SALU_CYCLE_1) | instskip(SKIP_3) | instid1(VALU_DEP_2)
	s_or_b32 exec_lo, exec_lo, s13
	v_dual_mov_b32 v1, 0 :: v_dual_lshrrev_b32 v2, 16, v0
	v_mov_b32_e32 v3, 0
	s_mov_b32 s73, exec_lo
	v_and_b32_e32 v4, 0xff, v2
	s_delay_alu instid0(VALU_DEP_1)
	v_cmpx_ne_u16_e32 0, v4
	s_cbranch_execz .LBB6_18290
; %bb.18281:                            ;   in Loop: Header=BB6_14192 Depth=3
	v_bfrev_b32_e32 v3, 1
	s_mov_b32 s74, exec_lo
	v_cmpx_ne_u16_e32 0x80, v4
	s_cbranch_execz .LBB6_18289
; %bb.18282:                            ;   in Loop: Header=BB6_14192 Depth=3
	v_and_b32_e32 v3, 0x7c0000, v0
	v_bfe_u32 v4, v0, 16, 2
	s_delay_alu instid0(VALU_DEP_2) | instskip(SKIP_1) | instid1(SALU_CYCLE_1)
	v_cmp_ne_u32_e32 vcc_lo, 0x7c0000, v3
                                        ; implicit-def: $vgpr3
	s_and_saveexec_b32 s13, vcc_lo
	s_xor_b32 s13, exec_lo, s13
	s_cbranch_execz .LBB6_18286
; %bb.18283:                            ;   in Loop: Header=BB6_14192 Depth=3
	v_bfe_u32 v3, v0, 18, 5
	s_mov_b32 s75, exec_lo
	s_delay_alu instid0(VALU_DEP_1)
	v_cmpx_eq_u32_e32 0, v3
; %bb.18284:                            ;   in Loop: Header=BB6_14192 Depth=3
	v_clz_i32_u32_e32 v3, v4
	s_delay_alu instid0(VALU_DEP_1) | instskip(NEXT) | instid1(VALU_DEP_1)
	v_min_u32_e32 v3, 32, v3
	v_subrev_nc_u32_e32 v4, 29, v3
	s_delay_alu instid0(VALU_DEP_1) | instskip(NEXT) | instid1(VALU_DEP_1)
	v_lshlrev_b64_e32 v[4:5], v4, v[2:3]
	v_dual_sub_nc_u32 v3, 30, v3 :: v_dual_bitop2_b32 v4, 3, v4 bitop3:0x40
; %bb.18285:                            ;   in Loop: Header=BB6_14192 Depth=3
	s_or_b32 exec_lo, exec_lo, s75
	v_lshlrev_b32_e32 v2, 24, v2
	s_delay_alu instid0(VALU_DEP_1) | instskip(NEXT) | instid1(VALU_DEP_1)
	v_and_b32_e32 v2, 0x80000000, v2
	v_lshl_add_u32 v2, v3, 23, v2
	s_delay_alu instid0(VALU_DEP_1) | instskip(NEXT) | instid1(VALU_DEP_1)
	v_lshl_or_b32 v2, v4, 21, v2
                                        ; implicit-def: $vgpr4
	v_add_nc_u32_e32 v3, 0x38000000, v2
                                        ; implicit-def: $vgpr2
.LBB6_18286:                            ;   in Loop: Header=BB6_14192 Depth=3
	s_and_not1_saveexec_b32 s75, s13
; %bb.18287:                            ;   in Loop: Header=BB6_14192 Depth=3
	v_bfe_i32 v2, v2, 0, 8
	v_cmp_eq_u32_e32 vcc_lo, 0, v4
	s_delay_alu instid0(VALU_DEP_2) | instskip(SKIP_1) | instid1(VALU_DEP_1)
	v_cmp_lt_i16_e64 s13, -1, v2
	v_mov_b32_e32 v2, 0x7f800000
	v_cndmask_b32_e64 v2, 0xff800000, v2, s13
	s_delay_alu instid0(VALU_DEP_1)
	v_cndmask_b32_e32 v3, 0x7f800001, v2, vcc_lo
; %bb.18288:                            ;   in Loop: Header=BB6_14192 Depth=3
	s_or_b32 exec_lo, exec_lo, s75
.LBB6_18289:                            ;   in Loop: Header=BB6_14192 Depth=3
	s_delay_alu instid0(SALU_CYCLE_1)
	s_or_b32 exec_lo, exec_lo, s74
.LBB6_18290:                            ;   in Loop: Header=BB6_14192 Depth=3
	s_delay_alu instid0(SALU_CYCLE_1) | instskip(SKIP_2) | instid1(VALU_DEP_1)
	s_or_b32 exec_lo, exec_lo, s73
	v_lshrrev_b32_e32 v2, 16, v9
	s_mov_b32 s73, exec_lo
	v_and_b32_e32 v4, 0xff, v2
	s_delay_alu instid0(VALU_DEP_1)
	v_cmpx_ne_u16_e32 0, v4
	s_cbranch_execz .LBB6_18300
; %bb.18291:                            ;   in Loop: Header=BB6_14192 Depth=3
	v_bfrev_b32_e32 v1, 1
	s_mov_b32 s74, exec_lo
	v_cmpx_ne_u16_e32 0x80, v4
	s_cbranch_execz .LBB6_18299
; %bb.18292:                            ;   in Loop: Header=BB6_14192 Depth=3
	v_and_b32_e32 v1, 0x7c0000, v9
	v_bfe_u32 v4, v9, 16, 2
	s_delay_alu instid0(VALU_DEP_2) | instskip(SKIP_1) | instid1(SALU_CYCLE_1)
	v_cmp_ne_u32_e32 vcc_lo, 0x7c0000, v1
                                        ; implicit-def: $vgpr1
	s_and_saveexec_b32 s13, vcc_lo
	s_xor_b32 s13, exec_lo, s13
	s_cbranch_execz .LBB6_18296
; %bb.18293:                            ;   in Loop: Header=BB6_14192 Depth=3
	v_bfe_u32 v1, v9, 18, 5
	s_mov_b32 s75, exec_lo
	s_delay_alu instid0(VALU_DEP_1)
	v_cmpx_eq_u32_e32 0, v1
; %bb.18294:                            ;   in Loop: Header=BB6_14192 Depth=3
	v_clz_i32_u32_e32 v1, v4
	s_delay_alu instid0(VALU_DEP_1) | instskip(NEXT) | instid1(VALU_DEP_1)
	v_min_u32_e32 v1, 32, v1
	v_subrev_nc_u32_e32 v4, 29, v1
	s_delay_alu instid0(VALU_DEP_1) | instskip(NEXT) | instid1(VALU_DEP_1)
	v_lshlrev_b64_e32 v[4:5], v4, v[2:3]
	v_dual_sub_nc_u32 v1, 30, v1 :: v_dual_bitop2_b32 v4, 3, v4 bitop3:0x40
; %bb.18295:                            ;   in Loop: Header=BB6_14192 Depth=3
	s_or_b32 exec_lo, exec_lo, s75
	v_lshlrev_b32_e32 v2, 24, v2
	s_delay_alu instid0(VALU_DEP_1) | instskip(NEXT) | instid1(VALU_DEP_1)
	v_and_b32_e32 v2, 0x80000000, v2
	v_lshl_add_u32 v1, v1, 23, v2
                                        ; implicit-def: $vgpr2
	s_delay_alu instid0(VALU_DEP_1) | instskip(NEXT) | instid1(VALU_DEP_1)
	v_lshl_or_b32 v1, v4, 21, v1
                                        ; implicit-def: $vgpr4
	v_add_nc_u32_e32 v1, 0x38000000, v1
.LBB6_18296:                            ;   in Loop: Header=BB6_14192 Depth=3
	s_and_not1_saveexec_b32 s75, s13
; %bb.18297:                            ;   in Loop: Header=BB6_14192 Depth=3
	v_bfe_i32 v1, v2, 0, 8
	v_cmp_eq_u32_e32 vcc_lo, 0, v4
	s_delay_alu instid0(VALU_DEP_2) | instskip(SKIP_1) | instid1(VALU_DEP_1)
	v_cmp_lt_i16_e64 s13, -1, v1
	v_mov_b32_e32 v1, 0x7f800000
	v_cndmask_b32_e64 v1, 0xff800000, v1, s13
	s_delay_alu instid0(VALU_DEP_1)
	v_cndmask_b32_e32 v1, 0x7f800001, v1, vcc_lo
; %bb.18298:                            ;   in Loop: Header=BB6_14192 Depth=3
	s_or_b32 exec_lo, exec_lo, s75
.LBB6_18299:                            ;   in Loop: Header=BB6_14192 Depth=3
	s_delay_alu instid0(SALU_CYCLE_1)
	s_or_b32 exec_lo, exec_lo, s74
.LBB6_18300:                            ;   in Loop: Header=BB6_14192 Depth=3
	s_delay_alu instid0(SALU_CYCLE_1) | instskip(NEXT) | instid1(VALU_DEP_1)
	s_or_b32 exec_lo, exec_lo, s73
	v_dual_add_f32 v4, v3, v1 :: v_dual_mov_b32 v47, v113
	v_mov_b32_e32 v3, v113
                                        ; implicit-def: $vgpr48
	s_mov_b32 s13, exec_lo
	s_delay_alu instid0(VALU_DEP_2) | instskip(SKIP_2) | instid1(VALU_DEP_3)
	v_and_b32_e32 v46, 0x7f800000, v4
	v_and_b32_e32 v2, 0x7fffff, v4
	v_lshrrev_b32_e32 v1, 24, v4
	v_cmpx_ne_u64_e32 0x7f800000, v[46:47]
	s_xor_b32 s73, exec_lo, s13
	s_cbranch_execz .LBB6_18314
; %bb.18301:                            ;   in Loop: Header=BB6_14192 Depth=3
	v_and_b32_e32 v46, 0x7fffffff, v4
	v_mov_b32_e32 v47, v113
	v_and_b32_e32 v1, 0x80, v1
                                        ; implicit-def: $vgpr48
	s_mov_b32 s13, exec_lo
	s_delay_alu instid0(VALU_DEP_2)
	v_cmpx_gt_u64_e32 0x47600001, v[46:47]
	s_xor_b32 s74, exec_lo, s13
	s_cbranch_execz .LBB6_18311
; %bb.18302:                            ;   in Loop: Header=BB6_14192 Depth=3
	v_mov_b32_e32 v48, 0
	s_mov_b32 s75, exec_lo
	v_cmpx_ne_u32_e32 0, v4
	s_cbranch_execz .LBB6_18310
; %bb.18303:                            ;   in Loop: Header=BB6_14192 Depth=3
	v_bfe_u32 v48, v4, 23, 8
	v_or_b32_e32 v5, 0x800000, v2
	s_delay_alu instid0(VALU_DEP_2) | instskip(SKIP_2) | instid1(VALU_DEP_2)
	v_cmp_gt_u32_e64 s13, 0x72, v48
	v_sub_nc_u32_e32 v4, 0x71, v48
	v_cmp_eq_u32_e32 vcc_lo, 0, v48
	v_dual_cndmask_b32 v4, 0, v4, s13 :: v_dual_cndmask_b32 v2, v5, v2, vcc_lo
	s_delay_alu instid0(VALU_DEP_1) | instskip(NEXT) | instid1(VALU_DEP_1)
	v_cndmask_b32_e64 v51, v4, 0x70, vcc_lo
	v_dual_add_nc_u32 v4, 21, v51 :: v_dual_add_nc_u32 v64, 20, v51
	s_delay_alu instid0(VALU_DEP_1) | instskip(NEXT) | instid1(VALU_DEP_2)
	v_lshlrev_b64_e64 v[4:5], v4, -1
	v_lshlrev_b64_e64 v[46:47], v64, 1
	s_delay_alu instid0(VALU_DEP_2) | instskip(SKIP_1) | instid1(VALU_DEP_4)
	v_bfi_b32 v4, v4, 0, v2
	v_lshrrev_b64 v[2:3], v51, v[2:3]
	v_bfi_b32 v5, v5, 0, 0
	s_delay_alu instid0(VALU_DEP_1) | instskip(NEXT) | instid1(VALU_DEP_3)
	v_cmp_eq_u64_e64 s13, v[4:5], v[46:47]
	v_mov_b64_e32 v[4:5], v[2:3]
	s_and_saveexec_b32 s76, s13
; %bb.18304:                            ;   in Loop: Header=BB6_14192 Depth=3
	v_bfe_u32 v4, v2, 21, 1
	v_mov_b32_e32 v5, v113
	s_delay_alu instid0(VALU_DEP_1) | instskip(NEXT) | instid1(VALU_DEP_1)
	v_add_nc_u64_e32 v[4:5], v[2:3], v[4:5]
	v_add_nc_u64_e32 v[4:5], -1, v[4:5]
; %bb.18305:                            ;   in Loop: Header=BB6_14192 Depth=3
	s_or_b32 exec_lo, exec_lo, s76
	v_add_nc_u32_e32 v3, 0xffffff81, v48
	v_lshrrev_b32_e32 v5, 23, v2
	s_mov_b32 s13, exec_lo
	s_delay_alu instid0(VALU_DEP_2) | instskip(NEXT) | instid1(VALU_DEP_1)
	v_cndmask_b32_e64 v3, v3, 0xffffff82, vcc_lo
	v_add3_u32 v48, v51, v3, v5
	v_and_b32_e32 v3, 0x1fffff, v4
                                        ; implicit-def: $vgpr4
	s_delay_alu instid0(VALU_DEP_1) | instskip(SKIP_1) | instid1(VALU_DEP_2)
	v_dual_add_nc_u32 v5, 14, v48 :: v_dual_add_nc_u32 v2, v3, v2
	v_mov_b32_e32 v3, v113
	v_cmpx_ne_u32_e32 0, v5
	s_xor_b32 s13, exec_lo, s13
; %bb.18306:                            ;   in Loop: Header=BB6_14192 Depth=3
	s_delay_alu instid0(VALU_DEP_2) | instskip(SKIP_1) | instid1(VALU_DEP_1)
	v_cmp_lt_u64_e32 vcc_lo, 0xffffff, v[2:3]
	v_add_nc_u32_e32 v4, 15, v48
	v_cndmask_b32_e32 v4, v5, v4, vcc_lo
	v_cndmask_b32_e64 v5, 0, 1, vcc_lo
	s_delay_alu instid0(VALU_DEP_1)
	v_lshrrev_b64 v[2:3], v5, v[2:3]
; %bb.18307:                            ;   in Loop: Header=BB6_14192 Depth=3
	s_and_not1_saveexec_b32 s13, s13
; %bb.18308:                            ;   in Loop: Header=BB6_14192 Depth=3
	s_delay_alu instid0(VALU_DEP_1)
	v_bfe_u32 v4, v2, 23, 1
; %bb.18309:                            ;   in Loop: Header=BB6_14192 Depth=3
	s_or_b32 exec_lo, exec_lo, s13
	s_delay_alu instid0(VALU_DEP_2) | instskip(NEXT) | instid1(VALU_DEP_2)
	v_lshrrev_b64 v[2:3], 21, v[2:3]
	v_cmp_gt_i32_e32 vcc_lo, 32, v4
	v_min_i32_e32 v5, 31, v4
	v_cmp_eq_u32_e64 s13, 0, v4
	s_delay_alu instid0(VALU_DEP_2) | instskip(SKIP_1) | instid1(VALU_DEP_2)
	v_dual_cndmask_b32 v3, 0, v3, vcc_lo :: v_dual_lshlrev_b32 v5, 2, v5
	v_cndmask_b32_e32 v2, 3, v2, vcc_lo
	v_and_b32_e32 v5, 0xfc, v5
	s_delay_alu instid0(VALU_DEP_2) | instskip(NEXT) | instid1(VALU_DEP_2)
	v_cmp_eq_u64_e32 vcc_lo, 0, v[2:3]
	v_and_or_b32 v2, v2, 3, v5
	s_and_b32 s13, s13, vcc_lo
	s_delay_alu instid0(VALU_DEP_1) | instid1(SALU_CYCLE_1)
	v_cndmask_b32_e64 v2, v2, 0, s13
	s_delay_alu instid0(VALU_DEP_1)
	v_or_b32_e32 v48, v2, v1
.LBB6_18310:                            ;   in Loop: Header=BB6_14192 Depth=3
	s_or_b32 exec_lo, exec_lo, s75
                                        ; implicit-def: $vgpr1
.LBB6_18311:                            ;   in Loop: Header=BB6_14192 Depth=3
	s_and_not1_saveexec_b32 s13, s74
; %bb.18312:                            ;   in Loop: Header=BB6_14192 Depth=3
	v_or_b32_e32 v48, 0x7b, v1
; %bb.18313:                            ;   in Loop: Header=BB6_14192 Depth=3
	s_or_b32 exec_lo, exec_lo, s13
                                        ; implicit-def: $vgpr4
                                        ; implicit-def: $vgpr2_vgpr3
                                        ; implicit-def: $vgpr1
.LBB6_18314:                            ;   in Loop: Header=BB6_14192 Depth=3
	s_and_not1_saveexec_b32 s13, s73
	s_cbranch_execz .LBB6_18320
; %bb.18315:                            ;   in Loop: Header=BB6_14192 Depth=3
	s_mov_b32 s73, exec_lo
                                        ; implicit-def: $vgpr48
	v_cmpx_ne_u64_e32 0, v[2:3]
	s_xor_b32 s73, exec_lo, s73
; %bb.18316:                            ;   in Loop: Header=BB6_14192 Depth=3
	v_or_b32_e32 v48, 0x7f, v1
                                        ; implicit-def: $vgpr4
; %bb.18317:                            ;   in Loop: Header=BB6_14192 Depth=3
	s_and_not1_saveexec_b32 s73, s73
; %bb.18318:                            ;   in Loop: Header=BB6_14192 Depth=3
	v_cmp_lt_i32_e32 vcc_lo, -1, v4
	v_mov_b32_e32 v1, 0x7c
	s_delay_alu instid0(VALU_DEP_1)
	v_cndmask_b32_e32 v48, 0xfc, v1, vcc_lo
; %bb.18319:                            ;   in Loop: Header=BB6_14192 Depth=3
	s_or_b32 exec_lo, exec_lo, s73
.LBB6_18320:                            ;   in Loop: Header=BB6_14192 Depth=3
	s_delay_alu instid0(SALU_CYCLE_1)
	s_or_b32 exec_lo, exec_lo, s13
	v_dual_mov_b32 v3, 0 :: v_dual_mov_b32 v4, 0
	s_mov_b32 s73, exec_lo
	v_cmpx_lt_u32_e32 0xffffff, v0
	s_cbranch_execz .LBB6_18330
; %bb.18321:                            ;   in Loop: Header=BB6_14192 Depth=3
	v_lshrrev_b32_e32 v2, 24, v0
	v_bfrev_b32_e32 v4, 1
	s_mov_b32 s74, exec_lo
	s_delay_alu instid0(VALU_DEP_2)
	v_cmpx_ne_u32_e32 0x80, v2
	s_cbranch_execz .LBB6_18329
; %bb.18322:                            ;   in Loop: Header=BB6_14192 Depth=3
	v_and_b32_e32 v1, 0x7c000000, v0
	v_bfe_u32 v5, v0, 24, 2
	s_mov_b32 s13, exec_lo
                                        ; implicit-def: $vgpr4
	s_delay_alu instid0(VALU_DEP_2)
	v_cmpx_ne_u32_e32 0x7c000000, v1
	s_xor_b32 s13, exec_lo, s13
	s_cbranch_execz .LBB6_18326
; %bb.18323:                            ;   in Loop: Header=BB6_14192 Depth=3
	v_bfe_u32 v1, v0, 26, 5
	s_mov_b32 s75, exec_lo
	s_delay_alu instid0(VALU_DEP_1)
	v_cmpx_eq_u32_e32 0, v1
; %bb.18324:                            ;   in Loop: Header=BB6_14192 Depth=3
	v_clz_i32_u32_e32 v1, v5
	s_delay_alu instid0(VALU_DEP_1) | instskip(NEXT) | instid1(VALU_DEP_1)
	v_min_u32_e32 v1, 32, v1
	v_subrev_nc_u32_e32 v4, 29, v1
	s_delay_alu instid0(VALU_DEP_1) | instskip(NEXT) | instid1(VALU_DEP_1)
	v_lshlrev_b64_e32 v[4:5], v4, v[2:3]
	v_dual_sub_nc_u32 v1, 30, v1 :: v_dual_bitop2_b32 v5, 3, v4 bitop3:0x40
; %bb.18325:                            ;   in Loop: Header=BB6_14192 Depth=3
	s_or_b32 exec_lo, exec_lo, s75
	v_and_b32_e32 v0, 0x80000000, v0
	s_delay_alu instid0(VALU_DEP_1) | instskip(NEXT) | instid1(VALU_DEP_1)
	v_lshl_add_u32 v0, v1, 23, v0
	v_lshl_or_b32 v0, v5, 21, v0
                                        ; implicit-def: $vgpr5
	s_delay_alu instid0(VALU_DEP_1)
	v_add_nc_u32_e32 v4, 0x38000000, v0
                                        ; implicit-def: $vgpr0_vgpr1
.LBB6_18326:                            ;   in Loop: Header=BB6_14192 Depth=3
	s_and_not1_saveexec_b32 s75, s13
; %bb.18327:                            ;   in Loop: Header=BB6_14192 Depth=3
	v_cmp_lt_i32_e64 s13, -1, v0
	v_mov_b32_e32 v0, 0x7f800000
	v_cmp_eq_u32_e32 vcc_lo, 0, v5
	s_delay_alu instid0(VALU_DEP_2) | instskip(NEXT) | instid1(VALU_DEP_1)
	v_cndmask_b32_e64 v0, 0xff800000, v0, s13
	v_cndmask_b32_e32 v4, 0x7f800001, v0, vcc_lo
; %bb.18328:                            ;   in Loop: Header=BB6_14192 Depth=3
	s_or_b32 exec_lo, exec_lo, s75
.LBB6_18329:                            ;   in Loop: Header=BB6_14192 Depth=3
	s_delay_alu instid0(SALU_CYCLE_1)
	s_or_b32 exec_lo, exec_lo, s74
.LBB6_18330:                            ;   in Loop: Header=BB6_14192 Depth=3
	s_delay_alu instid0(SALU_CYCLE_1) | instskip(NEXT) | instid1(SALU_CYCLE_1)
	s_or_b32 exec_lo, exec_lo, s73
	s_mov_b32 s73, exec_lo
	v_cmpx_lt_u64_e64 s[22:23], v[8:9]
	s_cbranch_execz .LBB6_18340
; %bb.18331:                            ;   in Loop: Header=BB6_14192 Depth=3
	v_lshrrev_b32_e32 v0, 24, v9
	v_bfrev_b32_e32 v3, 1
	s_mov_b32 s74, exec_lo
	s_delay_alu instid0(VALU_DEP_2)
	v_cmpx_ne_u32_e32 0x80, v0
	s_cbranch_execz .LBB6_18339
; %bb.18332:                            ;   in Loop: Header=BB6_14192 Depth=3
	v_and_b32_e32 v2, 0x7c000000, v9
	v_bfe_u32 v1, v9, 24, 2
	s_mov_b32 s13, exec_lo
                                        ; implicit-def: $vgpr3
	s_delay_alu instid0(VALU_DEP_2)
	v_cmpx_ne_u32_e32 0x7c000000, v2
	s_xor_b32 s13, exec_lo, s13
	s_cbranch_execz .LBB6_18336
; %bb.18333:                            ;   in Loop: Header=BB6_14192 Depth=3
	v_bfe_u32 v2, v9, 26, 5
	s_mov_b32 s75, exec_lo
	s_delay_alu instid0(VALU_DEP_1)
	v_cmpx_eq_u32_e32 0, v2
; %bb.18334:                            ;   in Loop: Header=BB6_14192 Depth=3
	v_clz_i32_u32_e32 v1, v1
	s_delay_alu instid0(VALU_DEP_1) | instskip(NEXT) | instid1(VALU_DEP_1)
	v_min_u32_e32 v2, 32, v1
	v_subrev_nc_u32_e32 v1, 29, v2
	s_delay_alu instid0(VALU_DEP_1) | instskip(NEXT) | instid1(VALU_DEP_1)
	v_lshlrev_b64_e32 v[0:1], v1, v[0:1]
	v_dual_sub_nc_u32 v2, 30, v2 :: v_dual_bitop2_b32 v1, 3, v0 bitop3:0x40
; %bb.18335:                            ;   in Loop: Header=BB6_14192 Depth=3
	s_or_b32 exec_lo, exec_lo, s75
	v_and_b32_e32 v0, 0x80000000, v9
	s_delay_alu instid0(VALU_DEP_1) | instskip(NEXT) | instid1(VALU_DEP_1)
	v_lshl_add_u32 v0, v2, 23, v0
	v_lshl_or_b32 v0, v1, 21, v0
                                        ; implicit-def: $vgpr1
	s_delay_alu instid0(VALU_DEP_1)
	v_add_nc_u32_e32 v3, 0x38000000, v0
.LBB6_18336:                            ;   in Loop: Header=BB6_14192 Depth=3
	s_and_not1_saveexec_b32 s75, s13
; %bb.18337:                            ;   in Loop: Header=BB6_14192 Depth=3
	v_cmp_lt_i64_e64 s13, -1, v[8:9]
	v_mov_b32_e32 v0, 0x7f800000
	v_cmp_eq_u32_e32 vcc_lo, 0, v1
	s_delay_alu instid0(VALU_DEP_2) | instskip(NEXT) | instid1(VALU_DEP_1)
	v_cndmask_b32_e64 v0, 0xff800000, v0, s13
	v_cndmask_b32_e32 v3, 0x7f800001, v0, vcc_lo
; %bb.18338:                            ;   in Loop: Header=BB6_14192 Depth=3
	s_or_b32 exec_lo, exec_lo, s75
.LBB6_18339:                            ;   in Loop: Header=BB6_14192 Depth=3
	s_delay_alu instid0(SALU_CYCLE_1)
	s_or_b32 exec_lo, exec_lo, s74
.LBB6_18340:                            ;   in Loop: Header=BB6_14192 Depth=3
	s_delay_alu instid0(SALU_CYCLE_1) | instskip(NEXT) | instid1(VALU_DEP_1)
	s_or_b32 exec_lo, exec_lo, s73
	v_dual_add_f32 v2, v4, v3 :: v_dual_mov_b32 v5, v113
	v_mov_b32_e32 v1, v113
                                        ; implicit-def: $vgpr8
	s_mov_b32 s13, exec_lo
	s_delay_alu instid0(VALU_DEP_2) | instskip(SKIP_2) | instid1(VALU_DEP_3)
	v_and_b32_e32 v4, 0x7f800000, v2
	v_and_b32_e32 v0, 0x7fffff, v2
	v_lshrrev_b32_e32 v3, 24, v2
	v_cmpx_ne_u64_e32 0x7f800000, v[4:5]
	s_xor_b32 s73, exec_lo, s13
	s_cbranch_execz .LBB6_18354
; %bb.18341:                            ;   in Loop: Header=BB6_14192 Depth=3
	v_and_b32_e32 v4, 0x7fffffff, v2
	v_mov_b32_e32 v5, v113
                                        ; implicit-def: $vgpr8
	s_delay_alu instid0(VALU_DEP_1) | instskip(SKIP_2) | instid1(SALU_CYCLE_1)
	v_cmp_gt_u64_e32 vcc_lo, 0x47600001, v[4:5]
	v_and_b32_e32 v4, 0x80, v3
	s_and_saveexec_b32 s13, vcc_lo
	s_xor_b32 s74, exec_lo, s13
	s_cbranch_execz .LBB6_18351
; %bb.18342:                            ;   in Loop: Header=BB6_14192 Depth=3
	v_mov_b32_e32 v8, 0
	s_mov_b32 s75, exec_lo
	v_cmpx_ne_u32_e32 0, v2
	s_cbranch_execz .LBB6_18350
; %bb.18343:                            ;   in Loop: Header=BB6_14192 Depth=3
	v_bfe_u32 v5, v2, 23, 8
	v_or_b32_e32 v3, 0x800000, v0
	s_delay_alu instid0(VALU_DEP_2) | instskip(SKIP_2) | instid1(VALU_DEP_2)
	v_cmp_gt_u32_e64 s13, 0x72, v5
	v_sub_nc_u32_e32 v2, 0x71, v5
	v_cmp_eq_u32_e32 vcc_lo, 0, v5
	v_dual_cndmask_b32 v2, 0, v2, s13 :: v_dual_cndmask_b32 v0, v3, v0, vcc_lo
	s_delay_alu instid0(VALU_DEP_1) | instskip(NEXT) | instid1(VALU_DEP_1)
	v_cndmask_b32_e64 v8, v2, 0x70, vcc_lo
	v_dual_add_nc_u32 v2, 21, v8 :: v_dual_add_nc_u32 v9, 20, v8
	s_delay_alu instid0(VALU_DEP_1) | instskip(NEXT) | instid1(VALU_DEP_2)
	v_lshlrev_b64_e64 v[2:3], v2, -1
	v_lshlrev_b64_e64 v[46:47], v9, 1
	s_delay_alu instid0(VALU_DEP_2) | instskip(SKIP_1) | instid1(VALU_DEP_4)
	v_bfi_b32 v2, v2, 0, v0
	v_lshrrev_b64 v[0:1], v8, v[0:1]
	v_bfi_b32 v3, v3, 0, 0
	s_delay_alu instid0(VALU_DEP_1) | instskip(NEXT) | instid1(VALU_DEP_3)
	v_cmp_eq_u64_e64 s13, v[2:3], v[46:47]
	v_mov_b64_e32 v[2:3], v[0:1]
	s_and_saveexec_b32 s76, s13
; %bb.18344:                            ;   in Loop: Header=BB6_14192 Depth=3
	v_bfe_u32 v2, v0, 21, 1
	v_mov_b32_e32 v3, v113
	s_delay_alu instid0(VALU_DEP_1) | instskip(NEXT) | instid1(VALU_DEP_1)
	v_add_nc_u64_e32 v[2:3], v[0:1], v[2:3]
	v_add_nc_u64_e32 v[2:3], -1, v[2:3]
; %bb.18345:                            ;   in Loop: Header=BB6_14192 Depth=3
	s_or_b32 exec_lo, exec_lo, s76
	v_add_nc_u32_e32 v1, 0xffffff81, v5
	v_lshrrev_b32_e32 v3, 23, v0
	s_mov_b32 s13, exec_lo
	s_delay_alu instid0(VALU_DEP_2) | instskip(NEXT) | instid1(VALU_DEP_1)
	v_cndmask_b32_e64 v1, v1, 0xffffff82, vcc_lo
	v_add3_u32 v5, v8, v1, v3
	v_and_b32_e32 v1, 0x1fffff, v2
                                        ; implicit-def: $vgpr2
	s_delay_alu instid0(VALU_DEP_1) | instskip(SKIP_1) | instid1(VALU_DEP_2)
	v_dual_add_nc_u32 v3, 14, v5 :: v_dual_add_nc_u32 v0, v1, v0
	v_mov_b32_e32 v1, v113
	v_cmpx_ne_u32_e32 0, v3
	s_xor_b32 s13, exec_lo, s13
; %bb.18346:                            ;   in Loop: Header=BB6_14192 Depth=3
	s_delay_alu instid0(VALU_DEP_2) | instskip(SKIP_1) | instid1(VALU_DEP_1)
	v_cmp_lt_u64_e32 vcc_lo, 0xffffff, v[0:1]
	v_add_nc_u32_e32 v2, 15, v5
	v_cndmask_b32_e32 v2, v3, v2, vcc_lo
	v_cndmask_b32_e64 v3, 0, 1, vcc_lo
	s_delay_alu instid0(VALU_DEP_1)
	v_lshrrev_b64 v[0:1], v3, v[0:1]
; %bb.18347:                            ;   in Loop: Header=BB6_14192 Depth=3
	s_and_not1_saveexec_b32 s13, s13
; %bb.18348:                            ;   in Loop: Header=BB6_14192 Depth=3
	s_delay_alu instid0(VALU_DEP_1)
	v_bfe_u32 v2, v0, 23, 1
; %bb.18349:                            ;   in Loop: Header=BB6_14192 Depth=3
	s_or_b32 exec_lo, exec_lo, s13
	s_delay_alu instid0(VALU_DEP_2) | instskip(NEXT) | instid1(VALU_DEP_2)
	v_lshrrev_b64 v[0:1], 21, v[0:1]
	v_cmp_gt_i32_e32 vcc_lo, 32, v2
	v_min_i32_e32 v3, 31, v2
	v_cmp_eq_u32_e64 s13, 0, v2
	s_delay_alu instid0(VALU_DEP_2) | instskip(SKIP_1) | instid1(VALU_DEP_2)
	v_dual_cndmask_b32 v1, 0, v1, vcc_lo :: v_dual_lshlrev_b32 v3, 2, v3
	v_cndmask_b32_e32 v0, 3, v0, vcc_lo
	v_and_b32_e32 v3, 0xfc, v3
	s_delay_alu instid0(VALU_DEP_2) | instskip(NEXT) | instid1(VALU_DEP_2)
	v_cmp_eq_u64_e32 vcc_lo, 0, v[0:1]
	v_and_or_b32 v0, v0, 3, v3
	s_and_b32 s13, s13, vcc_lo
	s_delay_alu instid0(VALU_DEP_1) | instid1(SALU_CYCLE_1)
	v_cndmask_b32_e64 v0, v0, 0, s13
	s_delay_alu instid0(VALU_DEP_1)
	v_or_b32_e32 v8, v0, v4
.LBB6_18350:                            ;   in Loop: Header=BB6_14192 Depth=3
	s_or_b32 exec_lo, exec_lo, s75
                                        ; implicit-def: $vgpr4
.LBB6_18351:                            ;   in Loop: Header=BB6_14192 Depth=3
	s_and_not1_saveexec_b32 s13, s74
; %bb.18352:                            ;   in Loop: Header=BB6_14192 Depth=3
	v_or_b32_e32 v8, 0x7b, v4
; %bb.18353:                            ;   in Loop: Header=BB6_14192 Depth=3
	s_or_b32 exec_lo, exec_lo, s13
                                        ; implicit-def: $vgpr2
                                        ; implicit-def: $vgpr0_vgpr1
                                        ; implicit-def: $vgpr3
.LBB6_18354:                            ;   in Loop: Header=BB6_14192 Depth=3
	s_and_not1_saveexec_b32 s13, s73
	s_cbranch_execz .LBB6_18360
; %bb.18355:                            ;   in Loop: Header=BB6_14192 Depth=3
	s_mov_b32 s73, exec_lo
                                        ; implicit-def: $vgpr8
	v_cmpx_ne_u64_e32 0, v[0:1]
	s_xor_b32 s73, exec_lo, s73
; %bb.18356:                            ;   in Loop: Header=BB6_14192 Depth=3
	v_or_b32_e32 v8, 0x7f, v3
                                        ; implicit-def: $vgpr2
; %bb.18357:                            ;   in Loop: Header=BB6_14192 Depth=3
	s_and_not1_saveexec_b32 s73, s73
; %bb.18358:                            ;   in Loop: Header=BB6_14192 Depth=3
	v_cmp_lt_i32_e32 vcc_lo, -1, v2
	v_mov_b32_e32 v0, 0x7c
	s_delay_alu instid0(VALU_DEP_1)
	v_cndmask_b32_e32 v8, 0xfc, v0, vcc_lo
; %bb.18359:                            ;   in Loop: Header=BB6_14192 Depth=3
	s_or_b32 exec_lo, exec_lo, s73
.LBB6_18360:                            ;   in Loop: Header=BB6_14192 Depth=3
	s_delay_alu instid0(SALU_CYCLE_1) | instskip(SKIP_4) | instid1(VALU_DEP_2)
	s_or_b32 exec_lo, exec_lo, s13
	v_lshl_or_b32 v32, v32, 8, v27
	v_dual_lshlrev_b32 v0, 16, v36 :: v_dual_lshlrev_b32 v2, 24, v38
	v_dual_mov_b32 v1, v113 :: v_dual_mov_b32 v3, 0
	s_mov_b32 s73, exec_lo
	v_or3_b32 v0, v0, v2, v32
	v_mov_b32_e32 v2, 0
	v_cmpx_ne_u32_e32 0, v27
	s_cbranch_execz .LBB6_18370
; %bb.18361:                            ;   in Loop: Header=BB6_14192 Depth=3
	v_bfrev_b32_e32 v3, 1
	s_mov_b32 s74, exec_lo
	v_cmpx_ne_u32_e32 0x80, v27
	s_cbranch_execz .LBB6_18369
; %bb.18362:                            ;   in Loop: Header=BB6_14192 Depth=3
	v_and_b32_e32 v3, 0x7c, v27
	v_and_b32_e32 v4, 3, v27
	s_delay_alu instid0(VALU_DEP_2) | instskip(SKIP_1) | instid1(SALU_CYCLE_1)
	v_cmp_ne_u32_e32 vcc_lo, 0x7c, v3
                                        ; implicit-def: $vgpr3
	s_and_saveexec_b32 s13, vcc_lo
	s_xor_b32 s13, exec_lo, s13
	s_cbranch_execz .LBB6_18366
; %bb.18363:                            ;   in Loop: Header=BB6_14192 Depth=3
	v_bfe_u32 v3, v27, 2, 5
	s_mov_b32 s75, exec_lo
	s_delay_alu instid0(VALU_DEP_1)
	v_cmpx_eq_u32_e32 0, v3
; %bb.18364:                            ;   in Loop: Header=BB6_14192 Depth=3
	v_clz_i32_u32_e32 v3, v4
	s_delay_alu instid0(VALU_DEP_1) | instskip(NEXT) | instid1(VALU_DEP_1)
	v_min_u32_e32 v3, 32, v3
	v_subrev_nc_u32_e32 v4, 29, v3
	s_delay_alu instid0(VALU_DEP_1) | instskip(NEXT) | instid1(VALU_DEP_1)
	v_lshlrev_b64_e32 v[4:5], v4, v[0:1]
	v_dual_sub_nc_u32 v3, 30, v3 :: v_dual_bitop2_b32 v4, 3, v4 bitop3:0x40
; %bb.18365:                            ;   in Loop: Header=BB6_14192 Depth=3
	s_or_b32 exec_lo, exec_lo, s75
	v_lshlrev_b32_e32 v1, 24, v27
                                        ; implicit-def: $vgpr27
	s_delay_alu instid0(VALU_DEP_1) | instskip(NEXT) | instid1(VALU_DEP_1)
	v_and_b32_e32 v1, 0x80000000, v1
	v_lshl_add_u32 v1, v3, 23, v1
	s_delay_alu instid0(VALU_DEP_1) | instskip(NEXT) | instid1(VALU_DEP_1)
	v_lshl_or_b32 v1, v4, 21, v1
                                        ; implicit-def: $vgpr4
	v_add_nc_u32_e32 v3, 0x38000000, v1
.LBB6_18366:                            ;   in Loop: Header=BB6_14192 Depth=3
	s_and_not1_saveexec_b32 s75, s13
; %bb.18367:                            ;   in Loop: Header=BB6_14192 Depth=3
	v_and_b32_e32 v1, 0x80, v27
	v_cmp_eq_u32_e32 vcc_lo, 0, v4
	s_delay_alu instid0(VALU_DEP_2) | instskip(SKIP_1) | instid1(VALU_DEP_1)
	v_cmp_eq_u32_e64 s13, 0, v1
	v_mov_b32_e32 v1, 0x7f800000
	v_cndmask_b32_e64 v1, 0xff800000, v1, s13
	s_delay_alu instid0(VALU_DEP_1)
	v_cndmask_b32_e32 v3, 0x7f800001, v1, vcc_lo
; %bb.18368:                            ;   in Loop: Header=BB6_14192 Depth=3
	s_or_b32 exec_lo, exec_lo, s75
.LBB6_18369:                            ;   in Loop: Header=BB6_14192 Depth=3
	s_delay_alu instid0(SALU_CYCLE_1)
	s_or_b32 exec_lo, exec_lo, s74
.LBB6_18370:                            ;   in Loop: Header=BB6_14192 Depth=3
	s_delay_alu instid0(SALU_CYCLE_1) | instskip(SKIP_2) | instid1(VALU_DEP_1)
	s_or_b32 exec_lo, exec_lo, s73
	v_and_b32_e32 v1, 0xff, v10
	s_mov_b32 s73, exec_lo
	v_cmpx_ne_u16_e32 0, v1
	s_cbranch_execz .LBB6_18380
; %bb.18371:                            ;   in Loop: Header=BB6_14192 Depth=3
	v_bfe_i32 v4, v10, 0, 8
	v_bfrev_b32_e32 v2, 1
	s_mov_b32 s74, exec_lo
	s_delay_alu instid0(VALU_DEP_2)
	v_cmpx_ne_u16_e32 0xff80, v4
	s_cbranch_execz .LBB6_18379
; %bb.18372:                            ;   in Loop: Header=BB6_14192 Depth=3
	v_and_b32_e32 v2, 0x7c, v10
	v_and_b32_e32 v1, 3, v10
	s_delay_alu instid0(VALU_DEP_2) | instskip(SKIP_1) | instid1(SALU_CYCLE_1)
	v_cmp_ne_u32_e32 vcc_lo, 0x7c, v2
                                        ; implicit-def: $vgpr2
	s_and_saveexec_b32 s13, vcc_lo
	s_xor_b32 s13, exec_lo, s13
	s_cbranch_execz .LBB6_18376
; %bb.18373:                            ;   in Loop: Header=BB6_14192 Depth=3
	v_bfe_u32 v2, v10, 2, 5
	s_mov_b32 s75, exec_lo
	s_delay_alu instid0(VALU_DEP_1)
	v_cmpx_eq_u32_e32 0, v2
; %bb.18374:                            ;   in Loop: Header=BB6_14192 Depth=3
	v_clz_i32_u32_e32 v1, v1
	s_delay_alu instid0(VALU_DEP_1) | instskip(NEXT) | instid1(VALU_DEP_1)
	v_min_u32_e32 v1, 32, v1
	v_subrev_nc_u32_e32 v2, 29, v1
	s_delay_alu instid0(VALU_DEP_1) | instskip(NEXT) | instid1(VALU_DEP_1)
	v_lshlrev_b64_e32 v[4:5], v2, v[10:11]
	v_dual_sub_nc_u32 v2, 30, v1 :: v_dual_bitop2_b32 v1, 3, v4 bitop3:0x40
; %bb.18375:                            ;   in Loop: Header=BB6_14192 Depth=3
	s_or_b32 exec_lo, exec_lo, s75
	v_lshlrev_b32_e32 v4, 24, v10
	s_delay_alu instid0(VALU_DEP_1) | instskip(NEXT) | instid1(VALU_DEP_1)
	v_and_b32_e32 v4, 0x80000000, v4
	v_lshl_add_u32 v2, v2, 23, v4
                                        ; implicit-def: $vgpr4
	s_delay_alu instid0(VALU_DEP_1) | instskip(NEXT) | instid1(VALU_DEP_1)
	v_lshl_or_b32 v1, v1, 21, v2
	v_add_nc_u32_e32 v2, 0x38000000, v1
                                        ; implicit-def: $vgpr1
.LBB6_18376:                            ;   in Loop: Header=BB6_14192 Depth=3
	s_and_not1_saveexec_b32 s75, s13
; %bb.18377:                            ;   in Loop: Header=BB6_14192 Depth=3
	v_cmp_eq_u32_e32 vcc_lo, 0, v1
	v_cmp_lt_i16_e64 s13, -1, v4
	v_mov_b32_e32 v1, 0x7f800000
	s_delay_alu instid0(VALU_DEP_1) | instskip(NEXT) | instid1(VALU_DEP_1)
	v_cndmask_b32_e64 v1, 0xff800000, v1, s13
	v_cndmask_b32_e32 v2, 0x7f800001, v1, vcc_lo
; %bb.18378:                            ;   in Loop: Header=BB6_14192 Depth=3
	s_or_b32 exec_lo, exec_lo, s75
.LBB6_18379:                            ;   in Loop: Header=BB6_14192 Depth=3
	s_delay_alu instid0(SALU_CYCLE_1)
	s_or_b32 exec_lo, exec_lo, s74
.LBB6_18380:                            ;   in Loop: Header=BB6_14192 Depth=3
	s_delay_alu instid0(SALU_CYCLE_1) | instskip(NEXT) | instid1(VALU_DEP_1)
	s_or_b32 exec_lo, exec_lo, s73
	v_dual_add_f32 v4, v3, v2 :: v_dual_mov_b32 v47, v113
	v_mov_b32_e32 v3, v113
                                        ; implicit-def: $vgpr9
	s_mov_b32 s13, exec_lo
	s_delay_alu instid0(VALU_DEP_2) | instskip(SKIP_2) | instid1(VALU_DEP_3)
	v_and_b32_e32 v46, 0x7f800000, v4
	v_and_b32_e32 v2, 0x7fffff, v4
	v_lshrrev_b32_e32 v1, 24, v4
	v_cmpx_ne_u64_e32 0x7f800000, v[46:47]
	s_xor_b32 s73, exec_lo, s13
	s_cbranch_execz .LBB6_18394
; %bb.18381:                            ;   in Loop: Header=BB6_14192 Depth=3
	v_and_b32_e32 v46, 0x7fffffff, v4
	v_mov_b32_e32 v47, v113
	v_and_b32_e32 v1, 0x80, v1
                                        ; implicit-def: $vgpr9
	s_mov_b32 s13, exec_lo
	s_delay_alu instid0(VALU_DEP_2)
	v_cmpx_gt_u64_e32 0x47600001, v[46:47]
	s_xor_b32 s74, exec_lo, s13
	s_cbranch_execz .LBB6_18391
; %bb.18382:                            ;   in Loop: Header=BB6_14192 Depth=3
	v_mov_b32_e32 v9, 0
	s_mov_b32 s75, exec_lo
	v_cmpx_ne_u32_e32 0, v4
	s_cbranch_execz .LBB6_18390
; %bb.18383:                            ;   in Loop: Header=BB6_14192 Depth=3
	v_bfe_u32 v9, v4, 23, 8
	v_or_b32_e32 v5, 0x800000, v2
	s_delay_alu instid0(VALU_DEP_2) | instskip(SKIP_2) | instid1(VALU_DEP_2)
	v_cmp_gt_u32_e64 s13, 0x72, v9
	v_sub_nc_u32_e32 v4, 0x71, v9
	v_cmp_eq_u32_e32 vcc_lo, 0, v9
	v_dual_cndmask_b32 v4, 0, v4, s13 :: v_dual_cndmask_b32 v2, v5, v2, vcc_lo
	s_delay_alu instid0(VALU_DEP_1) | instskip(NEXT) | instid1(VALU_DEP_1)
	v_cndmask_b32_e64 v27, v4, 0x70, vcc_lo
	v_dual_add_nc_u32 v4, 21, v27 :: v_dual_add_nc_u32 v36, 20, v27
	s_delay_alu instid0(VALU_DEP_1) | instskip(NEXT) | instid1(VALU_DEP_2)
	v_lshlrev_b64_e64 v[4:5], v4, -1
	v_lshlrev_b64_e64 v[46:47], v36, 1
	s_delay_alu instid0(VALU_DEP_2) | instskip(SKIP_1) | instid1(VALU_DEP_4)
	v_bfi_b32 v4, v4, 0, v2
	v_lshrrev_b64 v[2:3], v27, v[2:3]
	v_bfi_b32 v5, v5, 0, 0
	s_delay_alu instid0(VALU_DEP_1) | instskip(NEXT) | instid1(VALU_DEP_3)
	v_cmp_eq_u64_e64 s13, v[4:5], v[46:47]
	v_mov_b64_e32 v[4:5], v[2:3]
	s_and_saveexec_b32 s76, s13
; %bb.18384:                            ;   in Loop: Header=BB6_14192 Depth=3
	v_bfe_u32 v4, v2, 21, 1
	v_mov_b32_e32 v5, v113
	s_delay_alu instid0(VALU_DEP_1) | instskip(NEXT) | instid1(VALU_DEP_1)
	v_add_nc_u64_e32 v[4:5], v[2:3], v[4:5]
	v_add_nc_u64_e32 v[4:5], -1, v[4:5]
; %bb.18385:                            ;   in Loop: Header=BB6_14192 Depth=3
	s_or_b32 exec_lo, exec_lo, s76
	v_add_nc_u32_e32 v3, 0xffffff81, v9
	v_lshrrev_b32_e32 v5, 23, v2
	s_mov_b32 s13, exec_lo
	s_delay_alu instid0(VALU_DEP_2) | instskip(NEXT) | instid1(VALU_DEP_1)
	v_cndmask_b32_e64 v3, v3, 0xffffff82, vcc_lo
	v_add3_u32 v9, v27, v3, v5
	v_and_b32_e32 v3, 0x1fffff, v4
                                        ; implicit-def: $vgpr4
	s_delay_alu instid0(VALU_DEP_1) | instskip(SKIP_1) | instid1(VALU_DEP_2)
	v_dual_add_nc_u32 v5, 14, v9 :: v_dual_add_nc_u32 v2, v3, v2
	v_mov_b32_e32 v3, v113
	v_cmpx_ne_u32_e32 0, v5
	s_xor_b32 s13, exec_lo, s13
; %bb.18386:                            ;   in Loop: Header=BB6_14192 Depth=3
	s_delay_alu instid0(VALU_DEP_2) | instskip(SKIP_1) | instid1(VALU_DEP_1)
	v_cmp_lt_u64_e32 vcc_lo, 0xffffff, v[2:3]
	v_add_nc_u32_e32 v4, 15, v9
	v_cndmask_b32_e32 v4, v5, v4, vcc_lo
	v_cndmask_b32_e64 v5, 0, 1, vcc_lo
	s_delay_alu instid0(VALU_DEP_1)
	v_lshrrev_b64 v[2:3], v5, v[2:3]
; %bb.18387:                            ;   in Loop: Header=BB6_14192 Depth=3
	s_and_not1_saveexec_b32 s13, s13
; %bb.18388:                            ;   in Loop: Header=BB6_14192 Depth=3
	s_delay_alu instid0(VALU_DEP_1)
	v_bfe_u32 v4, v2, 23, 1
; %bb.18389:                            ;   in Loop: Header=BB6_14192 Depth=3
	s_or_b32 exec_lo, exec_lo, s13
	s_delay_alu instid0(VALU_DEP_2) | instskip(NEXT) | instid1(VALU_DEP_2)
	v_lshrrev_b64 v[2:3], 21, v[2:3]
	v_cmp_gt_i32_e32 vcc_lo, 32, v4
	v_min_i32_e32 v5, 31, v4
	v_cmp_eq_u32_e64 s13, 0, v4
	s_delay_alu instid0(VALU_DEP_2) | instskip(SKIP_1) | instid1(VALU_DEP_2)
	v_dual_cndmask_b32 v3, 0, v3, vcc_lo :: v_dual_lshlrev_b32 v5, 2, v5
	v_cndmask_b32_e32 v2, 3, v2, vcc_lo
	v_and_b32_e32 v5, 0xfc, v5
	s_delay_alu instid0(VALU_DEP_2) | instskip(NEXT) | instid1(VALU_DEP_2)
	v_cmp_eq_u64_e32 vcc_lo, 0, v[2:3]
	v_and_or_b32 v2, v2, 3, v5
	s_and_b32 s13, s13, vcc_lo
	s_delay_alu instid0(VALU_DEP_1) | instid1(SALU_CYCLE_1)
	v_cndmask_b32_e64 v2, v2, 0, s13
	s_delay_alu instid0(VALU_DEP_1)
	v_or_b32_e32 v9, v2, v1
.LBB6_18390:                            ;   in Loop: Header=BB6_14192 Depth=3
	s_or_b32 exec_lo, exec_lo, s75
                                        ; implicit-def: $vgpr1
.LBB6_18391:                            ;   in Loop: Header=BB6_14192 Depth=3
	s_and_not1_saveexec_b32 s13, s74
; %bb.18392:                            ;   in Loop: Header=BB6_14192 Depth=3
	v_or_b32_e32 v9, 0x7b, v1
; %bb.18393:                            ;   in Loop: Header=BB6_14192 Depth=3
	s_or_b32 exec_lo, exec_lo, s13
                                        ; implicit-def: $vgpr4
                                        ; implicit-def: $vgpr2_vgpr3
                                        ; implicit-def: $vgpr1
.LBB6_18394:                            ;   in Loop: Header=BB6_14192 Depth=3
	s_and_not1_saveexec_b32 s13, s73
	s_cbranch_execz .LBB6_18400
; %bb.18395:                            ;   in Loop: Header=BB6_14192 Depth=3
	s_mov_b32 s73, exec_lo
                                        ; implicit-def: $vgpr9
	v_cmpx_ne_u64_e32 0, v[2:3]
	s_xor_b32 s73, exec_lo, s73
; %bb.18396:                            ;   in Loop: Header=BB6_14192 Depth=3
	v_or_b32_e32 v9, 0x7f, v1
                                        ; implicit-def: $vgpr4
; %bb.18397:                            ;   in Loop: Header=BB6_14192 Depth=3
	s_and_not1_saveexec_b32 s73, s73
; %bb.18398:                            ;   in Loop: Header=BB6_14192 Depth=3
	v_cmp_lt_i32_e32 vcc_lo, -1, v4
	v_mov_b32_e32 v1, 0x7c
	s_delay_alu instid0(VALU_DEP_1)
	v_cndmask_b32_e32 v9, 0xfc, v1, vcc_lo
; %bb.18399:                            ;   in Loop: Header=BB6_14192 Depth=3
	s_or_b32 exec_lo, exec_lo, s73
.LBB6_18400:                            ;   in Loop: Header=BB6_14192 Depth=3
	s_delay_alu instid0(SALU_CYCLE_1) | instskip(SKIP_3) | instid1(VALU_DEP_2)
	s_or_b32 exec_lo, exec_lo, s13
	v_lshrrev_b16 v2, 8, v32
	v_dual_mov_b32 v1, 0 :: v_dual_mov_b32 v4, 0
	s_mov_b32 s73, exec_lo
	v_cmpx_ne_u16_e32 0, v2
	s_cbranch_execz .LBB6_18410
; %bb.18401:                            ;   in Loop: Header=BB6_14192 Depth=3
	v_bfrev_b32_e32 v4, 1
	s_mov_b32 s74, exec_lo
	v_cmpx_ne_u16_e32 0x80, v2
	s_cbranch_execz .LBB6_18409
; %bb.18402:                            ;   in Loop: Header=BB6_14192 Depth=3
	v_and_b32_e32 v5, 0xffff, v2
	s_delay_alu instid0(VALU_DEP_1) | instskip(SKIP_1) | instid1(VALU_DEP_2)
	v_and_b32_e32 v4, 0x7c, v5
	v_and_b32_e32 v3, 3, v5
	v_cmp_ne_u32_e32 vcc_lo, 0x7c, v4
                                        ; implicit-def: $vgpr4
	s_and_saveexec_b32 s13, vcc_lo
	s_delay_alu instid0(SALU_CYCLE_1)
	s_xor_b32 s13, exec_lo, s13
	s_cbranch_execz .LBB6_18406
; %bb.18403:                            ;   in Loop: Header=BB6_14192 Depth=3
	v_bfe_u32 v4, v5, 2, 5
	s_mov_b32 s75, exec_lo
	s_delay_alu instid0(VALU_DEP_1)
	v_cmpx_eq_u32_e32 0, v4
	s_cbranch_execz .LBB6_18405
; %bb.18404:                            ;   in Loop: Header=BB6_14192 Depth=3
	v_clz_i32_u32_e32 v3, v3
	s_delay_alu instid0(VALU_DEP_1) | instskip(SKIP_1) | instid1(VALU_DEP_2)
	v_min_u32_e32 v4, 32, v3
	v_mov_b32_e32 v3, v113
	v_subrev_nc_u32_e32 v5, 29, v4
	v_sub_nc_u32_e32 v4, 30, v4
	s_delay_alu instid0(VALU_DEP_2) | instskip(NEXT) | instid1(VALU_DEP_1)
	v_lshlrev_b64_e32 v[2:3], v5, v[2:3]
	v_and_b32_e32 v3, 3, v2
.LBB6_18405:                            ;   in Loop: Header=BB6_14192 Depth=3
	s_or_b32 exec_lo, exec_lo, s75
	v_lshlrev_b32_e32 v2, 16, v32
                                        ; implicit-def: $vgpr32
	s_delay_alu instid0(VALU_DEP_1) | instskip(NEXT) | instid1(VALU_DEP_1)
	v_and_b32_e32 v2, 0x80000000, v2
	v_lshl_add_u32 v2, v4, 23, v2
	s_delay_alu instid0(VALU_DEP_1) | instskip(NEXT) | instid1(VALU_DEP_1)
	v_lshl_or_b32 v2, v3, 21, v2
                                        ; implicit-def: $vgpr3
	v_add_nc_u32_e32 v4, 0x38000000, v2
.LBB6_18406:                            ;   in Loop: Header=BB6_14192 Depth=3
	s_and_not1_saveexec_b32 s75, s13
; %bb.18407:                            ;   in Loop: Header=BB6_14192 Depth=3
	v_cmp_lt_i16_e64 s13, -1, v32
	v_mov_b32_e32 v2, 0x7f800000
	v_cmp_eq_u32_e32 vcc_lo, 0, v3
	s_delay_alu instid0(VALU_DEP_2) | instskip(NEXT) | instid1(VALU_DEP_1)
	v_cndmask_b32_e64 v2, 0xff800000, v2, s13
	v_cndmask_b32_e32 v4, 0x7f800001, v2, vcc_lo
; %bb.18408:                            ;   in Loop: Header=BB6_14192 Depth=3
	s_or_b32 exec_lo, exec_lo, s75
.LBB6_18409:                            ;   in Loop: Header=BB6_14192 Depth=3
	s_delay_alu instid0(SALU_CYCLE_1)
	s_or_b32 exec_lo, exec_lo, s74
.LBB6_18410:                            ;   in Loop: Header=BB6_14192 Depth=3
	s_delay_alu instid0(SALU_CYCLE_1) | instskip(SKIP_2) | instid1(VALU_DEP_1)
	s_or_b32 exec_lo, exec_lo, s73
	v_lshrrev_b16 v2, 8, v10
	s_mov_b32 s73, exec_lo
	v_cmpx_ne_u16_e32 0, v2
	s_cbranch_execz .LBB6_18420
; %bb.18411:                            ;   in Loop: Header=BB6_14192 Depth=3
	v_bfrev_b32_e32 v1, 1
	s_mov_b32 s74, exec_lo
	v_cmpx_ne_u16_e32 0x80, v2
	s_cbranch_execz .LBB6_18419
; %bb.18412:                            ;   in Loop: Header=BB6_14192 Depth=3
	v_and_b32_e32 v5, 0xffff, v2
	s_delay_alu instid0(VALU_DEP_1) | instskip(SKIP_1) | instid1(VALU_DEP_2)
	v_and_b32_e32 v1, 0x7c, v5
	v_and_b32_e32 v3, 3, v5
	v_cmp_ne_u32_e32 vcc_lo, 0x7c, v1
                                        ; implicit-def: $vgpr1
	s_and_saveexec_b32 s13, vcc_lo
	s_delay_alu instid0(SALU_CYCLE_1)
	s_xor_b32 s13, exec_lo, s13
	s_cbranch_execz .LBB6_18416
; %bb.18413:                            ;   in Loop: Header=BB6_14192 Depth=3
	v_bfe_u32 v1, v5, 2, 5
	s_mov_b32 s75, exec_lo
	s_delay_alu instid0(VALU_DEP_1)
	v_cmpx_eq_u32_e32 0, v1
	s_cbranch_execz .LBB6_18415
; %bb.18414:                            ;   in Loop: Header=BB6_14192 Depth=3
	v_clz_i32_u32_e32 v1, v3
	s_delay_alu instid0(VALU_DEP_1) | instskip(SKIP_1) | instid1(VALU_DEP_2)
	v_min_u32_e32 v1, 32, v1
	v_mov_b32_e32 v3, v113
	v_subrev_nc_u32_e32 v5, 29, v1
	v_sub_nc_u32_e32 v1, 30, v1
	s_delay_alu instid0(VALU_DEP_2) | instskip(NEXT) | instid1(VALU_DEP_1)
	v_lshlrev_b64_e32 v[2:3], v5, v[2:3]
	v_and_b32_e32 v3, 3, v2
.LBB6_18415:                            ;   in Loop: Header=BB6_14192 Depth=3
	s_or_b32 exec_lo, exec_lo, s75
	v_lshlrev_b32_e32 v2, 16, v10
	s_delay_alu instid0(VALU_DEP_1) | instskip(NEXT) | instid1(VALU_DEP_1)
	v_and_b32_e32 v2, 0x80000000, v2
	v_lshl_add_u32 v1, v1, 23, v2
	s_delay_alu instid0(VALU_DEP_1) | instskip(NEXT) | instid1(VALU_DEP_1)
	v_lshl_or_b32 v1, v3, 21, v1
                                        ; implicit-def: $vgpr3
	v_add_nc_u32_e32 v1, 0x38000000, v1
.LBB6_18416:                            ;   in Loop: Header=BB6_14192 Depth=3
	s_and_not1_saveexec_b32 s75, s13
; %bb.18417:                            ;   in Loop: Header=BB6_14192 Depth=3
	v_cmp_lt_i16_e64 s13, -1, v10
	v_mov_b32_e32 v1, 0x7f800000
	v_cmp_eq_u32_e32 vcc_lo, 0, v3
	s_delay_alu instid0(VALU_DEP_2) | instskip(NEXT) | instid1(VALU_DEP_1)
	v_cndmask_b32_e64 v1, 0xff800000, v1, s13
	v_cndmask_b32_e32 v1, 0x7f800001, v1, vcc_lo
; %bb.18418:                            ;   in Loop: Header=BB6_14192 Depth=3
	s_or_b32 exec_lo, exec_lo, s75
.LBB6_18419:                            ;   in Loop: Header=BB6_14192 Depth=3
	s_delay_alu instid0(SALU_CYCLE_1)
	s_or_b32 exec_lo, exec_lo, s74
.LBB6_18420:                            ;   in Loop: Header=BB6_14192 Depth=3
	s_delay_alu instid0(SALU_CYCLE_1) | instskip(NEXT) | instid1(VALU_DEP_1)
	s_or_b32 exec_lo, exec_lo, s73
	v_dual_add_f32 v4, v4, v1 :: v_dual_mov_b32 v47, v113
	v_mov_b32_e32 v3, v113
                                        ; implicit-def: $vgpr27
	s_mov_b32 s13, exec_lo
	s_delay_alu instid0(VALU_DEP_2) | instskip(SKIP_2) | instid1(VALU_DEP_3)
	v_and_b32_e32 v46, 0x7f800000, v4
	v_and_b32_e32 v2, 0x7fffff, v4
	v_lshrrev_b32_e32 v1, 24, v4
	v_cmpx_ne_u64_e32 0x7f800000, v[46:47]
	s_xor_b32 s73, exec_lo, s13
	s_cbranch_execz .LBB6_18434
; %bb.18421:                            ;   in Loop: Header=BB6_14192 Depth=3
	v_and_b32_e32 v46, 0x7fffffff, v4
	v_mov_b32_e32 v47, v113
	v_and_b32_e32 v1, 0x80, v1
                                        ; implicit-def: $vgpr27
	s_mov_b32 s13, exec_lo
	s_delay_alu instid0(VALU_DEP_2)
	v_cmpx_gt_u64_e32 0x47600001, v[46:47]
	s_xor_b32 s74, exec_lo, s13
	s_cbranch_execz .LBB6_18431
; %bb.18422:                            ;   in Loop: Header=BB6_14192 Depth=3
	v_mov_b32_e32 v27, 0
	s_mov_b32 s75, exec_lo
	v_cmpx_ne_u32_e32 0, v4
	s_cbranch_execz .LBB6_18430
; %bb.18423:                            ;   in Loop: Header=BB6_14192 Depth=3
	v_bfe_u32 v27, v4, 23, 8
	v_or_b32_e32 v5, 0x800000, v2
	s_delay_alu instid0(VALU_DEP_2) | instskip(SKIP_2) | instid1(VALU_DEP_2)
	v_cmp_gt_u32_e64 s13, 0x72, v27
	v_sub_nc_u32_e32 v4, 0x71, v27
	v_cmp_eq_u32_e32 vcc_lo, 0, v27
	v_dual_cndmask_b32 v4, 0, v4, s13 :: v_dual_cndmask_b32 v2, v5, v2, vcc_lo
	s_delay_alu instid0(VALU_DEP_1) | instskip(NEXT) | instid1(VALU_DEP_1)
	v_cndmask_b32_e64 v32, v4, 0x70, vcc_lo
	v_dual_add_nc_u32 v4, 21, v32 :: v_dual_add_nc_u32 v36, 20, v32
	s_delay_alu instid0(VALU_DEP_1) | instskip(NEXT) | instid1(VALU_DEP_2)
	v_lshlrev_b64_e64 v[4:5], v4, -1
	v_lshlrev_b64_e64 v[46:47], v36, 1
	s_delay_alu instid0(VALU_DEP_2) | instskip(SKIP_1) | instid1(VALU_DEP_4)
	v_bfi_b32 v4, v4, 0, v2
	v_lshrrev_b64 v[2:3], v32, v[2:3]
	v_bfi_b32 v5, v5, 0, 0
	s_delay_alu instid0(VALU_DEP_1) | instskip(NEXT) | instid1(VALU_DEP_3)
	v_cmp_eq_u64_e64 s13, v[4:5], v[46:47]
	v_mov_b64_e32 v[4:5], v[2:3]
	s_and_saveexec_b32 s76, s13
; %bb.18424:                            ;   in Loop: Header=BB6_14192 Depth=3
	v_bfe_u32 v4, v2, 21, 1
	v_mov_b32_e32 v5, v113
	s_delay_alu instid0(VALU_DEP_1) | instskip(NEXT) | instid1(VALU_DEP_1)
	v_add_nc_u64_e32 v[4:5], v[2:3], v[4:5]
	v_add_nc_u64_e32 v[4:5], -1, v[4:5]
; %bb.18425:                            ;   in Loop: Header=BB6_14192 Depth=3
	s_or_b32 exec_lo, exec_lo, s76
	v_add_nc_u32_e32 v3, 0xffffff81, v27
	v_lshrrev_b32_e32 v5, 23, v2
	s_mov_b32 s13, exec_lo
	s_delay_alu instid0(VALU_DEP_2) | instskip(NEXT) | instid1(VALU_DEP_1)
	v_cndmask_b32_e64 v3, v3, 0xffffff82, vcc_lo
	v_add3_u32 v27, v32, v3, v5
	v_and_b32_e32 v3, 0x1fffff, v4
                                        ; implicit-def: $vgpr4
	s_delay_alu instid0(VALU_DEP_1) | instskip(SKIP_1) | instid1(VALU_DEP_2)
	v_dual_add_nc_u32 v5, 14, v27 :: v_dual_add_nc_u32 v2, v3, v2
	v_mov_b32_e32 v3, v113
	v_cmpx_ne_u32_e32 0, v5
	s_xor_b32 s13, exec_lo, s13
; %bb.18426:                            ;   in Loop: Header=BB6_14192 Depth=3
	s_delay_alu instid0(VALU_DEP_2) | instskip(SKIP_1) | instid1(VALU_DEP_1)
	v_cmp_lt_u64_e32 vcc_lo, 0xffffff, v[2:3]
	v_add_nc_u32_e32 v4, 15, v27
	v_cndmask_b32_e32 v4, v5, v4, vcc_lo
	v_cndmask_b32_e64 v5, 0, 1, vcc_lo
	s_delay_alu instid0(VALU_DEP_1)
	v_lshrrev_b64 v[2:3], v5, v[2:3]
; %bb.18427:                            ;   in Loop: Header=BB6_14192 Depth=3
	s_and_not1_saveexec_b32 s13, s13
; %bb.18428:                            ;   in Loop: Header=BB6_14192 Depth=3
	s_delay_alu instid0(VALU_DEP_1)
	v_bfe_u32 v4, v2, 23, 1
; %bb.18429:                            ;   in Loop: Header=BB6_14192 Depth=3
	s_or_b32 exec_lo, exec_lo, s13
	s_delay_alu instid0(VALU_DEP_2) | instskip(NEXT) | instid1(VALU_DEP_2)
	v_lshrrev_b64 v[2:3], 21, v[2:3]
	v_cmp_gt_i32_e32 vcc_lo, 32, v4
	v_min_i32_e32 v5, 31, v4
	v_cmp_eq_u32_e64 s13, 0, v4
	s_delay_alu instid0(VALU_DEP_2) | instskip(SKIP_1) | instid1(VALU_DEP_2)
	v_dual_cndmask_b32 v3, 0, v3, vcc_lo :: v_dual_lshlrev_b32 v5, 2, v5
	v_cndmask_b32_e32 v2, 3, v2, vcc_lo
	v_and_b32_e32 v5, 0xfc, v5
	s_delay_alu instid0(VALU_DEP_2) | instskip(NEXT) | instid1(VALU_DEP_2)
	v_cmp_eq_u64_e32 vcc_lo, 0, v[2:3]
	v_and_or_b32 v2, v2, 3, v5
	s_and_b32 s13, s13, vcc_lo
	s_delay_alu instid0(VALU_DEP_1) | instid1(SALU_CYCLE_1)
	v_cndmask_b32_e64 v2, v2, 0, s13
	s_delay_alu instid0(VALU_DEP_1)
	v_or_b32_e32 v27, v2, v1
.LBB6_18430:                            ;   in Loop: Header=BB6_14192 Depth=3
	s_or_b32 exec_lo, exec_lo, s75
                                        ; implicit-def: $vgpr1
.LBB6_18431:                            ;   in Loop: Header=BB6_14192 Depth=3
	s_and_not1_saveexec_b32 s13, s74
; %bb.18432:                            ;   in Loop: Header=BB6_14192 Depth=3
	v_or_b32_e32 v27, 0x7b, v1
; %bb.18433:                            ;   in Loop: Header=BB6_14192 Depth=3
	s_or_b32 exec_lo, exec_lo, s13
                                        ; implicit-def: $vgpr4
                                        ; implicit-def: $vgpr2_vgpr3
                                        ; implicit-def: $vgpr1
.LBB6_18434:                            ;   in Loop: Header=BB6_14192 Depth=3
	s_and_not1_saveexec_b32 s13, s73
	s_cbranch_execz .LBB6_18440
; %bb.18435:                            ;   in Loop: Header=BB6_14192 Depth=3
	s_mov_b32 s73, exec_lo
                                        ; implicit-def: $vgpr27
	v_cmpx_ne_u64_e32 0, v[2:3]
	s_xor_b32 s73, exec_lo, s73
; %bb.18436:                            ;   in Loop: Header=BB6_14192 Depth=3
	v_or_b32_e32 v27, 0x7f, v1
                                        ; implicit-def: $vgpr4
; %bb.18437:                            ;   in Loop: Header=BB6_14192 Depth=3
	s_and_not1_saveexec_b32 s73, s73
; %bb.18438:                            ;   in Loop: Header=BB6_14192 Depth=3
	v_cmp_lt_i32_e32 vcc_lo, -1, v4
	v_mov_b32_e32 v1, 0x7c
	s_delay_alu instid0(VALU_DEP_1)
	v_cndmask_b32_e32 v27, 0xfc, v1, vcc_lo
; %bb.18439:                            ;   in Loop: Header=BB6_14192 Depth=3
	s_or_b32 exec_lo, exec_lo, s73
.LBB6_18440:                            ;   in Loop: Header=BB6_14192 Depth=3
	s_delay_alu instid0(SALU_CYCLE_1) | instskip(SKIP_3) | instid1(VALU_DEP_2)
	s_or_b32 exec_lo, exec_lo, s13
	v_dual_mov_b32 v1, 0 :: v_dual_lshrrev_b32 v2, 16, v0
	v_mov_b32_e32 v3, 0
	s_mov_b32 s73, exec_lo
	v_and_b32_e32 v4, 0xff, v2
	s_delay_alu instid0(VALU_DEP_1)
	v_cmpx_ne_u16_e32 0, v4
	s_cbranch_execz .LBB6_18450
; %bb.18441:                            ;   in Loop: Header=BB6_14192 Depth=3
	v_bfrev_b32_e32 v3, 1
	s_mov_b32 s74, exec_lo
	v_cmpx_ne_u16_e32 0x80, v4
	s_cbranch_execz .LBB6_18449
; %bb.18442:                            ;   in Loop: Header=BB6_14192 Depth=3
	v_and_b32_e32 v3, 0x7c0000, v0
	v_bfe_u32 v4, v0, 16, 2
	s_delay_alu instid0(VALU_DEP_2) | instskip(SKIP_1) | instid1(SALU_CYCLE_1)
	v_cmp_ne_u32_e32 vcc_lo, 0x7c0000, v3
                                        ; implicit-def: $vgpr3
	s_and_saveexec_b32 s13, vcc_lo
	s_xor_b32 s13, exec_lo, s13
	s_cbranch_execz .LBB6_18446
; %bb.18443:                            ;   in Loop: Header=BB6_14192 Depth=3
	v_bfe_u32 v3, v0, 18, 5
	s_mov_b32 s75, exec_lo
	s_delay_alu instid0(VALU_DEP_1)
	v_cmpx_eq_u32_e32 0, v3
; %bb.18444:                            ;   in Loop: Header=BB6_14192 Depth=3
	v_clz_i32_u32_e32 v3, v4
	s_delay_alu instid0(VALU_DEP_1) | instskip(NEXT) | instid1(VALU_DEP_1)
	v_min_u32_e32 v3, 32, v3
	v_subrev_nc_u32_e32 v4, 29, v3
	s_delay_alu instid0(VALU_DEP_1) | instskip(NEXT) | instid1(VALU_DEP_1)
	v_lshlrev_b64_e32 v[4:5], v4, v[2:3]
	v_dual_sub_nc_u32 v3, 30, v3 :: v_dual_bitop2_b32 v4, 3, v4 bitop3:0x40
; %bb.18445:                            ;   in Loop: Header=BB6_14192 Depth=3
	s_or_b32 exec_lo, exec_lo, s75
	v_lshlrev_b32_e32 v2, 24, v2
	s_delay_alu instid0(VALU_DEP_1) | instskip(NEXT) | instid1(VALU_DEP_1)
	v_and_b32_e32 v2, 0x80000000, v2
	v_lshl_add_u32 v2, v3, 23, v2
	s_delay_alu instid0(VALU_DEP_1) | instskip(NEXT) | instid1(VALU_DEP_1)
	v_lshl_or_b32 v2, v4, 21, v2
                                        ; implicit-def: $vgpr4
	v_add_nc_u32_e32 v3, 0x38000000, v2
                                        ; implicit-def: $vgpr2
.LBB6_18446:                            ;   in Loop: Header=BB6_14192 Depth=3
	s_and_not1_saveexec_b32 s75, s13
; %bb.18447:                            ;   in Loop: Header=BB6_14192 Depth=3
	v_bfe_i32 v2, v2, 0, 8
	v_cmp_eq_u32_e32 vcc_lo, 0, v4
	s_delay_alu instid0(VALU_DEP_2) | instskip(SKIP_1) | instid1(VALU_DEP_1)
	v_cmp_lt_i16_e64 s13, -1, v2
	v_mov_b32_e32 v2, 0x7f800000
	v_cndmask_b32_e64 v2, 0xff800000, v2, s13
	s_delay_alu instid0(VALU_DEP_1)
	v_cndmask_b32_e32 v3, 0x7f800001, v2, vcc_lo
; %bb.18448:                            ;   in Loop: Header=BB6_14192 Depth=3
	s_or_b32 exec_lo, exec_lo, s75
.LBB6_18449:                            ;   in Loop: Header=BB6_14192 Depth=3
	s_delay_alu instid0(SALU_CYCLE_1)
	s_or_b32 exec_lo, exec_lo, s74
.LBB6_18450:                            ;   in Loop: Header=BB6_14192 Depth=3
	s_delay_alu instid0(SALU_CYCLE_1) | instskip(SKIP_2) | instid1(VALU_DEP_1)
	s_or_b32 exec_lo, exec_lo, s73
	v_lshrrev_b32_e32 v2, 16, v10
	s_mov_b32 s73, exec_lo
	v_and_b32_e32 v4, 0xff, v2
	s_delay_alu instid0(VALU_DEP_1)
	v_cmpx_ne_u16_e32 0, v4
	s_cbranch_execz .LBB6_18460
; %bb.18451:                            ;   in Loop: Header=BB6_14192 Depth=3
	v_bfrev_b32_e32 v1, 1
	s_mov_b32 s74, exec_lo
	v_cmpx_ne_u16_e32 0x80, v4
	s_cbranch_execz .LBB6_18459
; %bb.18452:                            ;   in Loop: Header=BB6_14192 Depth=3
	v_and_b32_e32 v1, 0x7c0000, v10
	v_bfe_u32 v4, v10, 16, 2
	s_delay_alu instid0(VALU_DEP_2) | instskip(SKIP_1) | instid1(SALU_CYCLE_1)
	v_cmp_ne_u32_e32 vcc_lo, 0x7c0000, v1
                                        ; implicit-def: $vgpr1
	s_and_saveexec_b32 s13, vcc_lo
	s_xor_b32 s13, exec_lo, s13
	s_cbranch_execz .LBB6_18456
; %bb.18453:                            ;   in Loop: Header=BB6_14192 Depth=3
	v_bfe_u32 v1, v10, 18, 5
	s_mov_b32 s75, exec_lo
	s_delay_alu instid0(VALU_DEP_1)
	v_cmpx_eq_u32_e32 0, v1
; %bb.18454:                            ;   in Loop: Header=BB6_14192 Depth=3
	v_clz_i32_u32_e32 v1, v4
	s_delay_alu instid0(VALU_DEP_1) | instskip(NEXT) | instid1(VALU_DEP_1)
	v_min_u32_e32 v1, 32, v1
	v_subrev_nc_u32_e32 v4, 29, v1
	s_delay_alu instid0(VALU_DEP_1) | instskip(NEXT) | instid1(VALU_DEP_1)
	v_lshlrev_b64_e32 v[4:5], v4, v[2:3]
	v_dual_sub_nc_u32 v1, 30, v1 :: v_dual_bitop2_b32 v4, 3, v4 bitop3:0x40
; %bb.18455:                            ;   in Loop: Header=BB6_14192 Depth=3
	s_or_b32 exec_lo, exec_lo, s75
	v_lshlrev_b32_e32 v2, 24, v2
	s_delay_alu instid0(VALU_DEP_1) | instskip(NEXT) | instid1(VALU_DEP_1)
	v_and_b32_e32 v2, 0x80000000, v2
	v_lshl_add_u32 v1, v1, 23, v2
                                        ; implicit-def: $vgpr2
	s_delay_alu instid0(VALU_DEP_1) | instskip(NEXT) | instid1(VALU_DEP_1)
	v_lshl_or_b32 v1, v4, 21, v1
                                        ; implicit-def: $vgpr4
	v_add_nc_u32_e32 v1, 0x38000000, v1
.LBB6_18456:                            ;   in Loop: Header=BB6_14192 Depth=3
	s_and_not1_saveexec_b32 s75, s13
; %bb.18457:                            ;   in Loop: Header=BB6_14192 Depth=3
	v_bfe_i32 v1, v2, 0, 8
	v_cmp_eq_u32_e32 vcc_lo, 0, v4
	s_delay_alu instid0(VALU_DEP_2) | instskip(SKIP_1) | instid1(VALU_DEP_1)
	v_cmp_lt_i16_e64 s13, -1, v1
	v_mov_b32_e32 v1, 0x7f800000
	v_cndmask_b32_e64 v1, 0xff800000, v1, s13
	s_delay_alu instid0(VALU_DEP_1)
	v_cndmask_b32_e32 v1, 0x7f800001, v1, vcc_lo
; %bb.18458:                            ;   in Loop: Header=BB6_14192 Depth=3
	s_or_b32 exec_lo, exec_lo, s75
.LBB6_18459:                            ;   in Loop: Header=BB6_14192 Depth=3
	s_delay_alu instid0(SALU_CYCLE_1)
	s_or_b32 exec_lo, exec_lo, s74
.LBB6_18460:                            ;   in Loop: Header=BB6_14192 Depth=3
	s_delay_alu instid0(SALU_CYCLE_1) | instskip(NEXT) | instid1(VALU_DEP_1)
	s_or_b32 exec_lo, exec_lo, s73
	v_dual_add_f32 v4, v3, v1 :: v_dual_mov_b32 v47, v113
	v_mov_b32_e32 v3, v113
                                        ; implicit-def: $vgpr32
	s_mov_b32 s13, exec_lo
	s_delay_alu instid0(VALU_DEP_2) | instskip(SKIP_2) | instid1(VALU_DEP_3)
	v_and_b32_e32 v46, 0x7f800000, v4
	v_and_b32_e32 v2, 0x7fffff, v4
	v_lshrrev_b32_e32 v1, 24, v4
	v_cmpx_ne_u64_e32 0x7f800000, v[46:47]
	s_xor_b32 s73, exec_lo, s13
	s_cbranch_execz .LBB6_18474
; %bb.18461:                            ;   in Loop: Header=BB6_14192 Depth=3
	v_and_b32_e32 v46, 0x7fffffff, v4
	v_mov_b32_e32 v47, v113
	v_and_b32_e32 v1, 0x80, v1
                                        ; implicit-def: $vgpr32
	s_mov_b32 s13, exec_lo
	s_delay_alu instid0(VALU_DEP_2)
	v_cmpx_gt_u64_e32 0x47600001, v[46:47]
	s_xor_b32 s74, exec_lo, s13
	s_cbranch_execz .LBB6_18471
; %bb.18462:                            ;   in Loop: Header=BB6_14192 Depth=3
	v_mov_b32_e32 v32, 0
	s_mov_b32 s75, exec_lo
	v_cmpx_ne_u32_e32 0, v4
	s_cbranch_execz .LBB6_18470
; %bb.18463:                            ;   in Loop: Header=BB6_14192 Depth=3
	v_bfe_u32 v32, v4, 23, 8
	v_or_b32_e32 v5, 0x800000, v2
	s_delay_alu instid0(VALU_DEP_2) | instskip(SKIP_2) | instid1(VALU_DEP_2)
	v_cmp_gt_u32_e64 s13, 0x72, v32
	v_sub_nc_u32_e32 v4, 0x71, v32
	v_cmp_eq_u32_e32 vcc_lo, 0, v32
	v_dual_cndmask_b32 v4, 0, v4, s13 :: v_dual_cndmask_b32 v2, v5, v2, vcc_lo
	s_delay_alu instid0(VALU_DEP_1) | instskip(NEXT) | instid1(VALU_DEP_1)
	v_cndmask_b32_e64 v36, v4, 0x70, vcc_lo
	v_dual_add_nc_u32 v4, 21, v36 :: v_dual_add_nc_u32 v38, 20, v36
	s_delay_alu instid0(VALU_DEP_1) | instskip(NEXT) | instid1(VALU_DEP_2)
	v_lshlrev_b64_e64 v[4:5], v4, -1
	v_lshlrev_b64_e64 v[46:47], v38, 1
	s_delay_alu instid0(VALU_DEP_2) | instskip(SKIP_1) | instid1(VALU_DEP_4)
	v_bfi_b32 v4, v4, 0, v2
	v_lshrrev_b64 v[2:3], v36, v[2:3]
	v_bfi_b32 v5, v5, 0, 0
	s_delay_alu instid0(VALU_DEP_1) | instskip(NEXT) | instid1(VALU_DEP_3)
	v_cmp_eq_u64_e64 s13, v[4:5], v[46:47]
	v_mov_b64_e32 v[4:5], v[2:3]
	s_and_saveexec_b32 s76, s13
; %bb.18464:                            ;   in Loop: Header=BB6_14192 Depth=3
	v_bfe_u32 v4, v2, 21, 1
	v_mov_b32_e32 v5, v113
	s_delay_alu instid0(VALU_DEP_1) | instskip(NEXT) | instid1(VALU_DEP_1)
	v_add_nc_u64_e32 v[4:5], v[2:3], v[4:5]
	v_add_nc_u64_e32 v[4:5], -1, v[4:5]
; %bb.18465:                            ;   in Loop: Header=BB6_14192 Depth=3
	s_or_b32 exec_lo, exec_lo, s76
	v_add_nc_u32_e32 v3, 0xffffff81, v32
	v_lshrrev_b32_e32 v5, 23, v2
	s_mov_b32 s13, exec_lo
	s_delay_alu instid0(VALU_DEP_2) | instskip(NEXT) | instid1(VALU_DEP_1)
	v_cndmask_b32_e64 v3, v3, 0xffffff82, vcc_lo
	v_add3_u32 v32, v36, v3, v5
	v_and_b32_e32 v3, 0x1fffff, v4
                                        ; implicit-def: $vgpr4
	s_delay_alu instid0(VALU_DEP_1) | instskip(SKIP_1) | instid1(VALU_DEP_2)
	v_dual_add_nc_u32 v5, 14, v32 :: v_dual_add_nc_u32 v2, v3, v2
	v_mov_b32_e32 v3, v113
	v_cmpx_ne_u32_e32 0, v5
	s_xor_b32 s13, exec_lo, s13
; %bb.18466:                            ;   in Loop: Header=BB6_14192 Depth=3
	s_delay_alu instid0(VALU_DEP_2) | instskip(SKIP_1) | instid1(VALU_DEP_1)
	v_cmp_lt_u64_e32 vcc_lo, 0xffffff, v[2:3]
	v_add_nc_u32_e32 v4, 15, v32
	v_cndmask_b32_e32 v4, v5, v4, vcc_lo
	v_cndmask_b32_e64 v5, 0, 1, vcc_lo
	s_delay_alu instid0(VALU_DEP_1)
	v_lshrrev_b64 v[2:3], v5, v[2:3]
; %bb.18467:                            ;   in Loop: Header=BB6_14192 Depth=3
	s_and_not1_saveexec_b32 s13, s13
; %bb.18468:                            ;   in Loop: Header=BB6_14192 Depth=3
	s_delay_alu instid0(VALU_DEP_1)
	v_bfe_u32 v4, v2, 23, 1
; %bb.18469:                            ;   in Loop: Header=BB6_14192 Depth=3
	s_or_b32 exec_lo, exec_lo, s13
	s_delay_alu instid0(VALU_DEP_2) | instskip(NEXT) | instid1(VALU_DEP_2)
	v_lshrrev_b64 v[2:3], 21, v[2:3]
	v_cmp_gt_i32_e32 vcc_lo, 32, v4
	v_min_i32_e32 v5, 31, v4
	v_cmp_eq_u32_e64 s13, 0, v4
	s_delay_alu instid0(VALU_DEP_2) | instskip(SKIP_1) | instid1(VALU_DEP_2)
	v_dual_cndmask_b32 v3, 0, v3, vcc_lo :: v_dual_lshlrev_b32 v5, 2, v5
	v_cndmask_b32_e32 v2, 3, v2, vcc_lo
	v_and_b32_e32 v5, 0xfc, v5
	s_delay_alu instid0(VALU_DEP_2) | instskip(NEXT) | instid1(VALU_DEP_2)
	v_cmp_eq_u64_e32 vcc_lo, 0, v[2:3]
	v_and_or_b32 v2, v2, 3, v5
	s_and_b32 s13, s13, vcc_lo
	s_delay_alu instid0(VALU_DEP_1) | instid1(SALU_CYCLE_1)
	v_cndmask_b32_e64 v2, v2, 0, s13
	s_delay_alu instid0(VALU_DEP_1)
	v_or_b32_e32 v32, v2, v1
.LBB6_18470:                            ;   in Loop: Header=BB6_14192 Depth=3
	s_or_b32 exec_lo, exec_lo, s75
                                        ; implicit-def: $vgpr1
.LBB6_18471:                            ;   in Loop: Header=BB6_14192 Depth=3
	s_and_not1_saveexec_b32 s13, s74
; %bb.18472:                            ;   in Loop: Header=BB6_14192 Depth=3
	v_or_b32_e32 v32, 0x7b, v1
; %bb.18473:                            ;   in Loop: Header=BB6_14192 Depth=3
	s_or_b32 exec_lo, exec_lo, s13
                                        ; implicit-def: $vgpr4
                                        ; implicit-def: $vgpr2_vgpr3
                                        ; implicit-def: $vgpr1
.LBB6_18474:                            ;   in Loop: Header=BB6_14192 Depth=3
	s_and_not1_saveexec_b32 s13, s73
	s_cbranch_execz .LBB6_18480
; %bb.18475:                            ;   in Loop: Header=BB6_14192 Depth=3
	s_mov_b32 s73, exec_lo
                                        ; implicit-def: $vgpr32
	v_cmpx_ne_u64_e32 0, v[2:3]
	s_xor_b32 s73, exec_lo, s73
; %bb.18476:                            ;   in Loop: Header=BB6_14192 Depth=3
	v_or_b32_e32 v32, 0x7f, v1
                                        ; implicit-def: $vgpr4
; %bb.18477:                            ;   in Loop: Header=BB6_14192 Depth=3
	s_and_not1_saveexec_b32 s73, s73
; %bb.18478:                            ;   in Loop: Header=BB6_14192 Depth=3
	v_cmp_lt_i32_e32 vcc_lo, -1, v4
	v_mov_b32_e32 v1, 0x7c
	s_delay_alu instid0(VALU_DEP_1)
	v_cndmask_b32_e32 v32, 0xfc, v1, vcc_lo
; %bb.18479:                            ;   in Loop: Header=BB6_14192 Depth=3
	s_or_b32 exec_lo, exec_lo, s73
.LBB6_18480:                            ;   in Loop: Header=BB6_14192 Depth=3
	s_delay_alu instid0(SALU_CYCLE_1)
	s_or_b32 exec_lo, exec_lo, s13
	v_dual_mov_b32 v3, 0 :: v_dual_mov_b32 v4, 0
	s_mov_b32 s73, exec_lo
	v_cmpx_lt_u32_e32 0xffffff, v0
	s_cbranch_execz .LBB6_18490
; %bb.18481:                            ;   in Loop: Header=BB6_14192 Depth=3
	v_lshrrev_b32_e32 v2, 24, v0
	v_bfrev_b32_e32 v4, 1
	s_mov_b32 s74, exec_lo
	s_delay_alu instid0(VALU_DEP_2)
	v_cmpx_ne_u32_e32 0x80, v2
	s_cbranch_execz .LBB6_18489
; %bb.18482:                            ;   in Loop: Header=BB6_14192 Depth=3
	v_and_b32_e32 v1, 0x7c000000, v0
	v_bfe_u32 v5, v0, 24, 2
	s_mov_b32 s13, exec_lo
                                        ; implicit-def: $vgpr4
	s_delay_alu instid0(VALU_DEP_2)
	v_cmpx_ne_u32_e32 0x7c000000, v1
	s_xor_b32 s13, exec_lo, s13
	s_cbranch_execz .LBB6_18486
; %bb.18483:                            ;   in Loop: Header=BB6_14192 Depth=3
	v_bfe_u32 v1, v0, 26, 5
	s_mov_b32 s75, exec_lo
	s_delay_alu instid0(VALU_DEP_1)
	v_cmpx_eq_u32_e32 0, v1
; %bb.18484:                            ;   in Loop: Header=BB6_14192 Depth=3
	v_clz_i32_u32_e32 v1, v5
	s_delay_alu instid0(VALU_DEP_1) | instskip(NEXT) | instid1(VALU_DEP_1)
	v_min_u32_e32 v1, 32, v1
	v_subrev_nc_u32_e32 v4, 29, v1
	s_delay_alu instid0(VALU_DEP_1) | instskip(NEXT) | instid1(VALU_DEP_1)
	v_lshlrev_b64_e32 v[4:5], v4, v[2:3]
	v_dual_sub_nc_u32 v1, 30, v1 :: v_dual_bitop2_b32 v5, 3, v4 bitop3:0x40
; %bb.18485:                            ;   in Loop: Header=BB6_14192 Depth=3
	s_or_b32 exec_lo, exec_lo, s75
	v_and_b32_e32 v0, 0x80000000, v0
	s_delay_alu instid0(VALU_DEP_1) | instskip(NEXT) | instid1(VALU_DEP_1)
	v_lshl_add_u32 v0, v1, 23, v0
	v_lshl_or_b32 v0, v5, 21, v0
                                        ; implicit-def: $vgpr5
	s_delay_alu instid0(VALU_DEP_1)
	v_add_nc_u32_e32 v4, 0x38000000, v0
                                        ; implicit-def: $vgpr0_vgpr1
.LBB6_18486:                            ;   in Loop: Header=BB6_14192 Depth=3
	s_and_not1_saveexec_b32 s75, s13
; %bb.18487:                            ;   in Loop: Header=BB6_14192 Depth=3
	v_cmp_lt_i32_e64 s13, -1, v0
	v_mov_b32_e32 v0, 0x7f800000
	v_cmp_eq_u32_e32 vcc_lo, 0, v5
	s_delay_alu instid0(VALU_DEP_2) | instskip(NEXT) | instid1(VALU_DEP_1)
	v_cndmask_b32_e64 v0, 0xff800000, v0, s13
	v_cndmask_b32_e32 v4, 0x7f800001, v0, vcc_lo
; %bb.18488:                            ;   in Loop: Header=BB6_14192 Depth=3
	s_or_b32 exec_lo, exec_lo, s75
.LBB6_18489:                            ;   in Loop: Header=BB6_14192 Depth=3
	s_delay_alu instid0(SALU_CYCLE_1)
	s_or_b32 exec_lo, exec_lo, s74
.LBB6_18490:                            ;   in Loop: Header=BB6_14192 Depth=3
	s_delay_alu instid0(SALU_CYCLE_1) | instskip(NEXT) | instid1(SALU_CYCLE_1)
	s_or_b32 exec_lo, exec_lo, s73
	s_mov_b32 s73, exec_lo
	v_cmpx_lt_u32_e32 0xffffff, v10
	s_cbranch_execz .LBB6_18500
; %bb.18491:                            ;   in Loop: Header=BB6_14192 Depth=3
	v_lshrrev_b32_e32 v0, 24, v10
	v_bfrev_b32_e32 v3, 1
	s_mov_b32 s74, exec_lo
	s_delay_alu instid0(VALU_DEP_2)
	v_cmpx_ne_u32_e32 0x80, v0
	s_cbranch_execz .LBB6_18499
; %bb.18492:                            ;   in Loop: Header=BB6_14192 Depth=3
	v_and_b32_e32 v2, 0x7c000000, v10
	v_bfe_u32 v1, v10, 24, 2
	s_mov_b32 s13, exec_lo
                                        ; implicit-def: $vgpr3
	s_delay_alu instid0(VALU_DEP_2)
	v_cmpx_ne_u32_e32 0x7c000000, v2
	s_xor_b32 s13, exec_lo, s13
	s_cbranch_execz .LBB6_18496
; %bb.18493:                            ;   in Loop: Header=BB6_14192 Depth=3
	v_bfe_u32 v2, v10, 26, 5
	s_mov_b32 s75, exec_lo
	s_delay_alu instid0(VALU_DEP_1)
	v_cmpx_eq_u32_e32 0, v2
; %bb.18494:                            ;   in Loop: Header=BB6_14192 Depth=3
	v_clz_i32_u32_e32 v1, v1
	s_delay_alu instid0(VALU_DEP_1) | instskip(NEXT) | instid1(VALU_DEP_1)
	v_min_u32_e32 v2, 32, v1
	v_subrev_nc_u32_e32 v1, 29, v2
	s_delay_alu instid0(VALU_DEP_1) | instskip(NEXT) | instid1(VALU_DEP_1)
	v_lshlrev_b64_e32 v[0:1], v1, v[0:1]
	v_dual_sub_nc_u32 v2, 30, v2 :: v_dual_bitop2_b32 v1, 3, v0 bitop3:0x40
; %bb.18495:                            ;   in Loop: Header=BB6_14192 Depth=3
	s_or_b32 exec_lo, exec_lo, s75
	v_and_b32_e32 v0, 0x80000000, v10
	s_delay_alu instid0(VALU_DEP_1) | instskip(NEXT) | instid1(VALU_DEP_1)
	v_lshl_add_u32 v0, v2, 23, v0
	v_lshl_or_b32 v0, v1, 21, v0
                                        ; implicit-def: $vgpr1
	s_delay_alu instid0(VALU_DEP_1)
	v_add_nc_u32_e32 v3, 0x38000000, v0
.LBB6_18496:                            ;   in Loop: Header=BB6_14192 Depth=3
	s_and_not1_saveexec_b32 s75, s13
; %bb.18497:                            ;   in Loop: Header=BB6_14192 Depth=3
	v_cmp_lt_i32_e64 s13, -1, v10
	v_mov_b32_e32 v0, 0x7f800000
	v_cmp_eq_u32_e32 vcc_lo, 0, v1
	s_delay_alu instid0(VALU_DEP_2) | instskip(NEXT) | instid1(VALU_DEP_1)
	v_cndmask_b32_e64 v0, 0xff800000, v0, s13
	v_cndmask_b32_e32 v3, 0x7f800001, v0, vcc_lo
; %bb.18498:                            ;   in Loop: Header=BB6_14192 Depth=3
	s_or_b32 exec_lo, exec_lo, s75
.LBB6_18499:                            ;   in Loop: Header=BB6_14192 Depth=3
	s_delay_alu instid0(SALU_CYCLE_1)
	s_or_b32 exec_lo, exec_lo, s74
.LBB6_18500:                            ;   in Loop: Header=BB6_14192 Depth=3
	s_delay_alu instid0(SALU_CYCLE_1) | instskip(NEXT) | instid1(VALU_DEP_1)
	s_or_b32 exec_lo, exec_lo, s73
	v_dual_add_f32 v2, v4, v3 :: v_dual_mov_b32 v5, v113
	v_mov_b32_e32 v1, v113
                                        ; implicit-def: $vgpr36
	s_mov_b32 s13, exec_lo
	s_delay_alu instid0(VALU_DEP_2) | instskip(SKIP_2) | instid1(VALU_DEP_3)
	v_and_b32_e32 v4, 0x7f800000, v2
	v_and_b32_e32 v0, 0x7fffff, v2
	v_lshrrev_b32_e32 v3, 24, v2
	v_cmpx_ne_u64_e32 0x7f800000, v[4:5]
	s_xor_b32 s73, exec_lo, s13
	s_cbranch_execz .LBB6_18514
; %bb.18501:                            ;   in Loop: Header=BB6_14192 Depth=3
	v_and_b32_e32 v4, 0x7fffffff, v2
	v_mov_b32_e32 v5, v113
                                        ; implicit-def: $vgpr36
	s_delay_alu instid0(VALU_DEP_1) | instskip(SKIP_2) | instid1(SALU_CYCLE_1)
	v_cmp_gt_u64_e32 vcc_lo, 0x47600001, v[4:5]
	v_and_b32_e32 v4, 0x80, v3
	s_and_saveexec_b32 s13, vcc_lo
	s_xor_b32 s74, exec_lo, s13
	s_cbranch_execz .LBB6_18511
; %bb.18502:                            ;   in Loop: Header=BB6_14192 Depth=3
	v_mov_b32_e32 v36, 0
	s_mov_b32 s75, exec_lo
	v_cmpx_ne_u32_e32 0, v2
	s_cbranch_execz .LBB6_18510
; %bb.18503:                            ;   in Loop: Header=BB6_14192 Depth=3
	v_bfe_u32 v5, v2, 23, 8
	v_or_b32_e32 v3, 0x800000, v0
	s_delay_alu instid0(VALU_DEP_2) | instskip(SKIP_2) | instid1(VALU_DEP_2)
	v_cmp_gt_u32_e64 s13, 0x72, v5
	v_sub_nc_u32_e32 v2, 0x71, v5
	v_cmp_eq_u32_e32 vcc_lo, 0, v5
	v_dual_cndmask_b32 v2, 0, v2, s13 :: v_dual_cndmask_b32 v0, v3, v0, vcc_lo
	s_delay_alu instid0(VALU_DEP_1) | instskip(NEXT) | instid1(VALU_DEP_1)
	v_cndmask_b32_e64 v36, v2, 0x70, vcc_lo
	v_dual_add_nc_u32 v2, 21, v36 :: v_dual_add_nc_u32 v38, 20, v36
	s_delay_alu instid0(VALU_DEP_1) | instskip(NEXT) | instid1(VALU_DEP_2)
	v_lshlrev_b64_e64 v[2:3], v2, -1
	v_lshlrev_b64_e64 v[46:47], v38, 1
	s_delay_alu instid0(VALU_DEP_2) | instskip(SKIP_1) | instid1(VALU_DEP_4)
	v_bfi_b32 v2, v2, 0, v0
	v_lshrrev_b64 v[0:1], v36, v[0:1]
	v_bfi_b32 v3, v3, 0, 0
	s_delay_alu instid0(VALU_DEP_1) | instskip(NEXT) | instid1(VALU_DEP_3)
	v_cmp_eq_u64_e64 s13, v[2:3], v[46:47]
	v_mov_b64_e32 v[2:3], v[0:1]
	s_and_saveexec_b32 s76, s13
; %bb.18504:                            ;   in Loop: Header=BB6_14192 Depth=3
	v_bfe_u32 v2, v0, 21, 1
	v_mov_b32_e32 v3, v113
	s_delay_alu instid0(VALU_DEP_1) | instskip(NEXT) | instid1(VALU_DEP_1)
	v_add_nc_u64_e32 v[2:3], v[0:1], v[2:3]
	v_add_nc_u64_e32 v[2:3], -1, v[2:3]
; %bb.18505:                            ;   in Loop: Header=BB6_14192 Depth=3
	s_or_b32 exec_lo, exec_lo, s76
	v_add_nc_u32_e32 v1, 0xffffff81, v5
	v_lshrrev_b32_e32 v3, 23, v0
	s_mov_b32 s13, exec_lo
	s_delay_alu instid0(VALU_DEP_2) | instskip(NEXT) | instid1(VALU_DEP_1)
	v_cndmask_b32_e64 v1, v1, 0xffffff82, vcc_lo
	v_add3_u32 v5, v36, v1, v3
	v_and_b32_e32 v1, 0x1fffff, v2
                                        ; implicit-def: $vgpr2
	s_delay_alu instid0(VALU_DEP_1) | instskip(SKIP_1) | instid1(VALU_DEP_2)
	v_dual_add_nc_u32 v3, 14, v5 :: v_dual_add_nc_u32 v0, v1, v0
	v_mov_b32_e32 v1, v113
	v_cmpx_ne_u32_e32 0, v3
	s_xor_b32 s13, exec_lo, s13
; %bb.18506:                            ;   in Loop: Header=BB6_14192 Depth=3
	s_delay_alu instid0(VALU_DEP_2) | instskip(SKIP_1) | instid1(VALU_DEP_1)
	v_cmp_lt_u64_e32 vcc_lo, 0xffffff, v[0:1]
	v_add_nc_u32_e32 v2, 15, v5
	v_cndmask_b32_e32 v2, v3, v2, vcc_lo
	v_cndmask_b32_e64 v3, 0, 1, vcc_lo
	s_delay_alu instid0(VALU_DEP_1)
	v_lshrrev_b64 v[0:1], v3, v[0:1]
; %bb.18507:                            ;   in Loop: Header=BB6_14192 Depth=3
	s_and_not1_saveexec_b32 s13, s13
; %bb.18508:                            ;   in Loop: Header=BB6_14192 Depth=3
	s_delay_alu instid0(VALU_DEP_1)
	v_bfe_u32 v2, v0, 23, 1
; %bb.18509:                            ;   in Loop: Header=BB6_14192 Depth=3
	s_or_b32 exec_lo, exec_lo, s13
	s_delay_alu instid0(VALU_DEP_2) | instskip(NEXT) | instid1(VALU_DEP_2)
	v_lshrrev_b64 v[0:1], 21, v[0:1]
	v_cmp_gt_i32_e32 vcc_lo, 32, v2
	v_min_i32_e32 v3, 31, v2
	v_cmp_eq_u32_e64 s13, 0, v2
	s_delay_alu instid0(VALU_DEP_2) | instskip(SKIP_1) | instid1(VALU_DEP_2)
	v_dual_cndmask_b32 v1, 0, v1, vcc_lo :: v_dual_lshlrev_b32 v3, 2, v3
	v_cndmask_b32_e32 v0, 3, v0, vcc_lo
	v_and_b32_e32 v3, 0xfc, v3
	s_delay_alu instid0(VALU_DEP_2) | instskip(NEXT) | instid1(VALU_DEP_2)
	v_cmp_eq_u64_e32 vcc_lo, 0, v[0:1]
	v_and_or_b32 v0, v0, 3, v3
	s_and_b32 s13, s13, vcc_lo
	s_delay_alu instid0(VALU_DEP_1) | instid1(SALU_CYCLE_1)
	v_cndmask_b32_e64 v0, v0, 0, s13
	s_delay_alu instid0(VALU_DEP_1)
	v_or_b32_e32 v36, v0, v4
.LBB6_18510:                            ;   in Loop: Header=BB6_14192 Depth=3
	s_or_b32 exec_lo, exec_lo, s75
                                        ; implicit-def: $vgpr4
.LBB6_18511:                            ;   in Loop: Header=BB6_14192 Depth=3
	s_and_not1_saveexec_b32 s13, s74
; %bb.18512:                            ;   in Loop: Header=BB6_14192 Depth=3
	v_or_b32_e32 v36, 0x7b, v4
; %bb.18513:                            ;   in Loop: Header=BB6_14192 Depth=3
	s_or_b32 exec_lo, exec_lo, s13
                                        ; implicit-def: $vgpr2
                                        ; implicit-def: $vgpr0_vgpr1
                                        ; implicit-def: $vgpr3
.LBB6_18514:                            ;   in Loop: Header=BB6_14192 Depth=3
	s_and_not1_saveexec_b32 s13, s73
	s_cbranch_execz .LBB6_18520
; %bb.18515:                            ;   in Loop: Header=BB6_14192 Depth=3
	s_mov_b32 s73, exec_lo
                                        ; implicit-def: $vgpr36
	v_cmpx_ne_u64_e32 0, v[0:1]
	s_xor_b32 s73, exec_lo, s73
; %bb.18516:                            ;   in Loop: Header=BB6_14192 Depth=3
	v_or_b32_e32 v36, 0x7f, v3
                                        ; implicit-def: $vgpr2
; %bb.18517:                            ;   in Loop: Header=BB6_14192 Depth=3
	s_and_not1_saveexec_b32 s73, s73
; %bb.18518:                            ;   in Loop: Header=BB6_14192 Depth=3
	v_cmp_lt_i32_e32 vcc_lo, -1, v2
	v_mov_b32_e32 v0, 0x7c
	s_delay_alu instid0(VALU_DEP_1)
	v_cndmask_b32_e32 v36, 0xfc, v0, vcc_lo
; %bb.18519:                            ;   in Loop: Header=BB6_14192 Depth=3
	s_or_b32 exec_lo, exec_lo, s73
.LBB6_18520:                            ;   in Loop: Header=BB6_14192 Depth=3
	s_delay_alu instid0(SALU_CYCLE_1) | instskip(SKIP_4) | instid1(VALU_DEP_2)
	s_or_b32 exec_lo, exec_lo, s13
	v_dual_lshlrev_b32 v0, 24, v34 :: v_dual_lshlrev_b32 v2, 16, v31
	v_lshl_or_b32 v28, v28, 8, v25
	v_dual_mov_b32 v1, v113 :: v_dual_mov_b32 v3, 0
	s_mov_b32 s73, exec_lo
	v_or3_b32 v0, v2, v0, v28
	v_mov_b32_e32 v2, 0
	v_cmpx_ne_u32_e32 0, v25
	s_cbranch_execz .LBB6_18530
; %bb.18521:                            ;   in Loop: Header=BB6_14192 Depth=3
	v_bfrev_b32_e32 v2, 1
	s_mov_b32 s74, exec_lo
	v_cmpx_ne_u32_e32 0x80, v25
	s_cbranch_execz .LBB6_18529
; %bb.18522:                            ;   in Loop: Header=BB6_14192 Depth=3
	v_and_b32_e32 v2, 0x7c, v25
	v_and_b32_e32 v4, 3, v25
	s_delay_alu instid0(VALU_DEP_2) | instskip(SKIP_1) | instid1(SALU_CYCLE_1)
	v_cmp_ne_u32_e32 vcc_lo, 0x7c, v2
                                        ; implicit-def: $vgpr2
	s_and_saveexec_b32 s13, vcc_lo
	s_xor_b32 s13, exec_lo, s13
	s_cbranch_execz .LBB6_18526
; %bb.18523:                            ;   in Loop: Header=BB6_14192 Depth=3
	v_bfe_u32 v2, v25, 2, 5
	s_mov_b32 s75, exec_lo
	s_delay_alu instid0(VALU_DEP_1)
	v_cmpx_eq_u32_e32 0, v2
; %bb.18524:                            ;   in Loop: Header=BB6_14192 Depth=3
	v_clz_i32_u32_e32 v2, v4
	s_delay_alu instid0(VALU_DEP_1) | instskip(NEXT) | instid1(VALU_DEP_1)
	v_min_u32_e32 v2, 32, v2
	v_subrev_nc_u32_e32 v4, 29, v2
	s_delay_alu instid0(VALU_DEP_1) | instskip(NEXT) | instid1(VALU_DEP_1)
	v_lshlrev_b64_e32 v[4:5], v4, v[0:1]
	v_dual_sub_nc_u32 v2, 30, v2 :: v_dual_bitop2_b32 v4, 3, v4 bitop3:0x40
; %bb.18525:                            ;   in Loop: Header=BB6_14192 Depth=3
	s_or_b32 exec_lo, exec_lo, s75
	v_lshlrev_b32_e32 v1, 24, v25
                                        ; implicit-def: $vgpr25
	s_delay_alu instid0(VALU_DEP_1) | instskip(NEXT) | instid1(VALU_DEP_1)
	v_and_b32_e32 v1, 0x80000000, v1
	v_lshl_add_u32 v1, v2, 23, v1
	s_delay_alu instid0(VALU_DEP_1) | instskip(NEXT) | instid1(VALU_DEP_1)
	v_lshl_or_b32 v1, v4, 21, v1
                                        ; implicit-def: $vgpr4
	v_add_nc_u32_e32 v2, 0x38000000, v1
.LBB6_18526:                            ;   in Loop: Header=BB6_14192 Depth=3
	s_and_not1_saveexec_b32 s75, s13
; %bb.18527:                            ;   in Loop: Header=BB6_14192 Depth=3
	v_and_b32_e32 v1, 0x80, v25
	v_cmp_eq_u32_e32 vcc_lo, 0, v4
	s_delay_alu instid0(VALU_DEP_2) | instskip(SKIP_1) | instid1(VALU_DEP_1)
	v_cmp_eq_u32_e64 s13, 0, v1
	v_mov_b32_e32 v1, 0x7f800000
	v_cndmask_b32_e64 v1, 0xff800000, v1, s13
	s_delay_alu instid0(VALU_DEP_1)
	v_cndmask_b32_e32 v2, 0x7f800001, v1, vcc_lo
; %bb.18528:                            ;   in Loop: Header=BB6_14192 Depth=3
	s_or_b32 exec_lo, exec_lo, s75
.LBB6_18529:                            ;   in Loop: Header=BB6_14192 Depth=3
	s_delay_alu instid0(SALU_CYCLE_1)
	s_or_b32 exec_lo, exec_lo, s74
.LBB6_18530:                            ;   in Loop: Header=BB6_14192 Depth=3
	s_delay_alu instid0(SALU_CYCLE_1) | instskip(SKIP_2) | instid1(VALU_DEP_1)
	s_or_b32 exec_lo, exec_lo, s73
	v_and_b32_e32 v1, 0xff, v11
	s_mov_b32 s73, exec_lo
	v_cmpx_ne_u16_e32 0, v1
	s_cbranch_execz .LBB6_18540
; %bb.18531:                            ;   in Loop: Header=BB6_14192 Depth=3
	v_bfrev_b32_e32 v3, 1
	s_mov_b32 s74, exec_lo
	v_cmpx_ne_u16_e32 0x80, v1
	s_cbranch_execz .LBB6_18539
; %bb.18532:                            ;   in Loop: Header=BB6_14192 Depth=3
	v_and_b32_e32 v3, 0x7c, v11
	v_and_b32_e32 v1, 3, v11
	s_delay_alu instid0(VALU_DEP_2) | instskip(SKIP_1) | instid1(SALU_CYCLE_1)
	v_cmp_ne_u32_e32 vcc_lo, 0x7c, v3
                                        ; implicit-def: $vgpr3
	s_and_saveexec_b32 s13, vcc_lo
	s_xor_b32 s13, exec_lo, s13
	s_cbranch_execz .LBB6_18536
; %bb.18533:                            ;   in Loop: Header=BB6_14192 Depth=3
	v_bfe_u32 v3, v11, 2, 5
	s_mov_b32 s75, exec_lo
	s_delay_alu instid0(VALU_DEP_1)
	v_cmpx_eq_u32_e32 0, v3
; %bb.18534:                            ;   in Loop: Header=BB6_14192 Depth=3
	v_clz_i32_u32_e32 v1, v1
	v_dual_mov_b32 v4, v11 :: v_dual_mov_b32 v5, v113
	s_delay_alu instid0(VALU_DEP_2) | instskip(NEXT) | instid1(VALU_DEP_1)
	v_min_u32_e32 v1, 32, v1
	v_subrev_nc_u32_e32 v3, 29, v1
	s_delay_alu instid0(VALU_DEP_1) | instskip(NEXT) | instid1(VALU_DEP_1)
	v_lshlrev_b64_e32 v[4:5], v3, v[4:5]
	v_dual_sub_nc_u32 v3, 30, v1 :: v_dual_bitop2_b32 v1, 3, v4 bitop3:0x40
; %bb.18535:                            ;   in Loop: Header=BB6_14192 Depth=3
	s_or_b32 exec_lo, exec_lo, s75
	v_lshlrev_b32_e32 v4, 24, v11
	s_delay_alu instid0(VALU_DEP_1) | instskip(NEXT) | instid1(VALU_DEP_1)
	v_and_b32_e32 v4, 0x80000000, v4
	v_lshl_add_u32 v3, v3, 23, v4
	s_delay_alu instid0(VALU_DEP_1) | instskip(NEXT) | instid1(VALU_DEP_1)
	v_lshl_or_b32 v1, v1, 21, v3
	v_add_nc_u32_e32 v3, 0x38000000, v1
                                        ; implicit-def: $vgpr1
.LBB6_18536:                            ;   in Loop: Header=BB6_14192 Depth=3
	s_and_not1_saveexec_b32 s75, s13
; %bb.18537:                            ;   in Loop: Header=BB6_14192 Depth=3
	v_bfe_i32 v3, v11, 0, 8
	v_cmp_eq_u32_e32 vcc_lo, 0, v1
	v_mov_b32_e32 v1, 0x7f800000
	s_delay_alu instid0(VALU_DEP_3) | instskip(NEXT) | instid1(VALU_DEP_1)
	v_cmp_lt_i16_e64 s13, -1, v3
	v_cndmask_b32_e64 v1, 0xff800000, v1, s13
	s_delay_alu instid0(VALU_DEP_1)
	v_cndmask_b32_e32 v3, 0x7f800001, v1, vcc_lo
; %bb.18538:                            ;   in Loop: Header=BB6_14192 Depth=3
	s_or_b32 exec_lo, exec_lo, s75
.LBB6_18539:                            ;   in Loop: Header=BB6_14192 Depth=3
	s_delay_alu instid0(SALU_CYCLE_1)
	s_or_b32 exec_lo, exec_lo, s74
.LBB6_18540:                            ;   in Loop: Header=BB6_14192 Depth=3
	s_delay_alu instid0(SALU_CYCLE_1) | instskip(NEXT) | instid1(VALU_DEP_1)
	s_or_b32 exec_lo, exec_lo, s73
	v_dual_add_f32 v4, v2, v3 :: v_dual_mov_b32 v47, v113
	v_mov_b32_e32 v3, v113
                                        ; implicit-def: $vgpr25
	s_mov_b32 s13, exec_lo
	s_delay_alu instid0(VALU_DEP_2) | instskip(SKIP_2) | instid1(VALU_DEP_3)
	v_and_b32_e32 v46, 0x7f800000, v4
	v_and_b32_e32 v2, 0x7fffff, v4
	v_lshrrev_b32_e32 v1, 24, v4
	v_cmpx_ne_u64_e32 0x7f800000, v[46:47]
	s_xor_b32 s73, exec_lo, s13
	s_cbranch_execz .LBB6_18554
; %bb.18541:                            ;   in Loop: Header=BB6_14192 Depth=3
	v_and_b32_e32 v46, 0x7fffffff, v4
	v_mov_b32_e32 v47, v113
	v_and_b32_e32 v1, 0x80, v1
                                        ; implicit-def: $vgpr25
	s_mov_b32 s13, exec_lo
	s_delay_alu instid0(VALU_DEP_2)
	v_cmpx_gt_u64_e32 0x47600001, v[46:47]
	s_xor_b32 s74, exec_lo, s13
	s_cbranch_execz .LBB6_18551
; %bb.18542:                            ;   in Loop: Header=BB6_14192 Depth=3
	v_mov_b32_e32 v25, 0
	s_mov_b32 s75, exec_lo
	v_cmpx_ne_u32_e32 0, v4
	s_cbranch_execz .LBB6_18550
; %bb.18543:                            ;   in Loop: Header=BB6_14192 Depth=3
	v_bfe_u32 v25, v4, 23, 8
	v_or_b32_e32 v5, 0x800000, v2
	s_delay_alu instid0(VALU_DEP_2) | instskip(SKIP_2) | instid1(VALU_DEP_2)
	v_cmp_gt_u32_e64 s13, 0x72, v25
	v_sub_nc_u32_e32 v4, 0x71, v25
	v_cmp_eq_u32_e32 vcc_lo, 0, v25
	v_dual_cndmask_b32 v4, 0, v4, s13 :: v_dual_cndmask_b32 v2, v5, v2, vcc_lo
	s_delay_alu instid0(VALU_DEP_1) | instskip(NEXT) | instid1(VALU_DEP_1)
	v_cndmask_b32_e64 v31, v4, 0x70, vcc_lo
	v_dual_add_nc_u32 v4, 21, v31 :: v_dual_add_nc_u32 v34, 20, v31
	s_delay_alu instid0(VALU_DEP_1) | instskip(NEXT) | instid1(VALU_DEP_2)
	v_lshlrev_b64_e64 v[4:5], v4, -1
	v_lshlrev_b64_e64 v[46:47], v34, 1
	s_delay_alu instid0(VALU_DEP_2) | instskip(SKIP_1) | instid1(VALU_DEP_4)
	v_bfi_b32 v4, v4, 0, v2
	v_lshrrev_b64 v[2:3], v31, v[2:3]
	v_bfi_b32 v5, v5, 0, 0
	s_delay_alu instid0(VALU_DEP_1) | instskip(NEXT) | instid1(VALU_DEP_3)
	v_cmp_eq_u64_e64 s13, v[4:5], v[46:47]
	v_mov_b64_e32 v[4:5], v[2:3]
	s_and_saveexec_b32 s76, s13
; %bb.18544:                            ;   in Loop: Header=BB6_14192 Depth=3
	v_bfe_u32 v4, v2, 21, 1
	v_mov_b32_e32 v5, v113
	s_delay_alu instid0(VALU_DEP_1) | instskip(NEXT) | instid1(VALU_DEP_1)
	v_add_nc_u64_e32 v[4:5], v[2:3], v[4:5]
	v_add_nc_u64_e32 v[4:5], -1, v[4:5]
; %bb.18545:                            ;   in Loop: Header=BB6_14192 Depth=3
	s_or_b32 exec_lo, exec_lo, s76
	v_add_nc_u32_e32 v3, 0xffffff81, v25
	v_lshrrev_b32_e32 v5, 23, v2
	s_mov_b32 s13, exec_lo
	s_delay_alu instid0(VALU_DEP_2) | instskip(NEXT) | instid1(VALU_DEP_1)
	v_cndmask_b32_e64 v3, v3, 0xffffff82, vcc_lo
	v_add3_u32 v25, v31, v3, v5
	v_and_b32_e32 v3, 0x1fffff, v4
                                        ; implicit-def: $vgpr4
	s_delay_alu instid0(VALU_DEP_1) | instskip(SKIP_1) | instid1(VALU_DEP_2)
	v_dual_add_nc_u32 v5, 14, v25 :: v_dual_add_nc_u32 v2, v3, v2
	v_mov_b32_e32 v3, v113
	v_cmpx_ne_u32_e32 0, v5
	s_xor_b32 s13, exec_lo, s13
; %bb.18546:                            ;   in Loop: Header=BB6_14192 Depth=3
	s_delay_alu instid0(VALU_DEP_2) | instskip(SKIP_1) | instid1(VALU_DEP_1)
	v_cmp_lt_u64_e32 vcc_lo, 0xffffff, v[2:3]
	v_add_nc_u32_e32 v4, 15, v25
	v_cndmask_b32_e32 v4, v5, v4, vcc_lo
	v_cndmask_b32_e64 v5, 0, 1, vcc_lo
	s_delay_alu instid0(VALU_DEP_1)
	v_lshrrev_b64 v[2:3], v5, v[2:3]
; %bb.18547:                            ;   in Loop: Header=BB6_14192 Depth=3
	s_and_not1_saveexec_b32 s13, s13
; %bb.18548:                            ;   in Loop: Header=BB6_14192 Depth=3
	s_delay_alu instid0(VALU_DEP_1)
	v_bfe_u32 v4, v2, 23, 1
; %bb.18549:                            ;   in Loop: Header=BB6_14192 Depth=3
	s_or_b32 exec_lo, exec_lo, s13
	s_delay_alu instid0(VALU_DEP_2) | instskip(NEXT) | instid1(VALU_DEP_2)
	v_lshrrev_b64 v[2:3], 21, v[2:3]
	v_cmp_gt_i32_e32 vcc_lo, 32, v4
	v_min_i32_e32 v5, 31, v4
	v_cmp_eq_u32_e64 s13, 0, v4
	s_delay_alu instid0(VALU_DEP_2) | instskip(SKIP_1) | instid1(VALU_DEP_2)
	v_dual_cndmask_b32 v3, 0, v3, vcc_lo :: v_dual_lshlrev_b32 v5, 2, v5
	v_cndmask_b32_e32 v2, 3, v2, vcc_lo
	v_and_b32_e32 v5, 0xfc, v5
	s_delay_alu instid0(VALU_DEP_2) | instskip(NEXT) | instid1(VALU_DEP_2)
	v_cmp_eq_u64_e32 vcc_lo, 0, v[2:3]
	v_and_or_b32 v2, v2, 3, v5
	s_and_b32 s13, s13, vcc_lo
	s_delay_alu instid0(VALU_DEP_1) | instid1(SALU_CYCLE_1)
	v_cndmask_b32_e64 v2, v2, 0, s13
	s_delay_alu instid0(VALU_DEP_1)
	v_or_b32_e32 v25, v2, v1
.LBB6_18550:                            ;   in Loop: Header=BB6_14192 Depth=3
	s_or_b32 exec_lo, exec_lo, s75
                                        ; implicit-def: $vgpr1
.LBB6_18551:                            ;   in Loop: Header=BB6_14192 Depth=3
	s_and_not1_saveexec_b32 s13, s74
; %bb.18552:                            ;   in Loop: Header=BB6_14192 Depth=3
	v_or_b32_e32 v25, 0x7b, v1
; %bb.18553:                            ;   in Loop: Header=BB6_14192 Depth=3
	s_or_b32 exec_lo, exec_lo, s13
                                        ; implicit-def: $vgpr4
                                        ; implicit-def: $vgpr2_vgpr3
                                        ; implicit-def: $vgpr1
.LBB6_18554:                            ;   in Loop: Header=BB6_14192 Depth=3
	s_and_not1_saveexec_b32 s13, s73
	s_cbranch_execz .LBB6_18560
; %bb.18555:                            ;   in Loop: Header=BB6_14192 Depth=3
	s_mov_b32 s73, exec_lo
                                        ; implicit-def: $vgpr25
	v_cmpx_ne_u64_e32 0, v[2:3]
	s_xor_b32 s73, exec_lo, s73
; %bb.18556:                            ;   in Loop: Header=BB6_14192 Depth=3
	v_or_b32_e32 v25, 0x7f, v1
                                        ; implicit-def: $vgpr4
; %bb.18557:                            ;   in Loop: Header=BB6_14192 Depth=3
	s_and_not1_saveexec_b32 s73, s73
; %bb.18558:                            ;   in Loop: Header=BB6_14192 Depth=3
	v_cmp_lt_i32_e32 vcc_lo, -1, v4
	v_mov_b32_e32 v1, 0x7c
	s_delay_alu instid0(VALU_DEP_1)
	v_cndmask_b32_e32 v25, 0xfc, v1, vcc_lo
; %bb.18559:                            ;   in Loop: Header=BB6_14192 Depth=3
	s_or_b32 exec_lo, exec_lo, s73
.LBB6_18560:                            ;   in Loop: Header=BB6_14192 Depth=3
	s_delay_alu instid0(SALU_CYCLE_1) | instskip(SKIP_3) | instid1(VALU_DEP_2)
	s_or_b32 exec_lo, exec_lo, s13
	v_lshrrev_b16 v2, 8, v28
	v_dual_mov_b32 v1, 0 :: v_dual_mov_b32 v4, 0
	s_mov_b32 s73, exec_lo
	v_cmpx_ne_u16_e32 0, v2
	s_cbranch_execz .LBB6_18570
; %bb.18561:                            ;   in Loop: Header=BB6_14192 Depth=3
	v_bfrev_b32_e32 v4, 1
	s_mov_b32 s74, exec_lo
	v_cmpx_ne_u16_e32 0x80, v2
	s_cbranch_execz .LBB6_18569
; %bb.18562:                            ;   in Loop: Header=BB6_14192 Depth=3
	v_and_b32_e32 v5, 0xffff, v2
	s_delay_alu instid0(VALU_DEP_1) | instskip(SKIP_1) | instid1(VALU_DEP_2)
	v_and_b32_e32 v4, 0x7c, v5
	v_and_b32_e32 v3, 3, v5
	v_cmp_ne_u32_e32 vcc_lo, 0x7c, v4
                                        ; implicit-def: $vgpr4
	s_and_saveexec_b32 s13, vcc_lo
	s_delay_alu instid0(SALU_CYCLE_1)
	s_xor_b32 s13, exec_lo, s13
	s_cbranch_execz .LBB6_18566
; %bb.18563:                            ;   in Loop: Header=BB6_14192 Depth=3
	v_bfe_u32 v4, v5, 2, 5
	s_mov_b32 s75, exec_lo
	s_delay_alu instid0(VALU_DEP_1)
	v_cmpx_eq_u32_e32 0, v4
	s_cbranch_execz .LBB6_18565
; %bb.18564:                            ;   in Loop: Header=BB6_14192 Depth=3
	v_clz_i32_u32_e32 v3, v3
	s_delay_alu instid0(VALU_DEP_1) | instskip(SKIP_1) | instid1(VALU_DEP_2)
	v_min_u32_e32 v4, 32, v3
	v_mov_b32_e32 v3, v113
	v_subrev_nc_u32_e32 v5, 29, v4
	v_sub_nc_u32_e32 v4, 30, v4
	s_delay_alu instid0(VALU_DEP_2) | instskip(NEXT) | instid1(VALU_DEP_1)
	v_lshlrev_b64_e32 v[2:3], v5, v[2:3]
	v_and_b32_e32 v3, 3, v2
.LBB6_18565:                            ;   in Loop: Header=BB6_14192 Depth=3
	s_or_b32 exec_lo, exec_lo, s75
	v_lshlrev_b32_e32 v2, 16, v28
                                        ; implicit-def: $vgpr28
	s_delay_alu instid0(VALU_DEP_1) | instskip(NEXT) | instid1(VALU_DEP_1)
	v_and_b32_e32 v2, 0x80000000, v2
	v_lshl_add_u32 v2, v4, 23, v2
	s_delay_alu instid0(VALU_DEP_1) | instskip(NEXT) | instid1(VALU_DEP_1)
	v_lshl_or_b32 v2, v3, 21, v2
                                        ; implicit-def: $vgpr3
	v_add_nc_u32_e32 v4, 0x38000000, v2
.LBB6_18566:                            ;   in Loop: Header=BB6_14192 Depth=3
	s_and_not1_saveexec_b32 s75, s13
; %bb.18567:                            ;   in Loop: Header=BB6_14192 Depth=3
	v_cmp_lt_i16_e64 s13, -1, v28
	v_mov_b32_e32 v2, 0x7f800000
	v_cmp_eq_u32_e32 vcc_lo, 0, v3
	s_delay_alu instid0(VALU_DEP_2) | instskip(NEXT) | instid1(VALU_DEP_1)
	v_cndmask_b32_e64 v2, 0xff800000, v2, s13
	v_cndmask_b32_e32 v4, 0x7f800001, v2, vcc_lo
; %bb.18568:                            ;   in Loop: Header=BB6_14192 Depth=3
	s_or_b32 exec_lo, exec_lo, s75
.LBB6_18569:                            ;   in Loop: Header=BB6_14192 Depth=3
	s_delay_alu instid0(SALU_CYCLE_1)
	s_or_b32 exec_lo, exec_lo, s74
.LBB6_18570:                            ;   in Loop: Header=BB6_14192 Depth=3
	s_delay_alu instid0(SALU_CYCLE_1) | instskip(SKIP_2) | instid1(VALU_DEP_1)
	s_or_b32 exec_lo, exec_lo, s73
	v_lshrrev_b16 v2, 8, v11
	s_mov_b32 s73, exec_lo
	v_cmpx_ne_u16_e32 0, v2
	s_cbranch_execz .LBB6_18580
; %bb.18571:                            ;   in Loop: Header=BB6_14192 Depth=3
	v_bfrev_b32_e32 v1, 1
	s_mov_b32 s74, exec_lo
	v_cmpx_ne_u16_e32 0x80, v2
	s_cbranch_execz .LBB6_18579
; %bb.18572:                            ;   in Loop: Header=BB6_14192 Depth=3
	v_and_b32_e32 v5, 0xffff, v2
	s_delay_alu instid0(VALU_DEP_1) | instskip(SKIP_1) | instid1(VALU_DEP_2)
	v_and_b32_e32 v1, 0x7c, v5
	v_and_b32_e32 v3, 3, v5
	v_cmp_ne_u32_e32 vcc_lo, 0x7c, v1
                                        ; implicit-def: $vgpr1
	s_and_saveexec_b32 s13, vcc_lo
	s_delay_alu instid0(SALU_CYCLE_1)
	s_xor_b32 s13, exec_lo, s13
	s_cbranch_execz .LBB6_18576
; %bb.18573:                            ;   in Loop: Header=BB6_14192 Depth=3
	v_bfe_u32 v1, v5, 2, 5
	s_mov_b32 s75, exec_lo
	s_delay_alu instid0(VALU_DEP_1)
	v_cmpx_eq_u32_e32 0, v1
	s_cbranch_execz .LBB6_18575
; %bb.18574:                            ;   in Loop: Header=BB6_14192 Depth=3
	v_clz_i32_u32_e32 v1, v3
	s_delay_alu instid0(VALU_DEP_1) | instskip(SKIP_1) | instid1(VALU_DEP_2)
	v_min_u32_e32 v1, 32, v1
	v_mov_b32_e32 v3, v113
	v_subrev_nc_u32_e32 v5, 29, v1
	v_sub_nc_u32_e32 v1, 30, v1
	s_delay_alu instid0(VALU_DEP_2) | instskip(NEXT) | instid1(VALU_DEP_1)
	v_lshlrev_b64_e32 v[2:3], v5, v[2:3]
	v_and_b32_e32 v3, 3, v2
.LBB6_18575:                            ;   in Loop: Header=BB6_14192 Depth=3
	s_or_b32 exec_lo, exec_lo, s75
	v_lshlrev_b32_e32 v2, 16, v11
	s_delay_alu instid0(VALU_DEP_1) | instskip(NEXT) | instid1(VALU_DEP_1)
	v_and_b32_e32 v2, 0x80000000, v2
	v_lshl_add_u32 v1, v1, 23, v2
	s_delay_alu instid0(VALU_DEP_1) | instskip(NEXT) | instid1(VALU_DEP_1)
	v_lshl_or_b32 v1, v3, 21, v1
                                        ; implicit-def: $vgpr3
	v_add_nc_u32_e32 v1, 0x38000000, v1
.LBB6_18576:                            ;   in Loop: Header=BB6_14192 Depth=3
	s_and_not1_saveexec_b32 s75, s13
; %bb.18577:                            ;   in Loop: Header=BB6_14192 Depth=3
	v_cmp_lt_i16_e64 s13, -1, v11
	v_mov_b32_e32 v1, 0x7f800000
	v_cmp_eq_u32_e32 vcc_lo, 0, v3
	s_delay_alu instid0(VALU_DEP_2) | instskip(NEXT) | instid1(VALU_DEP_1)
	v_cndmask_b32_e64 v1, 0xff800000, v1, s13
	v_cndmask_b32_e32 v1, 0x7f800001, v1, vcc_lo
; %bb.18578:                            ;   in Loop: Header=BB6_14192 Depth=3
	s_or_b32 exec_lo, exec_lo, s75
.LBB6_18579:                            ;   in Loop: Header=BB6_14192 Depth=3
	s_delay_alu instid0(SALU_CYCLE_1)
	s_or_b32 exec_lo, exec_lo, s74
.LBB6_18580:                            ;   in Loop: Header=BB6_14192 Depth=3
	s_delay_alu instid0(SALU_CYCLE_1) | instskip(NEXT) | instid1(VALU_DEP_1)
	s_or_b32 exec_lo, exec_lo, s73
	v_dual_add_f32 v4, v4, v1 :: v_dual_mov_b32 v47, v113
	v_mov_b32_e32 v3, v113
                                        ; implicit-def: $vgpr28
	s_mov_b32 s13, exec_lo
	s_delay_alu instid0(VALU_DEP_2) | instskip(SKIP_2) | instid1(VALU_DEP_3)
	v_and_b32_e32 v46, 0x7f800000, v4
	v_and_b32_e32 v2, 0x7fffff, v4
	v_lshrrev_b32_e32 v1, 24, v4
	v_cmpx_ne_u64_e32 0x7f800000, v[46:47]
	s_xor_b32 s73, exec_lo, s13
	s_cbranch_execz .LBB6_18594
; %bb.18581:                            ;   in Loop: Header=BB6_14192 Depth=3
	v_and_b32_e32 v46, 0x7fffffff, v4
	v_mov_b32_e32 v47, v113
	v_and_b32_e32 v1, 0x80, v1
                                        ; implicit-def: $vgpr28
	s_mov_b32 s13, exec_lo
	s_delay_alu instid0(VALU_DEP_2)
	v_cmpx_gt_u64_e32 0x47600001, v[46:47]
	s_xor_b32 s74, exec_lo, s13
	s_cbranch_execz .LBB6_18591
; %bb.18582:                            ;   in Loop: Header=BB6_14192 Depth=3
	v_mov_b32_e32 v28, 0
	s_mov_b32 s75, exec_lo
	v_cmpx_ne_u32_e32 0, v4
	s_cbranch_execz .LBB6_18590
; %bb.18583:                            ;   in Loop: Header=BB6_14192 Depth=3
	v_bfe_u32 v28, v4, 23, 8
	v_or_b32_e32 v5, 0x800000, v2
	s_delay_alu instid0(VALU_DEP_2) | instskip(SKIP_2) | instid1(VALU_DEP_2)
	v_cmp_gt_u32_e64 s13, 0x72, v28
	v_sub_nc_u32_e32 v4, 0x71, v28
	v_cmp_eq_u32_e32 vcc_lo, 0, v28
	v_dual_cndmask_b32 v4, 0, v4, s13 :: v_dual_cndmask_b32 v2, v5, v2, vcc_lo
	s_delay_alu instid0(VALU_DEP_1) | instskip(NEXT) | instid1(VALU_DEP_1)
	v_cndmask_b32_e64 v31, v4, 0x70, vcc_lo
	v_dual_add_nc_u32 v4, 21, v31 :: v_dual_add_nc_u32 v34, 20, v31
	s_delay_alu instid0(VALU_DEP_1) | instskip(NEXT) | instid1(VALU_DEP_2)
	v_lshlrev_b64_e64 v[4:5], v4, -1
	v_lshlrev_b64_e64 v[46:47], v34, 1
	s_delay_alu instid0(VALU_DEP_2) | instskip(SKIP_1) | instid1(VALU_DEP_4)
	v_bfi_b32 v4, v4, 0, v2
	v_lshrrev_b64 v[2:3], v31, v[2:3]
	v_bfi_b32 v5, v5, 0, 0
	s_delay_alu instid0(VALU_DEP_1) | instskip(NEXT) | instid1(VALU_DEP_3)
	v_cmp_eq_u64_e64 s13, v[4:5], v[46:47]
	v_mov_b64_e32 v[4:5], v[2:3]
	s_and_saveexec_b32 s76, s13
; %bb.18584:                            ;   in Loop: Header=BB6_14192 Depth=3
	v_bfe_u32 v4, v2, 21, 1
	v_mov_b32_e32 v5, v113
	s_delay_alu instid0(VALU_DEP_1) | instskip(NEXT) | instid1(VALU_DEP_1)
	v_add_nc_u64_e32 v[4:5], v[2:3], v[4:5]
	v_add_nc_u64_e32 v[4:5], -1, v[4:5]
; %bb.18585:                            ;   in Loop: Header=BB6_14192 Depth=3
	s_or_b32 exec_lo, exec_lo, s76
	v_add_nc_u32_e32 v3, 0xffffff81, v28
	v_lshrrev_b32_e32 v5, 23, v2
	s_mov_b32 s13, exec_lo
	s_delay_alu instid0(VALU_DEP_2) | instskip(NEXT) | instid1(VALU_DEP_1)
	v_cndmask_b32_e64 v3, v3, 0xffffff82, vcc_lo
	v_add3_u32 v28, v31, v3, v5
	v_and_b32_e32 v3, 0x1fffff, v4
                                        ; implicit-def: $vgpr4
	s_delay_alu instid0(VALU_DEP_1) | instskip(SKIP_1) | instid1(VALU_DEP_2)
	v_dual_add_nc_u32 v5, 14, v28 :: v_dual_add_nc_u32 v2, v3, v2
	v_mov_b32_e32 v3, v113
	v_cmpx_ne_u32_e32 0, v5
	s_xor_b32 s13, exec_lo, s13
; %bb.18586:                            ;   in Loop: Header=BB6_14192 Depth=3
	s_delay_alu instid0(VALU_DEP_2) | instskip(SKIP_1) | instid1(VALU_DEP_1)
	v_cmp_lt_u64_e32 vcc_lo, 0xffffff, v[2:3]
	v_add_nc_u32_e32 v4, 15, v28
	v_cndmask_b32_e32 v4, v5, v4, vcc_lo
	v_cndmask_b32_e64 v5, 0, 1, vcc_lo
	s_delay_alu instid0(VALU_DEP_1)
	v_lshrrev_b64 v[2:3], v5, v[2:3]
; %bb.18587:                            ;   in Loop: Header=BB6_14192 Depth=3
	s_and_not1_saveexec_b32 s13, s13
; %bb.18588:                            ;   in Loop: Header=BB6_14192 Depth=3
	s_delay_alu instid0(VALU_DEP_1)
	v_bfe_u32 v4, v2, 23, 1
; %bb.18589:                            ;   in Loop: Header=BB6_14192 Depth=3
	s_or_b32 exec_lo, exec_lo, s13
	s_delay_alu instid0(VALU_DEP_2) | instskip(NEXT) | instid1(VALU_DEP_2)
	v_lshrrev_b64 v[2:3], 21, v[2:3]
	v_cmp_gt_i32_e32 vcc_lo, 32, v4
	v_min_i32_e32 v5, 31, v4
	v_cmp_eq_u32_e64 s13, 0, v4
	s_delay_alu instid0(VALU_DEP_2) | instskip(SKIP_1) | instid1(VALU_DEP_2)
	v_dual_cndmask_b32 v3, 0, v3, vcc_lo :: v_dual_lshlrev_b32 v5, 2, v5
	v_cndmask_b32_e32 v2, 3, v2, vcc_lo
	v_and_b32_e32 v5, 0xfc, v5
	s_delay_alu instid0(VALU_DEP_2) | instskip(NEXT) | instid1(VALU_DEP_2)
	v_cmp_eq_u64_e32 vcc_lo, 0, v[2:3]
	v_and_or_b32 v2, v2, 3, v5
	s_and_b32 s13, s13, vcc_lo
	s_delay_alu instid0(VALU_DEP_1) | instid1(SALU_CYCLE_1)
	v_cndmask_b32_e64 v2, v2, 0, s13
	s_delay_alu instid0(VALU_DEP_1)
	v_or_b32_e32 v28, v2, v1
.LBB6_18590:                            ;   in Loop: Header=BB6_14192 Depth=3
	s_or_b32 exec_lo, exec_lo, s75
                                        ; implicit-def: $vgpr1
.LBB6_18591:                            ;   in Loop: Header=BB6_14192 Depth=3
	s_and_not1_saveexec_b32 s13, s74
; %bb.18592:                            ;   in Loop: Header=BB6_14192 Depth=3
	v_or_b32_e32 v28, 0x7b, v1
; %bb.18593:                            ;   in Loop: Header=BB6_14192 Depth=3
	s_or_b32 exec_lo, exec_lo, s13
                                        ; implicit-def: $vgpr4
                                        ; implicit-def: $vgpr2_vgpr3
                                        ; implicit-def: $vgpr1
.LBB6_18594:                            ;   in Loop: Header=BB6_14192 Depth=3
	s_and_not1_saveexec_b32 s13, s73
	s_cbranch_execz .LBB6_18600
; %bb.18595:                            ;   in Loop: Header=BB6_14192 Depth=3
	s_mov_b32 s73, exec_lo
                                        ; implicit-def: $vgpr28
	v_cmpx_ne_u64_e32 0, v[2:3]
	s_xor_b32 s73, exec_lo, s73
; %bb.18596:                            ;   in Loop: Header=BB6_14192 Depth=3
	v_or_b32_e32 v28, 0x7f, v1
                                        ; implicit-def: $vgpr4
; %bb.18597:                            ;   in Loop: Header=BB6_14192 Depth=3
	s_and_not1_saveexec_b32 s73, s73
; %bb.18598:                            ;   in Loop: Header=BB6_14192 Depth=3
	v_cmp_lt_i32_e32 vcc_lo, -1, v4
	v_mov_b32_e32 v1, 0x7c
	s_delay_alu instid0(VALU_DEP_1)
	v_cndmask_b32_e32 v28, 0xfc, v1, vcc_lo
; %bb.18599:                            ;   in Loop: Header=BB6_14192 Depth=3
	s_or_b32 exec_lo, exec_lo, s73
.LBB6_18600:                            ;   in Loop: Header=BB6_14192 Depth=3
	s_delay_alu instid0(SALU_CYCLE_1) | instskip(SKIP_3) | instid1(VALU_DEP_2)
	s_or_b32 exec_lo, exec_lo, s13
	v_dual_mov_b32 v1, 0 :: v_dual_lshrrev_b32 v2, 16, v0
	v_mov_b32_e32 v3, 0
	s_mov_b32 s73, exec_lo
	v_and_b32_e32 v4, 0xff, v2
	s_delay_alu instid0(VALU_DEP_1)
	v_cmpx_ne_u16_e32 0, v4
	s_cbranch_execz .LBB6_18610
; %bb.18601:                            ;   in Loop: Header=BB6_14192 Depth=3
	v_bfrev_b32_e32 v3, 1
	s_mov_b32 s74, exec_lo
	v_cmpx_ne_u16_e32 0x80, v4
	s_cbranch_execz .LBB6_18609
; %bb.18602:                            ;   in Loop: Header=BB6_14192 Depth=3
	v_and_b32_e32 v3, 0x7c0000, v0
	v_bfe_u32 v4, v0, 16, 2
	s_delay_alu instid0(VALU_DEP_2) | instskip(SKIP_1) | instid1(SALU_CYCLE_1)
	v_cmp_ne_u32_e32 vcc_lo, 0x7c0000, v3
                                        ; implicit-def: $vgpr3
	s_and_saveexec_b32 s13, vcc_lo
	s_xor_b32 s13, exec_lo, s13
	s_cbranch_execz .LBB6_18606
; %bb.18603:                            ;   in Loop: Header=BB6_14192 Depth=3
	v_bfe_u32 v3, v0, 18, 5
	s_mov_b32 s75, exec_lo
	s_delay_alu instid0(VALU_DEP_1)
	v_cmpx_eq_u32_e32 0, v3
; %bb.18604:                            ;   in Loop: Header=BB6_14192 Depth=3
	v_clz_i32_u32_e32 v3, v4
	s_delay_alu instid0(VALU_DEP_1) | instskip(NEXT) | instid1(VALU_DEP_1)
	v_min_u32_e32 v3, 32, v3
	v_subrev_nc_u32_e32 v4, 29, v3
	s_delay_alu instid0(VALU_DEP_1) | instskip(NEXT) | instid1(VALU_DEP_1)
	v_lshlrev_b64_e32 v[4:5], v4, v[2:3]
	v_dual_sub_nc_u32 v3, 30, v3 :: v_dual_bitop2_b32 v4, 3, v4 bitop3:0x40
; %bb.18605:                            ;   in Loop: Header=BB6_14192 Depth=3
	s_or_b32 exec_lo, exec_lo, s75
	v_lshlrev_b32_e32 v2, 24, v2
	s_delay_alu instid0(VALU_DEP_1) | instskip(NEXT) | instid1(VALU_DEP_1)
	v_and_b32_e32 v2, 0x80000000, v2
	v_lshl_add_u32 v2, v3, 23, v2
	s_delay_alu instid0(VALU_DEP_1) | instskip(NEXT) | instid1(VALU_DEP_1)
	v_lshl_or_b32 v2, v4, 21, v2
                                        ; implicit-def: $vgpr4
	v_add_nc_u32_e32 v3, 0x38000000, v2
                                        ; implicit-def: $vgpr2
.LBB6_18606:                            ;   in Loop: Header=BB6_14192 Depth=3
	s_and_not1_saveexec_b32 s75, s13
; %bb.18607:                            ;   in Loop: Header=BB6_14192 Depth=3
	v_bfe_i32 v2, v2, 0, 8
	v_cmp_eq_u32_e32 vcc_lo, 0, v4
	s_delay_alu instid0(VALU_DEP_2) | instskip(SKIP_1) | instid1(VALU_DEP_1)
	v_cmp_lt_i16_e64 s13, -1, v2
	v_mov_b32_e32 v2, 0x7f800000
	v_cndmask_b32_e64 v2, 0xff800000, v2, s13
	s_delay_alu instid0(VALU_DEP_1)
	v_cndmask_b32_e32 v3, 0x7f800001, v2, vcc_lo
; %bb.18608:                            ;   in Loop: Header=BB6_14192 Depth=3
	s_or_b32 exec_lo, exec_lo, s75
.LBB6_18609:                            ;   in Loop: Header=BB6_14192 Depth=3
	s_delay_alu instid0(SALU_CYCLE_1)
	s_or_b32 exec_lo, exec_lo, s74
.LBB6_18610:                            ;   in Loop: Header=BB6_14192 Depth=3
	s_delay_alu instid0(SALU_CYCLE_1) | instskip(SKIP_2) | instid1(VALU_DEP_1)
	s_or_b32 exec_lo, exec_lo, s73
	v_lshrrev_b32_e32 v2, 16, v11
	s_mov_b32 s73, exec_lo
	v_and_b32_e32 v4, 0xff, v2
	s_delay_alu instid0(VALU_DEP_1)
	v_cmpx_ne_u16_e32 0, v4
	s_cbranch_execz .LBB6_18620
; %bb.18611:                            ;   in Loop: Header=BB6_14192 Depth=3
	v_bfrev_b32_e32 v1, 1
	s_mov_b32 s74, exec_lo
	v_cmpx_ne_u16_e32 0x80, v4
	s_cbranch_execz .LBB6_18619
; %bb.18612:                            ;   in Loop: Header=BB6_14192 Depth=3
	v_and_b32_e32 v1, 0x7c0000, v11
	v_bfe_u32 v4, v11, 16, 2
	s_delay_alu instid0(VALU_DEP_2) | instskip(SKIP_1) | instid1(SALU_CYCLE_1)
	v_cmp_ne_u32_e32 vcc_lo, 0x7c0000, v1
                                        ; implicit-def: $vgpr1
	s_and_saveexec_b32 s13, vcc_lo
	s_xor_b32 s13, exec_lo, s13
	s_cbranch_execz .LBB6_18616
; %bb.18613:                            ;   in Loop: Header=BB6_14192 Depth=3
	v_bfe_u32 v1, v11, 18, 5
	s_mov_b32 s75, exec_lo
	s_delay_alu instid0(VALU_DEP_1)
	v_cmpx_eq_u32_e32 0, v1
; %bb.18614:                            ;   in Loop: Header=BB6_14192 Depth=3
	v_clz_i32_u32_e32 v1, v4
	s_delay_alu instid0(VALU_DEP_1) | instskip(NEXT) | instid1(VALU_DEP_1)
	v_min_u32_e32 v1, 32, v1
	v_subrev_nc_u32_e32 v4, 29, v1
	s_delay_alu instid0(VALU_DEP_1) | instskip(NEXT) | instid1(VALU_DEP_1)
	v_lshlrev_b64_e32 v[4:5], v4, v[2:3]
	v_dual_sub_nc_u32 v1, 30, v1 :: v_dual_bitop2_b32 v4, 3, v4 bitop3:0x40
; %bb.18615:                            ;   in Loop: Header=BB6_14192 Depth=3
	s_or_b32 exec_lo, exec_lo, s75
	v_lshlrev_b32_e32 v2, 24, v2
	s_delay_alu instid0(VALU_DEP_1) | instskip(NEXT) | instid1(VALU_DEP_1)
	v_and_b32_e32 v2, 0x80000000, v2
	v_lshl_add_u32 v1, v1, 23, v2
                                        ; implicit-def: $vgpr2
	s_delay_alu instid0(VALU_DEP_1) | instskip(NEXT) | instid1(VALU_DEP_1)
	v_lshl_or_b32 v1, v4, 21, v1
                                        ; implicit-def: $vgpr4
	v_add_nc_u32_e32 v1, 0x38000000, v1
.LBB6_18616:                            ;   in Loop: Header=BB6_14192 Depth=3
	s_and_not1_saveexec_b32 s75, s13
; %bb.18617:                            ;   in Loop: Header=BB6_14192 Depth=3
	v_bfe_i32 v1, v2, 0, 8
	v_cmp_eq_u32_e32 vcc_lo, 0, v4
	s_delay_alu instid0(VALU_DEP_2) | instskip(SKIP_1) | instid1(VALU_DEP_1)
	v_cmp_lt_i16_e64 s13, -1, v1
	v_mov_b32_e32 v1, 0x7f800000
	v_cndmask_b32_e64 v1, 0xff800000, v1, s13
	s_delay_alu instid0(VALU_DEP_1)
	v_cndmask_b32_e32 v1, 0x7f800001, v1, vcc_lo
; %bb.18618:                            ;   in Loop: Header=BB6_14192 Depth=3
	s_or_b32 exec_lo, exec_lo, s75
.LBB6_18619:                            ;   in Loop: Header=BB6_14192 Depth=3
	s_delay_alu instid0(SALU_CYCLE_1)
	s_or_b32 exec_lo, exec_lo, s74
.LBB6_18620:                            ;   in Loop: Header=BB6_14192 Depth=3
	s_delay_alu instid0(SALU_CYCLE_1) | instskip(NEXT) | instid1(VALU_DEP_1)
	s_or_b32 exec_lo, exec_lo, s73
	v_dual_add_f32 v5, v3, v1 :: v_dual_mov_b32 v47, v113
	v_mov_b32_e32 v3, v113
                                        ; implicit-def: $vgpr4
	s_mov_b32 s13, exec_lo
	s_delay_alu instid0(VALU_DEP_2) | instskip(SKIP_2) | instid1(VALU_DEP_3)
	v_and_b32_e32 v46, 0x7f800000, v5
	v_and_b32_e32 v2, 0x7fffff, v5
	v_lshrrev_b32_e32 v1, 24, v5
	v_cmpx_ne_u64_e32 0x7f800000, v[46:47]
	s_xor_b32 s73, exec_lo, s13
	s_cbranch_execz .LBB6_18634
; %bb.18621:                            ;   in Loop: Header=BB6_14192 Depth=3
	v_and_b32_e32 v46, 0x7fffffff, v5
	v_mov_b32_e32 v47, v113
	v_and_b32_e32 v1, 0x80, v1
                                        ; implicit-def: $vgpr4
	s_mov_b32 s13, exec_lo
	s_delay_alu instid0(VALU_DEP_2)
	v_cmpx_gt_u64_e32 0x47600001, v[46:47]
	s_xor_b32 s74, exec_lo, s13
	s_cbranch_execz .LBB6_18631
; %bb.18622:                            ;   in Loop: Header=BB6_14192 Depth=3
	v_mov_b32_e32 v4, 0
	s_mov_b32 s75, exec_lo
	v_cmpx_ne_u32_e32 0, v5
	s_cbranch_execz .LBB6_18630
; %bb.18623:                            ;   in Loop: Header=BB6_14192 Depth=3
	v_bfe_u32 v31, v5, 23, 8
	v_or_b32_e32 v5, 0x800000, v2
	s_delay_alu instid0(VALU_DEP_2) | instskip(SKIP_2) | instid1(VALU_DEP_2)
	v_cmp_gt_u32_e64 s13, 0x72, v31
	v_sub_nc_u32_e32 v4, 0x71, v31
	v_cmp_eq_u32_e32 vcc_lo, 0, v31
	v_dual_cndmask_b32 v4, 0, v4, s13 :: v_dual_cndmask_b32 v2, v5, v2, vcc_lo
	s_delay_alu instid0(VALU_DEP_1) | instskip(NEXT) | instid1(VALU_DEP_1)
	v_cndmask_b32_e64 v34, v4, 0x70, vcc_lo
	v_dual_add_nc_u32 v4, 21, v34 :: v_dual_add_nc_u32 v38, 20, v34
	s_delay_alu instid0(VALU_DEP_1) | instskip(NEXT) | instid1(VALU_DEP_2)
	v_lshlrev_b64_e64 v[4:5], v4, -1
	v_lshlrev_b64_e64 v[46:47], v38, 1
	s_delay_alu instid0(VALU_DEP_2) | instskip(SKIP_1) | instid1(VALU_DEP_4)
	v_bfi_b32 v4, v4, 0, v2
	v_lshrrev_b64 v[2:3], v34, v[2:3]
	v_bfi_b32 v5, v5, 0, 0
	s_delay_alu instid0(VALU_DEP_1) | instskip(NEXT) | instid1(VALU_DEP_3)
	v_cmp_eq_u64_e64 s13, v[4:5], v[46:47]
	v_mov_b64_e32 v[4:5], v[2:3]
	s_and_saveexec_b32 s76, s13
; %bb.18624:                            ;   in Loop: Header=BB6_14192 Depth=3
	v_bfe_u32 v4, v2, 21, 1
	v_mov_b32_e32 v5, v113
	s_delay_alu instid0(VALU_DEP_1) | instskip(NEXT) | instid1(VALU_DEP_1)
	v_add_nc_u64_e32 v[4:5], v[2:3], v[4:5]
	v_add_nc_u64_e32 v[4:5], -1, v[4:5]
; %bb.18625:                            ;   in Loop: Header=BB6_14192 Depth=3
	s_or_b32 exec_lo, exec_lo, s76
	v_add_nc_u32_e32 v3, 0xffffff81, v31
	v_lshrrev_b32_e32 v5, 23, v2
	s_mov_b32 s13, exec_lo
	s_delay_alu instid0(VALU_DEP_2) | instskip(NEXT) | instid1(VALU_DEP_1)
	v_cndmask_b32_e64 v3, v3, 0xffffff82, vcc_lo
	v_add3_u32 v31, v34, v3, v5
	v_and_b32_e32 v3, 0x1fffff, v4
                                        ; implicit-def: $vgpr4
	s_delay_alu instid0(VALU_DEP_1) | instskip(SKIP_1) | instid1(VALU_DEP_2)
	v_dual_add_nc_u32 v5, 14, v31 :: v_dual_add_nc_u32 v2, v3, v2
	v_mov_b32_e32 v3, v113
	v_cmpx_ne_u32_e32 0, v5
	s_xor_b32 s13, exec_lo, s13
; %bb.18626:                            ;   in Loop: Header=BB6_14192 Depth=3
	s_delay_alu instid0(VALU_DEP_2) | instskip(SKIP_1) | instid1(VALU_DEP_1)
	v_cmp_lt_u64_e32 vcc_lo, 0xffffff, v[2:3]
	v_add_nc_u32_e32 v4, 15, v31
	v_cndmask_b32_e32 v4, v5, v4, vcc_lo
	v_cndmask_b32_e64 v5, 0, 1, vcc_lo
	s_delay_alu instid0(VALU_DEP_1)
	v_lshrrev_b64 v[2:3], v5, v[2:3]
; %bb.18627:                            ;   in Loop: Header=BB6_14192 Depth=3
	s_and_not1_saveexec_b32 s13, s13
; %bb.18628:                            ;   in Loop: Header=BB6_14192 Depth=3
	s_delay_alu instid0(VALU_DEP_1)
	v_bfe_u32 v4, v2, 23, 1
; %bb.18629:                            ;   in Loop: Header=BB6_14192 Depth=3
	s_or_b32 exec_lo, exec_lo, s13
	s_delay_alu instid0(VALU_DEP_2) | instskip(NEXT) | instid1(VALU_DEP_2)
	v_lshrrev_b64 v[2:3], 21, v[2:3]
	v_cmp_gt_i32_e32 vcc_lo, 32, v4
	v_min_i32_e32 v5, 31, v4
	v_cmp_eq_u32_e64 s13, 0, v4
	s_delay_alu instid0(VALU_DEP_2) | instskip(SKIP_1) | instid1(VALU_DEP_2)
	v_dual_cndmask_b32 v3, 0, v3, vcc_lo :: v_dual_lshlrev_b32 v5, 2, v5
	v_cndmask_b32_e32 v2, 3, v2, vcc_lo
	v_and_b32_e32 v5, 0xfc, v5
	s_delay_alu instid0(VALU_DEP_2) | instskip(NEXT) | instid1(VALU_DEP_2)
	v_cmp_eq_u64_e32 vcc_lo, 0, v[2:3]
	v_and_or_b32 v2, v2, 3, v5
	s_and_b32 s13, s13, vcc_lo
	s_delay_alu instid0(VALU_DEP_1) | instid1(SALU_CYCLE_1)
	v_cndmask_b32_e64 v2, v2, 0, s13
	s_delay_alu instid0(VALU_DEP_1)
	v_or_b32_e32 v4, v2, v1
.LBB6_18630:                            ;   in Loop: Header=BB6_14192 Depth=3
	s_or_b32 exec_lo, exec_lo, s75
                                        ; implicit-def: $vgpr1
.LBB6_18631:                            ;   in Loop: Header=BB6_14192 Depth=3
	s_and_not1_saveexec_b32 s13, s74
; %bb.18632:                            ;   in Loop: Header=BB6_14192 Depth=3
	v_or_b32_e32 v4, 0x7b, v1
; %bb.18633:                            ;   in Loop: Header=BB6_14192 Depth=3
	s_or_b32 exec_lo, exec_lo, s13
                                        ; implicit-def: $vgpr5
                                        ; implicit-def: $vgpr2_vgpr3
                                        ; implicit-def: $vgpr1
.LBB6_18634:                            ;   in Loop: Header=BB6_14192 Depth=3
	s_and_not1_saveexec_b32 s13, s73
	s_cbranch_execz .LBB6_18640
; %bb.18635:                            ;   in Loop: Header=BB6_14192 Depth=3
	s_mov_b32 s73, exec_lo
                                        ; implicit-def: $vgpr4
	v_cmpx_ne_u64_e32 0, v[2:3]
	s_xor_b32 s73, exec_lo, s73
; %bb.18636:                            ;   in Loop: Header=BB6_14192 Depth=3
	v_or_b32_e32 v4, 0x7f, v1
                                        ; implicit-def: $vgpr5
; %bb.18637:                            ;   in Loop: Header=BB6_14192 Depth=3
	s_and_not1_saveexec_b32 s73, s73
; %bb.18638:                            ;   in Loop: Header=BB6_14192 Depth=3
	v_cmp_lt_i32_e32 vcc_lo, -1, v5
	v_mov_b32_e32 v1, 0x7c
	s_delay_alu instid0(VALU_DEP_1)
	v_cndmask_b32_e32 v4, 0xfc, v1, vcc_lo
; %bb.18639:                            ;   in Loop: Header=BB6_14192 Depth=3
	s_or_b32 exec_lo, exec_lo, s73
.LBB6_18640:                            ;   in Loop: Header=BB6_14192 Depth=3
	s_delay_alu instid0(SALU_CYCLE_1)
	s_or_b32 exec_lo, exec_lo, s13
	v_dual_mov_b32 v3, 0 :: v_dual_mov_b32 v5, 0
	s_mov_b32 s73, exec_lo
	v_cmpx_lt_u32_e32 0xffffff, v0
	s_cbranch_execz .LBB6_18650
; %bb.18641:                            ;   in Loop: Header=BB6_14192 Depth=3
	v_lshrrev_b32_e32 v2, 24, v0
	v_bfrev_b32_e32 v5, 1
	s_mov_b32 s74, exec_lo
	s_delay_alu instid0(VALU_DEP_2)
	v_cmpx_ne_u32_e32 0x80, v2
	s_cbranch_execz .LBB6_18649
; %bb.18642:                            ;   in Loop: Header=BB6_14192 Depth=3
	v_and_b32_e32 v1, 0x7c000000, v0
	v_bfe_u32 v31, v0, 24, 2
	s_mov_b32 s13, exec_lo
                                        ; implicit-def: $vgpr5
	s_delay_alu instid0(VALU_DEP_2)
	v_cmpx_ne_u32_e32 0x7c000000, v1
	s_xor_b32 s13, exec_lo, s13
	s_cbranch_execz .LBB6_18646
; %bb.18643:                            ;   in Loop: Header=BB6_14192 Depth=3
	v_bfe_u32 v1, v0, 26, 5
	s_mov_b32 s75, exec_lo
	s_delay_alu instid0(VALU_DEP_1)
	v_cmpx_eq_u32_e32 0, v1
; %bb.18644:                            ;   in Loop: Header=BB6_14192 Depth=3
	v_clz_i32_u32_e32 v1, v31
	s_delay_alu instid0(VALU_DEP_1) | instskip(NEXT) | instid1(VALU_DEP_1)
	v_min_u32_e32 v1, 32, v1
	v_subrev_nc_u32_e32 v5, 29, v1
	s_delay_alu instid0(VALU_DEP_1) | instskip(NEXT) | instid1(VALU_DEP_1)
	v_lshlrev_b64_e32 v[46:47], v5, v[2:3]
	v_dual_sub_nc_u32 v1, 30, v1 :: v_dual_bitop2_b32 v31, 3, v46 bitop3:0x40
; %bb.18645:                            ;   in Loop: Header=BB6_14192 Depth=3
	s_or_b32 exec_lo, exec_lo, s75
	v_and_b32_e32 v0, 0x80000000, v0
	s_delay_alu instid0(VALU_DEP_1) | instskip(NEXT) | instid1(VALU_DEP_1)
	v_lshl_add_u32 v0, v1, 23, v0
	v_lshl_or_b32 v0, v31, 21, v0
                                        ; implicit-def: $vgpr31
	s_delay_alu instid0(VALU_DEP_1)
	v_add_nc_u32_e32 v5, 0x38000000, v0
                                        ; implicit-def: $vgpr0_vgpr1
.LBB6_18646:                            ;   in Loop: Header=BB6_14192 Depth=3
	s_and_not1_saveexec_b32 s75, s13
; %bb.18647:                            ;   in Loop: Header=BB6_14192 Depth=3
	v_cmp_lt_i32_e64 s13, -1, v0
	v_mov_b32_e32 v0, 0x7f800000
	v_cmp_eq_u32_e32 vcc_lo, 0, v31
	s_delay_alu instid0(VALU_DEP_2) | instskip(NEXT) | instid1(VALU_DEP_1)
	v_cndmask_b32_e64 v0, 0xff800000, v0, s13
	v_cndmask_b32_e32 v5, 0x7f800001, v0, vcc_lo
; %bb.18648:                            ;   in Loop: Header=BB6_14192 Depth=3
	s_or_b32 exec_lo, exec_lo, s75
.LBB6_18649:                            ;   in Loop: Header=BB6_14192 Depth=3
	s_delay_alu instid0(SALU_CYCLE_1)
	s_or_b32 exec_lo, exec_lo, s74
.LBB6_18650:                            ;   in Loop: Header=BB6_14192 Depth=3
	s_delay_alu instid0(SALU_CYCLE_1) | instskip(NEXT) | instid1(SALU_CYCLE_1)
	s_or_b32 exec_lo, exec_lo, s73
	s_mov_b32 s73, exec_lo
	v_cmpx_lt_u64_e64 s[22:23], v[10:11]
	s_cbranch_execz .LBB6_18660
; %bb.18651:                            ;   in Loop: Header=BB6_14192 Depth=3
	v_lshrrev_b32_e32 v0, 24, v11
	v_bfrev_b32_e32 v3, 1
	s_mov_b32 s74, exec_lo
	s_delay_alu instid0(VALU_DEP_2)
	v_cmpx_ne_u32_e32 0x80, v0
	s_cbranch_execz .LBB6_18659
; %bb.18652:                            ;   in Loop: Header=BB6_14192 Depth=3
	v_and_b32_e32 v2, 0x7c000000, v11
	v_bfe_u32 v1, v11, 24, 2
	s_mov_b32 s13, exec_lo
                                        ; implicit-def: $vgpr3
	s_delay_alu instid0(VALU_DEP_2)
	v_cmpx_ne_u32_e32 0x7c000000, v2
	s_xor_b32 s13, exec_lo, s13
	s_cbranch_execz .LBB6_18656
; %bb.18653:                            ;   in Loop: Header=BB6_14192 Depth=3
	v_bfe_u32 v2, v11, 26, 5
	s_mov_b32 s75, exec_lo
	s_delay_alu instid0(VALU_DEP_1)
	v_cmpx_eq_u32_e32 0, v2
; %bb.18654:                            ;   in Loop: Header=BB6_14192 Depth=3
	v_clz_i32_u32_e32 v1, v1
	s_delay_alu instid0(VALU_DEP_1) | instskip(NEXT) | instid1(VALU_DEP_1)
	v_min_u32_e32 v2, 32, v1
	v_subrev_nc_u32_e32 v1, 29, v2
	s_delay_alu instid0(VALU_DEP_1) | instskip(NEXT) | instid1(VALU_DEP_1)
	v_lshlrev_b64_e32 v[0:1], v1, v[0:1]
	v_dual_sub_nc_u32 v2, 30, v2 :: v_dual_bitop2_b32 v1, 3, v0 bitop3:0x40
; %bb.18655:                            ;   in Loop: Header=BB6_14192 Depth=3
	s_or_b32 exec_lo, exec_lo, s75
	v_and_b32_e32 v0, 0x80000000, v11
                                        ; implicit-def: $vgpr10_vgpr11
	s_delay_alu instid0(VALU_DEP_1) | instskip(NEXT) | instid1(VALU_DEP_1)
	v_lshl_add_u32 v0, v2, 23, v0
	v_lshl_or_b32 v0, v1, 21, v0
                                        ; implicit-def: $vgpr1
	s_delay_alu instid0(VALU_DEP_1)
	v_add_nc_u32_e32 v3, 0x38000000, v0
.LBB6_18656:                            ;   in Loop: Header=BB6_14192 Depth=3
	s_and_not1_saveexec_b32 s75, s13
; %bb.18657:                            ;   in Loop: Header=BB6_14192 Depth=3
	v_cmp_lt_i64_e64 s13, -1, v[10:11]
	v_mov_b32_e32 v0, 0x7f800000
	v_cmp_eq_u32_e32 vcc_lo, 0, v1
	s_delay_alu instid0(VALU_DEP_2) | instskip(NEXT) | instid1(VALU_DEP_1)
	v_cndmask_b32_e64 v0, 0xff800000, v0, s13
	v_cndmask_b32_e32 v3, 0x7f800001, v0, vcc_lo
; %bb.18658:                            ;   in Loop: Header=BB6_14192 Depth=3
	s_or_b32 exec_lo, exec_lo, s75
.LBB6_18659:                            ;   in Loop: Header=BB6_14192 Depth=3
	s_delay_alu instid0(SALU_CYCLE_1)
	s_or_b32 exec_lo, exec_lo, s74
.LBB6_18660:                            ;   in Loop: Header=BB6_14192 Depth=3
	s_delay_alu instid0(SALU_CYCLE_1) | instskip(NEXT) | instid1(VALU_DEP_1)
	s_or_b32 exec_lo, exec_lo, s73
	v_add_f32_e32 v3, v5, v3
	v_dual_mov_b32 v11, v113 :: v_dual_mov_b32 v1, v113
                                        ; implicit-def: $vgpr2
	s_mov_b32 s13, exec_lo
	s_delay_alu instid0(VALU_DEP_2) | instskip(SKIP_2) | instid1(VALU_DEP_3)
	v_and_b32_e32 v10, 0x7f800000, v3
	v_and_b32_e32 v0, 0x7fffff, v3
	v_lshrrev_b32_e32 v5, 24, v3
	v_cmpx_ne_u64_e32 0x7f800000, v[10:11]
	s_xor_b32 s73, exec_lo, s13
	s_cbranch_execz .LBB6_18674
; %bb.18661:                            ;   in Loop: Header=BB6_14192 Depth=3
	v_and_b32_e32 v10, 0x7fffffff, v3
	v_mov_b32_e32 v11, v113
	v_and_b32_e32 v5, 0x80, v5
                                        ; implicit-def: $vgpr2
	s_mov_b32 s13, exec_lo
	s_delay_alu instid0(VALU_DEP_2)
	v_cmpx_gt_u64_e32 0x47600001, v[10:11]
	s_xor_b32 s74, exec_lo, s13
	s_cbranch_execz .LBB6_18671
; %bb.18662:                            ;   in Loop: Header=BB6_14192 Depth=3
	v_mov_b32_e32 v2, 0
	s_mov_b32 s75, exec_lo
	v_cmpx_ne_u32_e32 0, v3
	s_cbranch_execz .LBB6_18670
; %bb.18663:                            ;   in Loop: Header=BB6_14192 Depth=3
	v_bfe_u32 v10, v3, 23, 8
	v_or_b32_e32 v3, 0x800000, v0
	s_delay_alu instid0(VALU_DEP_2) | instskip(SKIP_2) | instid1(VALU_DEP_2)
	v_cmp_gt_u32_e64 s13, 0x72, v10
	v_sub_nc_u32_e32 v2, 0x71, v10
	v_cmp_eq_u32_e32 vcc_lo, 0, v10
	v_dual_cndmask_b32 v2, 0, v2, s13 :: v_dual_cndmask_b32 v0, v3, v0, vcc_lo
	s_delay_alu instid0(VALU_DEP_1) | instskip(NEXT) | instid1(VALU_DEP_1)
	v_cndmask_b32_e64 v11, v2, 0x70, vcc_lo
	v_dual_add_nc_u32 v2, 21, v11 :: v_dual_add_nc_u32 v31, 20, v11
	s_delay_alu instid0(VALU_DEP_1) | instskip(NEXT) | instid1(VALU_DEP_2)
	v_lshlrev_b64_e64 v[2:3], v2, -1
	v_lshlrev_b64_e64 v[46:47], v31, 1
	s_delay_alu instid0(VALU_DEP_2) | instskip(SKIP_1) | instid1(VALU_DEP_4)
	v_bfi_b32 v2, v2, 0, v0
	v_lshrrev_b64 v[0:1], v11, v[0:1]
	v_bfi_b32 v3, v3, 0, 0
	s_delay_alu instid0(VALU_DEP_1) | instskip(NEXT) | instid1(VALU_DEP_3)
	v_cmp_eq_u64_e64 s13, v[2:3], v[46:47]
	v_mov_b64_e32 v[2:3], v[0:1]
	s_and_saveexec_b32 s76, s13
; %bb.18664:                            ;   in Loop: Header=BB6_14192 Depth=3
	v_bfe_u32 v2, v0, 21, 1
	v_mov_b32_e32 v3, v113
	s_delay_alu instid0(VALU_DEP_1) | instskip(NEXT) | instid1(VALU_DEP_1)
	v_add_nc_u64_e32 v[2:3], v[0:1], v[2:3]
	v_add_nc_u64_e32 v[2:3], -1, v[2:3]
; %bb.18665:                            ;   in Loop: Header=BB6_14192 Depth=3
	s_or_b32 exec_lo, exec_lo, s76
	v_add_nc_u32_e32 v1, 0xffffff81, v10
	v_lshrrev_b32_e32 v3, 23, v0
	s_mov_b32 s13, exec_lo
	s_delay_alu instid0(VALU_DEP_2) | instskip(NEXT) | instid1(VALU_DEP_1)
	v_cndmask_b32_e64 v1, v1, 0xffffff82, vcc_lo
	v_add3_u32 v10, v11, v1, v3
	v_and_b32_e32 v1, 0x1fffff, v2
                                        ; implicit-def: $vgpr2
	s_delay_alu instid0(VALU_DEP_1) | instskip(SKIP_1) | instid1(VALU_DEP_2)
	v_dual_add_nc_u32 v3, 14, v10 :: v_dual_add_nc_u32 v0, v1, v0
	v_mov_b32_e32 v1, v113
	v_cmpx_ne_u32_e32 0, v3
	s_xor_b32 s13, exec_lo, s13
; %bb.18666:                            ;   in Loop: Header=BB6_14192 Depth=3
	s_delay_alu instid0(VALU_DEP_2) | instskip(SKIP_1) | instid1(VALU_DEP_1)
	v_cmp_lt_u64_e32 vcc_lo, 0xffffff, v[0:1]
	v_add_nc_u32_e32 v2, 15, v10
	v_cndmask_b32_e32 v2, v3, v2, vcc_lo
	v_cndmask_b32_e64 v3, 0, 1, vcc_lo
	s_delay_alu instid0(VALU_DEP_1)
	v_lshrrev_b64 v[0:1], v3, v[0:1]
; %bb.18667:                            ;   in Loop: Header=BB6_14192 Depth=3
	s_and_not1_saveexec_b32 s13, s13
; %bb.18668:                            ;   in Loop: Header=BB6_14192 Depth=3
	s_delay_alu instid0(VALU_DEP_1)
	v_bfe_u32 v2, v0, 23, 1
; %bb.18669:                            ;   in Loop: Header=BB6_14192 Depth=3
	s_or_b32 exec_lo, exec_lo, s13
	s_delay_alu instid0(VALU_DEP_2) | instskip(NEXT) | instid1(VALU_DEP_2)
	v_lshrrev_b64 v[0:1], 21, v[0:1]
	v_cmp_gt_i32_e32 vcc_lo, 32, v2
	v_min_i32_e32 v3, 31, v2
	v_cmp_eq_u32_e64 s13, 0, v2
	s_delay_alu instid0(VALU_DEP_2) | instskip(SKIP_1) | instid1(VALU_DEP_2)
	v_dual_cndmask_b32 v1, 0, v1, vcc_lo :: v_dual_lshlrev_b32 v3, 2, v3
	v_cndmask_b32_e32 v0, 3, v0, vcc_lo
	v_and_b32_e32 v3, 0xfc, v3
	s_delay_alu instid0(VALU_DEP_2) | instskip(NEXT) | instid1(VALU_DEP_2)
	v_cmp_eq_u64_e32 vcc_lo, 0, v[0:1]
	v_and_or_b32 v0, v0, 3, v3
	s_and_b32 s13, s13, vcc_lo
	s_delay_alu instid0(VALU_DEP_1) | instid1(SALU_CYCLE_1)
	v_cndmask_b32_e64 v0, v0, 0, s13
	s_delay_alu instid0(VALU_DEP_1)
	v_or_b32_e32 v2, v0, v5
.LBB6_18670:                            ;   in Loop: Header=BB6_14192 Depth=3
	s_or_b32 exec_lo, exec_lo, s75
                                        ; implicit-def: $vgpr5
.LBB6_18671:                            ;   in Loop: Header=BB6_14192 Depth=3
	s_and_not1_saveexec_b32 s13, s74
; %bb.18672:                            ;   in Loop: Header=BB6_14192 Depth=3
	v_or_b32_e32 v2, 0x7b, v5
; %bb.18673:                            ;   in Loop: Header=BB6_14192 Depth=3
	s_or_b32 exec_lo, exec_lo, s13
                                        ; implicit-def: $vgpr3
                                        ; implicit-def: $vgpr0_vgpr1
                                        ; implicit-def: $vgpr5
.LBB6_18674:                            ;   in Loop: Header=BB6_14192 Depth=3
	s_and_not1_saveexec_b32 s13, s73
	s_cbranch_execz .LBB6_14191
; %bb.18675:                            ;   in Loop: Header=BB6_14192 Depth=3
	s_mov_b32 s73, exec_lo
                                        ; implicit-def: $vgpr2
	v_cmpx_ne_u64_e32 0, v[0:1]
	s_xor_b32 s73, exec_lo, s73
; %bb.18676:                            ;   in Loop: Header=BB6_14192 Depth=3
	v_or_b32_e32 v2, 0x7f, v5
                                        ; implicit-def: $vgpr3
; %bb.18677:                            ;   in Loop: Header=BB6_14192 Depth=3
	s_and_not1_saveexec_b32 s73, s73
	s_cbranch_execz .LBB6_14190
; %bb.18678:                            ;   in Loop: Header=BB6_14192 Depth=3
	v_cmp_lt_i32_e32 vcc_lo, -1, v3
	v_mov_b32_e32 v0, 0x7c
	s_delay_alu instid0(VALU_DEP_1)
	v_cndmask_b32_e32 v2, 0xfc, v0, vcc_lo
	s_branch .LBB6_14190
.LBB6_18679:                            ;   in Loop: Header=BB6_14108 Depth=2
	s_or_b32 exec_lo, exec_lo, s15
.LBB6_18680:                            ;   in Loop: Header=BB6_14108 Depth=2
	s_delay_alu instid0(SALU_CYCLE_1)
	s_or_b32 exec_lo, exec_lo, s14
	scratch_load_b32 v0, off, s33 offset:432 ; 4-byte Folded Reload
	v_dual_mov_b32 v7, 0 :: v_dual_lshlrev_b32 v20, 11, v7
	s_mov_b32 s13, 0
	s_mov_b32 s73, exec_lo
                                        ; implicit-def: $vgpr112
                                        ; implicit-def: $vgpr4
	s_wait_loadcnt 0x0
	s_wait_xcnt 0x0
	v_cmpx_ne_u32_e64 v0, v20
	s_cbranch_execz .LBB6_19752
; %bb.18681:                            ;   in Loop: Header=BB6_14108 Depth=2
	s_clause 0x1
	scratch_load_b32 v1, off, s33 offset:504
	scratch_load_b32 v2, off, s33 offset:432
	v_lshlrev_b32_e32 v0, 5, v6
	s_mov_b32 s74, exec_lo
	s_wait_loadcnt 0x0
	v_sub_nc_u32_e32 v2, v2, v20
	s_delay_alu instid0(VALU_DEP_1) | instskip(NEXT) | instid1(VALU_DEP_1)
	v_dual_sub_nc_u32 v0, v1, v0 :: v_dual_ashrrev_i32 v3, 31, v2
	v_dual_ashrrev_i32 v1, 31, v0 :: v_dual_lshrrev_b32 v3, 23, v3
	s_delay_alu instid0(VALU_DEP_1) | instskip(NEXT) | instid1(VALU_DEP_1)
	v_lshrrev_b32_e32 v1, 27, v1
	v_add_nc_u32_e32 v1, v0, v1
	s_delay_alu instid0(VALU_DEP_1) | instskip(NEXT) | instid1(VALU_DEP_1)
	v_and_b32_e32 v4, 0xffffffe0, v1
	v_dual_add_nc_u32 v3, v2, v3 :: v_dual_sub_nc_u32 v21, v0, v4
	s_delay_alu instid0(VALU_DEP_1) | instskip(SKIP_1) | instid1(VALU_DEP_2)
	v_and_b32_e32 v22, 0xfffffe00, v3
	v_dual_ashrrev_i32 v1, 5, v1 :: v_dual_ashrrev_i32 v3, 9, v3
	v_dual_lshlrev_b32 v0, 4, v21 :: v_dual_sub_nc_u32 v23, v2, v22
	s_delay_alu instid0(VALU_DEP_1) | instskip(NEXT) | instid1(VALU_DEP_2)
	v_lshl_add_u32 v0, v1, 9, v0
	v_cmp_lt_i32_e64 s13, 15, v23
	s_delay_alu instid0(VALU_DEP_1) | instskip(NEXT) | instid1(VALU_DEP_1)
	v_add_co_ci_u32_e64 v3, null, 0, v3, s13
	v_dual_sub_nc_u32 v25, v2, v0 :: v_dual_sub_nc_u32 v24, v3, v1
	s_wait_xcnt 0x0
	s_delay_alu instid0(VALU_DEP_1)
	v_cmpx_lt_i32_e32 15, v25
	s_cbranch_execz .LBB6_19751
; %bb.18682:                            ;   in Loop: Header=BB6_14108 Depth=2
	s_trap 2
	s_clause 0x1
	scratch_load_b64 v[4:5], off, s33 offset:444
	scratch_load_b64 v[6:7], off, s33 offset:436
	ds_load_b64 v[2:3], v0
	v_add_nc_u32_e32 v0, v0, v20
	s_delay_alu instid0(VALU_DEP_1) | instskip(NEXT) | instid1(VALU_DEP_1)
	v_ashrrev_i32_e32 v1, 31, v0
	v_add_nc_u64_e32 v[14:15], v[0:1], v[60:61]
	s_wait_dscnt 0x0
	v_readfirstlane_b32 s14, v2
	v_readfirstlane_b32 s15, v3
	v_add_nc_u64_e32 v[16:17], v[2:3], v[0:1]
	s_and_b32 s43, s14, 3
	s_bfe_i32 s42, s14, 0x80000
	s_clz_i32_u32 s77, s43
	s_bfe_u32 s75, s14, 0x50002
	s_min_u32 s77, s77, 32
	s_and_b32 s76, s14, 0x7c
	s_sub_co_i32 s88, s77, 29
	s_lshl_b32 s78, s14, 24
	s_sext_i32_i8 s79, s14
	s_lshl_b64 s[14:15], s[14:15], s88
	s_and_b32 s78, s78, 0x80000000
	s_sub_co_i32 s15, 30, s77
	s_and_b32 s14, s14, 3
	s_cmp_gt_i32 s79, -1
	s_cselect_b32 s77, s47, 0xff800000
	s_cmp_eq_u32 s43, 0
	s_cselect_b32 s77, s77, 0x7f800001
	s_cmp_eq_u32 s75, 0
	s_cselect_b32 s15, s15, s75
	s_cselect_b32 s14, s14, s43
	s_lshl_b32 s15, s15, 23
	s_lshl_b32 s14, s14, 21
	s_add_co_i32 s15, s15, s78
	s_mov_b32 s75, 0
	s_or_b32 s14, s15, s14
	s_delay_alu instid0(SALU_CYCLE_1)
	s_add_co_i32 s14, s14, 0x38000000
	s_cmp_eq_u32 s76, 0x7c
	s_cselect_b32 s76, s77, s14
	s_and_b32 s77, s42, 0xff
	s_wait_loadcnt 0x1
	v_add_nc_u64_e32 v[4:5], v[0:1], v[4:5]
	s_wait_loadcnt 0x0
	v_add_nc_u64_e32 v[12:13], v[0:1], v[6:7]
.LBB6_18683:                            ;   Parent Loop BB6_47 Depth=1
                                        ;     Parent Loop BB6_14108 Depth=2
                                        ; =>    This Loop Header: Depth=3
                                        ;         Child Loop BB6_19724 Depth 4
	s_cmp_lt_i32 s77, 0x80
	s_cbranch_scc1 .LBB6_18687
; %bb.18684:                            ;   in Loop: Header=BB6_18683 Depth=3
	s_and_b32 s14, 0xffff, s77
	s_delay_alu instid0(SALU_CYCLE_1)
	s_cmp_eq_u32 s14, 0x80
	s_mov_b32 s14, -1
	s_cbranch_scc0 .LBB6_18686
; %bb.18685:                            ;   in Loop: Header=BB6_18683 Depth=3
	s_mov_b32 s14, 0
.LBB6_18686:                            ;   in Loop: Header=BB6_18683 Depth=3
	s_brev_b32 s15, 1
	s_branch .LBB6_18689
.LBB6_18687:                            ;   in Loop: Header=BB6_18683 Depth=3
	s_mov_b32 s14, 0
	s_brev_b32 s15, 1
	s_cbranch_execz .LBB6_18689
; %bb.18688:                            ;   in Loop: Header=BB6_18683 Depth=3
	s_and_b32 s14, 0xffff, s77
	s_mov_b32 s15, 0
	s_cmp_lg_u32 s14, 0
	s_cselect_b32 s14, -1, 0
.LBB6_18689:                            ;   in Loop: Header=BB6_18683 Depth=3
	s_delay_alu instid0(SALU_CYCLE_1)
	s_and_not1_b32 vcc_lo, exec_lo, s14
	s_cbranch_vccnz .LBB6_18691
; %bb.18690:                            ;   in Loop: Header=BB6_18683 Depth=3
	s_mov_b32 s15, s76
.LBB6_18691:                            ;   in Loop: Header=BB6_18683 Depth=3
	global_load_b128 v[8:11], v[4:5], off th:TH_LOAD_NT
	s_wait_loadcnt 0x0
	v_and_b32_e32 v0, 0xff, v8
	s_delay_alu instid0(VALU_DEP_1)
	v_cmp_ne_u16_e32 vcc_lo, 0, v0
	v_mov_b32_e32 v0, 0
	s_wait_xcnt 0x0
	s_and_saveexec_b32 s14, vcc_lo
	s_cbranch_execz .LBB6_18701
; %bb.18692:                            ;   in Loop: Header=BB6_18683 Depth=3
	v_bfe_i32 v2, v8, 0, 8
	v_bfrev_b32_e32 v0, 1
	s_mov_b32 s42, exec_lo
	s_delay_alu instid0(VALU_DEP_2)
	v_cmpx_ne_u16_e32 0xff80, v2
	s_cbranch_execz .LBB6_18700
; %bb.18693:                            ;   in Loop: Header=BB6_18683 Depth=3
	v_and_b32_e32 v0, 0x7c, v8
	v_and_b32_e32 v1, 3, v8
	s_delay_alu instid0(VALU_DEP_2) | instskip(SKIP_1) | instid1(SALU_CYCLE_1)
	v_cmp_ne_u32_e32 vcc_lo, 0x7c, v0
                                        ; implicit-def: $vgpr0
	s_and_saveexec_b32 s43, vcc_lo
	s_xor_b32 s43, exec_lo, s43
	s_cbranch_execz .LBB6_18697
; %bb.18694:                            ;   in Loop: Header=BB6_18683 Depth=3
	v_bfe_u32 v0, v8, 2, 5
	s_mov_b32 s78, exec_lo
	s_delay_alu instid0(VALU_DEP_1)
	v_cmpx_eq_u32_e32 0, v0
; %bb.18695:                            ;   in Loop: Header=BB6_18683 Depth=3
	v_clz_i32_u32_e32 v0, v1
	s_delay_alu instid0(VALU_DEP_1) | instskip(NEXT) | instid1(VALU_DEP_1)
	v_min_u32_e32 v0, 32, v0
	v_subrev_nc_u32_e32 v1, 29, v0
	s_delay_alu instid0(VALU_DEP_1) | instskip(NEXT) | instid1(VALU_DEP_1)
	v_lshlrev_b64_e32 v[2:3], v1, v[8:9]
	v_dual_sub_nc_u32 v0, 30, v0 :: v_dual_bitop2_b32 v1, 3, v2 bitop3:0x40
; %bb.18696:                            ;   in Loop: Header=BB6_18683 Depth=3
	s_or_b32 exec_lo, exec_lo, s78
	v_lshlrev_b32_e32 v2, 24, v8
	s_delay_alu instid0(VALU_DEP_1) | instskip(NEXT) | instid1(VALU_DEP_1)
	v_and_b32_e32 v2, 0x80000000, v2
	v_lshl_add_u32 v0, v0, 23, v2
                                        ; implicit-def: $vgpr2
	s_delay_alu instid0(VALU_DEP_1) | instskip(NEXT) | instid1(VALU_DEP_1)
	v_lshl_or_b32 v0, v1, 21, v0
                                        ; implicit-def: $vgpr1
	v_add_nc_u32_e32 v0, 0x38000000, v0
.LBB6_18697:                            ;   in Loop: Header=BB6_18683 Depth=3
	s_and_not1_saveexec_b32 s43, s43
; %bb.18698:                            ;   in Loop: Header=BB6_18683 Depth=3
	v_cmp_lt_i16_e32 vcc_lo, -1, v2
	v_mov_b32_e32 v0, 0x7f800000
	s_delay_alu instid0(VALU_DEP_1) | instskip(SKIP_1) | instid1(VALU_DEP_2)
	v_cndmask_b32_e32 v0, 0xff800000, v0, vcc_lo
	v_cmp_eq_u32_e32 vcc_lo, 0, v1
	v_cndmask_b32_e32 v0, 0x7f800001, v0, vcc_lo
; %bb.18699:                            ;   in Loop: Header=BB6_18683 Depth=3
	s_or_b32 exec_lo, exec_lo, s43
.LBB6_18700:                            ;   in Loop: Header=BB6_18683 Depth=3
	s_delay_alu instid0(SALU_CYCLE_1)
	s_or_b32 exec_lo, exec_lo, s42
.LBB6_18701:                            ;   in Loop: Header=BB6_18683 Depth=3
	s_delay_alu instid0(SALU_CYCLE_1) | instskip(NEXT) | instid1(VALU_DEP_1)
	s_or_b32 exec_lo, exec_lo, s14
	v_dual_mul_f32 v2, s15, v0 :: v_dual_mov_b32 v7, v113
	v_mov_b32_e32 v1, v113
                                        ; implicit-def: $vgpr26
	s_mov_b32 s14, exec_lo
	s_delay_alu instid0(VALU_DEP_2) | instskip(SKIP_2) | instid1(VALU_DEP_3)
	v_and_b32_e32 v6, 0x7f800000, v2
	v_and_b32_e32 v0, 0x7fffff, v2
	v_lshrrev_b32_e32 v3, 24, v2
	v_cmpx_ne_u64_e32 0x7f800000, v[6:7]
	s_xor_b32 s42, exec_lo, s14
	s_cbranch_execz .LBB6_18715
; %bb.18702:                            ;   in Loop: Header=BB6_18683 Depth=3
	v_and_b32_e32 v6, 0x7fffffff, v2
	v_mov_b32_e32 v7, v113
                                        ; implicit-def: $vgpr26
	s_delay_alu instid0(VALU_DEP_1) | instskip(SKIP_2) | instid1(SALU_CYCLE_1)
	v_cmp_gt_u64_e32 vcc_lo, 0x47600001, v[6:7]
	v_and_b32_e32 v6, 0x80, v3
	s_and_saveexec_b32 s14, vcc_lo
	s_xor_b32 s43, exec_lo, s14
	s_cbranch_execz .LBB6_18712
; %bb.18703:                            ;   in Loop: Header=BB6_18683 Depth=3
	v_mov_b32_e32 v26, 0
	s_mov_b32 s78, exec_lo
	v_cmpx_ne_u32_e32 0, v2
	s_cbranch_execz .LBB6_18711
; %bb.18704:                            ;   in Loop: Header=BB6_18683 Depth=3
	v_bfe_u32 v7, v2, 23, 8
	v_or_b32_e32 v19, 0x800000, v0
	s_delay_alu instid0(VALU_DEP_2) | instskip(SKIP_1) | instid1(VALU_DEP_2)
	v_sub_nc_u32_e32 v2, 0x71, v7
	v_cmp_gt_u32_e32 vcc_lo, 0x72, v7
	v_cndmask_b32_e32 v2, 0, v2, vcc_lo
	v_cmp_eq_u32_e32 vcc_lo, 0, v7
	v_cndmask_b32_e32 v0, v19, v0, vcc_lo
	s_delay_alu instid0(VALU_DEP_3) | instskip(NEXT) | instid1(VALU_DEP_1)
	v_cndmask_b32_e64 v18, v2, 0x70, vcc_lo
	v_dual_add_nc_u32 v2, 21, v18 :: v_dual_add_nc_u32 v26, 20, v18
	s_delay_alu instid0(VALU_DEP_1) | instskip(NEXT) | instid1(VALU_DEP_2)
	v_lshlrev_b64_e64 v[2:3], v2, -1
	v_lshlrev_b64_e64 v[26:27], v26, 1
	s_delay_alu instid0(VALU_DEP_2) | instskip(SKIP_1) | instid1(VALU_DEP_4)
	v_bfi_b32 v2, v2, 0, v0
	v_lshrrev_b64 v[0:1], v18, v[0:1]
	v_bfi_b32 v3, v3, 0, 0
	s_delay_alu instid0(VALU_DEP_1) | instskip(NEXT) | instid1(VALU_DEP_3)
	v_cmp_eq_u64_e64 s14, v[2:3], v[26:27]
	v_mov_b64_e32 v[2:3], v[0:1]
	s_and_saveexec_b32 s79, s14
; %bb.18705:                            ;   in Loop: Header=BB6_18683 Depth=3
	v_bfe_u32 v2, v0, 21, 1
	v_mov_b32_e32 v3, v113
	s_delay_alu instid0(VALU_DEP_1) | instskip(NEXT) | instid1(VALU_DEP_1)
	v_add_nc_u64_e32 v[2:3], v[0:1], v[2:3]
	v_add_nc_u64_e32 v[2:3], -1, v[2:3]
; %bb.18706:                            ;   in Loop: Header=BB6_18683 Depth=3
	s_or_b32 exec_lo, exec_lo, s79
	v_add_nc_u32_e32 v1, 0xffffff81, v7
	v_lshrrev_b32_e32 v3, 23, v0
	s_mov_b32 s14, exec_lo
	s_delay_alu instid0(VALU_DEP_2) | instskip(NEXT) | instid1(VALU_DEP_1)
	v_cndmask_b32_e64 v1, v1, 0xffffff82, vcc_lo
	v_add3_u32 v3, v18, v1, v3
	v_and_b32_e32 v1, 0x1fffff, v2
                                        ; implicit-def: $vgpr2
	s_delay_alu instid0(VALU_DEP_1) | instskip(SKIP_1) | instid1(VALU_DEP_2)
	v_dual_add_nc_u32 v7, 14, v3 :: v_dual_add_nc_u32 v0, v1, v0
	v_mov_b32_e32 v1, v113
	v_cmpx_ne_u32_e32 0, v7
	s_xor_b32 s14, exec_lo, s14
; %bb.18707:                            ;   in Loop: Header=BB6_18683 Depth=3
	s_delay_alu instid0(VALU_DEP_2) | instskip(SKIP_2) | instid1(VALU_DEP_2)
	v_cmp_lt_u64_e32 vcc_lo, 0xffffff, v[0:1]
	v_add_nc_u32_e32 v2, 15, v3
	v_cndmask_b32_e64 v3, 0, 1, vcc_lo
	v_cndmask_b32_e32 v2, v7, v2, vcc_lo
	s_delay_alu instid0(VALU_DEP_2)
	v_lshrrev_b64 v[0:1], v3, v[0:1]
; %bb.18708:                            ;   in Loop: Header=BB6_18683 Depth=3
	s_and_not1_saveexec_b32 s14, s14
; %bb.18709:                            ;   in Loop: Header=BB6_18683 Depth=3
	s_delay_alu instid0(VALU_DEP_1)
	v_bfe_u32 v2, v0, 23, 1
; %bb.18710:                            ;   in Loop: Header=BB6_18683 Depth=3
	s_or_b32 exec_lo, exec_lo, s14
	s_delay_alu instid0(VALU_DEP_2) | instskip(NEXT) | instid1(VALU_DEP_2)
	v_lshrrev_b64 v[0:1], 21, v[0:1]
	v_cmp_gt_i32_e32 vcc_lo, 32, v2
	v_min_i32_e32 v3, 31, v2
	v_cmp_eq_u32_e64 s14, 0, v2
	s_delay_alu instid0(VALU_DEP_2) | instskip(SKIP_1) | instid1(VALU_DEP_2)
	v_dual_cndmask_b32 v1, 0, v1, vcc_lo :: v_dual_lshlrev_b32 v3, 2, v3
	v_cndmask_b32_e32 v0, 3, v0, vcc_lo
	v_and_b32_e32 v3, 0xfc, v3
	s_delay_alu instid0(VALU_DEP_2) | instskip(NEXT) | instid1(VALU_DEP_2)
	v_cmp_eq_u64_e32 vcc_lo, 0, v[0:1]
	v_and_or_b32 v0, v0, 3, v3
	s_and_b32 s14, s14, vcc_lo
	s_delay_alu instid0(VALU_DEP_1) | instid1(SALU_CYCLE_1)
	v_cndmask_b32_e64 v0, v0, 0, s14
	s_delay_alu instid0(VALU_DEP_1)
	v_or_b32_e32 v26, v0, v6
.LBB6_18711:                            ;   in Loop: Header=BB6_18683 Depth=3
	s_or_b32 exec_lo, exec_lo, s78
                                        ; implicit-def: $vgpr6
.LBB6_18712:                            ;   in Loop: Header=BB6_18683 Depth=3
	s_and_not1_saveexec_b32 s14, s43
; %bb.18713:                            ;   in Loop: Header=BB6_18683 Depth=3
	v_or_b32_e32 v26, 0x7b, v6
; %bb.18714:                            ;   in Loop: Header=BB6_18683 Depth=3
	s_or_b32 exec_lo, exec_lo, s14
                                        ; implicit-def: $vgpr2
                                        ; implicit-def: $vgpr0_vgpr1
                                        ; implicit-def: $vgpr3
.LBB6_18715:                            ;   in Loop: Header=BB6_18683 Depth=3
	s_and_not1_saveexec_b32 s14, s42
	s_cbranch_execz .LBB6_18721
; %bb.18716:                            ;   in Loop: Header=BB6_18683 Depth=3
	s_mov_b32 s42, exec_lo
                                        ; implicit-def: $vgpr26
	v_cmpx_ne_u64_e32 0, v[0:1]
	s_xor_b32 s42, exec_lo, s42
; %bb.18717:                            ;   in Loop: Header=BB6_18683 Depth=3
	v_or_b32_e32 v26, 0x7f, v3
                                        ; implicit-def: $vgpr2
; %bb.18718:                            ;   in Loop: Header=BB6_18683 Depth=3
	s_and_not1_saveexec_b32 s42, s42
; %bb.18719:                            ;   in Loop: Header=BB6_18683 Depth=3
	v_cmp_lt_i32_e32 vcc_lo, -1, v2
	v_mov_b32_e32 v0, 0x7c
	s_delay_alu instid0(VALU_DEP_1)
	v_cndmask_b32_e32 v26, 0xfc, v0, vcc_lo
; %bb.18720:                            ;   in Loop: Header=BB6_18683 Depth=3
	s_or_b32 exec_lo, exec_lo, s42
.LBB6_18721:                            ;   in Loop: Header=BB6_18683 Depth=3
	s_delay_alu instid0(SALU_CYCLE_1) | instskip(SKIP_3) | instid1(VALU_DEP_2)
	s_or_b32 exec_lo, exec_lo, s14
	v_lshrrev_b16 v0, 8, v8
	v_mov_b32_e32 v2, 0
	s_mov_b32 s14, exec_lo
	v_cmpx_ne_u16_e32 0, v0
	s_cbranch_execz .LBB6_18731
; %bb.18722:                            ;   in Loop: Header=BB6_18683 Depth=3
	v_bfrev_b32_e32 v2, 1
	s_mov_b32 s42, exec_lo
	v_cmpx_ne_u16_e32 0x80, v0
	s_cbranch_execz .LBB6_18730
; %bb.18723:                            ;   in Loop: Header=BB6_18683 Depth=3
	v_and_b32_e32 v3, 0xffff, v0
	s_delay_alu instid0(VALU_DEP_1) | instskip(SKIP_1) | instid1(VALU_DEP_2)
	v_and_b32_e32 v2, 0x7c, v3
	v_and_b32_e32 v1, 3, v3
	v_cmp_ne_u32_e32 vcc_lo, 0x7c, v2
                                        ; implicit-def: $vgpr2
	s_and_saveexec_b32 s43, vcc_lo
	s_delay_alu instid0(SALU_CYCLE_1)
	s_xor_b32 s43, exec_lo, s43
	s_cbranch_execz .LBB6_18727
; %bb.18724:                            ;   in Loop: Header=BB6_18683 Depth=3
	v_bfe_u32 v2, v3, 2, 5
	s_mov_b32 s78, exec_lo
	s_delay_alu instid0(VALU_DEP_1)
	v_cmpx_eq_u32_e32 0, v2
	s_cbranch_execz .LBB6_18726
; %bb.18725:                            ;   in Loop: Header=BB6_18683 Depth=3
	v_clz_i32_u32_e32 v1, v1
	s_delay_alu instid0(VALU_DEP_1) | instskip(SKIP_1) | instid1(VALU_DEP_2)
	v_min_u32_e32 v2, 32, v1
	v_mov_b32_e32 v1, v113
	v_subrev_nc_u32_e32 v3, 29, v2
	v_sub_nc_u32_e32 v2, 30, v2
	s_delay_alu instid0(VALU_DEP_2) | instskip(NEXT) | instid1(VALU_DEP_1)
	v_lshlrev_b64_e32 v[0:1], v3, v[0:1]
	v_and_b32_e32 v1, 3, v0
.LBB6_18726:                            ;   in Loop: Header=BB6_18683 Depth=3
	s_or_b32 exec_lo, exec_lo, s78
	v_lshlrev_b32_e32 v0, 16, v8
	s_delay_alu instid0(VALU_DEP_1) | instskip(NEXT) | instid1(VALU_DEP_1)
	v_and_b32_e32 v0, 0x80000000, v0
	v_lshl_add_u32 v0, v2, 23, v0
	s_delay_alu instid0(VALU_DEP_1) | instskip(NEXT) | instid1(VALU_DEP_1)
	v_lshl_or_b32 v0, v1, 21, v0
                                        ; implicit-def: $vgpr1
	v_add_nc_u32_e32 v2, 0x38000000, v0
.LBB6_18727:                            ;   in Loop: Header=BB6_18683 Depth=3
	s_and_not1_saveexec_b32 s43, s43
; %bb.18728:                            ;   in Loop: Header=BB6_18683 Depth=3
	v_cmp_lt_i16_e32 vcc_lo, -1, v8
	v_mov_b32_e32 v0, 0x7f800000
	s_delay_alu instid0(VALU_DEP_1) | instskip(SKIP_1) | instid1(VALU_DEP_2)
	v_cndmask_b32_e32 v0, 0xff800000, v0, vcc_lo
	v_cmp_eq_u32_e32 vcc_lo, 0, v1
	v_cndmask_b32_e32 v2, 0x7f800001, v0, vcc_lo
; %bb.18729:                            ;   in Loop: Header=BB6_18683 Depth=3
	s_or_b32 exec_lo, exec_lo, s43
.LBB6_18730:                            ;   in Loop: Header=BB6_18683 Depth=3
	s_delay_alu instid0(SALU_CYCLE_1)
	s_or_b32 exec_lo, exec_lo, s42
.LBB6_18731:                            ;   in Loop: Header=BB6_18683 Depth=3
	s_delay_alu instid0(SALU_CYCLE_1) | instskip(NEXT) | instid1(VALU_DEP_1)
	s_or_b32 exec_lo, exec_lo, s14
	v_dual_mul_f32 v2, s15, v2 :: v_dual_mov_b32 v7, v113
	v_mov_b32_e32 v1, v113
                                        ; implicit-def: $vgpr28
	s_mov_b32 s14, exec_lo
	s_delay_alu instid0(VALU_DEP_2) | instskip(SKIP_2) | instid1(VALU_DEP_3)
	v_and_b32_e32 v6, 0x7f800000, v2
	v_and_b32_e32 v0, 0x7fffff, v2
	v_lshrrev_b32_e32 v3, 24, v2
	v_cmpx_ne_u64_e32 0x7f800000, v[6:7]
	s_xor_b32 s42, exec_lo, s14
	s_cbranch_execz .LBB6_18745
; %bb.18732:                            ;   in Loop: Header=BB6_18683 Depth=3
	v_and_b32_e32 v6, 0x7fffffff, v2
	v_mov_b32_e32 v7, v113
                                        ; implicit-def: $vgpr28
	s_delay_alu instid0(VALU_DEP_1) | instskip(SKIP_2) | instid1(SALU_CYCLE_1)
	v_cmp_gt_u64_e32 vcc_lo, 0x47600001, v[6:7]
	v_and_b32_e32 v6, 0x80, v3
	s_and_saveexec_b32 s14, vcc_lo
	s_xor_b32 s43, exec_lo, s14
	s_cbranch_execz .LBB6_18742
; %bb.18733:                            ;   in Loop: Header=BB6_18683 Depth=3
	v_mov_b32_e32 v28, 0
	s_mov_b32 s78, exec_lo
	v_cmpx_ne_u32_e32 0, v2
	s_cbranch_execz .LBB6_18741
; %bb.18734:                            ;   in Loop: Header=BB6_18683 Depth=3
	v_bfe_u32 v7, v2, 23, 8
	v_or_b32_e32 v19, 0x800000, v0
	s_delay_alu instid0(VALU_DEP_2) | instskip(SKIP_1) | instid1(VALU_DEP_2)
	v_sub_nc_u32_e32 v2, 0x71, v7
	v_cmp_gt_u32_e32 vcc_lo, 0x72, v7
	v_cndmask_b32_e32 v2, 0, v2, vcc_lo
	v_cmp_eq_u32_e32 vcc_lo, 0, v7
	v_cndmask_b32_e32 v0, v19, v0, vcc_lo
	s_delay_alu instid0(VALU_DEP_3) | instskip(NEXT) | instid1(VALU_DEP_1)
	v_cndmask_b32_e64 v18, v2, 0x70, vcc_lo
	v_dual_add_nc_u32 v2, 21, v18 :: v_dual_add_nc_u32 v27, 20, v18
	s_delay_alu instid0(VALU_DEP_1) | instskip(NEXT) | instid1(VALU_DEP_2)
	v_lshlrev_b64_e64 v[2:3], v2, -1
	v_lshlrev_b64_e64 v[28:29], v27, 1
	s_delay_alu instid0(VALU_DEP_2) | instskip(SKIP_1) | instid1(VALU_DEP_4)
	v_bfi_b32 v2, v2, 0, v0
	v_lshrrev_b64 v[0:1], v18, v[0:1]
	v_bfi_b32 v3, v3, 0, 0
	s_delay_alu instid0(VALU_DEP_1) | instskip(NEXT) | instid1(VALU_DEP_3)
	v_cmp_eq_u64_e64 s14, v[2:3], v[28:29]
	v_mov_b64_e32 v[2:3], v[0:1]
	s_and_saveexec_b32 s79, s14
; %bb.18735:                            ;   in Loop: Header=BB6_18683 Depth=3
	v_bfe_u32 v2, v0, 21, 1
	v_mov_b32_e32 v3, v113
	s_delay_alu instid0(VALU_DEP_1) | instskip(NEXT) | instid1(VALU_DEP_1)
	v_add_nc_u64_e32 v[2:3], v[0:1], v[2:3]
	v_add_nc_u64_e32 v[2:3], -1, v[2:3]
; %bb.18736:                            ;   in Loop: Header=BB6_18683 Depth=3
	s_or_b32 exec_lo, exec_lo, s79
	v_add_nc_u32_e32 v1, 0xffffff81, v7
	v_lshrrev_b32_e32 v3, 23, v0
	s_mov_b32 s14, exec_lo
	s_delay_alu instid0(VALU_DEP_2) | instskip(NEXT) | instid1(VALU_DEP_1)
	v_cndmask_b32_e64 v1, v1, 0xffffff82, vcc_lo
	v_add3_u32 v3, v18, v1, v3
	v_and_b32_e32 v1, 0x1fffff, v2
                                        ; implicit-def: $vgpr2
	s_delay_alu instid0(VALU_DEP_1) | instskip(SKIP_1) | instid1(VALU_DEP_2)
	v_dual_add_nc_u32 v7, 14, v3 :: v_dual_add_nc_u32 v0, v1, v0
	v_mov_b32_e32 v1, v113
	v_cmpx_ne_u32_e32 0, v7
	s_xor_b32 s14, exec_lo, s14
; %bb.18737:                            ;   in Loop: Header=BB6_18683 Depth=3
	s_delay_alu instid0(VALU_DEP_2) | instskip(SKIP_2) | instid1(VALU_DEP_2)
	v_cmp_lt_u64_e32 vcc_lo, 0xffffff, v[0:1]
	v_add_nc_u32_e32 v2, 15, v3
	v_cndmask_b32_e64 v3, 0, 1, vcc_lo
	v_cndmask_b32_e32 v2, v7, v2, vcc_lo
	s_delay_alu instid0(VALU_DEP_2)
	v_lshrrev_b64 v[0:1], v3, v[0:1]
; %bb.18738:                            ;   in Loop: Header=BB6_18683 Depth=3
	s_and_not1_saveexec_b32 s14, s14
; %bb.18739:                            ;   in Loop: Header=BB6_18683 Depth=3
	s_delay_alu instid0(VALU_DEP_1)
	v_bfe_u32 v2, v0, 23, 1
; %bb.18740:                            ;   in Loop: Header=BB6_18683 Depth=3
	s_or_b32 exec_lo, exec_lo, s14
	s_delay_alu instid0(VALU_DEP_2) | instskip(NEXT) | instid1(VALU_DEP_2)
	v_lshrrev_b64 v[0:1], 21, v[0:1]
	v_cmp_gt_i32_e32 vcc_lo, 32, v2
	v_min_i32_e32 v3, 31, v2
	v_cmp_eq_u32_e64 s14, 0, v2
	s_delay_alu instid0(VALU_DEP_2) | instskip(SKIP_1) | instid1(VALU_DEP_2)
	v_dual_cndmask_b32 v1, 0, v1, vcc_lo :: v_dual_lshlrev_b32 v3, 2, v3
	v_cndmask_b32_e32 v0, 3, v0, vcc_lo
	v_and_b32_e32 v3, 0xfc, v3
	s_delay_alu instid0(VALU_DEP_2) | instskip(NEXT) | instid1(VALU_DEP_2)
	v_cmp_eq_u64_e32 vcc_lo, 0, v[0:1]
	v_and_or_b32 v0, v0, 3, v3
	s_and_b32 s14, s14, vcc_lo
	s_delay_alu instid0(VALU_DEP_1) | instid1(SALU_CYCLE_1)
	v_cndmask_b32_e64 v0, v0, 0, s14
	s_delay_alu instid0(VALU_DEP_1)
	v_or_b32_e32 v28, v0, v6
.LBB6_18741:                            ;   in Loop: Header=BB6_18683 Depth=3
	s_or_b32 exec_lo, exec_lo, s78
                                        ; implicit-def: $vgpr6
.LBB6_18742:                            ;   in Loop: Header=BB6_18683 Depth=3
	s_and_not1_saveexec_b32 s14, s43
; %bb.18743:                            ;   in Loop: Header=BB6_18683 Depth=3
	v_or_b32_e32 v28, 0x7b, v6
; %bb.18744:                            ;   in Loop: Header=BB6_18683 Depth=3
	s_or_b32 exec_lo, exec_lo, s14
                                        ; implicit-def: $vgpr2
                                        ; implicit-def: $vgpr0_vgpr1
                                        ; implicit-def: $vgpr3
.LBB6_18745:                            ;   in Loop: Header=BB6_18683 Depth=3
	s_and_not1_saveexec_b32 s14, s42
	s_cbranch_execz .LBB6_18751
; %bb.18746:                            ;   in Loop: Header=BB6_18683 Depth=3
	s_mov_b32 s42, exec_lo
                                        ; implicit-def: $vgpr28
	v_cmpx_ne_u64_e32 0, v[0:1]
	s_xor_b32 s42, exec_lo, s42
; %bb.18747:                            ;   in Loop: Header=BB6_18683 Depth=3
	v_or_b32_e32 v28, 0x7f, v3
                                        ; implicit-def: $vgpr2
; %bb.18748:                            ;   in Loop: Header=BB6_18683 Depth=3
	s_and_not1_saveexec_b32 s42, s42
; %bb.18749:                            ;   in Loop: Header=BB6_18683 Depth=3
	v_cmp_lt_i32_e32 vcc_lo, -1, v2
	v_mov_b32_e32 v0, 0x7c
	s_delay_alu instid0(VALU_DEP_1)
	v_cndmask_b32_e32 v28, 0xfc, v0, vcc_lo
; %bb.18750:                            ;   in Loop: Header=BB6_18683 Depth=3
	s_or_b32 exec_lo, exec_lo, s42
.LBB6_18751:                            ;   in Loop: Header=BB6_18683 Depth=3
	s_delay_alu instid0(SALU_CYCLE_1) | instskip(SKIP_2) | instid1(VALU_DEP_1)
	s_or_b32 exec_lo, exec_lo, s14
	v_dual_mov_b32 v1, 0 :: v_dual_lshrrev_b32 v0, 16, v8
	s_mov_b32 s14, exec_lo
	v_and_b32_e32 v2, 0xff, v0
	s_delay_alu instid0(VALU_DEP_1)
	v_cmpx_ne_u16_e32 0, v2
	s_cbranch_execz .LBB6_18761
; %bb.18752:                            ;   in Loop: Header=BB6_18683 Depth=3
	v_bfrev_b32_e32 v1, 1
	s_mov_b32 s42, exec_lo
	v_cmpx_ne_u16_e32 0x80, v2
	s_cbranch_execz .LBB6_18760
; %bb.18753:                            ;   in Loop: Header=BB6_18683 Depth=3
	v_and_b32_e32 v1, 0x7c0000, v8
	v_bfe_u32 v2, v8, 16, 2
	s_delay_alu instid0(VALU_DEP_2) | instskip(SKIP_1) | instid1(SALU_CYCLE_1)
	v_cmp_ne_u32_e32 vcc_lo, 0x7c0000, v1
                                        ; implicit-def: $vgpr1
	s_and_saveexec_b32 s43, vcc_lo
	s_xor_b32 s43, exec_lo, s43
	s_cbranch_execz .LBB6_18757
; %bb.18754:                            ;   in Loop: Header=BB6_18683 Depth=3
	v_bfe_u32 v1, v8, 18, 5
	s_mov_b32 s78, exec_lo
	s_delay_alu instid0(VALU_DEP_1)
	v_cmpx_eq_u32_e32 0, v1
; %bb.18755:                            ;   in Loop: Header=BB6_18683 Depth=3
	v_clz_i32_u32_e32 v1, v2
	s_delay_alu instid0(VALU_DEP_1) | instskip(NEXT) | instid1(VALU_DEP_1)
	v_min_u32_e32 v1, 32, v1
	v_subrev_nc_u32_e32 v2, 29, v1
	s_delay_alu instid0(VALU_DEP_1) | instskip(NEXT) | instid1(VALU_DEP_1)
	v_lshlrev_b64_e32 v[2:3], v2, v[0:1]
	v_dual_sub_nc_u32 v1, 30, v1 :: v_dual_bitop2_b32 v2, 3, v2 bitop3:0x40
; %bb.18756:                            ;   in Loop: Header=BB6_18683 Depth=3
	s_or_b32 exec_lo, exec_lo, s78
	v_lshlrev_b32_e32 v0, 24, v0
	s_delay_alu instid0(VALU_DEP_1) | instskip(NEXT) | instid1(VALU_DEP_1)
	v_and_b32_e32 v0, 0x80000000, v0
	v_lshl_add_u32 v0, v1, 23, v0
	s_delay_alu instid0(VALU_DEP_1) | instskip(NEXT) | instid1(VALU_DEP_1)
	v_lshl_or_b32 v0, v2, 21, v0
                                        ; implicit-def: $vgpr2
	v_add_nc_u32_e32 v1, 0x38000000, v0
                                        ; implicit-def: $vgpr0
.LBB6_18757:                            ;   in Loop: Header=BB6_18683 Depth=3
	s_and_not1_saveexec_b32 s43, s43
; %bb.18758:                            ;   in Loop: Header=BB6_18683 Depth=3
	v_bfe_i32 v0, v0, 0, 8
	s_delay_alu instid0(VALU_DEP_1) | instskip(SKIP_1) | instid1(VALU_DEP_1)
	v_cmp_lt_i16_e32 vcc_lo, -1, v0
	v_mov_b32_e32 v0, 0x7f800000
	v_cndmask_b32_e32 v0, 0xff800000, v0, vcc_lo
	v_cmp_eq_u32_e32 vcc_lo, 0, v2
	s_delay_alu instid0(VALU_DEP_2)
	v_cndmask_b32_e32 v1, 0x7f800001, v0, vcc_lo
; %bb.18759:                            ;   in Loop: Header=BB6_18683 Depth=3
	s_or_b32 exec_lo, exec_lo, s43
.LBB6_18760:                            ;   in Loop: Header=BB6_18683 Depth=3
	s_delay_alu instid0(SALU_CYCLE_1)
	s_or_b32 exec_lo, exec_lo, s42
.LBB6_18761:                            ;   in Loop: Header=BB6_18683 Depth=3
	s_delay_alu instid0(SALU_CYCLE_1) | instskip(NEXT) | instid1(VALU_DEP_1)
	s_or_b32 exec_lo, exec_lo, s14
	v_dual_mul_f32 v2, s15, v1 :: v_dual_mov_b32 v7, v113
	v_mov_b32_e32 v1, v113
                                        ; implicit-def: $vgpr33
	s_mov_b32 s14, exec_lo
	s_delay_alu instid0(VALU_DEP_2) | instskip(SKIP_2) | instid1(VALU_DEP_3)
	v_and_b32_e32 v6, 0x7f800000, v2
	v_and_b32_e32 v0, 0x7fffff, v2
	v_lshrrev_b32_e32 v3, 24, v2
	v_cmpx_ne_u64_e32 0x7f800000, v[6:7]
	s_xor_b32 s42, exec_lo, s14
	s_cbranch_execz .LBB6_18775
; %bb.18762:                            ;   in Loop: Header=BB6_18683 Depth=3
	v_and_b32_e32 v6, 0x7fffffff, v2
	v_mov_b32_e32 v7, v113
                                        ; implicit-def: $vgpr33
	s_delay_alu instid0(VALU_DEP_1) | instskip(SKIP_2) | instid1(SALU_CYCLE_1)
	v_cmp_gt_u64_e32 vcc_lo, 0x47600001, v[6:7]
	v_and_b32_e32 v6, 0x80, v3
	s_and_saveexec_b32 s14, vcc_lo
	s_xor_b32 s43, exec_lo, s14
	s_cbranch_execz .LBB6_18772
; %bb.18763:                            ;   in Loop: Header=BB6_18683 Depth=3
	v_mov_b32_e32 v33, 0
	s_mov_b32 s78, exec_lo
	v_cmpx_ne_u32_e32 0, v2
	s_cbranch_execz .LBB6_18771
; %bb.18764:                            ;   in Loop: Header=BB6_18683 Depth=3
	v_bfe_u32 v7, v2, 23, 8
	v_or_b32_e32 v19, 0x800000, v0
	s_delay_alu instid0(VALU_DEP_2) | instskip(SKIP_1) | instid1(VALU_DEP_2)
	v_sub_nc_u32_e32 v2, 0x71, v7
	v_cmp_gt_u32_e32 vcc_lo, 0x72, v7
	v_cndmask_b32_e32 v2, 0, v2, vcc_lo
	v_cmp_eq_u32_e32 vcc_lo, 0, v7
	v_cndmask_b32_e32 v0, v19, v0, vcc_lo
	s_delay_alu instid0(VALU_DEP_3) | instskip(NEXT) | instid1(VALU_DEP_1)
	v_cndmask_b32_e64 v18, v2, 0x70, vcc_lo
	v_dual_add_nc_u32 v2, 21, v18 :: v_dual_add_nc_u32 v27, 20, v18
	s_delay_alu instid0(VALU_DEP_1) | instskip(NEXT) | instid1(VALU_DEP_2)
	v_lshlrev_b64_e64 v[2:3], v2, -1
	v_lshlrev_b64_e64 v[30:31], v27, 1
	s_delay_alu instid0(VALU_DEP_2) | instskip(SKIP_1) | instid1(VALU_DEP_4)
	v_bfi_b32 v2, v2, 0, v0
	v_lshrrev_b64 v[0:1], v18, v[0:1]
	v_bfi_b32 v3, v3, 0, 0
	s_delay_alu instid0(VALU_DEP_1) | instskip(NEXT) | instid1(VALU_DEP_3)
	v_cmp_eq_u64_e64 s14, v[2:3], v[30:31]
	v_mov_b64_e32 v[2:3], v[0:1]
	s_and_saveexec_b32 s79, s14
; %bb.18765:                            ;   in Loop: Header=BB6_18683 Depth=3
	v_bfe_u32 v2, v0, 21, 1
	v_mov_b32_e32 v3, v113
	s_delay_alu instid0(VALU_DEP_1) | instskip(NEXT) | instid1(VALU_DEP_1)
	v_add_nc_u64_e32 v[2:3], v[0:1], v[2:3]
	v_add_nc_u64_e32 v[2:3], -1, v[2:3]
; %bb.18766:                            ;   in Loop: Header=BB6_18683 Depth=3
	s_or_b32 exec_lo, exec_lo, s79
	v_add_nc_u32_e32 v1, 0xffffff81, v7
	v_lshrrev_b32_e32 v3, 23, v0
	s_mov_b32 s14, exec_lo
	s_delay_alu instid0(VALU_DEP_2) | instskip(NEXT) | instid1(VALU_DEP_1)
	v_cndmask_b32_e64 v1, v1, 0xffffff82, vcc_lo
	v_add3_u32 v3, v18, v1, v3
	v_and_b32_e32 v1, 0x1fffff, v2
                                        ; implicit-def: $vgpr2
	s_delay_alu instid0(VALU_DEP_1) | instskip(SKIP_1) | instid1(VALU_DEP_2)
	v_dual_add_nc_u32 v7, 14, v3 :: v_dual_add_nc_u32 v0, v1, v0
	v_mov_b32_e32 v1, v113
	v_cmpx_ne_u32_e32 0, v7
	s_xor_b32 s14, exec_lo, s14
; %bb.18767:                            ;   in Loop: Header=BB6_18683 Depth=3
	s_delay_alu instid0(VALU_DEP_2) | instskip(SKIP_2) | instid1(VALU_DEP_2)
	v_cmp_lt_u64_e32 vcc_lo, 0xffffff, v[0:1]
	v_add_nc_u32_e32 v2, 15, v3
	v_cndmask_b32_e64 v3, 0, 1, vcc_lo
	v_cndmask_b32_e32 v2, v7, v2, vcc_lo
	s_delay_alu instid0(VALU_DEP_2)
	v_lshrrev_b64 v[0:1], v3, v[0:1]
; %bb.18768:                            ;   in Loop: Header=BB6_18683 Depth=3
	s_and_not1_saveexec_b32 s14, s14
; %bb.18769:                            ;   in Loop: Header=BB6_18683 Depth=3
	s_delay_alu instid0(VALU_DEP_1)
	v_bfe_u32 v2, v0, 23, 1
; %bb.18770:                            ;   in Loop: Header=BB6_18683 Depth=3
	s_or_b32 exec_lo, exec_lo, s14
	s_delay_alu instid0(VALU_DEP_2) | instskip(NEXT) | instid1(VALU_DEP_2)
	v_lshrrev_b64 v[0:1], 21, v[0:1]
	v_cmp_gt_i32_e32 vcc_lo, 32, v2
	v_min_i32_e32 v3, 31, v2
	v_cmp_eq_u32_e64 s14, 0, v2
	s_delay_alu instid0(VALU_DEP_2) | instskip(SKIP_1) | instid1(VALU_DEP_2)
	v_dual_cndmask_b32 v1, 0, v1, vcc_lo :: v_dual_lshlrev_b32 v3, 2, v3
	v_cndmask_b32_e32 v0, 3, v0, vcc_lo
	v_and_b32_e32 v3, 0xfc, v3
	s_delay_alu instid0(VALU_DEP_2) | instskip(NEXT) | instid1(VALU_DEP_2)
	v_cmp_eq_u64_e32 vcc_lo, 0, v[0:1]
	v_and_or_b32 v0, v0, 3, v3
	s_and_b32 s14, s14, vcc_lo
	s_delay_alu instid0(VALU_DEP_1) | instid1(SALU_CYCLE_1)
	v_cndmask_b32_e64 v0, v0, 0, s14
	s_delay_alu instid0(VALU_DEP_1)
	v_or_b32_e32 v33, v0, v6
.LBB6_18771:                            ;   in Loop: Header=BB6_18683 Depth=3
	s_or_b32 exec_lo, exec_lo, s78
                                        ; implicit-def: $vgpr6
.LBB6_18772:                            ;   in Loop: Header=BB6_18683 Depth=3
	s_and_not1_saveexec_b32 s14, s43
; %bb.18773:                            ;   in Loop: Header=BB6_18683 Depth=3
	v_or_b32_e32 v33, 0x7b, v6
; %bb.18774:                            ;   in Loop: Header=BB6_18683 Depth=3
	s_or_b32 exec_lo, exec_lo, s14
                                        ; implicit-def: $vgpr2
                                        ; implicit-def: $vgpr0_vgpr1
                                        ; implicit-def: $vgpr3
.LBB6_18775:                            ;   in Loop: Header=BB6_18683 Depth=3
	s_and_not1_saveexec_b32 s14, s42
	s_cbranch_execz .LBB6_18781
; %bb.18776:                            ;   in Loop: Header=BB6_18683 Depth=3
	s_mov_b32 s42, exec_lo
                                        ; implicit-def: $vgpr33
	v_cmpx_ne_u64_e32 0, v[0:1]
	s_xor_b32 s42, exec_lo, s42
; %bb.18777:                            ;   in Loop: Header=BB6_18683 Depth=3
	v_or_b32_e32 v33, 0x7f, v3
                                        ; implicit-def: $vgpr2
; %bb.18778:                            ;   in Loop: Header=BB6_18683 Depth=3
	s_and_not1_saveexec_b32 s42, s42
; %bb.18779:                            ;   in Loop: Header=BB6_18683 Depth=3
	v_cmp_lt_i32_e32 vcc_lo, -1, v2
	v_mov_b32_e32 v0, 0x7c
	s_delay_alu instid0(VALU_DEP_1)
	v_cndmask_b32_e32 v33, 0xfc, v0, vcc_lo
; %bb.18780:                            ;   in Loop: Header=BB6_18683 Depth=3
	s_or_b32 exec_lo, exec_lo, s42
.LBB6_18781:                            ;   in Loop: Header=BB6_18683 Depth=3
	s_delay_alu instid0(SALU_CYCLE_1)
	s_or_b32 exec_lo, exec_lo, s14
	v_mov_b32_e32 v1, 0
	s_mov_b32 s14, exec_lo
	v_cmpx_lt_u32_e32 0xffffff, v8
	s_cbranch_execz .LBB6_18791
; %bb.18782:                            ;   in Loop: Header=BB6_18683 Depth=3
	v_lshrrev_b32_e32 v0, 24, v8
	v_bfrev_b32_e32 v1, 1
	s_mov_b32 s42, exec_lo
	s_delay_alu instid0(VALU_DEP_2)
	v_cmpx_ne_u32_e32 0x80, v0
	s_cbranch_execz .LBB6_18790
; %bb.18783:                            ;   in Loop: Header=BB6_18683 Depth=3
	v_and_b32_e32 v1, 0x7c000000, v8
	v_bfe_u32 v2, v8, 24, 2
	s_delay_alu instid0(VALU_DEP_2) | instskip(SKIP_1) | instid1(SALU_CYCLE_1)
	v_cmp_ne_u32_e32 vcc_lo, 0x7c000000, v1
                                        ; implicit-def: $vgpr1
	s_and_saveexec_b32 s43, vcc_lo
	s_xor_b32 s43, exec_lo, s43
	s_cbranch_execz .LBB6_18787
; %bb.18784:                            ;   in Loop: Header=BB6_18683 Depth=3
	v_bfe_u32 v1, v8, 26, 5
	s_mov_b32 s78, exec_lo
	s_delay_alu instid0(VALU_DEP_1)
	v_cmpx_eq_u32_e32 0, v1
; %bb.18785:                            ;   in Loop: Header=BB6_18683 Depth=3
	v_clz_i32_u32_e32 v1, v2
	s_delay_alu instid0(VALU_DEP_1) | instskip(NEXT) | instid1(VALU_DEP_1)
	v_min_u32_e32 v2, 32, v1
	v_subrev_nc_u32_e32 v1, 29, v2
	s_delay_alu instid0(VALU_DEP_1) | instskip(NEXT) | instid1(VALU_DEP_1)
	v_lshlrev_b64_e32 v[0:1], v1, v[0:1]
	v_dual_sub_nc_u32 v1, 30, v2 :: v_dual_bitop2_b32 v2, 3, v0 bitop3:0x40
; %bb.18786:                            ;   in Loop: Header=BB6_18683 Depth=3
	s_or_b32 exec_lo, exec_lo, s78
	v_and_b32_e32 v0, 0x80000000, v8
	s_delay_alu instid0(VALU_DEP_1) | instskip(NEXT) | instid1(VALU_DEP_1)
	v_lshl_add_u32 v0, v1, 23, v0
	v_lshl_or_b32 v0, v2, 21, v0
                                        ; implicit-def: $vgpr2
	s_delay_alu instid0(VALU_DEP_1)
	v_add_nc_u32_e32 v1, 0x38000000, v0
.LBB6_18787:                            ;   in Loop: Header=BB6_18683 Depth=3
	s_and_not1_saveexec_b32 s43, s43
; %bb.18788:                            ;   in Loop: Header=BB6_18683 Depth=3
	v_cmp_lt_i32_e32 vcc_lo, -1, v8
	v_mov_b32_e32 v0, 0x7f800000
	s_delay_alu instid0(VALU_DEP_1) | instskip(SKIP_1) | instid1(VALU_DEP_2)
	v_cndmask_b32_e32 v0, 0xff800000, v0, vcc_lo
	v_cmp_eq_u32_e32 vcc_lo, 0, v2
	v_cndmask_b32_e32 v1, 0x7f800001, v0, vcc_lo
; %bb.18789:                            ;   in Loop: Header=BB6_18683 Depth=3
	s_or_b32 exec_lo, exec_lo, s43
.LBB6_18790:                            ;   in Loop: Header=BB6_18683 Depth=3
	s_delay_alu instid0(SALU_CYCLE_1)
	s_or_b32 exec_lo, exec_lo, s42
.LBB6_18791:                            ;   in Loop: Header=BB6_18683 Depth=3
	s_delay_alu instid0(SALU_CYCLE_1) | instskip(NEXT) | instid1(VALU_DEP_1)
	s_or_b32 exec_lo, exec_lo, s14
	v_dual_mul_f32 v2, s15, v1 :: v_dual_mov_b32 v7, v113
	v_mov_b32_e32 v1, v113
                                        ; implicit-def: $vgpr36
	s_mov_b32 s14, exec_lo
	s_delay_alu instid0(VALU_DEP_2) | instskip(SKIP_2) | instid1(VALU_DEP_3)
	v_and_b32_e32 v6, 0x7f800000, v2
	v_and_b32_e32 v0, 0x7fffff, v2
	v_lshrrev_b32_e32 v3, 24, v2
	v_cmpx_ne_u64_e32 0x7f800000, v[6:7]
	s_xor_b32 s42, exec_lo, s14
	s_cbranch_execz .LBB6_18805
; %bb.18792:                            ;   in Loop: Header=BB6_18683 Depth=3
	v_and_b32_e32 v6, 0x7fffffff, v2
	v_mov_b32_e32 v7, v113
                                        ; implicit-def: $vgpr36
	s_delay_alu instid0(VALU_DEP_1) | instskip(SKIP_2) | instid1(SALU_CYCLE_1)
	v_cmp_gt_u64_e32 vcc_lo, 0x47600001, v[6:7]
	v_and_b32_e32 v6, 0x80, v3
	s_and_saveexec_b32 s14, vcc_lo
	s_xor_b32 s43, exec_lo, s14
	s_cbranch_execz .LBB6_18802
; %bb.18793:                            ;   in Loop: Header=BB6_18683 Depth=3
	v_mov_b32_e32 v36, 0
	s_mov_b32 s78, exec_lo
	v_cmpx_ne_u32_e32 0, v2
	s_cbranch_execz .LBB6_18801
; %bb.18794:                            ;   in Loop: Header=BB6_18683 Depth=3
	v_bfe_u32 v7, v2, 23, 8
	v_or_b32_e32 v19, 0x800000, v0
	s_delay_alu instid0(VALU_DEP_2) | instskip(SKIP_1) | instid1(VALU_DEP_2)
	v_sub_nc_u32_e32 v2, 0x71, v7
	v_cmp_gt_u32_e32 vcc_lo, 0x72, v7
	v_cndmask_b32_e32 v2, 0, v2, vcc_lo
	v_cmp_eq_u32_e32 vcc_lo, 0, v7
	v_cndmask_b32_e32 v0, v19, v0, vcc_lo
	s_delay_alu instid0(VALU_DEP_3) | instskip(NEXT) | instid1(VALU_DEP_1)
	v_cndmask_b32_e64 v18, v2, 0x70, vcc_lo
	v_dual_add_nc_u32 v2, 21, v18 :: v_dual_add_nc_u32 v27, 20, v18
	s_delay_alu instid0(VALU_DEP_1) | instskip(NEXT) | instid1(VALU_DEP_2)
	v_lshlrev_b64_e64 v[2:3], v2, -1
	v_lshlrev_b64_e64 v[30:31], v27, 1
	s_delay_alu instid0(VALU_DEP_2) | instskip(SKIP_1) | instid1(VALU_DEP_4)
	v_bfi_b32 v2, v2, 0, v0
	v_lshrrev_b64 v[0:1], v18, v[0:1]
	v_bfi_b32 v3, v3, 0, 0
	s_delay_alu instid0(VALU_DEP_1) | instskip(NEXT) | instid1(VALU_DEP_3)
	v_cmp_eq_u64_e64 s14, v[2:3], v[30:31]
	v_mov_b64_e32 v[2:3], v[0:1]
	s_and_saveexec_b32 s79, s14
; %bb.18795:                            ;   in Loop: Header=BB6_18683 Depth=3
	v_bfe_u32 v2, v0, 21, 1
	v_mov_b32_e32 v3, v113
	s_delay_alu instid0(VALU_DEP_1) | instskip(NEXT) | instid1(VALU_DEP_1)
	v_add_nc_u64_e32 v[2:3], v[0:1], v[2:3]
	v_add_nc_u64_e32 v[2:3], -1, v[2:3]
; %bb.18796:                            ;   in Loop: Header=BB6_18683 Depth=3
	s_or_b32 exec_lo, exec_lo, s79
	v_add_nc_u32_e32 v1, 0xffffff81, v7
	v_lshrrev_b32_e32 v3, 23, v0
	s_mov_b32 s14, exec_lo
	s_delay_alu instid0(VALU_DEP_2) | instskip(NEXT) | instid1(VALU_DEP_1)
	v_cndmask_b32_e64 v1, v1, 0xffffff82, vcc_lo
	v_add3_u32 v3, v18, v1, v3
	v_and_b32_e32 v1, 0x1fffff, v2
                                        ; implicit-def: $vgpr2
	s_delay_alu instid0(VALU_DEP_1) | instskip(SKIP_1) | instid1(VALU_DEP_2)
	v_dual_add_nc_u32 v7, 14, v3 :: v_dual_add_nc_u32 v0, v1, v0
	v_mov_b32_e32 v1, v113
	v_cmpx_ne_u32_e32 0, v7
	s_xor_b32 s14, exec_lo, s14
; %bb.18797:                            ;   in Loop: Header=BB6_18683 Depth=3
	s_delay_alu instid0(VALU_DEP_2) | instskip(SKIP_2) | instid1(VALU_DEP_2)
	v_cmp_lt_u64_e32 vcc_lo, 0xffffff, v[0:1]
	v_add_nc_u32_e32 v2, 15, v3
	v_cndmask_b32_e64 v3, 0, 1, vcc_lo
	v_cndmask_b32_e32 v2, v7, v2, vcc_lo
	s_delay_alu instid0(VALU_DEP_2)
	v_lshrrev_b64 v[0:1], v3, v[0:1]
; %bb.18798:                            ;   in Loop: Header=BB6_18683 Depth=3
	s_and_not1_saveexec_b32 s14, s14
; %bb.18799:                            ;   in Loop: Header=BB6_18683 Depth=3
	s_delay_alu instid0(VALU_DEP_1)
	v_bfe_u32 v2, v0, 23, 1
; %bb.18800:                            ;   in Loop: Header=BB6_18683 Depth=3
	s_or_b32 exec_lo, exec_lo, s14
	s_delay_alu instid0(VALU_DEP_2) | instskip(NEXT) | instid1(VALU_DEP_2)
	v_lshrrev_b64 v[0:1], 21, v[0:1]
	v_cmp_gt_i32_e32 vcc_lo, 32, v2
	v_min_i32_e32 v3, 31, v2
	v_cmp_eq_u32_e64 s14, 0, v2
	s_delay_alu instid0(VALU_DEP_2) | instskip(SKIP_1) | instid1(VALU_DEP_2)
	v_dual_cndmask_b32 v1, 0, v1, vcc_lo :: v_dual_lshlrev_b32 v3, 2, v3
	v_cndmask_b32_e32 v0, 3, v0, vcc_lo
	v_and_b32_e32 v3, 0xfc, v3
	s_delay_alu instid0(VALU_DEP_2) | instskip(NEXT) | instid1(VALU_DEP_2)
	v_cmp_eq_u64_e32 vcc_lo, 0, v[0:1]
	v_and_or_b32 v0, v0, 3, v3
	s_and_b32 s14, s14, vcc_lo
	s_delay_alu instid0(VALU_DEP_1) | instid1(SALU_CYCLE_1)
	v_cndmask_b32_e64 v0, v0, 0, s14
	s_delay_alu instid0(VALU_DEP_1)
	v_or_b32_e32 v36, v0, v6
.LBB6_18801:                            ;   in Loop: Header=BB6_18683 Depth=3
	s_or_b32 exec_lo, exec_lo, s78
                                        ; implicit-def: $vgpr6
.LBB6_18802:                            ;   in Loop: Header=BB6_18683 Depth=3
	s_and_not1_saveexec_b32 s14, s43
; %bb.18803:                            ;   in Loop: Header=BB6_18683 Depth=3
	v_or_b32_e32 v36, 0x7b, v6
; %bb.18804:                            ;   in Loop: Header=BB6_18683 Depth=3
	s_or_b32 exec_lo, exec_lo, s14
                                        ; implicit-def: $vgpr2
                                        ; implicit-def: $vgpr0_vgpr1
                                        ; implicit-def: $vgpr3
.LBB6_18805:                            ;   in Loop: Header=BB6_18683 Depth=3
	s_and_not1_saveexec_b32 s14, s42
	s_cbranch_execz .LBB6_18811
; %bb.18806:                            ;   in Loop: Header=BB6_18683 Depth=3
	s_mov_b32 s42, exec_lo
                                        ; implicit-def: $vgpr36
	v_cmpx_ne_u64_e32 0, v[0:1]
	s_xor_b32 s42, exec_lo, s42
; %bb.18807:                            ;   in Loop: Header=BB6_18683 Depth=3
	v_or_b32_e32 v36, 0x7f, v3
                                        ; implicit-def: $vgpr2
; %bb.18808:                            ;   in Loop: Header=BB6_18683 Depth=3
	s_and_not1_saveexec_b32 s42, s42
; %bb.18809:                            ;   in Loop: Header=BB6_18683 Depth=3
	v_cmp_lt_i32_e32 vcc_lo, -1, v2
	v_mov_b32_e32 v0, 0x7c
	s_delay_alu instid0(VALU_DEP_1)
	v_cndmask_b32_e32 v36, 0xfc, v0, vcc_lo
; %bb.18810:                            ;   in Loop: Header=BB6_18683 Depth=3
	s_or_b32 exec_lo, exec_lo, s42
.LBB6_18811:                            ;   in Loop: Header=BB6_18683 Depth=3
	s_delay_alu instid0(SALU_CYCLE_1) | instskip(SKIP_4) | instid1(VALU_DEP_3)
	s_or_b32 exec_lo, exec_lo, s14
	v_and_b32_e32 v3, 0xff, v9
	v_dual_mov_b32 v0, v9 :: v_dual_mov_b32 v1, v113
	v_mov_b32_e32 v2, 0
	s_mov_b32 s14, exec_lo
	v_cmpx_ne_u16_e32 0, v3
	s_cbranch_execz .LBB6_18821
; %bb.18812:                            ;   in Loop: Header=BB6_18683 Depth=3
	v_bfrev_b32_e32 v2, 1
	s_mov_b32 s42, exec_lo
	v_cmpx_ne_u16_e32 0x80, v3
	s_cbranch_execz .LBB6_18820
; %bb.18813:                            ;   in Loop: Header=BB6_18683 Depth=3
	v_and_b32_e32 v2, 0x7c, v9
	v_and_b32_e32 v3, 3, v9
	s_delay_alu instid0(VALU_DEP_2) | instskip(SKIP_1) | instid1(SALU_CYCLE_1)
	v_cmp_ne_u32_e32 vcc_lo, 0x7c, v2
                                        ; implicit-def: $vgpr2
	s_and_saveexec_b32 s43, vcc_lo
	s_xor_b32 s43, exec_lo, s43
	s_cbranch_execz .LBB6_18817
; %bb.18814:                            ;   in Loop: Header=BB6_18683 Depth=3
	v_bfe_u32 v2, v9, 2, 5
	s_mov_b32 s78, exec_lo
	s_delay_alu instid0(VALU_DEP_1)
	v_cmpx_eq_u32_e32 0, v2
; %bb.18815:                            ;   in Loop: Header=BB6_18683 Depth=3
	v_clz_i32_u32_e32 v2, v3
	s_delay_alu instid0(VALU_DEP_1) | instskip(NEXT) | instid1(VALU_DEP_1)
	v_min_u32_e32 v2, 32, v2
	v_subrev_nc_u32_e32 v3, 29, v2
	v_sub_nc_u32_e32 v2, 30, v2
	s_delay_alu instid0(VALU_DEP_2) | instskip(NEXT) | instid1(VALU_DEP_1)
	v_lshlrev_b64_e32 v[6:7], v3, v[0:1]
	v_and_b32_e32 v3, 3, v6
; %bb.18816:                            ;   in Loop: Header=BB6_18683 Depth=3
	s_or_b32 exec_lo, exec_lo, s78
	v_lshlrev_b32_e32 v1, 24, v9
	s_delay_alu instid0(VALU_DEP_1) | instskip(NEXT) | instid1(VALU_DEP_1)
	v_and_b32_e32 v1, 0x80000000, v1
	v_lshl_add_u32 v1, v2, 23, v1
	s_delay_alu instid0(VALU_DEP_1) | instskip(NEXT) | instid1(VALU_DEP_1)
	v_lshl_or_b32 v1, v3, 21, v1
                                        ; implicit-def: $vgpr3
	v_add_nc_u32_e32 v2, 0x38000000, v1
.LBB6_18817:                            ;   in Loop: Header=BB6_18683 Depth=3
	s_and_not1_saveexec_b32 s43, s43
; %bb.18818:                            ;   in Loop: Header=BB6_18683 Depth=3
	v_bfe_i32 v1, v9, 0, 8
	s_delay_alu instid0(VALU_DEP_1) | instskip(SKIP_1) | instid1(VALU_DEP_1)
	v_cmp_lt_i16_e32 vcc_lo, -1, v1
	v_mov_b32_e32 v1, 0x7f800000
	v_cndmask_b32_e32 v1, 0xff800000, v1, vcc_lo
	v_cmp_eq_u32_e32 vcc_lo, 0, v3
	s_delay_alu instid0(VALU_DEP_2)
	v_cndmask_b32_e32 v2, 0x7f800001, v1, vcc_lo
; %bb.18819:                            ;   in Loop: Header=BB6_18683 Depth=3
	s_or_b32 exec_lo, exec_lo, s43
.LBB6_18820:                            ;   in Loop: Header=BB6_18683 Depth=3
	s_delay_alu instid0(SALU_CYCLE_1)
	s_or_b32 exec_lo, exec_lo, s42
.LBB6_18821:                            ;   in Loop: Header=BB6_18683 Depth=3
	s_delay_alu instid0(SALU_CYCLE_1) | instskip(NEXT) | instid1(VALU_DEP_1)
	s_or_b32 exec_lo, exec_lo, s14
	v_dual_mul_f32 v6, s15, v2 :: v_dual_mov_b32 v19, v113
	s_delay_alu instid0(VALU_DEP_1) | instskip(SKIP_2) | instid1(VALU_DEP_2)
	v_dual_mov_b32 v3, v113 :: v_dual_lshrrev_b32 v1, 24, v6
	v_and_b32_e32 v18, 0x7f800000, v6
	v_and_b32_e32 v2, 0x7fffff, v6
	v_cmp_ne_u64_e32 vcc_lo, 0x7f800000, v[18:19]
                                        ; implicit-def: $vgpr18
	s_and_saveexec_b32 s14, vcc_lo
	s_delay_alu instid0(SALU_CYCLE_1)
	s_xor_b32 s42, exec_lo, s14
	s_cbranch_execz .LBB6_18835
; %bb.18822:                            ;   in Loop: Header=BB6_18683 Depth=3
	v_and_b32_e32 v18, 0x7fffffff, v6
	v_mov_b32_e32 v19, v113
	v_and_b32_e32 v1, 0x80, v1
	s_delay_alu instid0(VALU_DEP_2) | instskip(SKIP_1) | instid1(SALU_CYCLE_1)
	v_cmp_gt_u64_e32 vcc_lo, 0x47600001, v[18:19]
                                        ; implicit-def: $vgpr18
	s_and_saveexec_b32 s14, vcc_lo
	s_xor_b32 s43, exec_lo, s14
	s_cbranch_execz .LBB6_18832
; %bb.18823:                            ;   in Loop: Header=BB6_18683 Depth=3
	v_mov_b32_e32 v18, 0
	s_mov_b32 s78, exec_lo
	v_cmpx_ne_u32_e32 0, v6
	s_cbranch_execz .LBB6_18831
; %bb.18824:                            ;   in Loop: Header=BB6_18683 Depth=3
	v_bfe_u32 v18, v6, 23, 8
	v_or_b32_e32 v27, 0x800000, v2
	s_delay_alu instid0(VALU_DEP_2) | instskip(SKIP_1) | instid1(VALU_DEP_2)
	v_sub_nc_u32_e32 v6, 0x71, v18
	v_cmp_gt_u32_e32 vcc_lo, 0x72, v18
	v_cndmask_b32_e32 v6, 0, v6, vcc_lo
	v_cmp_eq_u32_e32 vcc_lo, 0, v18
	s_delay_alu instid0(VALU_DEP_2) | instskip(NEXT) | instid1(VALU_DEP_1)
	v_cndmask_b32_e64 v19, v6, 0x70, vcc_lo
	v_dual_cndmask_b32 v2, v27, v2, vcc_lo :: v_dual_add_nc_u32 v6, 21, v19
	v_add_nc_u32_e32 v29, 20, v19
	s_delay_alu instid0(VALU_DEP_2) | instskip(NEXT) | instid1(VALU_DEP_2)
	v_lshlrev_b64_e64 v[6:7], v6, -1
	v_lshlrev_b64_e64 v[30:31], v29, 1
	s_delay_alu instid0(VALU_DEP_2) | instskip(SKIP_1) | instid1(VALU_DEP_4)
	v_bfi_b32 v6, v6, 0, v2
	v_lshrrev_b64 v[2:3], v19, v[2:3]
	v_bfi_b32 v7, v7, 0, 0
	s_delay_alu instid0(VALU_DEP_1) | instskip(NEXT) | instid1(VALU_DEP_3)
	v_cmp_eq_u64_e64 s14, v[6:7], v[30:31]
	v_mov_b64_e32 v[6:7], v[2:3]
	s_and_saveexec_b32 s79, s14
; %bb.18825:                            ;   in Loop: Header=BB6_18683 Depth=3
	v_bfe_u32 v6, v2, 21, 1
	v_mov_b32_e32 v7, v113
	s_delay_alu instid0(VALU_DEP_1) | instskip(NEXT) | instid1(VALU_DEP_1)
	v_add_nc_u64_e32 v[6:7], v[2:3], v[6:7]
	v_add_nc_u64_e32 v[6:7], -1, v[6:7]
; %bb.18826:                            ;   in Loop: Header=BB6_18683 Depth=3
	s_or_b32 exec_lo, exec_lo, s79
	v_add_nc_u32_e32 v3, 0xffffff81, v18
	v_lshrrev_b32_e32 v7, 23, v2
	s_mov_b32 s14, exec_lo
	s_delay_alu instid0(VALU_DEP_2) | instskip(NEXT) | instid1(VALU_DEP_1)
	v_cndmask_b32_e64 v3, v3, 0xffffff82, vcc_lo
	v_add3_u32 v7, v19, v3, v7
	v_and_b32_e32 v3, 0x1fffff, v6
                                        ; implicit-def: $vgpr6
	s_delay_alu instid0(VALU_DEP_1) | instskip(SKIP_1) | instid1(VALU_DEP_2)
	v_dual_add_nc_u32 v18, 14, v7 :: v_dual_add_nc_u32 v2, v3, v2
	v_mov_b32_e32 v3, v113
	v_cmpx_ne_u32_e32 0, v18
	s_xor_b32 s14, exec_lo, s14
; %bb.18827:                            ;   in Loop: Header=BB6_18683 Depth=3
	s_delay_alu instid0(VALU_DEP_2) | instskip(SKIP_2) | instid1(VALU_DEP_2)
	v_cmp_lt_u64_e32 vcc_lo, 0xffffff, v[2:3]
	v_add_nc_u32_e32 v6, 15, v7
	v_cndmask_b32_e64 v7, 0, 1, vcc_lo
	v_cndmask_b32_e32 v6, v18, v6, vcc_lo
	s_delay_alu instid0(VALU_DEP_2)
	v_lshrrev_b64 v[2:3], v7, v[2:3]
; %bb.18828:                            ;   in Loop: Header=BB6_18683 Depth=3
	s_and_not1_saveexec_b32 s14, s14
; %bb.18829:                            ;   in Loop: Header=BB6_18683 Depth=3
	s_delay_alu instid0(VALU_DEP_1)
	v_bfe_u32 v6, v2, 23, 1
; %bb.18830:                            ;   in Loop: Header=BB6_18683 Depth=3
	s_or_b32 exec_lo, exec_lo, s14
	s_delay_alu instid0(VALU_DEP_2) | instskip(NEXT) | instid1(VALU_DEP_2)
	v_lshrrev_b64 v[2:3], 21, v[2:3]
	v_cmp_gt_i32_e32 vcc_lo, 32, v6
	v_min_i32_e32 v7, 31, v6
	v_cmp_eq_u32_e64 s14, 0, v6
	s_delay_alu instid0(VALU_DEP_4) | instskip(NEXT) | instid1(VALU_DEP_3)
	v_cndmask_b32_e32 v3, 0, v3, vcc_lo
	v_dual_cndmask_b32 v2, 3, v2 :: v_dual_lshlrev_b32 v7, 2, v7
	s_delay_alu instid0(VALU_DEP_1) | instskip(NEXT) | instid1(VALU_DEP_2)
	v_and_b32_e32 v7, 0xfc, v7
	v_cmp_eq_u64_e32 vcc_lo, 0, v[2:3]
	s_delay_alu instid0(VALU_DEP_2)
	v_and_or_b32 v2, v2, 3, v7
	s_and_b32 s14, s14, vcc_lo
	s_delay_alu instid0(VALU_DEP_1) | instid1(SALU_CYCLE_1)
	v_cndmask_b32_e64 v2, v2, 0, s14
	s_delay_alu instid0(VALU_DEP_1)
	v_or_b32_e32 v18, v2, v1
.LBB6_18831:                            ;   in Loop: Header=BB6_18683 Depth=3
	s_or_b32 exec_lo, exec_lo, s78
                                        ; implicit-def: $vgpr1
.LBB6_18832:                            ;   in Loop: Header=BB6_18683 Depth=3
	s_and_not1_saveexec_b32 s14, s43
; %bb.18833:                            ;   in Loop: Header=BB6_18683 Depth=3
	v_or_b32_e32 v18, 0x7b, v1
; %bb.18834:                            ;   in Loop: Header=BB6_18683 Depth=3
	s_or_b32 exec_lo, exec_lo, s14
                                        ; implicit-def: $vgpr6
                                        ; implicit-def: $vgpr2_vgpr3
                                        ; implicit-def: $vgpr1
.LBB6_18835:                            ;   in Loop: Header=BB6_18683 Depth=3
	s_and_not1_saveexec_b32 s14, s42
	s_cbranch_execz .LBB6_18841
; %bb.18836:                            ;   in Loop: Header=BB6_18683 Depth=3
	s_mov_b32 s42, exec_lo
                                        ; implicit-def: $vgpr18
	v_cmpx_ne_u64_e32 0, v[2:3]
	s_xor_b32 s42, exec_lo, s42
; %bb.18837:                            ;   in Loop: Header=BB6_18683 Depth=3
	v_or_b32_e32 v18, 0x7f, v1
                                        ; implicit-def: $vgpr6
; %bb.18838:                            ;   in Loop: Header=BB6_18683 Depth=3
	s_and_not1_saveexec_b32 s42, s42
; %bb.18839:                            ;   in Loop: Header=BB6_18683 Depth=3
	v_cmp_lt_i32_e32 vcc_lo, -1, v6
	v_mov_b32_e32 v1, 0x7c
	s_delay_alu instid0(VALU_DEP_1)
	v_cndmask_b32_e32 v18, 0xfc, v1, vcc_lo
; %bb.18840:                            ;   in Loop: Header=BB6_18683 Depth=3
	s_or_b32 exec_lo, exec_lo, s42
.LBB6_18841:                            ;   in Loop: Header=BB6_18683 Depth=3
	s_delay_alu instid0(SALU_CYCLE_1) | instskip(SKIP_3) | instid1(VALU_DEP_2)
	s_or_b32 exec_lo, exec_lo, s14
	v_lshrrev_b16 v2, 8, v0
	v_mov_b32_e32 v6, 0
	s_mov_b32 s14, exec_lo
	v_cmpx_ne_u16_e32 0, v2
	s_cbranch_execz .LBB6_18851
; %bb.18842:                            ;   in Loop: Header=BB6_18683 Depth=3
	v_bfrev_b32_e32 v6, 1
	s_mov_b32 s42, exec_lo
	v_cmpx_ne_u16_e32 0x80, v2
	s_cbranch_execz .LBB6_18850
; %bb.18843:                            ;   in Loop: Header=BB6_18683 Depth=3
	v_and_b32_e32 v1, 0xffff, v2
	s_delay_alu instid0(VALU_DEP_1) | instskip(SKIP_1) | instid1(VALU_DEP_2)
	v_and_b32_e32 v6, 0x7c, v1
	v_and_b32_e32 v3, 3, v1
	v_cmp_ne_u32_e32 vcc_lo, 0x7c, v6
                                        ; implicit-def: $vgpr6
	s_and_saveexec_b32 s43, vcc_lo
	s_delay_alu instid0(SALU_CYCLE_1)
	s_xor_b32 s43, exec_lo, s43
	s_cbranch_execz .LBB6_18847
; %bb.18844:                            ;   in Loop: Header=BB6_18683 Depth=3
	v_bfe_u32 v1, v1, 2, 5
	s_mov_b32 s78, exec_lo
	s_delay_alu instid0(VALU_DEP_1)
	v_cmpx_eq_u32_e32 0, v1
	s_cbranch_execz .LBB6_18846
; %bb.18845:                            ;   in Loop: Header=BB6_18683 Depth=3
	v_clz_i32_u32_e32 v1, v3
	s_delay_alu instid0(VALU_DEP_1) | instskip(SKIP_1) | instid1(VALU_DEP_2)
	v_min_u32_e32 v1, 32, v1
	v_mov_b32_e32 v3, v113
	v_subrev_nc_u32_e32 v6, 29, v1
	v_sub_nc_u32_e32 v1, 30, v1
	s_delay_alu instid0(VALU_DEP_2) | instskip(NEXT) | instid1(VALU_DEP_1)
	v_lshlrev_b64_e32 v[2:3], v6, v[2:3]
	v_and_b32_e32 v3, 3, v2
.LBB6_18846:                            ;   in Loop: Header=BB6_18683 Depth=3
	s_or_b32 exec_lo, exec_lo, s78
	v_lshlrev_b32_e32 v0, 16, v0
	s_delay_alu instid0(VALU_DEP_1) | instskip(NEXT) | instid1(VALU_DEP_1)
	v_and_b32_e32 v0, 0x80000000, v0
	v_lshl_add_u32 v0, v1, 23, v0
	s_delay_alu instid0(VALU_DEP_1) | instskip(NEXT) | instid1(VALU_DEP_1)
	v_lshl_or_b32 v0, v3, 21, v0
                                        ; implicit-def: $vgpr3
	v_add_nc_u32_e32 v6, 0x38000000, v0
                                        ; implicit-def: $vgpr0_vgpr1
.LBB6_18847:                            ;   in Loop: Header=BB6_18683 Depth=3
	s_and_not1_saveexec_b32 s43, s43
; %bb.18848:                            ;   in Loop: Header=BB6_18683 Depth=3
	v_cmp_lt_i16_e32 vcc_lo, -1, v0
	v_mov_b32_e32 v0, 0x7f800000
	s_delay_alu instid0(VALU_DEP_1) | instskip(SKIP_1) | instid1(VALU_DEP_2)
	v_cndmask_b32_e32 v0, 0xff800000, v0, vcc_lo
	v_cmp_eq_u32_e32 vcc_lo, 0, v3
	v_cndmask_b32_e32 v6, 0x7f800001, v0, vcc_lo
; %bb.18849:                            ;   in Loop: Header=BB6_18683 Depth=3
	s_or_b32 exec_lo, exec_lo, s43
.LBB6_18850:                            ;   in Loop: Header=BB6_18683 Depth=3
	s_delay_alu instid0(SALU_CYCLE_1)
	s_or_b32 exec_lo, exec_lo, s42
.LBB6_18851:                            ;   in Loop: Header=BB6_18683 Depth=3
	s_delay_alu instid0(SALU_CYCLE_1) | instskip(NEXT) | instid1(VALU_DEP_1)
	s_or_b32 exec_lo, exec_lo, s14
	v_dual_mul_f32 v2, s15, v6 :: v_dual_mov_b32 v7, v113
	v_mov_b32_e32 v1, v113
                                        ; implicit-def: $vgpr19
	s_mov_b32 s14, exec_lo
	s_delay_alu instid0(VALU_DEP_2) | instskip(SKIP_2) | instid1(VALU_DEP_3)
	v_and_b32_e32 v6, 0x7f800000, v2
	v_and_b32_e32 v0, 0x7fffff, v2
	v_lshrrev_b32_e32 v3, 24, v2
	v_cmpx_ne_u64_e32 0x7f800000, v[6:7]
	s_xor_b32 s42, exec_lo, s14
	s_cbranch_execz .LBB6_18865
; %bb.18852:                            ;   in Loop: Header=BB6_18683 Depth=3
	v_and_b32_e32 v6, 0x7fffffff, v2
	v_mov_b32_e32 v7, v113
                                        ; implicit-def: $vgpr19
	s_delay_alu instid0(VALU_DEP_1) | instskip(SKIP_2) | instid1(SALU_CYCLE_1)
	v_cmp_gt_u64_e32 vcc_lo, 0x47600001, v[6:7]
	v_and_b32_e32 v6, 0x80, v3
	s_and_saveexec_b32 s14, vcc_lo
	s_xor_b32 s43, exec_lo, s14
	s_cbranch_execz .LBB6_18862
; %bb.18853:                            ;   in Loop: Header=BB6_18683 Depth=3
	v_mov_b32_e32 v19, 0
	s_mov_b32 s78, exec_lo
	v_cmpx_ne_u32_e32 0, v2
	s_cbranch_execz .LBB6_18861
; %bb.18854:                            ;   in Loop: Header=BB6_18683 Depth=3
	v_bfe_u32 v7, v2, 23, 8
	v_or_b32_e32 v27, 0x800000, v0
	s_delay_alu instid0(VALU_DEP_2) | instskip(SKIP_1) | instid1(VALU_DEP_2)
	v_sub_nc_u32_e32 v2, 0x71, v7
	v_cmp_gt_u32_e32 vcc_lo, 0x72, v7
	v_cndmask_b32_e32 v2, 0, v2, vcc_lo
	v_cmp_eq_u32_e32 vcc_lo, 0, v7
	s_delay_alu instid0(VALU_DEP_2) | instskip(NEXT) | instid1(VALU_DEP_1)
	v_cndmask_b32_e64 v19, v2, 0x70, vcc_lo
	v_dual_cndmask_b32 v0, v27, v0, vcc_lo :: v_dual_add_nc_u32 v2, 21, v19
	v_add_nc_u32_e32 v29, 20, v19
	s_delay_alu instid0(VALU_DEP_2) | instskip(NEXT) | instid1(VALU_DEP_2)
	v_lshlrev_b64_e64 v[2:3], v2, -1
	v_lshlrev_b64_e64 v[30:31], v29, 1
	s_delay_alu instid0(VALU_DEP_2) | instskip(SKIP_1) | instid1(VALU_DEP_4)
	v_bfi_b32 v2, v2, 0, v0
	v_lshrrev_b64 v[0:1], v19, v[0:1]
	v_bfi_b32 v3, v3, 0, 0
	s_delay_alu instid0(VALU_DEP_1) | instskip(NEXT) | instid1(VALU_DEP_3)
	v_cmp_eq_u64_e64 s14, v[2:3], v[30:31]
	v_mov_b64_e32 v[2:3], v[0:1]
	s_and_saveexec_b32 s79, s14
; %bb.18855:                            ;   in Loop: Header=BB6_18683 Depth=3
	v_bfe_u32 v2, v0, 21, 1
	v_mov_b32_e32 v3, v113
	s_delay_alu instid0(VALU_DEP_1) | instskip(NEXT) | instid1(VALU_DEP_1)
	v_add_nc_u64_e32 v[2:3], v[0:1], v[2:3]
	v_add_nc_u64_e32 v[2:3], -1, v[2:3]
; %bb.18856:                            ;   in Loop: Header=BB6_18683 Depth=3
	s_or_b32 exec_lo, exec_lo, s79
	v_add_nc_u32_e32 v1, 0xffffff81, v7
	v_lshrrev_b32_e32 v3, 23, v0
	s_mov_b32 s14, exec_lo
	s_delay_alu instid0(VALU_DEP_2) | instskip(NEXT) | instid1(VALU_DEP_1)
	v_cndmask_b32_e64 v1, v1, 0xffffff82, vcc_lo
	v_add3_u32 v3, v19, v1, v3
	v_and_b32_e32 v1, 0x1fffff, v2
                                        ; implicit-def: $vgpr2
	s_delay_alu instid0(VALU_DEP_1) | instskip(SKIP_1) | instid1(VALU_DEP_2)
	v_dual_add_nc_u32 v7, 14, v3 :: v_dual_add_nc_u32 v0, v1, v0
	v_mov_b32_e32 v1, v113
	v_cmpx_ne_u32_e32 0, v7
	s_xor_b32 s14, exec_lo, s14
; %bb.18857:                            ;   in Loop: Header=BB6_18683 Depth=3
	s_delay_alu instid0(VALU_DEP_2) | instskip(SKIP_2) | instid1(VALU_DEP_2)
	v_cmp_lt_u64_e32 vcc_lo, 0xffffff, v[0:1]
	v_add_nc_u32_e32 v2, 15, v3
	v_cndmask_b32_e64 v3, 0, 1, vcc_lo
	v_cndmask_b32_e32 v2, v7, v2, vcc_lo
	s_delay_alu instid0(VALU_DEP_2)
	v_lshrrev_b64 v[0:1], v3, v[0:1]
; %bb.18858:                            ;   in Loop: Header=BB6_18683 Depth=3
	s_and_not1_saveexec_b32 s14, s14
; %bb.18859:                            ;   in Loop: Header=BB6_18683 Depth=3
	s_delay_alu instid0(VALU_DEP_1)
	v_bfe_u32 v2, v0, 23, 1
; %bb.18860:                            ;   in Loop: Header=BB6_18683 Depth=3
	s_or_b32 exec_lo, exec_lo, s14
	s_delay_alu instid0(VALU_DEP_2) | instskip(NEXT) | instid1(VALU_DEP_2)
	v_lshrrev_b64 v[0:1], 21, v[0:1]
	v_cmp_gt_i32_e32 vcc_lo, 32, v2
	v_min_i32_e32 v3, 31, v2
	v_cmp_eq_u32_e64 s14, 0, v2
	s_delay_alu instid0(VALU_DEP_2) | instskip(SKIP_1) | instid1(VALU_DEP_2)
	v_dual_cndmask_b32 v1, 0, v1, vcc_lo :: v_dual_lshlrev_b32 v3, 2, v3
	v_cndmask_b32_e32 v0, 3, v0, vcc_lo
	v_and_b32_e32 v3, 0xfc, v3
	s_delay_alu instid0(VALU_DEP_2) | instskip(NEXT) | instid1(VALU_DEP_2)
	v_cmp_eq_u64_e32 vcc_lo, 0, v[0:1]
	v_and_or_b32 v0, v0, 3, v3
	s_and_b32 s14, s14, vcc_lo
	s_delay_alu instid0(VALU_DEP_1) | instid1(SALU_CYCLE_1)
	v_cndmask_b32_e64 v0, v0, 0, s14
	s_delay_alu instid0(VALU_DEP_1)
	v_or_b32_e32 v19, v0, v6
.LBB6_18861:                            ;   in Loop: Header=BB6_18683 Depth=3
	s_or_b32 exec_lo, exec_lo, s78
                                        ; implicit-def: $vgpr6
.LBB6_18862:                            ;   in Loop: Header=BB6_18683 Depth=3
	s_and_not1_saveexec_b32 s14, s43
; %bb.18863:                            ;   in Loop: Header=BB6_18683 Depth=3
	v_or_b32_e32 v19, 0x7b, v6
; %bb.18864:                            ;   in Loop: Header=BB6_18683 Depth=3
	s_or_b32 exec_lo, exec_lo, s14
                                        ; implicit-def: $vgpr2
                                        ; implicit-def: $vgpr0_vgpr1
                                        ; implicit-def: $vgpr3
.LBB6_18865:                            ;   in Loop: Header=BB6_18683 Depth=3
	s_and_not1_saveexec_b32 s14, s42
	s_cbranch_execz .LBB6_18871
; %bb.18866:                            ;   in Loop: Header=BB6_18683 Depth=3
	s_mov_b32 s42, exec_lo
                                        ; implicit-def: $vgpr19
	v_cmpx_ne_u64_e32 0, v[0:1]
	s_xor_b32 s42, exec_lo, s42
; %bb.18867:                            ;   in Loop: Header=BB6_18683 Depth=3
	v_or_b32_e32 v19, 0x7f, v3
                                        ; implicit-def: $vgpr2
; %bb.18868:                            ;   in Loop: Header=BB6_18683 Depth=3
	s_and_not1_saveexec_b32 s42, s42
; %bb.18869:                            ;   in Loop: Header=BB6_18683 Depth=3
	v_cmp_lt_i32_e32 vcc_lo, -1, v2
	v_mov_b32_e32 v0, 0x7c
	s_delay_alu instid0(VALU_DEP_1)
	v_cndmask_b32_e32 v19, 0xfc, v0, vcc_lo
; %bb.18870:                            ;   in Loop: Header=BB6_18683 Depth=3
	s_or_b32 exec_lo, exec_lo, s42
.LBB6_18871:                            ;   in Loop: Header=BB6_18683 Depth=3
	s_delay_alu instid0(SALU_CYCLE_1) | instskip(SKIP_2) | instid1(VALU_DEP_1)
	s_or_b32 exec_lo, exec_lo, s14
	v_dual_mov_b32 v1, 0 :: v_dual_lshrrev_b32 v0, 16, v9
	s_mov_b32 s14, exec_lo
	v_and_b32_e32 v2, 0xff, v0
	s_delay_alu instid0(VALU_DEP_1)
	v_cmpx_ne_u16_e32 0, v2
	s_cbranch_execz .LBB6_18881
; %bb.18872:                            ;   in Loop: Header=BB6_18683 Depth=3
	v_bfrev_b32_e32 v1, 1
	s_mov_b32 s42, exec_lo
	v_cmpx_ne_u16_e32 0x80, v2
	s_cbranch_execz .LBB6_18880
; %bb.18873:                            ;   in Loop: Header=BB6_18683 Depth=3
	v_and_b32_e32 v1, 0x7c0000, v9
	v_bfe_u32 v2, v9, 16, 2
	s_delay_alu instid0(VALU_DEP_2) | instskip(SKIP_1) | instid1(SALU_CYCLE_1)
	v_cmp_ne_u32_e32 vcc_lo, 0x7c0000, v1
                                        ; implicit-def: $vgpr1
	s_and_saveexec_b32 s43, vcc_lo
	s_xor_b32 s43, exec_lo, s43
	s_cbranch_execz .LBB6_18877
; %bb.18874:                            ;   in Loop: Header=BB6_18683 Depth=3
	v_bfe_u32 v1, v9, 18, 5
	s_mov_b32 s78, exec_lo
	s_delay_alu instid0(VALU_DEP_1)
	v_cmpx_eq_u32_e32 0, v1
; %bb.18875:                            ;   in Loop: Header=BB6_18683 Depth=3
	v_clz_i32_u32_e32 v1, v2
	s_delay_alu instid0(VALU_DEP_1) | instskip(NEXT) | instid1(VALU_DEP_1)
	v_min_u32_e32 v1, 32, v1
	v_subrev_nc_u32_e32 v2, 29, v1
	s_delay_alu instid0(VALU_DEP_1) | instskip(NEXT) | instid1(VALU_DEP_1)
	v_lshlrev_b64_e32 v[2:3], v2, v[0:1]
	v_dual_sub_nc_u32 v1, 30, v1 :: v_dual_bitop2_b32 v2, 3, v2 bitop3:0x40
; %bb.18876:                            ;   in Loop: Header=BB6_18683 Depth=3
	s_or_b32 exec_lo, exec_lo, s78
	v_lshlrev_b32_e32 v0, 24, v0
	s_delay_alu instid0(VALU_DEP_1) | instskip(NEXT) | instid1(VALU_DEP_1)
	v_and_b32_e32 v0, 0x80000000, v0
	v_lshl_add_u32 v0, v1, 23, v0
	s_delay_alu instid0(VALU_DEP_1) | instskip(NEXT) | instid1(VALU_DEP_1)
	v_lshl_or_b32 v0, v2, 21, v0
                                        ; implicit-def: $vgpr2
	v_add_nc_u32_e32 v1, 0x38000000, v0
                                        ; implicit-def: $vgpr0
.LBB6_18877:                            ;   in Loop: Header=BB6_18683 Depth=3
	s_and_not1_saveexec_b32 s43, s43
; %bb.18878:                            ;   in Loop: Header=BB6_18683 Depth=3
	v_bfe_i32 v0, v0, 0, 8
	s_delay_alu instid0(VALU_DEP_1) | instskip(SKIP_1) | instid1(VALU_DEP_1)
	v_cmp_lt_i16_e32 vcc_lo, -1, v0
	v_mov_b32_e32 v0, 0x7f800000
	v_cndmask_b32_e32 v0, 0xff800000, v0, vcc_lo
	v_cmp_eq_u32_e32 vcc_lo, 0, v2
	s_delay_alu instid0(VALU_DEP_2)
	v_cndmask_b32_e32 v1, 0x7f800001, v0, vcc_lo
; %bb.18879:                            ;   in Loop: Header=BB6_18683 Depth=3
	s_or_b32 exec_lo, exec_lo, s43
.LBB6_18880:                            ;   in Loop: Header=BB6_18683 Depth=3
	s_delay_alu instid0(SALU_CYCLE_1)
	s_or_b32 exec_lo, exec_lo, s42
.LBB6_18881:                            ;   in Loop: Header=BB6_18683 Depth=3
	s_delay_alu instid0(SALU_CYCLE_1) | instskip(NEXT) | instid1(VALU_DEP_1)
	s_or_b32 exec_lo, exec_lo, s14
	v_dual_mul_f32 v2, s15, v1 :: v_dual_mov_b32 v7, v113
	v_mov_b32_e32 v1, v113
                                        ; implicit-def: $vgpr38
	s_mov_b32 s14, exec_lo
	s_delay_alu instid0(VALU_DEP_2) | instskip(SKIP_2) | instid1(VALU_DEP_3)
	v_and_b32_e32 v6, 0x7f800000, v2
	v_and_b32_e32 v0, 0x7fffff, v2
	v_lshrrev_b32_e32 v3, 24, v2
	v_cmpx_ne_u64_e32 0x7f800000, v[6:7]
	s_xor_b32 s42, exec_lo, s14
	s_cbranch_execz .LBB6_18895
; %bb.18882:                            ;   in Loop: Header=BB6_18683 Depth=3
	v_and_b32_e32 v6, 0x7fffffff, v2
	v_mov_b32_e32 v7, v113
                                        ; implicit-def: $vgpr38
	s_delay_alu instid0(VALU_DEP_1) | instskip(SKIP_2) | instid1(SALU_CYCLE_1)
	v_cmp_gt_u64_e32 vcc_lo, 0x47600001, v[6:7]
	v_and_b32_e32 v6, 0x80, v3
	s_and_saveexec_b32 s14, vcc_lo
	s_xor_b32 s43, exec_lo, s14
	s_cbranch_execz .LBB6_18892
; %bb.18883:                            ;   in Loop: Header=BB6_18683 Depth=3
	v_mov_b32_e32 v38, 0
	s_mov_b32 s78, exec_lo
	v_cmpx_ne_u32_e32 0, v2
	s_cbranch_execz .LBB6_18891
; %bb.18884:                            ;   in Loop: Header=BB6_18683 Depth=3
	v_bfe_u32 v7, v2, 23, 8
	v_or_b32_e32 v29, 0x800000, v0
	s_delay_alu instid0(VALU_DEP_2) | instskip(SKIP_1) | instid1(VALU_DEP_2)
	v_sub_nc_u32_e32 v2, 0x71, v7
	v_cmp_gt_u32_e32 vcc_lo, 0x72, v7
	v_cndmask_b32_e32 v2, 0, v2, vcc_lo
	v_cmp_eq_u32_e32 vcc_lo, 0, v7
	s_delay_alu instid0(VALU_DEP_2) | instskip(NEXT) | instid1(VALU_DEP_1)
	v_cndmask_b32_e64 v27, v2, 0x70, vcc_lo
	v_dual_cndmask_b32 v0, v29, v0, vcc_lo :: v_dual_add_nc_u32 v2, 21, v27
	v_add_nc_u32_e32 v30, 20, v27
	s_delay_alu instid0(VALU_DEP_2) | instskip(NEXT) | instid1(VALU_DEP_2)
	v_lshlrev_b64_e64 v[2:3], v2, -1
	v_lshlrev_b64_e64 v[30:31], v30, 1
	s_delay_alu instid0(VALU_DEP_2) | instskip(SKIP_1) | instid1(VALU_DEP_4)
	v_bfi_b32 v2, v2, 0, v0
	v_lshrrev_b64 v[0:1], v27, v[0:1]
	v_bfi_b32 v3, v3, 0, 0
	s_delay_alu instid0(VALU_DEP_1) | instskip(NEXT) | instid1(VALU_DEP_3)
	v_cmp_eq_u64_e64 s14, v[2:3], v[30:31]
	v_mov_b64_e32 v[2:3], v[0:1]
	s_and_saveexec_b32 s79, s14
; %bb.18885:                            ;   in Loop: Header=BB6_18683 Depth=3
	v_bfe_u32 v2, v0, 21, 1
	v_mov_b32_e32 v3, v113
	s_delay_alu instid0(VALU_DEP_1) | instskip(NEXT) | instid1(VALU_DEP_1)
	v_add_nc_u64_e32 v[2:3], v[0:1], v[2:3]
	v_add_nc_u64_e32 v[2:3], -1, v[2:3]
; %bb.18886:                            ;   in Loop: Header=BB6_18683 Depth=3
	s_or_b32 exec_lo, exec_lo, s79
	v_add_nc_u32_e32 v1, 0xffffff81, v7
	v_lshrrev_b32_e32 v3, 23, v0
	s_mov_b32 s14, exec_lo
	s_delay_alu instid0(VALU_DEP_2) | instskip(NEXT) | instid1(VALU_DEP_1)
	v_cndmask_b32_e64 v1, v1, 0xffffff82, vcc_lo
	v_add3_u32 v3, v27, v1, v3
	v_and_b32_e32 v1, 0x1fffff, v2
                                        ; implicit-def: $vgpr2
	s_delay_alu instid0(VALU_DEP_1) | instskip(SKIP_1) | instid1(VALU_DEP_2)
	v_dual_add_nc_u32 v7, 14, v3 :: v_dual_add_nc_u32 v0, v1, v0
	v_mov_b32_e32 v1, v113
	v_cmpx_ne_u32_e32 0, v7
	s_xor_b32 s14, exec_lo, s14
; %bb.18887:                            ;   in Loop: Header=BB6_18683 Depth=3
	s_delay_alu instid0(VALU_DEP_2) | instskip(SKIP_2) | instid1(VALU_DEP_2)
	v_cmp_lt_u64_e32 vcc_lo, 0xffffff, v[0:1]
	v_add_nc_u32_e32 v2, 15, v3
	v_cndmask_b32_e64 v3, 0, 1, vcc_lo
	v_cndmask_b32_e32 v2, v7, v2, vcc_lo
	s_delay_alu instid0(VALU_DEP_2)
	v_lshrrev_b64 v[0:1], v3, v[0:1]
; %bb.18888:                            ;   in Loop: Header=BB6_18683 Depth=3
	s_and_not1_saveexec_b32 s14, s14
; %bb.18889:                            ;   in Loop: Header=BB6_18683 Depth=3
	s_delay_alu instid0(VALU_DEP_1)
	v_bfe_u32 v2, v0, 23, 1
; %bb.18890:                            ;   in Loop: Header=BB6_18683 Depth=3
	s_or_b32 exec_lo, exec_lo, s14
	s_delay_alu instid0(VALU_DEP_2) | instskip(NEXT) | instid1(VALU_DEP_2)
	v_lshrrev_b64 v[0:1], 21, v[0:1]
	v_cmp_gt_i32_e32 vcc_lo, 32, v2
	v_min_i32_e32 v3, 31, v2
	v_cmp_eq_u32_e64 s14, 0, v2
	s_delay_alu instid0(VALU_DEP_2) | instskip(SKIP_1) | instid1(VALU_DEP_2)
	v_dual_cndmask_b32 v1, 0, v1, vcc_lo :: v_dual_lshlrev_b32 v3, 2, v3
	v_cndmask_b32_e32 v0, 3, v0, vcc_lo
	v_and_b32_e32 v3, 0xfc, v3
	s_delay_alu instid0(VALU_DEP_2) | instskip(NEXT) | instid1(VALU_DEP_2)
	v_cmp_eq_u64_e32 vcc_lo, 0, v[0:1]
	v_and_or_b32 v0, v0, 3, v3
	s_and_b32 s14, s14, vcc_lo
	s_delay_alu instid0(VALU_DEP_1) | instid1(SALU_CYCLE_1)
	v_cndmask_b32_e64 v0, v0, 0, s14
	s_delay_alu instid0(VALU_DEP_1)
	v_or_b32_e32 v38, v0, v6
.LBB6_18891:                            ;   in Loop: Header=BB6_18683 Depth=3
	s_or_b32 exec_lo, exec_lo, s78
                                        ; implicit-def: $vgpr6
.LBB6_18892:                            ;   in Loop: Header=BB6_18683 Depth=3
	s_and_not1_saveexec_b32 s14, s43
; %bb.18893:                            ;   in Loop: Header=BB6_18683 Depth=3
	v_or_b32_e32 v38, 0x7b, v6
; %bb.18894:                            ;   in Loop: Header=BB6_18683 Depth=3
	s_or_b32 exec_lo, exec_lo, s14
                                        ; implicit-def: $vgpr2
                                        ; implicit-def: $vgpr0_vgpr1
                                        ; implicit-def: $vgpr3
.LBB6_18895:                            ;   in Loop: Header=BB6_18683 Depth=3
	s_and_not1_saveexec_b32 s14, s42
	s_cbranch_execz .LBB6_18901
; %bb.18896:                            ;   in Loop: Header=BB6_18683 Depth=3
	s_mov_b32 s42, exec_lo
                                        ; implicit-def: $vgpr38
	v_cmpx_ne_u64_e32 0, v[0:1]
	s_xor_b32 s42, exec_lo, s42
; %bb.18897:                            ;   in Loop: Header=BB6_18683 Depth=3
	v_or_b32_e32 v38, 0x7f, v3
                                        ; implicit-def: $vgpr2
; %bb.18898:                            ;   in Loop: Header=BB6_18683 Depth=3
	s_and_not1_saveexec_b32 s42, s42
; %bb.18899:                            ;   in Loop: Header=BB6_18683 Depth=3
	v_cmp_lt_i32_e32 vcc_lo, -1, v2
	v_mov_b32_e32 v0, 0x7c
	s_delay_alu instid0(VALU_DEP_1)
	v_cndmask_b32_e32 v38, 0xfc, v0, vcc_lo
; %bb.18900:                            ;   in Loop: Header=BB6_18683 Depth=3
	s_or_b32 exec_lo, exec_lo, s42
.LBB6_18901:                            ;   in Loop: Header=BB6_18683 Depth=3
	s_delay_alu instid0(SALU_CYCLE_1)
	s_or_b32 exec_lo, exec_lo, s14
	v_mov_b32_e32 v1, 0
	s_mov_b32 s14, exec_lo
	v_cmpx_lt_u64_e64 s[22:23], v[8:9]
	s_cbranch_execz .LBB6_18911
; %bb.18902:                            ;   in Loop: Header=BB6_18683 Depth=3
	v_lshrrev_b32_e32 v0, 24, v9
	v_bfrev_b32_e32 v1, 1
	s_mov_b32 s42, exec_lo
	s_delay_alu instid0(VALU_DEP_2)
	v_cmpx_ne_u32_e32 0x80, v0
	s_cbranch_execz .LBB6_18910
; %bb.18903:                            ;   in Loop: Header=BB6_18683 Depth=3
	v_and_b32_e32 v1, 0x7c000000, v9
	v_bfe_u32 v2, v9, 24, 2
	s_delay_alu instid0(VALU_DEP_2) | instskip(SKIP_1) | instid1(SALU_CYCLE_1)
	v_cmp_ne_u32_e32 vcc_lo, 0x7c000000, v1
                                        ; implicit-def: $vgpr1
	s_and_saveexec_b32 s43, vcc_lo
	s_xor_b32 s43, exec_lo, s43
	s_cbranch_execz .LBB6_18907
; %bb.18904:                            ;   in Loop: Header=BB6_18683 Depth=3
	v_bfe_u32 v1, v9, 26, 5
	s_mov_b32 s78, exec_lo
	s_delay_alu instid0(VALU_DEP_1)
	v_cmpx_eq_u32_e32 0, v1
; %bb.18905:                            ;   in Loop: Header=BB6_18683 Depth=3
	v_clz_i32_u32_e32 v1, v2
	s_delay_alu instid0(VALU_DEP_1) | instskip(NEXT) | instid1(VALU_DEP_1)
	v_min_u32_e32 v2, 32, v1
	v_subrev_nc_u32_e32 v1, 29, v2
	s_delay_alu instid0(VALU_DEP_1) | instskip(NEXT) | instid1(VALU_DEP_1)
	v_lshlrev_b64_e32 v[0:1], v1, v[0:1]
	v_dual_sub_nc_u32 v1, 30, v2 :: v_dual_bitop2_b32 v2, 3, v0 bitop3:0x40
; %bb.18906:                            ;   in Loop: Header=BB6_18683 Depth=3
	s_or_b32 exec_lo, exec_lo, s78
	v_and_b32_e32 v0, 0x80000000, v9
	s_delay_alu instid0(VALU_DEP_1) | instskip(NEXT) | instid1(VALU_DEP_1)
	v_lshl_add_u32 v0, v1, 23, v0
	v_lshl_or_b32 v0, v2, 21, v0
                                        ; implicit-def: $vgpr2
	s_delay_alu instid0(VALU_DEP_1)
	v_add_nc_u32_e32 v1, 0x38000000, v0
.LBB6_18907:                            ;   in Loop: Header=BB6_18683 Depth=3
	s_and_not1_saveexec_b32 s43, s43
; %bb.18908:                            ;   in Loop: Header=BB6_18683 Depth=3
	v_cmp_lt_i64_e32 vcc_lo, -1, v[8:9]
	v_mov_b32_e32 v0, 0x7f800000
	s_delay_alu instid0(VALU_DEP_1) | instskip(SKIP_1) | instid1(VALU_DEP_2)
	v_cndmask_b32_e32 v0, 0xff800000, v0, vcc_lo
	v_cmp_eq_u32_e32 vcc_lo, 0, v2
	v_cndmask_b32_e32 v1, 0x7f800001, v0, vcc_lo
; %bb.18909:                            ;   in Loop: Header=BB6_18683 Depth=3
	s_or_b32 exec_lo, exec_lo, s43
.LBB6_18910:                            ;   in Loop: Header=BB6_18683 Depth=3
	s_delay_alu instid0(SALU_CYCLE_1)
	s_or_b32 exec_lo, exec_lo, s42
.LBB6_18911:                            ;   in Loop: Header=BB6_18683 Depth=3
	s_delay_alu instid0(SALU_CYCLE_1) | instskip(NEXT) | instid1(VALU_DEP_1)
	s_or_b32 exec_lo, exec_lo, s14
	v_dual_mul_f32 v2, s15, v1 :: v_dual_mov_b32 v7, v113
	v_mov_b32_e32 v1, v113
                                        ; implicit-def: $vgpr39
	s_mov_b32 s14, exec_lo
	s_delay_alu instid0(VALU_DEP_2) | instskip(SKIP_2) | instid1(VALU_DEP_3)
	v_and_b32_e32 v6, 0x7f800000, v2
	v_and_b32_e32 v0, 0x7fffff, v2
	v_lshrrev_b32_e32 v3, 24, v2
	v_cmpx_ne_u64_e32 0x7f800000, v[6:7]
	s_xor_b32 s42, exec_lo, s14
	s_cbranch_execz .LBB6_18925
; %bb.18912:                            ;   in Loop: Header=BB6_18683 Depth=3
	v_and_b32_e32 v6, 0x7fffffff, v2
	v_mov_b32_e32 v7, v113
                                        ; implicit-def: $vgpr39
	s_delay_alu instid0(VALU_DEP_1) | instskip(SKIP_2) | instid1(SALU_CYCLE_1)
	v_cmp_gt_u64_e32 vcc_lo, 0x47600001, v[6:7]
	v_and_b32_e32 v6, 0x80, v3
	s_and_saveexec_b32 s14, vcc_lo
	s_xor_b32 s43, exec_lo, s14
	s_cbranch_execz .LBB6_18922
; %bb.18913:                            ;   in Loop: Header=BB6_18683 Depth=3
	v_mov_b32_e32 v39, 0
	s_mov_b32 s78, exec_lo
	v_cmpx_ne_u32_e32 0, v2
	s_cbranch_execz .LBB6_18921
; %bb.18914:                            ;   in Loop: Header=BB6_18683 Depth=3
	v_bfe_u32 v7, v2, 23, 8
	v_or_b32_e32 v9, 0x800000, v0
	s_delay_alu instid0(VALU_DEP_2) | instskip(SKIP_1) | instid1(VALU_DEP_2)
	v_sub_nc_u32_e32 v2, 0x71, v7
	v_cmp_gt_u32_e32 vcc_lo, 0x72, v7
	v_cndmask_b32_e32 v2, 0, v2, vcc_lo
	v_cmp_eq_u32_e32 vcc_lo, 0, v7
	s_delay_alu instid0(VALU_DEP_2) | instskip(SKIP_1) | instid1(VALU_DEP_2)
	v_cndmask_b32_e64 v8, v2, 0x70, vcc_lo
	v_cndmask_b32_e32 v0, v9, v0, vcc_lo
	v_dual_add_nc_u32 v2, 21, v8 :: v_dual_add_nc_u32 v27, 20, v8
	s_delay_alu instid0(VALU_DEP_1) | instskip(NEXT) | instid1(VALU_DEP_2)
	v_lshlrev_b64_e64 v[2:3], v2, -1
	v_lshlrev_b64_e64 v[30:31], v27, 1
	s_delay_alu instid0(VALU_DEP_2) | instskip(SKIP_1) | instid1(VALU_DEP_4)
	v_bfi_b32 v2, v2, 0, v0
	v_lshrrev_b64 v[0:1], v8, v[0:1]
	v_bfi_b32 v3, v3, 0, 0
	s_delay_alu instid0(VALU_DEP_1) | instskip(NEXT) | instid1(VALU_DEP_3)
	v_cmp_eq_u64_e64 s14, v[2:3], v[30:31]
	v_mov_b64_e32 v[2:3], v[0:1]
	s_and_saveexec_b32 s79, s14
; %bb.18915:                            ;   in Loop: Header=BB6_18683 Depth=3
	v_bfe_u32 v2, v0, 21, 1
	v_mov_b32_e32 v3, v113
	s_delay_alu instid0(VALU_DEP_1) | instskip(NEXT) | instid1(VALU_DEP_1)
	v_add_nc_u64_e32 v[2:3], v[0:1], v[2:3]
	v_add_nc_u64_e32 v[2:3], -1, v[2:3]
; %bb.18916:                            ;   in Loop: Header=BB6_18683 Depth=3
	s_or_b32 exec_lo, exec_lo, s79
	v_add_nc_u32_e32 v1, 0xffffff81, v7
	v_lshrrev_b32_e32 v3, 23, v0
	s_mov_b32 s14, exec_lo
	s_delay_alu instid0(VALU_DEP_2) | instskip(NEXT) | instid1(VALU_DEP_1)
	v_cndmask_b32_e64 v1, v1, 0xffffff82, vcc_lo
	v_add3_u32 v3, v8, v1, v3
	v_and_b32_e32 v1, 0x1fffff, v2
                                        ; implicit-def: $vgpr2
	s_delay_alu instid0(VALU_DEP_1) | instskip(SKIP_1) | instid1(VALU_DEP_2)
	v_dual_add_nc_u32 v7, 14, v3 :: v_dual_add_nc_u32 v0, v1, v0
	v_mov_b32_e32 v1, v113
	v_cmpx_ne_u32_e32 0, v7
	s_xor_b32 s14, exec_lo, s14
; %bb.18917:                            ;   in Loop: Header=BB6_18683 Depth=3
	s_delay_alu instid0(VALU_DEP_2) | instskip(SKIP_2) | instid1(VALU_DEP_2)
	v_cmp_lt_u64_e32 vcc_lo, 0xffffff, v[0:1]
	v_add_nc_u32_e32 v2, 15, v3
	v_cndmask_b32_e64 v3, 0, 1, vcc_lo
	v_cndmask_b32_e32 v2, v7, v2, vcc_lo
	s_delay_alu instid0(VALU_DEP_2)
	v_lshrrev_b64 v[0:1], v3, v[0:1]
; %bb.18918:                            ;   in Loop: Header=BB6_18683 Depth=3
	s_and_not1_saveexec_b32 s14, s14
; %bb.18919:                            ;   in Loop: Header=BB6_18683 Depth=3
	s_delay_alu instid0(VALU_DEP_1)
	v_bfe_u32 v2, v0, 23, 1
; %bb.18920:                            ;   in Loop: Header=BB6_18683 Depth=3
	s_or_b32 exec_lo, exec_lo, s14
	s_delay_alu instid0(VALU_DEP_2) | instskip(NEXT) | instid1(VALU_DEP_2)
	v_lshrrev_b64 v[0:1], 21, v[0:1]
	v_cmp_gt_i32_e32 vcc_lo, 32, v2
	v_min_i32_e32 v3, 31, v2
	v_cmp_eq_u32_e64 s14, 0, v2
	s_delay_alu instid0(VALU_DEP_2) | instskip(SKIP_1) | instid1(VALU_DEP_2)
	v_dual_cndmask_b32 v1, 0, v1, vcc_lo :: v_dual_lshlrev_b32 v3, 2, v3
	v_cndmask_b32_e32 v0, 3, v0, vcc_lo
	v_and_b32_e32 v3, 0xfc, v3
	s_delay_alu instid0(VALU_DEP_2) | instskip(NEXT) | instid1(VALU_DEP_2)
	v_cmp_eq_u64_e32 vcc_lo, 0, v[0:1]
	v_and_or_b32 v0, v0, 3, v3
	s_and_b32 s14, s14, vcc_lo
	s_delay_alu instid0(VALU_DEP_1) | instid1(SALU_CYCLE_1)
	v_cndmask_b32_e64 v0, v0, 0, s14
	s_delay_alu instid0(VALU_DEP_1)
	v_or_b32_e32 v39, v0, v6
.LBB6_18921:                            ;   in Loop: Header=BB6_18683 Depth=3
	s_or_b32 exec_lo, exec_lo, s78
                                        ; implicit-def: $vgpr6
.LBB6_18922:                            ;   in Loop: Header=BB6_18683 Depth=3
	s_and_not1_saveexec_b32 s14, s43
; %bb.18923:                            ;   in Loop: Header=BB6_18683 Depth=3
	v_or_b32_e32 v39, 0x7b, v6
; %bb.18924:                            ;   in Loop: Header=BB6_18683 Depth=3
	s_or_b32 exec_lo, exec_lo, s14
                                        ; implicit-def: $vgpr2
                                        ; implicit-def: $vgpr0_vgpr1
                                        ; implicit-def: $vgpr3
.LBB6_18925:                            ;   in Loop: Header=BB6_18683 Depth=3
	s_and_not1_saveexec_b32 s14, s42
	s_cbranch_execz .LBB6_18931
; %bb.18926:                            ;   in Loop: Header=BB6_18683 Depth=3
	s_mov_b32 s42, exec_lo
                                        ; implicit-def: $vgpr39
	v_cmpx_ne_u64_e32 0, v[0:1]
	s_xor_b32 s42, exec_lo, s42
; %bb.18927:                            ;   in Loop: Header=BB6_18683 Depth=3
	v_or_b32_e32 v39, 0x7f, v3
                                        ; implicit-def: $vgpr2
; %bb.18928:                            ;   in Loop: Header=BB6_18683 Depth=3
	s_and_not1_saveexec_b32 s42, s42
; %bb.18929:                            ;   in Loop: Header=BB6_18683 Depth=3
	v_cmp_lt_i32_e32 vcc_lo, -1, v2
	v_mov_b32_e32 v0, 0x7c
	s_delay_alu instid0(VALU_DEP_1)
	v_cndmask_b32_e32 v39, 0xfc, v0, vcc_lo
; %bb.18930:                            ;   in Loop: Header=BB6_18683 Depth=3
	s_or_b32 exec_lo, exec_lo, s42
.LBB6_18931:                            ;   in Loop: Header=BB6_18683 Depth=3
	s_delay_alu instid0(SALU_CYCLE_1) | instskip(SKIP_1) | instid1(VALU_DEP_1)
	s_or_b32 exec_lo, exec_lo, s14
	v_and_b32_e32 v0, 0xff, v10
	v_cmp_ne_u16_e32 vcc_lo, 0, v0
	v_mov_b32_e32 v0, 0
	s_and_saveexec_b32 s14, vcc_lo
	s_cbranch_execz .LBB6_18941
; %bb.18932:                            ;   in Loop: Header=BB6_18683 Depth=3
	v_bfe_i32 v2, v10, 0, 8
	v_bfrev_b32_e32 v0, 1
	s_mov_b32 s42, exec_lo
	s_delay_alu instid0(VALU_DEP_2)
	v_cmpx_ne_u16_e32 0xff80, v2
	s_cbranch_execz .LBB6_18940
; %bb.18933:                            ;   in Loop: Header=BB6_18683 Depth=3
	v_and_b32_e32 v0, 0x7c, v10
	v_and_b32_e32 v1, 3, v10
	s_delay_alu instid0(VALU_DEP_2) | instskip(SKIP_1) | instid1(SALU_CYCLE_1)
	v_cmp_ne_u32_e32 vcc_lo, 0x7c, v0
                                        ; implicit-def: $vgpr0
	s_and_saveexec_b32 s43, vcc_lo
	s_xor_b32 s43, exec_lo, s43
	s_cbranch_execz .LBB6_18937
; %bb.18934:                            ;   in Loop: Header=BB6_18683 Depth=3
	v_bfe_u32 v0, v10, 2, 5
	s_mov_b32 s78, exec_lo
	s_delay_alu instid0(VALU_DEP_1)
	v_cmpx_eq_u32_e32 0, v0
; %bb.18935:                            ;   in Loop: Header=BB6_18683 Depth=3
	v_clz_i32_u32_e32 v0, v1
	s_delay_alu instid0(VALU_DEP_1) | instskip(NEXT) | instid1(VALU_DEP_1)
	v_min_u32_e32 v0, 32, v0
	v_subrev_nc_u32_e32 v1, 29, v0
	s_delay_alu instid0(VALU_DEP_1) | instskip(NEXT) | instid1(VALU_DEP_1)
	v_lshlrev_b64_e32 v[2:3], v1, v[10:11]
	v_dual_sub_nc_u32 v0, 30, v0 :: v_dual_bitop2_b32 v1, 3, v2 bitop3:0x40
; %bb.18936:                            ;   in Loop: Header=BB6_18683 Depth=3
	s_or_b32 exec_lo, exec_lo, s78
	v_lshlrev_b32_e32 v2, 24, v10
	s_delay_alu instid0(VALU_DEP_1) | instskip(NEXT) | instid1(VALU_DEP_1)
	v_and_b32_e32 v2, 0x80000000, v2
	v_lshl_add_u32 v0, v0, 23, v2
                                        ; implicit-def: $vgpr2
	s_delay_alu instid0(VALU_DEP_1) | instskip(NEXT) | instid1(VALU_DEP_1)
	v_lshl_or_b32 v0, v1, 21, v0
                                        ; implicit-def: $vgpr1
	v_add_nc_u32_e32 v0, 0x38000000, v0
.LBB6_18937:                            ;   in Loop: Header=BB6_18683 Depth=3
	s_and_not1_saveexec_b32 s43, s43
; %bb.18938:                            ;   in Loop: Header=BB6_18683 Depth=3
	v_cmp_lt_i16_e32 vcc_lo, -1, v2
	v_mov_b32_e32 v0, 0x7f800000
	s_delay_alu instid0(VALU_DEP_1) | instskip(SKIP_1) | instid1(VALU_DEP_2)
	v_cndmask_b32_e32 v0, 0xff800000, v0, vcc_lo
	v_cmp_eq_u32_e32 vcc_lo, 0, v1
	v_cndmask_b32_e32 v0, 0x7f800001, v0, vcc_lo
; %bb.18939:                            ;   in Loop: Header=BB6_18683 Depth=3
	s_or_b32 exec_lo, exec_lo, s43
.LBB6_18940:                            ;   in Loop: Header=BB6_18683 Depth=3
	s_delay_alu instid0(SALU_CYCLE_1)
	s_or_b32 exec_lo, exec_lo, s42
.LBB6_18941:                            ;   in Loop: Header=BB6_18683 Depth=3
	s_delay_alu instid0(SALU_CYCLE_1) | instskip(NEXT) | instid1(VALU_DEP_1)
	s_or_b32 exec_lo, exec_lo, s14
	v_dual_mul_f32 v2, s15, v0 :: v_dual_mov_b32 v7, v113
	v_mov_b32_e32 v1, v113
                                        ; implicit-def: $vgpr29
	s_mov_b32 s14, exec_lo
	s_delay_alu instid0(VALU_DEP_2) | instskip(SKIP_2) | instid1(VALU_DEP_3)
	v_and_b32_e32 v6, 0x7f800000, v2
	v_and_b32_e32 v0, 0x7fffff, v2
	v_lshrrev_b32_e32 v3, 24, v2
	v_cmpx_ne_u64_e32 0x7f800000, v[6:7]
	s_xor_b32 s42, exec_lo, s14
	s_cbranch_execz .LBB6_18955
; %bb.18942:                            ;   in Loop: Header=BB6_18683 Depth=3
	v_and_b32_e32 v6, 0x7fffffff, v2
	v_mov_b32_e32 v7, v113
                                        ; implicit-def: $vgpr29
	s_delay_alu instid0(VALU_DEP_1) | instskip(SKIP_2) | instid1(SALU_CYCLE_1)
	v_cmp_gt_u64_e32 vcc_lo, 0x47600001, v[6:7]
	v_and_b32_e32 v6, 0x80, v3
	s_and_saveexec_b32 s14, vcc_lo
	s_xor_b32 s43, exec_lo, s14
	s_cbranch_execz .LBB6_18952
; %bb.18943:                            ;   in Loop: Header=BB6_18683 Depth=3
	v_mov_b32_e32 v29, 0
	s_mov_b32 s78, exec_lo
	v_cmpx_ne_u32_e32 0, v2
	s_cbranch_execz .LBB6_18951
; %bb.18944:                            ;   in Loop: Header=BB6_18683 Depth=3
	v_bfe_u32 v7, v2, 23, 8
	v_or_b32_e32 v9, 0x800000, v0
	s_delay_alu instid0(VALU_DEP_2) | instskip(SKIP_1) | instid1(VALU_DEP_2)
	v_sub_nc_u32_e32 v2, 0x71, v7
	v_cmp_gt_u32_e32 vcc_lo, 0x72, v7
	v_cndmask_b32_e32 v2, 0, v2, vcc_lo
	v_cmp_eq_u32_e32 vcc_lo, 0, v7
	s_delay_alu instid0(VALU_DEP_2) | instskip(SKIP_1) | instid1(VALU_DEP_2)
	v_cndmask_b32_e64 v8, v2, 0x70, vcc_lo
	v_cndmask_b32_e32 v0, v9, v0, vcc_lo
	v_dual_add_nc_u32 v2, 21, v8 :: v_dual_add_nc_u32 v27, 20, v8
	s_delay_alu instid0(VALU_DEP_1) | instskip(NEXT) | instid1(VALU_DEP_2)
	v_lshlrev_b64_e64 v[2:3], v2, -1
	v_lshlrev_b64_e64 v[30:31], v27, 1
	s_delay_alu instid0(VALU_DEP_2) | instskip(SKIP_1) | instid1(VALU_DEP_4)
	v_bfi_b32 v2, v2, 0, v0
	v_lshrrev_b64 v[0:1], v8, v[0:1]
	v_bfi_b32 v3, v3, 0, 0
	s_delay_alu instid0(VALU_DEP_1) | instskip(NEXT) | instid1(VALU_DEP_3)
	v_cmp_eq_u64_e64 s14, v[2:3], v[30:31]
	v_mov_b64_e32 v[2:3], v[0:1]
	s_and_saveexec_b32 s79, s14
; %bb.18945:                            ;   in Loop: Header=BB6_18683 Depth=3
	v_bfe_u32 v2, v0, 21, 1
	v_mov_b32_e32 v3, v113
	s_delay_alu instid0(VALU_DEP_1) | instskip(NEXT) | instid1(VALU_DEP_1)
	v_add_nc_u64_e32 v[2:3], v[0:1], v[2:3]
	v_add_nc_u64_e32 v[2:3], -1, v[2:3]
; %bb.18946:                            ;   in Loop: Header=BB6_18683 Depth=3
	s_or_b32 exec_lo, exec_lo, s79
	v_add_nc_u32_e32 v1, 0xffffff81, v7
	v_lshrrev_b32_e32 v3, 23, v0
	s_mov_b32 s14, exec_lo
	s_delay_alu instid0(VALU_DEP_2) | instskip(NEXT) | instid1(VALU_DEP_1)
	v_cndmask_b32_e64 v1, v1, 0xffffff82, vcc_lo
	v_add3_u32 v3, v8, v1, v3
	v_and_b32_e32 v1, 0x1fffff, v2
                                        ; implicit-def: $vgpr2
	s_delay_alu instid0(VALU_DEP_1) | instskip(SKIP_1) | instid1(VALU_DEP_2)
	v_dual_add_nc_u32 v7, 14, v3 :: v_dual_add_nc_u32 v0, v1, v0
	v_mov_b32_e32 v1, v113
	v_cmpx_ne_u32_e32 0, v7
	s_xor_b32 s14, exec_lo, s14
; %bb.18947:                            ;   in Loop: Header=BB6_18683 Depth=3
	s_delay_alu instid0(VALU_DEP_2) | instskip(SKIP_2) | instid1(VALU_DEP_2)
	v_cmp_lt_u64_e32 vcc_lo, 0xffffff, v[0:1]
	v_add_nc_u32_e32 v2, 15, v3
	v_cndmask_b32_e64 v3, 0, 1, vcc_lo
	v_cndmask_b32_e32 v2, v7, v2, vcc_lo
	s_delay_alu instid0(VALU_DEP_2)
	v_lshrrev_b64 v[0:1], v3, v[0:1]
; %bb.18948:                            ;   in Loop: Header=BB6_18683 Depth=3
	s_and_not1_saveexec_b32 s14, s14
; %bb.18949:                            ;   in Loop: Header=BB6_18683 Depth=3
	s_delay_alu instid0(VALU_DEP_1)
	v_bfe_u32 v2, v0, 23, 1
; %bb.18950:                            ;   in Loop: Header=BB6_18683 Depth=3
	s_or_b32 exec_lo, exec_lo, s14
	s_delay_alu instid0(VALU_DEP_2) | instskip(NEXT) | instid1(VALU_DEP_2)
	v_lshrrev_b64 v[0:1], 21, v[0:1]
	v_cmp_gt_i32_e32 vcc_lo, 32, v2
	v_min_i32_e32 v3, 31, v2
	v_cmp_eq_u32_e64 s14, 0, v2
	s_delay_alu instid0(VALU_DEP_2) | instskip(SKIP_1) | instid1(VALU_DEP_2)
	v_dual_cndmask_b32 v1, 0, v1, vcc_lo :: v_dual_lshlrev_b32 v3, 2, v3
	v_cndmask_b32_e32 v0, 3, v0, vcc_lo
	v_and_b32_e32 v3, 0xfc, v3
	s_delay_alu instid0(VALU_DEP_2) | instskip(NEXT) | instid1(VALU_DEP_2)
	v_cmp_eq_u64_e32 vcc_lo, 0, v[0:1]
	v_and_or_b32 v0, v0, 3, v3
	s_and_b32 s14, s14, vcc_lo
	s_delay_alu instid0(VALU_DEP_1) | instid1(SALU_CYCLE_1)
	v_cndmask_b32_e64 v0, v0, 0, s14
	s_delay_alu instid0(VALU_DEP_1)
	v_or_b32_e32 v29, v0, v6
.LBB6_18951:                            ;   in Loop: Header=BB6_18683 Depth=3
	s_or_b32 exec_lo, exec_lo, s78
                                        ; implicit-def: $vgpr6
.LBB6_18952:                            ;   in Loop: Header=BB6_18683 Depth=3
	s_and_not1_saveexec_b32 s14, s43
; %bb.18953:                            ;   in Loop: Header=BB6_18683 Depth=3
	v_or_b32_e32 v29, 0x7b, v6
; %bb.18954:                            ;   in Loop: Header=BB6_18683 Depth=3
	s_or_b32 exec_lo, exec_lo, s14
                                        ; implicit-def: $vgpr2
                                        ; implicit-def: $vgpr0_vgpr1
                                        ; implicit-def: $vgpr3
.LBB6_18955:                            ;   in Loop: Header=BB6_18683 Depth=3
	s_and_not1_saveexec_b32 s14, s42
	s_cbranch_execz .LBB6_18961
; %bb.18956:                            ;   in Loop: Header=BB6_18683 Depth=3
	s_mov_b32 s42, exec_lo
                                        ; implicit-def: $vgpr29
	v_cmpx_ne_u64_e32 0, v[0:1]
	s_xor_b32 s42, exec_lo, s42
; %bb.18957:                            ;   in Loop: Header=BB6_18683 Depth=3
	v_or_b32_e32 v29, 0x7f, v3
                                        ; implicit-def: $vgpr2
; %bb.18958:                            ;   in Loop: Header=BB6_18683 Depth=3
	s_and_not1_saveexec_b32 s42, s42
; %bb.18959:                            ;   in Loop: Header=BB6_18683 Depth=3
	v_cmp_lt_i32_e32 vcc_lo, -1, v2
	v_mov_b32_e32 v0, 0x7c
	s_delay_alu instid0(VALU_DEP_1)
	v_cndmask_b32_e32 v29, 0xfc, v0, vcc_lo
; %bb.18960:                            ;   in Loop: Header=BB6_18683 Depth=3
	s_or_b32 exec_lo, exec_lo, s42
.LBB6_18961:                            ;   in Loop: Header=BB6_18683 Depth=3
	s_delay_alu instid0(SALU_CYCLE_1) | instskip(SKIP_3) | instid1(VALU_DEP_2)
	s_or_b32 exec_lo, exec_lo, s14
	v_lshrrev_b16 v0, 8, v10
	v_mov_b32_e32 v2, 0
	s_mov_b32 s14, exec_lo
	v_cmpx_ne_u16_e32 0, v0
	s_cbranch_execz .LBB6_18971
; %bb.18962:                            ;   in Loop: Header=BB6_18683 Depth=3
	v_bfrev_b32_e32 v2, 1
	s_mov_b32 s42, exec_lo
	v_cmpx_ne_u16_e32 0x80, v0
	s_cbranch_execz .LBB6_18970
; %bb.18963:                            ;   in Loop: Header=BB6_18683 Depth=3
	v_and_b32_e32 v3, 0xffff, v0
	s_delay_alu instid0(VALU_DEP_1) | instskip(SKIP_1) | instid1(VALU_DEP_2)
	v_and_b32_e32 v2, 0x7c, v3
	v_and_b32_e32 v1, 3, v3
	v_cmp_ne_u32_e32 vcc_lo, 0x7c, v2
                                        ; implicit-def: $vgpr2
	s_and_saveexec_b32 s43, vcc_lo
	s_delay_alu instid0(SALU_CYCLE_1)
	s_xor_b32 s43, exec_lo, s43
	s_cbranch_execz .LBB6_18967
; %bb.18964:                            ;   in Loop: Header=BB6_18683 Depth=3
	v_bfe_u32 v2, v3, 2, 5
	s_mov_b32 s78, exec_lo
	s_delay_alu instid0(VALU_DEP_1)
	v_cmpx_eq_u32_e32 0, v2
	s_cbranch_execz .LBB6_18966
; %bb.18965:                            ;   in Loop: Header=BB6_18683 Depth=3
	v_clz_i32_u32_e32 v1, v1
	s_delay_alu instid0(VALU_DEP_1) | instskip(SKIP_1) | instid1(VALU_DEP_2)
	v_min_u32_e32 v2, 32, v1
	v_mov_b32_e32 v1, v113
	v_subrev_nc_u32_e32 v3, 29, v2
	v_sub_nc_u32_e32 v2, 30, v2
	s_delay_alu instid0(VALU_DEP_2) | instskip(NEXT) | instid1(VALU_DEP_1)
	v_lshlrev_b64_e32 v[0:1], v3, v[0:1]
	v_and_b32_e32 v1, 3, v0
.LBB6_18966:                            ;   in Loop: Header=BB6_18683 Depth=3
	s_or_b32 exec_lo, exec_lo, s78
	v_lshlrev_b32_e32 v0, 16, v10
	s_delay_alu instid0(VALU_DEP_1) | instskip(NEXT) | instid1(VALU_DEP_1)
	v_and_b32_e32 v0, 0x80000000, v0
	v_lshl_add_u32 v0, v2, 23, v0
	s_delay_alu instid0(VALU_DEP_1) | instskip(NEXT) | instid1(VALU_DEP_1)
	v_lshl_or_b32 v0, v1, 21, v0
                                        ; implicit-def: $vgpr1
	v_add_nc_u32_e32 v2, 0x38000000, v0
.LBB6_18967:                            ;   in Loop: Header=BB6_18683 Depth=3
	s_and_not1_saveexec_b32 s43, s43
; %bb.18968:                            ;   in Loop: Header=BB6_18683 Depth=3
	v_cmp_lt_i16_e32 vcc_lo, -1, v10
	v_mov_b32_e32 v0, 0x7f800000
	s_delay_alu instid0(VALU_DEP_1) | instskip(SKIP_1) | instid1(VALU_DEP_2)
	v_cndmask_b32_e32 v0, 0xff800000, v0, vcc_lo
	v_cmp_eq_u32_e32 vcc_lo, 0, v1
	v_cndmask_b32_e32 v2, 0x7f800001, v0, vcc_lo
; %bb.18969:                            ;   in Loop: Header=BB6_18683 Depth=3
	s_or_b32 exec_lo, exec_lo, s43
.LBB6_18970:                            ;   in Loop: Header=BB6_18683 Depth=3
	s_delay_alu instid0(SALU_CYCLE_1)
	s_or_b32 exec_lo, exec_lo, s42
.LBB6_18971:                            ;   in Loop: Header=BB6_18683 Depth=3
	s_delay_alu instid0(SALU_CYCLE_1) | instskip(NEXT) | instid1(VALU_DEP_1)
	s_or_b32 exec_lo, exec_lo, s14
	v_dual_mul_f32 v2, s15, v2 :: v_dual_mov_b32 v7, v113
	v_mov_b32_e32 v1, v113
                                        ; implicit-def: $vgpr32
	s_mov_b32 s14, exec_lo
	s_delay_alu instid0(VALU_DEP_2) | instskip(SKIP_2) | instid1(VALU_DEP_3)
	v_and_b32_e32 v6, 0x7f800000, v2
	v_and_b32_e32 v0, 0x7fffff, v2
	v_lshrrev_b32_e32 v3, 24, v2
	v_cmpx_ne_u64_e32 0x7f800000, v[6:7]
	s_xor_b32 s42, exec_lo, s14
	s_cbranch_execz .LBB6_18985
; %bb.18972:                            ;   in Loop: Header=BB6_18683 Depth=3
	v_and_b32_e32 v6, 0x7fffffff, v2
	v_mov_b32_e32 v7, v113
                                        ; implicit-def: $vgpr32
	s_delay_alu instid0(VALU_DEP_1) | instskip(SKIP_2) | instid1(SALU_CYCLE_1)
	v_cmp_gt_u64_e32 vcc_lo, 0x47600001, v[6:7]
	v_and_b32_e32 v6, 0x80, v3
	s_and_saveexec_b32 s14, vcc_lo
	s_xor_b32 s43, exec_lo, s14
	s_cbranch_execz .LBB6_18982
; %bb.18973:                            ;   in Loop: Header=BB6_18683 Depth=3
	v_mov_b32_e32 v32, 0
	s_mov_b32 s78, exec_lo
	v_cmpx_ne_u32_e32 0, v2
	s_cbranch_execz .LBB6_18981
; %bb.18974:                            ;   in Loop: Header=BB6_18683 Depth=3
	v_bfe_u32 v7, v2, 23, 8
	v_or_b32_e32 v9, 0x800000, v0
	s_delay_alu instid0(VALU_DEP_2) | instskip(SKIP_1) | instid1(VALU_DEP_2)
	v_sub_nc_u32_e32 v2, 0x71, v7
	v_cmp_gt_u32_e32 vcc_lo, 0x72, v7
	v_cndmask_b32_e32 v2, 0, v2, vcc_lo
	v_cmp_eq_u32_e32 vcc_lo, 0, v7
	s_delay_alu instid0(VALU_DEP_2) | instskip(SKIP_1) | instid1(VALU_DEP_2)
	v_cndmask_b32_e64 v8, v2, 0x70, vcc_lo
	v_cndmask_b32_e32 v0, v9, v0, vcc_lo
	v_dual_add_nc_u32 v2, 21, v8 :: v_dual_add_nc_u32 v27, 20, v8
	s_delay_alu instid0(VALU_DEP_1) | instskip(NEXT) | instid1(VALU_DEP_2)
	v_lshlrev_b64_e64 v[2:3], v2, -1
	v_lshlrev_b64_e64 v[30:31], v27, 1
	s_delay_alu instid0(VALU_DEP_2) | instskip(SKIP_1) | instid1(VALU_DEP_4)
	v_bfi_b32 v2, v2, 0, v0
	v_lshrrev_b64 v[0:1], v8, v[0:1]
	v_bfi_b32 v3, v3, 0, 0
	s_delay_alu instid0(VALU_DEP_1) | instskip(NEXT) | instid1(VALU_DEP_3)
	v_cmp_eq_u64_e64 s14, v[2:3], v[30:31]
	v_mov_b64_e32 v[2:3], v[0:1]
	s_and_saveexec_b32 s79, s14
; %bb.18975:                            ;   in Loop: Header=BB6_18683 Depth=3
	v_bfe_u32 v2, v0, 21, 1
	v_mov_b32_e32 v3, v113
	s_delay_alu instid0(VALU_DEP_1) | instskip(NEXT) | instid1(VALU_DEP_1)
	v_add_nc_u64_e32 v[2:3], v[0:1], v[2:3]
	v_add_nc_u64_e32 v[2:3], -1, v[2:3]
; %bb.18976:                            ;   in Loop: Header=BB6_18683 Depth=3
	s_or_b32 exec_lo, exec_lo, s79
	v_add_nc_u32_e32 v1, 0xffffff81, v7
	v_lshrrev_b32_e32 v3, 23, v0
	s_mov_b32 s14, exec_lo
	s_delay_alu instid0(VALU_DEP_2) | instskip(NEXT) | instid1(VALU_DEP_1)
	v_cndmask_b32_e64 v1, v1, 0xffffff82, vcc_lo
	v_add3_u32 v3, v8, v1, v3
	v_and_b32_e32 v1, 0x1fffff, v2
                                        ; implicit-def: $vgpr2
	s_delay_alu instid0(VALU_DEP_1) | instskip(SKIP_1) | instid1(VALU_DEP_2)
	v_dual_add_nc_u32 v7, 14, v3 :: v_dual_add_nc_u32 v0, v1, v0
	v_mov_b32_e32 v1, v113
	v_cmpx_ne_u32_e32 0, v7
	s_xor_b32 s14, exec_lo, s14
; %bb.18977:                            ;   in Loop: Header=BB6_18683 Depth=3
	s_delay_alu instid0(VALU_DEP_2) | instskip(SKIP_2) | instid1(VALU_DEP_2)
	v_cmp_lt_u64_e32 vcc_lo, 0xffffff, v[0:1]
	v_add_nc_u32_e32 v2, 15, v3
	v_cndmask_b32_e64 v3, 0, 1, vcc_lo
	v_cndmask_b32_e32 v2, v7, v2, vcc_lo
	s_delay_alu instid0(VALU_DEP_2)
	v_lshrrev_b64 v[0:1], v3, v[0:1]
; %bb.18978:                            ;   in Loop: Header=BB6_18683 Depth=3
	s_and_not1_saveexec_b32 s14, s14
; %bb.18979:                            ;   in Loop: Header=BB6_18683 Depth=3
	s_delay_alu instid0(VALU_DEP_1)
	v_bfe_u32 v2, v0, 23, 1
; %bb.18980:                            ;   in Loop: Header=BB6_18683 Depth=3
	s_or_b32 exec_lo, exec_lo, s14
	s_delay_alu instid0(VALU_DEP_2) | instskip(NEXT) | instid1(VALU_DEP_2)
	v_lshrrev_b64 v[0:1], 21, v[0:1]
	v_cmp_gt_i32_e32 vcc_lo, 32, v2
	v_min_i32_e32 v3, 31, v2
	v_cmp_eq_u32_e64 s14, 0, v2
	s_delay_alu instid0(VALU_DEP_2) | instskip(SKIP_1) | instid1(VALU_DEP_2)
	v_dual_cndmask_b32 v1, 0, v1, vcc_lo :: v_dual_lshlrev_b32 v3, 2, v3
	v_cndmask_b32_e32 v0, 3, v0, vcc_lo
	v_and_b32_e32 v3, 0xfc, v3
	s_delay_alu instid0(VALU_DEP_2) | instskip(NEXT) | instid1(VALU_DEP_2)
	v_cmp_eq_u64_e32 vcc_lo, 0, v[0:1]
	v_and_or_b32 v0, v0, 3, v3
	s_and_b32 s14, s14, vcc_lo
	s_delay_alu instid0(VALU_DEP_1) | instid1(SALU_CYCLE_1)
	v_cndmask_b32_e64 v0, v0, 0, s14
	s_delay_alu instid0(VALU_DEP_1)
	v_or_b32_e32 v32, v0, v6
.LBB6_18981:                            ;   in Loop: Header=BB6_18683 Depth=3
	s_or_b32 exec_lo, exec_lo, s78
                                        ; implicit-def: $vgpr6
.LBB6_18982:                            ;   in Loop: Header=BB6_18683 Depth=3
	s_and_not1_saveexec_b32 s14, s43
; %bb.18983:                            ;   in Loop: Header=BB6_18683 Depth=3
	v_or_b32_e32 v32, 0x7b, v6
; %bb.18984:                            ;   in Loop: Header=BB6_18683 Depth=3
	s_or_b32 exec_lo, exec_lo, s14
                                        ; implicit-def: $vgpr2
                                        ; implicit-def: $vgpr0_vgpr1
                                        ; implicit-def: $vgpr3
.LBB6_18985:                            ;   in Loop: Header=BB6_18683 Depth=3
	s_and_not1_saveexec_b32 s14, s42
	s_cbranch_execz .LBB6_18991
; %bb.18986:                            ;   in Loop: Header=BB6_18683 Depth=3
	s_mov_b32 s42, exec_lo
                                        ; implicit-def: $vgpr32
	v_cmpx_ne_u64_e32 0, v[0:1]
	s_xor_b32 s42, exec_lo, s42
; %bb.18987:                            ;   in Loop: Header=BB6_18683 Depth=3
	v_or_b32_e32 v32, 0x7f, v3
                                        ; implicit-def: $vgpr2
; %bb.18988:                            ;   in Loop: Header=BB6_18683 Depth=3
	s_and_not1_saveexec_b32 s42, s42
; %bb.18989:                            ;   in Loop: Header=BB6_18683 Depth=3
	v_cmp_lt_i32_e32 vcc_lo, -1, v2
	v_mov_b32_e32 v0, 0x7c
	s_delay_alu instid0(VALU_DEP_1)
	v_cndmask_b32_e32 v32, 0xfc, v0, vcc_lo
; %bb.18990:                            ;   in Loop: Header=BB6_18683 Depth=3
	s_or_b32 exec_lo, exec_lo, s42
.LBB6_18991:                            ;   in Loop: Header=BB6_18683 Depth=3
	s_delay_alu instid0(SALU_CYCLE_1) | instskip(SKIP_2) | instid1(VALU_DEP_1)
	s_or_b32 exec_lo, exec_lo, s14
	v_dual_mov_b32 v1, 0 :: v_dual_lshrrev_b32 v0, 16, v10
	s_mov_b32 s14, exec_lo
	v_and_b32_e32 v2, 0xff, v0
	s_delay_alu instid0(VALU_DEP_1)
	v_cmpx_ne_u16_e32 0, v2
	s_cbranch_execz .LBB6_19001
; %bb.18992:                            ;   in Loop: Header=BB6_18683 Depth=3
	v_bfrev_b32_e32 v1, 1
	s_mov_b32 s42, exec_lo
	v_cmpx_ne_u16_e32 0x80, v2
	s_cbranch_execz .LBB6_19000
; %bb.18993:                            ;   in Loop: Header=BB6_18683 Depth=3
	v_and_b32_e32 v1, 0x7c0000, v10
	v_bfe_u32 v2, v10, 16, 2
	s_delay_alu instid0(VALU_DEP_2) | instskip(SKIP_1) | instid1(SALU_CYCLE_1)
	v_cmp_ne_u32_e32 vcc_lo, 0x7c0000, v1
                                        ; implicit-def: $vgpr1
	s_and_saveexec_b32 s43, vcc_lo
	s_xor_b32 s43, exec_lo, s43
	s_cbranch_execz .LBB6_18997
; %bb.18994:                            ;   in Loop: Header=BB6_18683 Depth=3
	v_bfe_u32 v1, v10, 18, 5
	s_mov_b32 s78, exec_lo
	s_delay_alu instid0(VALU_DEP_1)
	v_cmpx_eq_u32_e32 0, v1
; %bb.18995:                            ;   in Loop: Header=BB6_18683 Depth=3
	v_clz_i32_u32_e32 v1, v2
	s_delay_alu instid0(VALU_DEP_1) | instskip(NEXT) | instid1(VALU_DEP_1)
	v_min_u32_e32 v1, 32, v1
	v_subrev_nc_u32_e32 v2, 29, v1
	s_delay_alu instid0(VALU_DEP_1) | instskip(NEXT) | instid1(VALU_DEP_1)
	v_lshlrev_b64_e32 v[2:3], v2, v[0:1]
	v_dual_sub_nc_u32 v1, 30, v1 :: v_dual_bitop2_b32 v2, 3, v2 bitop3:0x40
; %bb.18996:                            ;   in Loop: Header=BB6_18683 Depth=3
	s_or_b32 exec_lo, exec_lo, s78
	v_lshlrev_b32_e32 v0, 24, v0
	s_delay_alu instid0(VALU_DEP_1) | instskip(NEXT) | instid1(VALU_DEP_1)
	v_and_b32_e32 v0, 0x80000000, v0
	v_lshl_add_u32 v0, v1, 23, v0
	s_delay_alu instid0(VALU_DEP_1) | instskip(NEXT) | instid1(VALU_DEP_1)
	v_lshl_or_b32 v0, v2, 21, v0
                                        ; implicit-def: $vgpr2
	v_add_nc_u32_e32 v1, 0x38000000, v0
                                        ; implicit-def: $vgpr0
.LBB6_18997:                            ;   in Loop: Header=BB6_18683 Depth=3
	s_and_not1_saveexec_b32 s43, s43
; %bb.18998:                            ;   in Loop: Header=BB6_18683 Depth=3
	v_bfe_i32 v0, v0, 0, 8
	s_delay_alu instid0(VALU_DEP_1) | instskip(SKIP_1) | instid1(VALU_DEP_1)
	v_cmp_lt_i16_e32 vcc_lo, -1, v0
	v_mov_b32_e32 v0, 0x7f800000
	v_cndmask_b32_e32 v0, 0xff800000, v0, vcc_lo
	v_cmp_eq_u32_e32 vcc_lo, 0, v2
	s_delay_alu instid0(VALU_DEP_2)
	v_cndmask_b32_e32 v1, 0x7f800001, v0, vcc_lo
; %bb.18999:                            ;   in Loop: Header=BB6_18683 Depth=3
	s_or_b32 exec_lo, exec_lo, s43
.LBB6_19000:                            ;   in Loop: Header=BB6_18683 Depth=3
	s_delay_alu instid0(SALU_CYCLE_1)
	s_or_b32 exec_lo, exec_lo, s42
.LBB6_19001:                            ;   in Loop: Header=BB6_18683 Depth=3
	s_delay_alu instid0(SALU_CYCLE_1) | instskip(NEXT) | instid1(VALU_DEP_1)
	s_or_b32 exec_lo, exec_lo, s14
	v_dual_mul_f32 v2, s15, v1 :: v_dual_mov_b32 v7, v113
	v_mov_b32_e32 v1, v113
                                        ; implicit-def: $vgpr35
	s_mov_b32 s14, exec_lo
	s_delay_alu instid0(VALU_DEP_2) | instskip(SKIP_2) | instid1(VALU_DEP_3)
	v_and_b32_e32 v6, 0x7f800000, v2
	v_and_b32_e32 v0, 0x7fffff, v2
	v_lshrrev_b32_e32 v3, 24, v2
	v_cmpx_ne_u64_e32 0x7f800000, v[6:7]
	s_xor_b32 s42, exec_lo, s14
	s_cbranch_execz .LBB6_19015
; %bb.19002:                            ;   in Loop: Header=BB6_18683 Depth=3
	v_and_b32_e32 v6, 0x7fffffff, v2
	v_mov_b32_e32 v7, v113
                                        ; implicit-def: $vgpr35
	s_delay_alu instid0(VALU_DEP_1) | instskip(SKIP_2) | instid1(SALU_CYCLE_1)
	v_cmp_gt_u64_e32 vcc_lo, 0x47600001, v[6:7]
	v_and_b32_e32 v6, 0x80, v3
	s_and_saveexec_b32 s14, vcc_lo
	s_xor_b32 s43, exec_lo, s14
	s_cbranch_execz .LBB6_19012
; %bb.19003:                            ;   in Loop: Header=BB6_18683 Depth=3
	v_mov_b32_e32 v35, 0
	s_mov_b32 s78, exec_lo
	v_cmpx_ne_u32_e32 0, v2
	s_cbranch_execz .LBB6_19011
; %bb.19004:                            ;   in Loop: Header=BB6_18683 Depth=3
	v_bfe_u32 v7, v2, 23, 8
	v_or_b32_e32 v9, 0x800000, v0
	s_delay_alu instid0(VALU_DEP_2) | instskip(SKIP_1) | instid1(VALU_DEP_2)
	v_sub_nc_u32_e32 v2, 0x71, v7
	v_cmp_gt_u32_e32 vcc_lo, 0x72, v7
	v_cndmask_b32_e32 v2, 0, v2, vcc_lo
	v_cmp_eq_u32_e32 vcc_lo, 0, v7
	s_delay_alu instid0(VALU_DEP_2) | instskip(SKIP_1) | instid1(VALU_DEP_2)
	v_cndmask_b32_e64 v8, v2, 0x70, vcc_lo
	v_cndmask_b32_e32 v0, v9, v0, vcc_lo
	v_dual_add_nc_u32 v2, 21, v8 :: v_dual_add_nc_u32 v27, 20, v8
	s_delay_alu instid0(VALU_DEP_1) | instskip(NEXT) | instid1(VALU_DEP_2)
	v_lshlrev_b64_e64 v[2:3], v2, -1
	v_lshlrev_b64_e64 v[30:31], v27, 1
	s_delay_alu instid0(VALU_DEP_2) | instskip(SKIP_1) | instid1(VALU_DEP_4)
	v_bfi_b32 v2, v2, 0, v0
	v_lshrrev_b64 v[0:1], v8, v[0:1]
	v_bfi_b32 v3, v3, 0, 0
	s_delay_alu instid0(VALU_DEP_1) | instskip(NEXT) | instid1(VALU_DEP_3)
	v_cmp_eq_u64_e64 s14, v[2:3], v[30:31]
	v_mov_b64_e32 v[2:3], v[0:1]
	s_and_saveexec_b32 s79, s14
; %bb.19005:                            ;   in Loop: Header=BB6_18683 Depth=3
	v_bfe_u32 v2, v0, 21, 1
	v_mov_b32_e32 v3, v113
	s_delay_alu instid0(VALU_DEP_1) | instskip(NEXT) | instid1(VALU_DEP_1)
	v_add_nc_u64_e32 v[2:3], v[0:1], v[2:3]
	v_add_nc_u64_e32 v[2:3], -1, v[2:3]
; %bb.19006:                            ;   in Loop: Header=BB6_18683 Depth=3
	s_or_b32 exec_lo, exec_lo, s79
	v_add_nc_u32_e32 v1, 0xffffff81, v7
	v_lshrrev_b32_e32 v3, 23, v0
	s_mov_b32 s14, exec_lo
	s_delay_alu instid0(VALU_DEP_2) | instskip(NEXT) | instid1(VALU_DEP_1)
	v_cndmask_b32_e64 v1, v1, 0xffffff82, vcc_lo
	v_add3_u32 v3, v8, v1, v3
	v_and_b32_e32 v1, 0x1fffff, v2
                                        ; implicit-def: $vgpr2
	s_delay_alu instid0(VALU_DEP_1) | instskip(SKIP_1) | instid1(VALU_DEP_2)
	v_dual_add_nc_u32 v7, 14, v3 :: v_dual_add_nc_u32 v0, v1, v0
	v_mov_b32_e32 v1, v113
	v_cmpx_ne_u32_e32 0, v7
	s_xor_b32 s14, exec_lo, s14
; %bb.19007:                            ;   in Loop: Header=BB6_18683 Depth=3
	s_delay_alu instid0(VALU_DEP_2) | instskip(SKIP_2) | instid1(VALU_DEP_2)
	v_cmp_lt_u64_e32 vcc_lo, 0xffffff, v[0:1]
	v_add_nc_u32_e32 v2, 15, v3
	v_cndmask_b32_e64 v3, 0, 1, vcc_lo
	v_cndmask_b32_e32 v2, v7, v2, vcc_lo
	s_delay_alu instid0(VALU_DEP_2)
	v_lshrrev_b64 v[0:1], v3, v[0:1]
; %bb.19008:                            ;   in Loop: Header=BB6_18683 Depth=3
	s_and_not1_saveexec_b32 s14, s14
; %bb.19009:                            ;   in Loop: Header=BB6_18683 Depth=3
	s_delay_alu instid0(VALU_DEP_1)
	v_bfe_u32 v2, v0, 23, 1
; %bb.19010:                            ;   in Loop: Header=BB6_18683 Depth=3
	s_or_b32 exec_lo, exec_lo, s14
	s_delay_alu instid0(VALU_DEP_2) | instskip(NEXT) | instid1(VALU_DEP_2)
	v_lshrrev_b64 v[0:1], 21, v[0:1]
	v_cmp_gt_i32_e32 vcc_lo, 32, v2
	v_min_i32_e32 v3, 31, v2
	v_cmp_eq_u32_e64 s14, 0, v2
	s_delay_alu instid0(VALU_DEP_2) | instskip(SKIP_1) | instid1(VALU_DEP_2)
	v_dual_cndmask_b32 v1, 0, v1, vcc_lo :: v_dual_lshlrev_b32 v3, 2, v3
	v_cndmask_b32_e32 v0, 3, v0, vcc_lo
	v_and_b32_e32 v3, 0xfc, v3
	s_delay_alu instid0(VALU_DEP_2) | instskip(NEXT) | instid1(VALU_DEP_2)
	v_cmp_eq_u64_e32 vcc_lo, 0, v[0:1]
	v_and_or_b32 v0, v0, 3, v3
	s_and_b32 s14, s14, vcc_lo
	s_delay_alu instid0(VALU_DEP_1) | instid1(SALU_CYCLE_1)
	v_cndmask_b32_e64 v0, v0, 0, s14
	s_delay_alu instid0(VALU_DEP_1)
	v_or_b32_e32 v35, v0, v6
.LBB6_19011:                            ;   in Loop: Header=BB6_18683 Depth=3
	s_or_b32 exec_lo, exec_lo, s78
                                        ; implicit-def: $vgpr6
.LBB6_19012:                            ;   in Loop: Header=BB6_18683 Depth=3
	s_and_not1_saveexec_b32 s14, s43
; %bb.19013:                            ;   in Loop: Header=BB6_18683 Depth=3
	v_or_b32_e32 v35, 0x7b, v6
; %bb.19014:                            ;   in Loop: Header=BB6_18683 Depth=3
	s_or_b32 exec_lo, exec_lo, s14
                                        ; implicit-def: $vgpr2
                                        ; implicit-def: $vgpr0_vgpr1
                                        ; implicit-def: $vgpr3
.LBB6_19015:                            ;   in Loop: Header=BB6_18683 Depth=3
	s_and_not1_saveexec_b32 s14, s42
	s_cbranch_execz .LBB6_19021
; %bb.19016:                            ;   in Loop: Header=BB6_18683 Depth=3
	s_mov_b32 s42, exec_lo
                                        ; implicit-def: $vgpr35
	v_cmpx_ne_u64_e32 0, v[0:1]
	s_xor_b32 s42, exec_lo, s42
; %bb.19017:                            ;   in Loop: Header=BB6_18683 Depth=3
	v_or_b32_e32 v35, 0x7f, v3
                                        ; implicit-def: $vgpr2
; %bb.19018:                            ;   in Loop: Header=BB6_18683 Depth=3
	s_and_not1_saveexec_b32 s42, s42
; %bb.19019:                            ;   in Loop: Header=BB6_18683 Depth=3
	v_cmp_lt_i32_e32 vcc_lo, -1, v2
	v_mov_b32_e32 v0, 0x7c
	s_delay_alu instid0(VALU_DEP_1)
	v_cndmask_b32_e32 v35, 0xfc, v0, vcc_lo
; %bb.19020:                            ;   in Loop: Header=BB6_18683 Depth=3
	s_or_b32 exec_lo, exec_lo, s42
.LBB6_19021:                            ;   in Loop: Header=BB6_18683 Depth=3
	s_delay_alu instid0(SALU_CYCLE_1)
	s_or_b32 exec_lo, exec_lo, s14
	v_mov_b32_e32 v1, 0
	s_mov_b32 s14, exec_lo
	v_cmpx_lt_u32_e32 0xffffff, v10
	s_cbranch_execz .LBB6_19031
; %bb.19022:                            ;   in Loop: Header=BB6_18683 Depth=3
	v_lshrrev_b32_e32 v0, 24, v10
	v_bfrev_b32_e32 v1, 1
	s_mov_b32 s42, exec_lo
	s_delay_alu instid0(VALU_DEP_2)
	v_cmpx_ne_u32_e32 0x80, v0
	s_cbranch_execz .LBB6_19030
; %bb.19023:                            ;   in Loop: Header=BB6_18683 Depth=3
	v_and_b32_e32 v1, 0x7c000000, v10
	v_bfe_u32 v2, v10, 24, 2
	s_delay_alu instid0(VALU_DEP_2) | instskip(SKIP_1) | instid1(SALU_CYCLE_1)
	v_cmp_ne_u32_e32 vcc_lo, 0x7c000000, v1
                                        ; implicit-def: $vgpr1
	s_and_saveexec_b32 s43, vcc_lo
	s_xor_b32 s43, exec_lo, s43
	s_cbranch_execz .LBB6_19027
; %bb.19024:                            ;   in Loop: Header=BB6_18683 Depth=3
	v_bfe_u32 v1, v10, 26, 5
	s_mov_b32 s78, exec_lo
	s_delay_alu instid0(VALU_DEP_1)
	v_cmpx_eq_u32_e32 0, v1
; %bb.19025:                            ;   in Loop: Header=BB6_18683 Depth=3
	v_clz_i32_u32_e32 v1, v2
	s_delay_alu instid0(VALU_DEP_1) | instskip(NEXT) | instid1(VALU_DEP_1)
	v_min_u32_e32 v2, 32, v1
	v_subrev_nc_u32_e32 v1, 29, v2
	s_delay_alu instid0(VALU_DEP_1) | instskip(NEXT) | instid1(VALU_DEP_1)
	v_lshlrev_b64_e32 v[0:1], v1, v[0:1]
	v_dual_sub_nc_u32 v1, 30, v2 :: v_dual_bitop2_b32 v2, 3, v0 bitop3:0x40
; %bb.19026:                            ;   in Loop: Header=BB6_18683 Depth=3
	s_or_b32 exec_lo, exec_lo, s78
	v_and_b32_e32 v0, 0x80000000, v10
	s_delay_alu instid0(VALU_DEP_1) | instskip(NEXT) | instid1(VALU_DEP_1)
	v_lshl_add_u32 v0, v1, 23, v0
	v_lshl_or_b32 v0, v2, 21, v0
                                        ; implicit-def: $vgpr2
	s_delay_alu instid0(VALU_DEP_1)
	v_add_nc_u32_e32 v1, 0x38000000, v0
.LBB6_19027:                            ;   in Loop: Header=BB6_18683 Depth=3
	s_and_not1_saveexec_b32 s43, s43
; %bb.19028:                            ;   in Loop: Header=BB6_18683 Depth=3
	v_cmp_lt_i32_e32 vcc_lo, -1, v10
	v_mov_b32_e32 v0, 0x7f800000
	s_delay_alu instid0(VALU_DEP_1) | instskip(SKIP_1) | instid1(VALU_DEP_2)
	v_cndmask_b32_e32 v0, 0xff800000, v0, vcc_lo
	v_cmp_eq_u32_e32 vcc_lo, 0, v2
	v_cndmask_b32_e32 v1, 0x7f800001, v0, vcc_lo
; %bb.19029:                            ;   in Loop: Header=BB6_18683 Depth=3
	s_or_b32 exec_lo, exec_lo, s43
.LBB6_19030:                            ;   in Loop: Header=BB6_18683 Depth=3
	s_delay_alu instid0(SALU_CYCLE_1)
	s_or_b32 exec_lo, exec_lo, s42
.LBB6_19031:                            ;   in Loop: Header=BB6_18683 Depth=3
	s_delay_alu instid0(SALU_CYCLE_1) | instskip(NEXT) | instid1(VALU_DEP_1)
	s_or_b32 exec_lo, exec_lo, s14
	v_dual_mul_f32 v2, s15, v1 :: v_dual_mov_b32 v7, v113
	v_mov_b32_e32 v1, v113
                                        ; implicit-def: $vgpr37
	s_mov_b32 s14, exec_lo
	s_delay_alu instid0(VALU_DEP_2) | instskip(SKIP_2) | instid1(VALU_DEP_3)
	v_and_b32_e32 v6, 0x7f800000, v2
	v_and_b32_e32 v0, 0x7fffff, v2
	v_lshrrev_b32_e32 v3, 24, v2
	v_cmpx_ne_u64_e32 0x7f800000, v[6:7]
	s_xor_b32 s42, exec_lo, s14
	s_cbranch_execz .LBB6_19045
; %bb.19032:                            ;   in Loop: Header=BB6_18683 Depth=3
	v_and_b32_e32 v6, 0x7fffffff, v2
	v_mov_b32_e32 v7, v113
                                        ; implicit-def: $vgpr37
	s_delay_alu instid0(VALU_DEP_1) | instskip(SKIP_2) | instid1(SALU_CYCLE_1)
	v_cmp_gt_u64_e32 vcc_lo, 0x47600001, v[6:7]
	v_and_b32_e32 v6, 0x80, v3
	s_and_saveexec_b32 s14, vcc_lo
	s_xor_b32 s43, exec_lo, s14
	s_cbranch_execz .LBB6_19042
; %bb.19033:                            ;   in Loop: Header=BB6_18683 Depth=3
	v_mov_b32_e32 v37, 0
	s_mov_b32 s78, exec_lo
	v_cmpx_ne_u32_e32 0, v2
	s_cbranch_execz .LBB6_19041
; %bb.19034:                            ;   in Loop: Header=BB6_18683 Depth=3
	v_bfe_u32 v7, v2, 23, 8
	v_or_b32_e32 v9, 0x800000, v0
	s_delay_alu instid0(VALU_DEP_2) | instskip(SKIP_1) | instid1(VALU_DEP_2)
	v_sub_nc_u32_e32 v2, 0x71, v7
	v_cmp_gt_u32_e32 vcc_lo, 0x72, v7
	v_cndmask_b32_e32 v2, 0, v2, vcc_lo
	v_cmp_eq_u32_e32 vcc_lo, 0, v7
	s_delay_alu instid0(VALU_DEP_2) | instskip(SKIP_1) | instid1(VALU_DEP_2)
	v_cndmask_b32_e64 v8, v2, 0x70, vcc_lo
	v_cndmask_b32_e32 v0, v9, v0, vcc_lo
	v_dual_add_nc_u32 v2, 21, v8 :: v_dual_add_nc_u32 v27, 20, v8
	s_delay_alu instid0(VALU_DEP_1) | instskip(NEXT) | instid1(VALU_DEP_2)
	v_lshlrev_b64_e64 v[2:3], v2, -1
	v_lshlrev_b64_e64 v[30:31], v27, 1
	s_delay_alu instid0(VALU_DEP_2) | instskip(SKIP_1) | instid1(VALU_DEP_4)
	v_bfi_b32 v2, v2, 0, v0
	v_lshrrev_b64 v[0:1], v8, v[0:1]
	v_bfi_b32 v3, v3, 0, 0
	s_delay_alu instid0(VALU_DEP_1) | instskip(NEXT) | instid1(VALU_DEP_3)
	v_cmp_eq_u64_e64 s14, v[2:3], v[30:31]
	v_mov_b64_e32 v[2:3], v[0:1]
	s_and_saveexec_b32 s79, s14
; %bb.19035:                            ;   in Loop: Header=BB6_18683 Depth=3
	v_bfe_u32 v2, v0, 21, 1
	v_mov_b32_e32 v3, v113
	s_delay_alu instid0(VALU_DEP_1) | instskip(NEXT) | instid1(VALU_DEP_1)
	v_add_nc_u64_e32 v[2:3], v[0:1], v[2:3]
	v_add_nc_u64_e32 v[2:3], -1, v[2:3]
; %bb.19036:                            ;   in Loop: Header=BB6_18683 Depth=3
	s_or_b32 exec_lo, exec_lo, s79
	v_add_nc_u32_e32 v1, 0xffffff81, v7
	v_lshrrev_b32_e32 v3, 23, v0
	s_mov_b32 s14, exec_lo
	s_delay_alu instid0(VALU_DEP_2) | instskip(NEXT) | instid1(VALU_DEP_1)
	v_cndmask_b32_e64 v1, v1, 0xffffff82, vcc_lo
	v_add3_u32 v3, v8, v1, v3
	v_and_b32_e32 v1, 0x1fffff, v2
                                        ; implicit-def: $vgpr2
	s_delay_alu instid0(VALU_DEP_1) | instskip(SKIP_1) | instid1(VALU_DEP_2)
	v_dual_add_nc_u32 v7, 14, v3 :: v_dual_add_nc_u32 v0, v1, v0
	v_mov_b32_e32 v1, v113
	v_cmpx_ne_u32_e32 0, v7
	s_xor_b32 s14, exec_lo, s14
; %bb.19037:                            ;   in Loop: Header=BB6_18683 Depth=3
	s_delay_alu instid0(VALU_DEP_2) | instskip(SKIP_2) | instid1(VALU_DEP_2)
	v_cmp_lt_u64_e32 vcc_lo, 0xffffff, v[0:1]
	v_add_nc_u32_e32 v2, 15, v3
	v_cndmask_b32_e64 v3, 0, 1, vcc_lo
	v_cndmask_b32_e32 v2, v7, v2, vcc_lo
	s_delay_alu instid0(VALU_DEP_2)
	v_lshrrev_b64 v[0:1], v3, v[0:1]
; %bb.19038:                            ;   in Loop: Header=BB6_18683 Depth=3
	s_and_not1_saveexec_b32 s14, s14
; %bb.19039:                            ;   in Loop: Header=BB6_18683 Depth=3
	s_delay_alu instid0(VALU_DEP_1)
	v_bfe_u32 v2, v0, 23, 1
; %bb.19040:                            ;   in Loop: Header=BB6_18683 Depth=3
	s_or_b32 exec_lo, exec_lo, s14
	s_delay_alu instid0(VALU_DEP_2) | instskip(NEXT) | instid1(VALU_DEP_2)
	v_lshrrev_b64 v[0:1], 21, v[0:1]
	v_cmp_gt_i32_e32 vcc_lo, 32, v2
	v_min_i32_e32 v3, 31, v2
	v_cmp_eq_u32_e64 s14, 0, v2
	s_delay_alu instid0(VALU_DEP_2) | instskip(SKIP_1) | instid1(VALU_DEP_2)
	v_dual_cndmask_b32 v1, 0, v1, vcc_lo :: v_dual_lshlrev_b32 v3, 2, v3
	v_cndmask_b32_e32 v0, 3, v0, vcc_lo
	v_and_b32_e32 v3, 0xfc, v3
	s_delay_alu instid0(VALU_DEP_2) | instskip(NEXT) | instid1(VALU_DEP_2)
	v_cmp_eq_u64_e32 vcc_lo, 0, v[0:1]
	v_and_or_b32 v0, v0, 3, v3
	s_and_b32 s14, s14, vcc_lo
	s_delay_alu instid0(VALU_DEP_1) | instid1(SALU_CYCLE_1)
	v_cndmask_b32_e64 v0, v0, 0, s14
	s_delay_alu instid0(VALU_DEP_1)
	v_or_b32_e32 v37, v0, v6
.LBB6_19041:                            ;   in Loop: Header=BB6_18683 Depth=3
	s_or_b32 exec_lo, exec_lo, s78
                                        ; implicit-def: $vgpr6
.LBB6_19042:                            ;   in Loop: Header=BB6_18683 Depth=3
	s_and_not1_saveexec_b32 s14, s43
; %bb.19043:                            ;   in Loop: Header=BB6_18683 Depth=3
	v_or_b32_e32 v37, 0x7b, v6
; %bb.19044:                            ;   in Loop: Header=BB6_18683 Depth=3
	s_or_b32 exec_lo, exec_lo, s14
                                        ; implicit-def: $vgpr2
                                        ; implicit-def: $vgpr0_vgpr1
                                        ; implicit-def: $vgpr3
.LBB6_19045:                            ;   in Loop: Header=BB6_18683 Depth=3
	s_and_not1_saveexec_b32 s14, s42
	s_cbranch_execz .LBB6_19051
; %bb.19046:                            ;   in Loop: Header=BB6_18683 Depth=3
	s_mov_b32 s42, exec_lo
                                        ; implicit-def: $vgpr37
	v_cmpx_ne_u64_e32 0, v[0:1]
	s_xor_b32 s42, exec_lo, s42
; %bb.19047:                            ;   in Loop: Header=BB6_18683 Depth=3
	v_or_b32_e32 v37, 0x7f, v3
                                        ; implicit-def: $vgpr2
; %bb.19048:                            ;   in Loop: Header=BB6_18683 Depth=3
	s_and_not1_saveexec_b32 s42, s42
; %bb.19049:                            ;   in Loop: Header=BB6_18683 Depth=3
	v_cmp_lt_i32_e32 vcc_lo, -1, v2
	v_mov_b32_e32 v0, 0x7c
	s_delay_alu instid0(VALU_DEP_1)
	v_cndmask_b32_e32 v37, 0xfc, v0, vcc_lo
; %bb.19050:                            ;   in Loop: Header=BB6_18683 Depth=3
	s_or_b32 exec_lo, exec_lo, s42
.LBB6_19051:                            ;   in Loop: Header=BB6_18683 Depth=3
	s_delay_alu instid0(SALU_CYCLE_1) | instskip(SKIP_4) | instid1(VALU_DEP_3)
	s_or_b32 exec_lo, exec_lo, s14
	v_and_b32_e32 v3, 0xff, v11
	v_dual_mov_b32 v0, v11 :: v_dual_mov_b32 v1, v113
	v_mov_b32_e32 v2, 0
	s_mov_b32 s14, exec_lo
	v_cmpx_ne_u16_e32 0, v3
	s_cbranch_execz .LBB6_19061
; %bb.19052:                            ;   in Loop: Header=BB6_18683 Depth=3
	v_bfrev_b32_e32 v2, 1
	s_mov_b32 s42, exec_lo
	v_cmpx_ne_u16_e32 0x80, v3
	s_cbranch_execz .LBB6_19060
; %bb.19053:                            ;   in Loop: Header=BB6_18683 Depth=3
	v_and_b32_e32 v2, 0x7c, v11
	v_and_b32_e32 v3, 3, v11
	s_delay_alu instid0(VALU_DEP_2) | instskip(SKIP_1) | instid1(SALU_CYCLE_1)
	v_cmp_ne_u32_e32 vcc_lo, 0x7c, v2
                                        ; implicit-def: $vgpr2
	s_and_saveexec_b32 s43, vcc_lo
	s_xor_b32 s43, exec_lo, s43
	s_cbranch_execz .LBB6_19057
; %bb.19054:                            ;   in Loop: Header=BB6_18683 Depth=3
	v_bfe_u32 v2, v11, 2, 5
	s_mov_b32 s78, exec_lo
	s_delay_alu instid0(VALU_DEP_1)
	v_cmpx_eq_u32_e32 0, v2
; %bb.19055:                            ;   in Loop: Header=BB6_18683 Depth=3
	v_clz_i32_u32_e32 v2, v3
	s_delay_alu instid0(VALU_DEP_1) | instskip(NEXT) | instid1(VALU_DEP_1)
	v_min_u32_e32 v2, 32, v2
	v_subrev_nc_u32_e32 v3, 29, v2
	v_sub_nc_u32_e32 v2, 30, v2
	s_delay_alu instid0(VALU_DEP_2) | instskip(NEXT) | instid1(VALU_DEP_1)
	v_lshlrev_b64_e32 v[6:7], v3, v[0:1]
	v_and_b32_e32 v3, 3, v6
; %bb.19056:                            ;   in Loop: Header=BB6_18683 Depth=3
	s_or_b32 exec_lo, exec_lo, s78
	v_lshlrev_b32_e32 v1, 24, v11
	s_delay_alu instid0(VALU_DEP_1) | instskip(NEXT) | instid1(VALU_DEP_1)
	v_and_b32_e32 v1, 0x80000000, v1
	v_lshl_add_u32 v1, v2, 23, v1
	s_delay_alu instid0(VALU_DEP_1) | instskip(NEXT) | instid1(VALU_DEP_1)
	v_lshl_or_b32 v1, v3, 21, v1
                                        ; implicit-def: $vgpr3
	v_add_nc_u32_e32 v2, 0x38000000, v1
.LBB6_19057:                            ;   in Loop: Header=BB6_18683 Depth=3
	s_and_not1_saveexec_b32 s43, s43
; %bb.19058:                            ;   in Loop: Header=BB6_18683 Depth=3
	v_bfe_i32 v1, v11, 0, 8
	s_delay_alu instid0(VALU_DEP_1) | instskip(SKIP_1) | instid1(VALU_DEP_1)
	v_cmp_lt_i16_e32 vcc_lo, -1, v1
	v_mov_b32_e32 v1, 0x7f800000
	v_cndmask_b32_e32 v1, 0xff800000, v1, vcc_lo
	v_cmp_eq_u32_e32 vcc_lo, 0, v3
	s_delay_alu instid0(VALU_DEP_2)
	v_cndmask_b32_e32 v2, 0x7f800001, v1, vcc_lo
; %bb.19059:                            ;   in Loop: Header=BB6_18683 Depth=3
	s_or_b32 exec_lo, exec_lo, s43
.LBB6_19060:                            ;   in Loop: Header=BB6_18683 Depth=3
	s_delay_alu instid0(SALU_CYCLE_1)
	s_or_b32 exec_lo, exec_lo, s42
.LBB6_19061:                            ;   in Loop: Header=BB6_18683 Depth=3
	s_delay_alu instid0(SALU_CYCLE_1) | instskip(NEXT) | instid1(VALU_DEP_1)
	s_or_b32 exec_lo, exec_lo, s14
	v_dual_mul_f32 v6, s15, v2 :: v_dual_mov_b32 v9, v113
	v_mov_b32_e32 v3, v113
                                        ; implicit-def: $vgpr27
	s_mov_b32 s14, exec_lo
	s_delay_alu instid0(VALU_DEP_2) | instskip(SKIP_2) | instid1(VALU_DEP_3)
	v_and_b32_e32 v8, 0x7f800000, v6
	v_and_b32_e32 v2, 0x7fffff, v6
	v_lshrrev_b32_e32 v1, 24, v6
	v_cmpx_ne_u64_e32 0x7f800000, v[8:9]
	s_xor_b32 s42, exec_lo, s14
	s_cbranch_execz .LBB6_19075
; %bb.19062:                            ;   in Loop: Header=BB6_18683 Depth=3
	v_and_b32_e32 v8, 0x7fffffff, v6
	v_mov_b32_e32 v9, v113
	v_and_b32_e32 v1, 0x80, v1
                                        ; implicit-def: $vgpr27
	s_mov_b32 s14, exec_lo
	s_delay_alu instid0(VALU_DEP_2)
	v_cmpx_gt_u64_e32 0x47600001, v[8:9]
	s_xor_b32 s43, exec_lo, s14
	s_cbranch_execz .LBB6_19072
; %bb.19063:                            ;   in Loop: Header=BB6_18683 Depth=3
	v_mov_b32_e32 v27, 0
	s_mov_b32 s78, exec_lo
	v_cmpx_ne_u32_e32 0, v6
	s_cbranch_execz .LBB6_19071
; %bb.19064:                            ;   in Loop: Header=BB6_18683 Depth=3
	v_bfe_u32 v8, v6, 23, 8
	v_or_b32_e32 v27, 0x800000, v2
	s_delay_alu instid0(VALU_DEP_2) | instskip(SKIP_1) | instid1(VALU_DEP_2)
	v_sub_nc_u32_e32 v6, 0x71, v8
	v_cmp_gt_u32_e32 vcc_lo, 0x72, v8
	v_cndmask_b32_e32 v6, 0, v6, vcc_lo
	v_cmp_eq_u32_e32 vcc_lo, 0, v8
	s_delay_alu instid0(VALU_DEP_2) | instskip(NEXT) | instid1(VALU_DEP_1)
	v_cndmask_b32_e64 v9, v6, 0x70, vcc_lo
	v_dual_cndmask_b32 v2, v27, v2, vcc_lo :: v_dual_add_nc_u32 v6, 21, v9
	v_add_nc_u32_e32 v30, 20, v9
	s_delay_alu instid0(VALU_DEP_2) | instskip(NEXT) | instid1(VALU_DEP_2)
	v_lshlrev_b64_e64 v[6:7], v6, -1
	v_lshlrev_b64_e64 v[30:31], v30, 1
	s_delay_alu instid0(VALU_DEP_2) | instskip(SKIP_1) | instid1(VALU_DEP_4)
	v_bfi_b32 v6, v6, 0, v2
	v_lshrrev_b64 v[2:3], v9, v[2:3]
	v_bfi_b32 v7, v7, 0, 0
	s_delay_alu instid0(VALU_DEP_1) | instskip(NEXT) | instid1(VALU_DEP_3)
	v_cmp_eq_u64_e64 s14, v[6:7], v[30:31]
	v_mov_b64_e32 v[6:7], v[2:3]
	s_and_saveexec_b32 s79, s14
; %bb.19065:                            ;   in Loop: Header=BB6_18683 Depth=3
	v_bfe_u32 v6, v2, 21, 1
	v_mov_b32_e32 v7, v113
	s_delay_alu instid0(VALU_DEP_1) | instskip(NEXT) | instid1(VALU_DEP_1)
	v_add_nc_u64_e32 v[6:7], v[2:3], v[6:7]
	v_add_nc_u64_e32 v[6:7], -1, v[6:7]
; %bb.19066:                            ;   in Loop: Header=BB6_18683 Depth=3
	s_or_b32 exec_lo, exec_lo, s79
	v_add_nc_u32_e32 v3, 0xffffff81, v8
	v_lshrrev_b32_e32 v7, 23, v2
	s_mov_b32 s14, exec_lo
	s_delay_alu instid0(VALU_DEP_2) | instskip(NEXT) | instid1(VALU_DEP_1)
	v_cndmask_b32_e64 v3, v3, 0xffffff82, vcc_lo
	v_add3_u32 v7, v9, v3, v7
	v_and_b32_e32 v3, 0x1fffff, v6
                                        ; implicit-def: $vgpr6
	s_delay_alu instid0(VALU_DEP_1) | instskip(SKIP_1) | instid1(VALU_DEP_2)
	v_dual_add_nc_u32 v8, 14, v7 :: v_dual_add_nc_u32 v2, v3, v2
	v_mov_b32_e32 v3, v113
	v_cmpx_ne_u32_e32 0, v8
	s_xor_b32 s14, exec_lo, s14
; %bb.19067:                            ;   in Loop: Header=BB6_18683 Depth=3
	s_delay_alu instid0(VALU_DEP_2) | instskip(SKIP_2) | instid1(VALU_DEP_2)
	v_cmp_lt_u64_e32 vcc_lo, 0xffffff, v[2:3]
	v_add_nc_u32_e32 v6, 15, v7
	v_cndmask_b32_e64 v7, 0, 1, vcc_lo
	v_cndmask_b32_e32 v6, v8, v6, vcc_lo
	s_delay_alu instid0(VALU_DEP_2)
	v_lshrrev_b64 v[2:3], v7, v[2:3]
; %bb.19068:                            ;   in Loop: Header=BB6_18683 Depth=3
	s_and_not1_saveexec_b32 s14, s14
; %bb.19069:                            ;   in Loop: Header=BB6_18683 Depth=3
	s_delay_alu instid0(VALU_DEP_1)
	v_bfe_u32 v6, v2, 23, 1
; %bb.19070:                            ;   in Loop: Header=BB6_18683 Depth=3
	s_or_b32 exec_lo, exec_lo, s14
	s_delay_alu instid0(VALU_DEP_2) | instskip(NEXT) | instid1(VALU_DEP_2)
	v_lshrrev_b64 v[2:3], 21, v[2:3]
	v_cmp_gt_i32_e32 vcc_lo, 32, v6
	v_min_i32_e32 v7, 31, v6
	v_cmp_eq_u32_e64 s14, 0, v6
	s_delay_alu instid0(VALU_DEP_4) | instskip(NEXT) | instid1(VALU_DEP_3)
	v_cndmask_b32_e32 v3, 0, v3, vcc_lo
	v_dual_cndmask_b32 v2, 3, v2 :: v_dual_lshlrev_b32 v7, 2, v7
	s_delay_alu instid0(VALU_DEP_1) | instskip(NEXT) | instid1(VALU_DEP_2)
	v_and_b32_e32 v7, 0xfc, v7
	v_cmp_eq_u64_e32 vcc_lo, 0, v[2:3]
	s_delay_alu instid0(VALU_DEP_2)
	v_and_or_b32 v2, v2, 3, v7
	s_and_b32 s14, s14, vcc_lo
	s_delay_alu instid0(VALU_DEP_1) | instid1(SALU_CYCLE_1)
	v_cndmask_b32_e64 v2, v2, 0, s14
	s_delay_alu instid0(VALU_DEP_1)
	v_or_b32_e32 v27, v2, v1
.LBB6_19071:                            ;   in Loop: Header=BB6_18683 Depth=3
	s_or_b32 exec_lo, exec_lo, s78
                                        ; implicit-def: $vgpr1
.LBB6_19072:                            ;   in Loop: Header=BB6_18683 Depth=3
	s_and_not1_saveexec_b32 s14, s43
; %bb.19073:                            ;   in Loop: Header=BB6_18683 Depth=3
	v_or_b32_e32 v27, 0x7b, v1
; %bb.19074:                            ;   in Loop: Header=BB6_18683 Depth=3
	s_or_b32 exec_lo, exec_lo, s14
                                        ; implicit-def: $vgpr6
                                        ; implicit-def: $vgpr2_vgpr3
                                        ; implicit-def: $vgpr1
.LBB6_19075:                            ;   in Loop: Header=BB6_18683 Depth=3
	s_and_not1_saveexec_b32 s14, s42
	s_cbranch_execz .LBB6_19081
; %bb.19076:                            ;   in Loop: Header=BB6_18683 Depth=3
	s_mov_b32 s42, exec_lo
                                        ; implicit-def: $vgpr27
	v_cmpx_ne_u64_e32 0, v[2:3]
	s_xor_b32 s42, exec_lo, s42
; %bb.19077:                            ;   in Loop: Header=BB6_18683 Depth=3
	v_or_b32_e32 v27, 0x7f, v1
                                        ; implicit-def: $vgpr6
; %bb.19078:                            ;   in Loop: Header=BB6_18683 Depth=3
	s_and_not1_saveexec_b32 s42, s42
; %bb.19079:                            ;   in Loop: Header=BB6_18683 Depth=3
	v_cmp_lt_i32_e32 vcc_lo, -1, v6
	v_mov_b32_e32 v1, 0x7c
	s_delay_alu instid0(VALU_DEP_1)
	v_cndmask_b32_e32 v27, 0xfc, v1, vcc_lo
; %bb.19080:                            ;   in Loop: Header=BB6_18683 Depth=3
	s_or_b32 exec_lo, exec_lo, s42
.LBB6_19081:                            ;   in Loop: Header=BB6_18683 Depth=3
	s_delay_alu instid0(SALU_CYCLE_1) | instskip(SKIP_3) | instid1(VALU_DEP_2)
	s_or_b32 exec_lo, exec_lo, s14
	v_lshrrev_b16 v2, 8, v0
	v_mov_b32_e32 v6, 0
	s_mov_b32 s14, exec_lo
	v_cmpx_ne_u16_e32 0, v2
	s_cbranch_execz .LBB6_19091
; %bb.19082:                            ;   in Loop: Header=BB6_18683 Depth=3
	v_bfrev_b32_e32 v6, 1
	s_mov_b32 s42, exec_lo
	v_cmpx_ne_u16_e32 0x80, v2
	s_cbranch_execz .LBB6_19090
; %bb.19083:                            ;   in Loop: Header=BB6_18683 Depth=3
	v_and_b32_e32 v1, 0xffff, v2
	s_delay_alu instid0(VALU_DEP_1) | instskip(SKIP_1) | instid1(VALU_DEP_2)
	v_and_b32_e32 v6, 0x7c, v1
	v_and_b32_e32 v3, 3, v1
	v_cmp_ne_u32_e32 vcc_lo, 0x7c, v6
                                        ; implicit-def: $vgpr6
	s_and_saveexec_b32 s43, vcc_lo
	s_delay_alu instid0(SALU_CYCLE_1)
	s_xor_b32 s43, exec_lo, s43
	s_cbranch_execz .LBB6_19087
; %bb.19084:                            ;   in Loop: Header=BB6_18683 Depth=3
	v_bfe_u32 v1, v1, 2, 5
	s_mov_b32 s78, exec_lo
	s_delay_alu instid0(VALU_DEP_1)
	v_cmpx_eq_u32_e32 0, v1
	s_cbranch_execz .LBB6_19086
; %bb.19085:                            ;   in Loop: Header=BB6_18683 Depth=3
	v_clz_i32_u32_e32 v1, v3
	s_delay_alu instid0(VALU_DEP_1) | instskip(SKIP_1) | instid1(VALU_DEP_2)
	v_min_u32_e32 v1, 32, v1
	v_mov_b32_e32 v3, v113
	v_subrev_nc_u32_e32 v6, 29, v1
	v_sub_nc_u32_e32 v1, 30, v1
	s_delay_alu instid0(VALU_DEP_2) | instskip(NEXT) | instid1(VALU_DEP_1)
	v_lshlrev_b64_e32 v[2:3], v6, v[2:3]
	v_and_b32_e32 v3, 3, v2
.LBB6_19086:                            ;   in Loop: Header=BB6_18683 Depth=3
	s_or_b32 exec_lo, exec_lo, s78
	v_lshlrev_b32_e32 v0, 16, v0
	s_delay_alu instid0(VALU_DEP_1) | instskip(NEXT) | instid1(VALU_DEP_1)
	v_and_b32_e32 v0, 0x80000000, v0
	v_lshl_add_u32 v0, v1, 23, v0
	s_delay_alu instid0(VALU_DEP_1) | instskip(NEXT) | instid1(VALU_DEP_1)
	v_lshl_or_b32 v0, v3, 21, v0
                                        ; implicit-def: $vgpr3
	v_add_nc_u32_e32 v6, 0x38000000, v0
                                        ; implicit-def: $vgpr0_vgpr1
.LBB6_19087:                            ;   in Loop: Header=BB6_18683 Depth=3
	s_and_not1_saveexec_b32 s43, s43
; %bb.19088:                            ;   in Loop: Header=BB6_18683 Depth=3
	v_cmp_lt_i16_e32 vcc_lo, -1, v0
	v_mov_b32_e32 v0, 0x7f800000
	s_delay_alu instid0(VALU_DEP_1) | instskip(SKIP_1) | instid1(VALU_DEP_2)
	v_cndmask_b32_e32 v0, 0xff800000, v0, vcc_lo
	v_cmp_eq_u32_e32 vcc_lo, 0, v3
	v_cndmask_b32_e32 v6, 0x7f800001, v0, vcc_lo
; %bb.19089:                            ;   in Loop: Header=BB6_18683 Depth=3
	s_or_b32 exec_lo, exec_lo, s43
.LBB6_19090:                            ;   in Loop: Header=BB6_18683 Depth=3
	s_delay_alu instid0(SALU_CYCLE_1)
	s_or_b32 exec_lo, exec_lo, s42
.LBB6_19091:                            ;   in Loop: Header=BB6_18683 Depth=3
	s_delay_alu instid0(SALU_CYCLE_1) | instskip(NEXT) | instid1(VALU_DEP_1)
	s_or_b32 exec_lo, exec_lo, s14
	v_dual_mul_f32 v2, s15, v6 :: v_dual_mov_b32 v7, v113
	v_mov_b32_e32 v1, v113
                                        ; implicit-def: $vgpr30
	s_mov_b32 s14, exec_lo
	s_delay_alu instid0(VALU_DEP_2) | instskip(SKIP_2) | instid1(VALU_DEP_3)
	v_and_b32_e32 v6, 0x7f800000, v2
	v_and_b32_e32 v0, 0x7fffff, v2
	v_lshrrev_b32_e32 v3, 24, v2
	v_cmpx_ne_u64_e32 0x7f800000, v[6:7]
	s_xor_b32 s42, exec_lo, s14
	s_cbranch_execz .LBB6_19105
; %bb.19092:                            ;   in Loop: Header=BB6_18683 Depth=3
	v_and_b32_e32 v6, 0x7fffffff, v2
	v_mov_b32_e32 v7, v113
                                        ; implicit-def: $vgpr30
	s_delay_alu instid0(VALU_DEP_1) | instskip(SKIP_2) | instid1(SALU_CYCLE_1)
	v_cmp_gt_u64_e32 vcc_lo, 0x47600001, v[6:7]
	v_and_b32_e32 v6, 0x80, v3
	s_and_saveexec_b32 s14, vcc_lo
	s_xor_b32 s43, exec_lo, s14
	s_cbranch_execz .LBB6_19102
; %bb.19093:                            ;   in Loop: Header=BB6_18683 Depth=3
	v_mov_b32_e32 v30, 0
	s_mov_b32 s78, exec_lo
	v_cmpx_ne_u32_e32 0, v2
	s_cbranch_execz .LBB6_19101
; %bb.19094:                            ;   in Loop: Header=BB6_18683 Depth=3
	v_bfe_u32 v7, v2, 23, 8
	v_or_b32_e32 v9, 0x800000, v0
	s_delay_alu instid0(VALU_DEP_2) | instskip(SKIP_1) | instid1(VALU_DEP_2)
	v_sub_nc_u32_e32 v2, 0x71, v7
	v_cmp_gt_u32_e32 vcc_lo, 0x72, v7
	v_cndmask_b32_e32 v2, 0, v2, vcc_lo
	v_cmp_eq_u32_e32 vcc_lo, 0, v7
	s_delay_alu instid0(VALU_DEP_2) | instskip(SKIP_1) | instid1(VALU_DEP_2)
	v_cndmask_b32_e64 v8, v2, 0x70, vcc_lo
	v_cndmask_b32_e32 v0, v9, v0, vcc_lo
	v_dual_add_nc_u32 v2, 21, v8 :: v_dual_add_nc_u32 v30, 20, v8
	s_delay_alu instid0(VALU_DEP_1) | instskip(NEXT) | instid1(VALU_DEP_2)
	v_lshlrev_b64_e64 v[2:3], v2, -1
	v_lshlrev_b64_e64 v[30:31], v30, 1
	s_delay_alu instid0(VALU_DEP_2) | instskip(SKIP_1) | instid1(VALU_DEP_4)
	v_bfi_b32 v2, v2, 0, v0
	v_lshrrev_b64 v[0:1], v8, v[0:1]
	v_bfi_b32 v3, v3, 0, 0
	s_delay_alu instid0(VALU_DEP_1) | instskip(NEXT) | instid1(VALU_DEP_3)
	v_cmp_eq_u64_e64 s14, v[2:3], v[30:31]
	v_mov_b64_e32 v[2:3], v[0:1]
	s_and_saveexec_b32 s79, s14
; %bb.19095:                            ;   in Loop: Header=BB6_18683 Depth=3
	v_bfe_u32 v2, v0, 21, 1
	v_mov_b32_e32 v3, v113
	s_delay_alu instid0(VALU_DEP_1) | instskip(NEXT) | instid1(VALU_DEP_1)
	v_add_nc_u64_e32 v[2:3], v[0:1], v[2:3]
	v_add_nc_u64_e32 v[2:3], -1, v[2:3]
; %bb.19096:                            ;   in Loop: Header=BB6_18683 Depth=3
	s_or_b32 exec_lo, exec_lo, s79
	v_add_nc_u32_e32 v1, 0xffffff81, v7
	v_lshrrev_b32_e32 v3, 23, v0
	s_mov_b32 s14, exec_lo
	s_delay_alu instid0(VALU_DEP_2) | instskip(NEXT) | instid1(VALU_DEP_1)
	v_cndmask_b32_e64 v1, v1, 0xffffff82, vcc_lo
	v_add3_u32 v3, v8, v1, v3
	v_and_b32_e32 v1, 0x1fffff, v2
                                        ; implicit-def: $vgpr2
	s_delay_alu instid0(VALU_DEP_1) | instskip(SKIP_1) | instid1(VALU_DEP_2)
	v_dual_add_nc_u32 v7, 14, v3 :: v_dual_add_nc_u32 v0, v1, v0
	v_mov_b32_e32 v1, v113
	v_cmpx_ne_u32_e32 0, v7
	s_xor_b32 s14, exec_lo, s14
; %bb.19097:                            ;   in Loop: Header=BB6_18683 Depth=3
	s_delay_alu instid0(VALU_DEP_2) | instskip(SKIP_2) | instid1(VALU_DEP_2)
	v_cmp_lt_u64_e32 vcc_lo, 0xffffff, v[0:1]
	v_add_nc_u32_e32 v2, 15, v3
	v_cndmask_b32_e64 v3, 0, 1, vcc_lo
	v_cndmask_b32_e32 v2, v7, v2, vcc_lo
	s_delay_alu instid0(VALU_DEP_2)
	v_lshrrev_b64 v[0:1], v3, v[0:1]
; %bb.19098:                            ;   in Loop: Header=BB6_18683 Depth=3
	s_and_not1_saveexec_b32 s14, s14
; %bb.19099:                            ;   in Loop: Header=BB6_18683 Depth=3
	s_delay_alu instid0(VALU_DEP_1)
	v_bfe_u32 v2, v0, 23, 1
; %bb.19100:                            ;   in Loop: Header=BB6_18683 Depth=3
	s_or_b32 exec_lo, exec_lo, s14
	s_delay_alu instid0(VALU_DEP_2) | instskip(NEXT) | instid1(VALU_DEP_2)
	v_lshrrev_b64 v[0:1], 21, v[0:1]
	v_cmp_gt_i32_e32 vcc_lo, 32, v2
	v_min_i32_e32 v3, 31, v2
	v_cmp_eq_u32_e64 s14, 0, v2
	s_delay_alu instid0(VALU_DEP_2) | instskip(SKIP_1) | instid1(VALU_DEP_2)
	v_dual_cndmask_b32 v1, 0, v1, vcc_lo :: v_dual_lshlrev_b32 v3, 2, v3
	v_cndmask_b32_e32 v0, 3, v0, vcc_lo
	v_and_b32_e32 v3, 0xfc, v3
	s_delay_alu instid0(VALU_DEP_2) | instskip(NEXT) | instid1(VALU_DEP_2)
	v_cmp_eq_u64_e32 vcc_lo, 0, v[0:1]
	v_and_or_b32 v0, v0, 3, v3
	s_and_b32 s14, s14, vcc_lo
	s_delay_alu instid0(VALU_DEP_1) | instid1(SALU_CYCLE_1)
	v_cndmask_b32_e64 v0, v0, 0, s14
	s_delay_alu instid0(VALU_DEP_1)
	v_or_b32_e32 v30, v0, v6
.LBB6_19101:                            ;   in Loop: Header=BB6_18683 Depth=3
	s_or_b32 exec_lo, exec_lo, s78
                                        ; implicit-def: $vgpr6
.LBB6_19102:                            ;   in Loop: Header=BB6_18683 Depth=3
	s_and_not1_saveexec_b32 s14, s43
; %bb.19103:                            ;   in Loop: Header=BB6_18683 Depth=3
	v_or_b32_e32 v30, 0x7b, v6
; %bb.19104:                            ;   in Loop: Header=BB6_18683 Depth=3
	s_or_b32 exec_lo, exec_lo, s14
                                        ; implicit-def: $vgpr2
                                        ; implicit-def: $vgpr0_vgpr1
                                        ; implicit-def: $vgpr3
.LBB6_19105:                            ;   in Loop: Header=BB6_18683 Depth=3
	s_and_not1_saveexec_b32 s14, s42
	s_cbranch_execz .LBB6_19111
; %bb.19106:                            ;   in Loop: Header=BB6_18683 Depth=3
	s_mov_b32 s42, exec_lo
                                        ; implicit-def: $vgpr30
	v_cmpx_ne_u64_e32 0, v[0:1]
	s_xor_b32 s42, exec_lo, s42
; %bb.19107:                            ;   in Loop: Header=BB6_18683 Depth=3
	v_or_b32_e32 v30, 0x7f, v3
                                        ; implicit-def: $vgpr2
; %bb.19108:                            ;   in Loop: Header=BB6_18683 Depth=3
	s_and_not1_saveexec_b32 s42, s42
; %bb.19109:                            ;   in Loop: Header=BB6_18683 Depth=3
	v_cmp_lt_i32_e32 vcc_lo, -1, v2
	v_mov_b32_e32 v0, 0x7c
	s_delay_alu instid0(VALU_DEP_1)
	v_cndmask_b32_e32 v30, 0xfc, v0, vcc_lo
; %bb.19110:                            ;   in Loop: Header=BB6_18683 Depth=3
	s_or_b32 exec_lo, exec_lo, s42
.LBB6_19111:                            ;   in Loop: Header=BB6_18683 Depth=3
	s_delay_alu instid0(SALU_CYCLE_1) | instskip(SKIP_2) | instid1(VALU_DEP_1)
	s_or_b32 exec_lo, exec_lo, s14
	v_dual_mov_b32 v1, 0 :: v_dual_lshrrev_b32 v0, 16, v11
	s_mov_b32 s14, exec_lo
	v_and_b32_e32 v2, 0xff, v0
	s_delay_alu instid0(VALU_DEP_1)
	v_cmpx_ne_u16_e32 0, v2
	s_cbranch_execz .LBB6_19121
; %bb.19112:                            ;   in Loop: Header=BB6_18683 Depth=3
	v_bfrev_b32_e32 v1, 1
	s_mov_b32 s42, exec_lo
	v_cmpx_ne_u16_e32 0x80, v2
	s_cbranch_execz .LBB6_19120
; %bb.19113:                            ;   in Loop: Header=BB6_18683 Depth=3
	v_and_b32_e32 v1, 0x7c0000, v11
	v_bfe_u32 v2, v11, 16, 2
	s_delay_alu instid0(VALU_DEP_2) | instskip(SKIP_1) | instid1(SALU_CYCLE_1)
	v_cmp_ne_u32_e32 vcc_lo, 0x7c0000, v1
                                        ; implicit-def: $vgpr1
	s_and_saveexec_b32 s43, vcc_lo
	s_xor_b32 s43, exec_lo, s43
	s_cbranch_execz .LBB6_19117
; %bb.19114:                            ;   in Loop: Header=BB6_18683 Depth=3
	v_bfe_u32 v1, v11, 18, 5
	s_mov_b32 s78, exec_lo
	s_delay_alu instid0(VALU_DEP_1)
	v_cmpx_eq_u32_e32 0, v1
; %bb.19115:                            ;   in Loop: Header=BB6_18683 Depth=3
	v_clz_i32_u32_e32 v1, v2
	s_delay_alu instid0(VALU_DEP_1) | instskip(NEXT) | instid1(VALU_DEP_1)
	v_min_u32_e32 v1, 32, v1
	v_subrev_nc_u32_e32 v2, 29, v1
	s_delay_alu instid0(VALU_DEP_1) | instskip(NEXT) | instid1(VALU_DEP_1)
	v_lshlrev_b64_e32 v[2:3], v2, v[0:1]
	v_dual_sub_nc_u32 v1, 30, v1 :: v_dual_bitop2_b32 v2, 3, v2 bitop3:0x40
; %bb.19116:                            ;   in Loop: Header=BB6_18683 Depth=3
	s_or_b32 exec_lo, exec_lo, s78
	v_lshlrev_b32_e32 v0, 24, v0
	s_delay_alu instid0(VALU_DEP_1) | instskip(NEXT) | instid1(VALU_DEP_1)
	v_and_b32_e32 v0, 0x80000000, v0
	v_lshl_add_u32 v0, v1, 23, v0
	s_delay_alu instid0(VALU_DEP_1) | instskip(NEXT) | instid1(VALU_DEP_1)
	v_lshl_or_b32 v0, v2, 21, v0
                                        ; implicit-def: $vgpr2
	v_add_nc_u32_e32 v1, 0x38000000, v0
                                        ; implicit-def: $vgpr0
.LBB6_19117:                            ;   in Loop: Header=BB6_18683 Depth=3
	s_and_not1_saveexec_b32 s43, s43
; %bb.19118:                            ;   in Loop: Header=BB6_18683 Depth=3
	v_bfe_i32 v0, v0, 0, 8
	s_delay_alu instid0(VALU_DEP_1) | instskip(SKIP_1) | instid1(VALU_DEP_1)
	v_cmp_lt_i16_e32 vcc_lo, -1, v0
	v_mov_b32_e32 v0, 0x7f800000
	v_cndmask_b32_e32 v0, 0xff800000, v0, vcc_lo
	v_cmp_eq_u32_e32 vcc_lo, 0, v2
	s_delay_alu instid0(VALU_DEP_2)
	v_cndmask_b32_e32 v1, 0x7f800001, v0, vcc_lo
; %bb.19119:                            ;   in Loop: Header=BB6_18683 Depth=3
	s_or_b32 exec_lo, exec_lo, s43
.LBB6_19120:                            ;   in Loop: Header=BB6_18683 Depth=3
	s_delay_alu instid0(SALU_CYCLE_1)
	s_or_b32 exec_lo, exec_lo, s42
.LBB6_19121:                            ;   in Loop: Header=BB6_18683 Depth=3
	s_delay_alu instid0(SALU_CYCLE_1) | instskip(NEXT) | instid1(VALU_DEP_1)
	s_or_b32 exec_lo, exec_lo, s14
	v_dual_mul_f32 v2, s15, v1 :: v_dual_mov_b32 v7, v113
	v_mov_b32_e32 v1, v113
                                        ; implicit-def: $vgpr31
	s_mov_b32 s14, exec_lo
	s_delay_alu instid0(VALU_DEP_2) | instskip(SKIP_2) | instid1(VALU_DEP_3)
	v_and_b32_e32 v6, 0x7f800000, v2
	v_and_b32_e32 v0, 0x7fffff, v2
	v_lshrrev_b32_e32 v3, 24, v2
	v_cmpx_ne_u64_e32 0x7f800000, v[6:7]
	s_xor_b32 s42, exec_lo, s14
	s_cbranch_execz .LBB6_19135
; %bb.19122:                            ;   in Loop: Header=BB6_18683 Depth=3
	v_and_b32_e32 v6, 0x7fffffff, v2
	v_mov_b32_e32 v7, v113
                                        ; implicit-def: $vgpr31
	s_delay_alu instid0(VALU_DEP_1) | instskip(SKIP_2) | instid1(SALU_CYCLE_1)
	v_cmp_gt_u64_e32 vcc_lo, 0x47600001, v[6:7]
	v_and_b32_e32 v6, 0x80, v3
	s_and_saveexec_b32 s14, vcc_lo
	s_xor_b32 s43, exec_lo, s14
	s_cbranch_execz .LBB6_19132
; %bb.19123:                            ;   in Loop: Header=BB6_18683 Depth=3
	v_mov_b32_e32 v31, 0
	s_mov_b32 s78, exec_lo
	v_cmpx_ne_u32_e32 0, v2
	s_cbranch_execz .LBB6_19131
; %bb.19124:                            ;   in Loop: Header=BB6_18683 Depth=3
	v_bfe_u32 v7, v2, 23, 8
	v_or_b32_e32 v9, 0x800000, v0
	s_delay_alu instid0(VALU_DEP_2) | instskip(SKIP_1) | instid1(VALU_DEP_2)
	v_sub_nc_u32_e32 v2, 0x71, v7
	v_cmp_gt_u32_e32 vcc_lo, 0x72, v7
	v_cndmask_b32_e32 v2, 0, v2, vcc_lo
	v_cmp_eq_u32_e32 vcc_lo, 0, v7
	s_delay_alu instid0(VALU_DEP_2) | instskip(SKIP_1) | instid1(VALU_DEP_2)
	v_cndmask_b32_e64 v8, v2, 0x70, vcc_lo
	v_cndmask_b32_e32 v0, v9, v0, vcc_lo
	v_dual_add_nc_u32 v2, 21, v8 :: v_dual_add_nc_u32 v31, 20, v8
	s_delay_alu instid0(VALU_DEP_1) | instskip(NEXT) | instid1(VALU_DEP_2)
	v_lshlrev_b64_e64 v[2:3], v2, -1
	v_lshlrev_b64_e64 v[48:49], v31, 1
	s_delay_alu instid0(VALU_DEP_2) | instskip(SKIP_1) | instid1(VALU_DEP_4)
	v_bfi_b32 v2, v2, 0, v0
	v_lshrrev_b64 v[0:1], v8, v[0:1]
	v_bfi_b32 v3, v3, 0, 0
	s_delay_alu instid0(VALU_DEP_1) | instskip(NEXT) | instid1(VALU_DEP_3)
	v_cmp_eq_u64_e64 s14, v[2:3], v[48:49]
	v_mov_b64_e32 v[2:3], v[0:1]
	s_and_saveexec_b32 s79, s14
; %bb.19125:                            ;   in Loop: Header=BB6_18683 Depth=3
	v_bfe_u32 v2, v0, 21, 1
	v_mov_b32_e32 v3, v113
	s_delay_alu instid0(VALU_DEP_1) | instskip(NEXT) | instid1(VALU_DEP_1)
	v_add_nc_u64_e32 v[2:3], v[0:1], v[2:3]
	v_add_nc_u64_e32 v[2:3], -1, v[2:3]
; %bb.19126:                            ;   in Loop: Header=BB6_18683 Depth=3
	s_or_b32 exec_lo, exec_lo, s79
	v_add_nc_u32_e32 v1, 0xffffff81, v7
	v_lshrrev_b32_e32 v3, 23, v0
	s_mov_b32 s14, exec_lo
	s_delay_alu instid0(VALU_DEP_2) | instskip(NEXT) | instid1(VALU_DEP_1)
	v_cndmask_b32_e64 v1, v1, 0xffffff82, vcc_lo
	v_add3_u32 v3, v8, v1, v3
	v_and_b32_e32 v1, 0x1fffff, v2
                                        ; implicit-def: $vgpr2
	s_delay_alu instid0(VALU_DEP_1) | instskip(SKIP_1) | instid1(VALU_DEP_2)
	v_dual_add_nc_u32 v7, 14, v3 :: v_dual_add_nc_u32 v0, v1, v0
	v_mov_b32_e32 v1, v113
	v_cmpx_ne_u32_e32 0, v7
	s_xor_b32 s14, exec_lo, s14
; %bb.19127:                            ;   in Loop: Header=BB6_18683 Depth=3
	s_delay_alu instid0(VALU_DEP_2) | instskip(SKIP_2) | instid1(VALU_DEP_2)
	v_cmp_lt_u64_e32 vcc_lo, 0xffffff, v[0:1]
	v_add_nc_u32_e32 v2, 15, v3
	v_cndmask_b32_e64 v3, 0, 1, vcc_lo
	v_cndmask_b32_e32 v2, v7, v2, vcc_lo
	s_delay_alu instid0(VALU_DEP_2)
	v_lshrrev_b64 v[0:1], v3, v[0:1]
; %bb.19128:                            ;   in Loop: Header=BB6_18683 Depth=3
	s_and_not1_saveexec_b32 s14, s14
; %bb.19129:                            ;   in Loop: Header=BB6_18683 Depth=3
	s_delay_alu instid0(VALU_DEP_1)
	v_bfe_u32 v2, v0, 23, 1
; %bb.19130:                            ;   in Loop: Header=BB6_18683 Depth=3
	s_or_b32 exec_lo, exec_lo, s14
	s_delay_alu instid0(VALU_DEP_2) | instskip(NEXT) | instid1(VALU_DEP_2)
	v_lshrrev_b64 v[0:1], 21, v[0:1]
	v_cmp_gt_i32_e32 vcc_lo, 32, v2
	v_min_i32_e32 v3, 31, v2
	v_cmp_eq_u32_e64 s14, 0, v2
	s_delay_alu instid0(VALU_DEP_2) | instskip(SKIP_1) | instid1(VALU_DEP_2)
	v_dual_cndmask_b32 v1, 0, v1, vcc_lo :: v_dual_lshlrev_b32 v3, 2, v3
	v_cndmask_b32_e32 v0, 3, v0, vcc_lo
	v_and_b32_e32 v3, 0xfc, v3
	s_delay_alu instid0(VALU_DEP_2) | instskip(NEXT) | instid1(VALU_DEP_2)
	v_cmp_eq_u64_e32 vcc_lo, 0, v[0:1]
	v_and_or_b32 v0, v0, 3, v3
	s_and_b32 s14, s14, vcc_lo
	s_delay_alu instid0(VALU_DEP_1) | instid1(SALU_CYCLE_1)
	v_cndmask_b32_e64 v0, v0, 0, s14
	s_delay_alu instid0(VALU_DEP_1)
	v_or_b32_e32 v31, v0, v6
.LBB6_19131:                            ;   in Loop: Header=BB6_18683 Depth=3
	s_or_b32 exec_lo, exec_lo, s78
                                        ; implicit-def: $vgpr6
.LBB6_19132:                            ;   in Loop: Header=BB6_18683 Depth=3
	s_and_not1_saveexec_b32 s14, s43
; %bb.19133:                            ;   in Loop: Header=BB6_18683 Depth=3
	v_or_b32_e32 v31, 0x7b, v6
; %bb.19134:                            ;   in Loop: Header=BB6_18683 Depth=3
	s_or_b32 exec_lo, exec_lo, s14
                                        ; implicit-def: $vgpr2
                                        ; implicit-def: $vgpr0_vgpr1
                                        ; implicit-def: $vgpr3
.LBB6_19135:                            ;   in Loop: Header=BB6_18683 Depth=3
	s_and_not1_saveexec_b32 s14, s42
	s_cbranch_execz .LBB6_19141
; %bb.19136:                            ;   in Loop: Header=BB6_18683 Depth=3
	s_mov_b32 s42, exec_lo
                                        ; implicit-def: $vgpr31
	v_cmpx_ne_u64_e32 0, v[0:1]
	s_xor_b32 s42, exec_lo, s42
; %bb.19137:                            ;   in Loop: Header=BB6_18683 Depth=3
	v_or_b32_e32 v31, 0x7f, v3
                                        ; implicit-def: $vgpr2
; %bb.19138:                            ;   in Loop: Header=BB6_18683 Depth=3
	s_and_not1_saveexec_b32 s42, s42
; %bb.19139:                            ;   in Loop: Header=BB6_18683 Depth=3
	v_cmp_lt_i32_e32 vcc_lo, -1, v2
	v_mov_b32_e32 v0, 0x7c
	s_delay_alu instid0(VALU_DEP_1)
	v_cndmask_b32_e32 v31, 0xfc, v0, vcc_lo
; %bb.19140:                            ;   in Loop: Header=BB6_18683 Depth=3
	s_or_b32 exec_lo, exec_lo, s42
.LBB6_19141:                            ;   in Loop: Header=BB6_18683 Depth=3
	s_delay_alu instid0(SALU_CYCLE_1)
	s_or_b32 exec_lo, exec_lo, s14
	v_mov_b32_e32 v1, 0
	s_mov_b32 s14, exec_lo
	v_cmpx_lt_u64_e64 s[22:23], v[10:11]
	s_cbranch_execz .LBB6_19151
; %bb.19142:                            ;   in Loop: Header=BB6_18683 Depth=3
	v_lshrrev_b32_e32 v0, 24, v11
	v_bfrev_b32_e32 v1, 1
	s_mov_b32 s42, exec_lo
	s_delay_alu instid0(VALU_DEP_2)
	v_cmpx_ne_u32_e32 0x80, v0
	s_cbranch_execz .LBB6_19150
; %bb.19143:                            ;   in Loop: Header=BB6_18683 Depth=3
	v_and_b32_e32 v1, 0x7c000000, v11
	v_bfe_u32 v2, v11, 24, 2
	s_delay_alu instid0(VALU_DEP_2) | instskip(SKIP_1) | instid1(SALU_CYCLE_1)
	v_cmp_ne_u32_e32 vcc_lo, 0x7c000000, v1
                                        ; implicit-def: $vgpr1
	s_and_saveexec_b32 s43, vcc_lo
	s_xor_b32 s43, exec_lo, s43
	s_cbranch_execz .LBB6_19147
; %bb.19144:                            ;   in Loop: Header=BB6_18683 Depth=3
	v_bfe_u32 v1, v11, 26, 5
	s_mov_b32 s78, exec_lo
	s_delay_alu instid0(VALU_DEP_1)
	v_cmpx_eq_u32_e32 0, v1
; %bb.19145:                            ;   in Loop: Header=BB6_18683 Depth=3
	v_clz_i32_u32_e32 v1, v2
	s_delay_alu instid0(VALU_DEP_1) | instskip(NEXT) | instid1(VALU_DEP_1)
	v_min_u32_e32 v2, 32, v1
	v_subrev_nc_u32_e32 v1, 29, v2
	s_delay_alu instid0(VALU_DEP_1) | instskip(NEXT) | instid1(VALU_DEP_1)
	v_lshlrev_b64_e32 v[0:1], v1, v[0:1]
	v_dual_sub_nc_u32 v1, 30, v2 :: v_dual_bitop2_b32 v2, 3, v0 bitop3:0x40
; %bb.19146:                            ;   in Loop: Header=BB6_18683 Depth=3
	s_or_b32 exec_lo, exec_lo, s78
	v_and_b32_e32 v0, 0x80000000, v11
                                        ; implicit-def: $vgpr10_vgpr11
	s_delay_alu instid0(VALU_DEP_1) | instskip(NEXT) | instid1(VALU_DEP_1)
	v_lshl_add_u32 v0, v1, 23, v0
	v_lshl_or_b32 v0, v2, 21, v0
                                        ; implicit-def: $vgpr2
	s_delay_alu instid0(VALU_DEP_1)
	v_add_nc_u32_e32 v1, 0x38000000, v0
.LBB6_19147:                            ;   in Loop: Header=BB6_18683 Depth=3
	s_and_not1_saveexec_b32 s43, s43
; %bb.19148:                            ;   in Loop: Header=BB6_18683 Depth=3
	v_cmp_lt_i64_e32 vcc_lo, -1, v[10:11]
	v_mov_b32_e32 v0, 0x7f800000
	s_delay_alu instid0(VALU_DEP_1) | instskip(SKIP_1) | instid1(VALU_DEP_2)
	v_cndmask_b32_e32 v0, 0xff800000, v0, vcc_lo
	v_cmp_eq_u32_e32 vcc_lo, 0, v2
	v_cndmask_b32_e32 v1, 0x7f800001, v0, vcc_lo
; %bb.19149:                            ;   in Loop: Header=BB6_18683 Depth=3
	s_or_b32 exec_lo, exec_lo, s43
.LBB6_19150:                            ;   in Loop: Header=BB6_18683 Depth=3
	s_delay_alu instid0(SALU_CYCLE_1)
	s_or_b32 exec_lo, exec_lo, s42
.LBB6_19151:                            ;   in Loop: Header=BB6_18683 Depth=3
	s_delay_alu instid0(SALU_CYCLE_1) | instskip(NEXT) | instid1(VALU_DEP_1)
	s_or_b32 exec_lo, exec_lo, s14
	v_dual_mul_f32 v2, s15, v1 :: v_dual_mov_b32 v7, v113
	v_mov_b32_e32 v1, v113
                                        ; implicit-def: $vgpr34
	s_mov_b32 s14, exec_lo
	s_delay_alu instid0(VALU_DEP_2) | instskip(SKIP_2) | instid1(VALU_DEP_3)
	v_and_b32_e32 v6, 0x7f800000, v2
	v_and_b32_e32 v0, 0x7fffff, v2
	v_lshrrev_b32_e32 v3, 24, v2
	v_cmpx_ne_u64_e32 0x7f800000, v[6:7]
	s_xor_b32 s15, exec_lo, s14
	s_cbranch_execz .LBB6_19165
; %bb.19152:                            ;   in Loop: Header=BB6_18683 Depth=3
	v_and_b32_e32 v6, 0x7fffffff, v2
	v_mov_b32_e32 v7, v113
                                        ; implicit-def: $vgpr34
	s_delay_alu instid0(VALU_DEP_1) | instskip(SKIP_2) | instid1(SALU_CYCLE_1)
	v_cmp_gt_u64_e32 vcc_lo, 0x47600001, v[6:7]
	v_and_b32_e32 v6, 0x80, v3
	s_and_saveexec_b32 s14, vcc_lo
	s_xor_b32 s42, exec_lo, s14
	s_cbranch_execz .LBB6_19162
; %bb.19153:                            ;   in Loop: Header=BB6_18683 Depth=3
	v_mov_b32_e32 v34, 0
	s_mov_b32 s43, exec_lo
	v_cmpx_ne_u32_e32 0, v2
	s_cbranch_execz .LBB6_19161
; %bb.19154:                            ;   in Loop: Header=BB6_18683 Depth=3
	v_bfe_u32 v7, v2, 23, 8
	v_or_b32_e32 v9, 0x800000, v0
	s_delay_alu instid0(VALU_DEP_2) | instskip(SKIP_1) | instid1(VALU_DEP_2)
	v_sub_nc_u32_e32 v2, 0x71, v7
	v_cmp_gt_u32_e32 vcc_lo, 0x72, v7
	v_cndmask_b32_e32 v2, 0, v2, vcc_lo
	v_cmp_eq_u32_e32 vcc_lo, 0, v7
	s_delay_alu instid0(VALU_DEP_2) | instskip(SKIP_1) | instid1(VALU_DEP_2)
	v_cndmask_b32_e64 v8, v2, 0x70, vcc_lo
	v_cndmask_b32_e32 v0, v9, v0, vcc_lo
	v_dual_add_nc_u32 v2, 21, v8 :: v_dual_add_nc_u32 v10, 20, v8
	s_delay_alu instid0(VALU_DEP_1) | instskip(NEXT) | instid1(VALU_DEP_2)
	v_lshlrev_b64_e64 v[2:3], v2, -1
	v_lshlrev_b64_e64 v[10:11], v10, 1
	s_delay_alu instid0(VALU_DEP_2) | instskip(SKIP_1) | instid1(VALU_DEP_4)
	v_bfi_b32 v2, v2, 0, v0
	v_lshrrev_b64 v[0:1], v8, v[0:1]
	v_bfi_b32 v3, v3, 0, 0
	s_delay_alu instid0(VALU_DEP_1) | instskip(NEXT) | instid1(VALU_DEP_3)
	v_cmp_eq_u64_e64 s14, v[2:3], v[10:11]
	v_mov_b64_e32 v[2:3], v[0:1]
	s_and_saveexec_b32 s78, s14
; %bb.19155:                            ;   in Loop: Header=BB6_18683 Depth=3
	v_bfe_u32 v2, v0, 21, 1
	v_mov_b32_e32 v3, v113
	s_delay_alu instid0(VALU_DEP_1) | instskip(NEXT) | instid1(VALU_DEP_1)
	v_add_nc_u64_e32 v[2:3], v[0:1], v[2:3]
	v_add_nc_u64_e32 v[2:3], -1, v[2:3]
; %bb.19156:                            ;   in Loop: Header=BB6_18683 Depth=3
	s_or_b32 exec_lo, exec_lo, s78
	v_add_nc_u32_e32 v1, 0xffffff81, v7
	v_lshrrev_b32_e32 v3, 23, v0
	s_mov_b32 s14, exec_lo
	s_delay_alu instid0(VALU_DEP_2) | instskip(NEXT) | instid1(VALU_DEP_1)
	v_cndmask_b32_e64 v1, v1, 0xffffff82, vcc_lo
	v_add3_u32 v3, v8, v1, v3
	v_and_b32_e32 v1, 0x1fffff, v2
                                        ; implicit-def: $vgpr2
	s_delay_alu instid0(VALU_DEP_1) | instskip(SKIP_1) | instid1(VALU_DEP_2)
	v_dual_add_nc_u32 v7, 14, v3 :: v_dual_add_nc_u32 v0, v1, v0
	v_mov_b32_e32 v1, v113
	v_cmpx_ne_u32_e32 0, v7
	s_xor_b32 s14, exec_lo, s14
; %bb.19157:                            ;   in Loop: Header=BB6_18683 Depth=3
	s_delay_alu instid0(VALU_DEP_2) | instskip(SKIP_2) | instid1(VALU_DEP_2)
	v_cmp_lt_u64_e32 vcc_lo, 0xffffff, v[0:1]
	v_add_nc_u32_e32 v2, 15, v3
	v_cndmask_b32_e64 v3, 0, 1, vcc_lo
	v_cndmask_b32_e32 v2, v7, v2, vcc_lo
	s_delay_alu instid0(VALU_DEP_2)
	v_lshrrev_b64 v[0:1], v3, v[0:1]
; %bb.19158:                            ;   in Loop: Header=BB6_18683 Depth=3
	s_and_not1_saveexec_b32 s14, s14
; %bb.19159:                            ;   in Loop: Header=BB6_18683 Depth=3
	s_delay_alu instid0(VALU_DEP_1)
	v_bfe_u32 v2, v0, 23, 1
; %bb.19160:                            ;   in Loop: Header=BB6_18683 Depth=3
	s_or_b32 exec_lo, exec_lo, s14
	s_delay_alu instid0(VALU_DEP_2) | instskip(NEXT) | instid1(VALU_DEP_2)
	v_lshrrev_b64 v[0:1], 21, v[0:1]
	v_cmp_gt_i32_e32 vcc_lo, 32, v2
	v_min_i32_e32 v3, 31, v2
	v_cmp_eq_u32_e64 s14, 0, v2
	s_delay_alu instid0(VALU_DEP_2) | instskip(SKIP_1) | instid1(VALU_DEP_2)
	v_dual_cndmask_b32 v1, 0, v1, vcc_lo :: v_dual_lshlrev_b32 v3, 2, v3
	v_cndmask_b32_e32 v0, 3, v0, vcc_lo
	v_and_b32_e32 v3, 0xfc, v3
	s_delay_alu instid0(VALU_DEP_2) | instskip(NEXT) | instid1(VALU_DEP_2)
	v_cmp_eq_u64_e32 vcc_lo, 0, v[0:1]
	v_and_or_b32 v0, v0, 3, v3
	s_and_b32 s14, s14, vcc_lo
	s_delay_alu instid0(VALU_DEP_1) | instid1(SALU_CYCLE_1)
	v_cndmask_b32_e64 v0, v0, 0, s14
	s_delay_alu instid0(VALU_DEP_1)
	v_or_b32_e32 v34, v0, v6
.LBB6_19161:                            ;   in Loop: Header=BB6_18683 Depth=3
	s_or_b32 exec_lo, exec_lo, s43
                                        ; implicit-def: $vgpr6
.LBB6_19162:                            ;   in Loop: Header=BB6_18683 Depth=3
	s_and_not1_saveexec_b32 s14, s42
; %bb.19163:                            ;   in Loop: Header=BB6_18683 Depth=3
	v_or_b32_e32 v34, 0x7b, v6
; %bb.19164:                            ;   in Loop: Header=BB6_18683 Depth=3
	s_or_b32 exec_lo, exec_lo, s14
                                        ; implicit-def: $vgpr2
                                        ; implicit-def: $vgpr0_vgpr1
                                        ; implicit-def: $vgpr3
.LBB6_19165:                            ;   in Loop: Header=BB6_18683 Depth=3
	s_and_not1_saveexec_b32 s14, s15
	s_cbranch_execz .LBB6_19171
; %bb.19166:                            ;   in Loop: Header=BB6_18683 Depth=3
	s_mov_b32 s15, exec_lo
                                        ; implicit-def: $vgpr34
	v_cmpx_ne_u64_e32 0, v[0:1]
	s_xor_b32 s15, exec_lo, s15
; %bb.19167:                            ;   in Loop: Header=BB6_18683 Depth=3
	v_or_b32_e32 v34, 0x7f, v3
                                        ; implicit-def: $vgpr2
; %bb.19168:                            ;   in Loop: Header=BB6_18683 Depth=3
	s_and_not1_saveexec_b32 s15, s15
; %bb.19169:                            ;   in Loop: Header=BB6_18683 Depth=3
	v_cmp_lt_i32_e32 vcc_lo, -1, v2
	v_mov_b32_e32 v0, 0x7c
	s_delay_alu instid0(VALU_DEP_1)
	v_cndmask_b32_e32 v34, 0xfc, v0, vcc_lo
; %bb.19170:                            ;   in Loop: Header=BB6_18683 Depth=3
	s_or_b32 exec_lo, exec_lo, s15
.LBB6_19171:                            ;   in Loop: Header=BB6_18683 Depth=3
	s_delay_alu instid0(SALU_CYCLE_1)
	s_or_b32 exec_lo, exec_lo, s14
	global_load_b128 v[8:11], v[16:17], off th:TH_LOAD_NT
	v_lshl_or_b32 v28, v28, 8, v26
	v_dual_lshlrev_b32 v0, 16, v33 :: v_dual_lshlrev_b32 v1, 24, v36
	s_mov_b32 s14, exec_lo
	v_mov_b32_e32 v2, 0
	s_delay_alu instid0(VALU_DEP_2)
	v_or3_b32 v0, v0, v1, v28
	v_mov_b32_e32 v1, v113
	s_wait_xcnt 0x0
	v_cmpx_ne_u32_e32 0, v26
	s_cbranch_execz .LBB6_19181
; %bb.19172:                            ;   in Loop: Header=BB6_18683 Depth=3
	v_bfrev_b32_e32 v2, 1
	s_mov_b32 s15, exec_lo
	v_cmpx_ne_u32_e32 0x80, v26
	s_cbranch_execz .LBB6_19180
; %bb.19173:                            ;   in Loop: Header=BB6_18683 Depth=3
	v_and_b32_e32 v2, 0x7c, v26
	v_and_b32_e32 v3, 3, v26
	s_delay_alu instid0(VALU_DEP_2) | instskip(SKIP_1) | instid1(SALU_CYCLE_1)
	v_cmp_ne_u32_e32 vcc_lo, 0x7c, v2
                                        ; implicit-def: $vgpr2
	s_and_saveexec_b32 s42, vcc_lo
	s_xor_b32 s42, exec_lo, s42
	s_cbranch_execz .LBB6_19177
; %bb.19174:                            ;   in Loop: Header=BB6_18683 Depth=3
	v_bfe_u32 v2, v26, 2, 5
	s_mov_b32 s43, exec_lo
	s_delay_alu instid0(VALU_DEP_1)
	v_cmpx_eq_u32_e32 0, v2
; %bb.19175:                            ;   in Loop: Header=BB6_18683 Depth=3
	v_clz_i32_u32_e32 v2, v3
	s_delay_alu instid0(VALU_DEP_1) | instskip(NEXT) | instid1(VALU_DEP_1)
	v_min_u32_e32 v2, 32, v2
	v_subrev_nc_u32_e32 v3, 29, v2
	v_sub_nc_u32_e32 v2, 30, v2
	s_delay_alu instid0(VALU_DEP_2) | instskip(NEXT) | instid1(VALU_DEP_1)
	v_lshlrev_b64_e32 v[6:7], v3, v[0:1]
	v_and_b32_e32 v3, 3, v6
; %bb.19176:                            ;   in Loop: Header=BB6_18683 Depth=3
	s_or_b32 exec_lo, exec_lo, s43
	v_lshlrev_b32_e32 v1, 24, v26
                                        ; implicit-def: $vgpr26
	s_delay_alu instid0(VALU_DEP_1) | instskip(NEXT) | instid1(VALU_DEP_1)
	v_and_b32_e32 v1, 0x80000000, v1
	v_lshl_add_u32 v1, v2, 23, v1
	s_delay_alu instid0(VALU_DEP_1) | instskip(NEXT) | instid1(VALU_DEP_1)
	v_lshl_or_b32 v1, v3, 21, v1
                                        ; implicit-def: $vgpr3
	v_add_nc_u32_e32 v2, 0x38000000, v1
.LBB6_19177:                            ;   in Loop: Header=BB6_18683 Depth=3
	s_and_not1_saveexec_b32 s42, s42
; %bb.19178:                            ;   in Loop: Header=BB6_18683 Depth=3
	v_and_b32_e32 v1, 0x80, v26
	s_delay_alu instid0(VALU_DEP_1) | instskip(SKIP_1) | instid1(VALU_DEP_1)
	v_cmp_eq_u32_e32 vcc_lo, 0, v1
	v_mov_b32_e32 v1, 0x7f800000
	v_cndmask_b32_e32 v1, 0xff800000, v1, vcc_lo
	v_cmp_eq_u32_e32 vcc_lo, 0, v3
	s_delay_alu instid0(VALU_DEP_2)
	v_cndmask_b32_e32 v2, 0x7f800001, v1, vcc_lo
; %bb.19179:                            ;   in Loop: Header=BB6_18683 Depth=3
	s_or_b32 exec_lo, exec_lo, s42
.LBB6_19180:                            ;   in Loop: Header=BB6_18683 Depth=3
	s_delay_alu instid0(SALU_CYCLE_1)
	s_or_b32 exec_lo, exec_lo, s15
.LBB6_19181:                            ;   in Loop: Header=BB6_18683 Depth=3
	s_delay_alu instid0(SALU_CYCLE_1) | instskip(SKIP_4) | instid1(VALU_DEP_1)
	s_or_b32 exec_lo, exec_lo, s14
	s_wait_loadcnt 0x0
	v_and_b32_e32 v3, 0xff, v8
	s_mov_b32 s15, 0
	s_mov_b32 s14, exec_lo
	v_cmpx_lt_i16_e32 0x7f, v3
	s_xor_b32 s14, exec_lo, s14
	s_cbranch_execz .LBB6_19726
; %bb.19182:                            ;   in Loop: Header=BB6_18683 Depth=3
	s_mov_b32 s15, -1
	s_mov_b32 s42, exec_lo
	v_cmpx_eq_u16_e32 0x80, v3
; %bb.19183:                            ;   in Loop: Header=BB6_18683 Depth=3
	s_xor_b32 s15, exec_lo, -1
; %bb.19184:                            ;   in Loop: Header=BB6_18683 Depth=3
	s_or_b32 exec_lo, exec_lo, s42
	s_delay_alu instid0(SALU_CYCLE_1)
	s_and_b32 s15, s15, exec_lo
                                        ; implicit-def: $vgpr3
	s_or_saveexec_b32 s14, s14
	v_bfrev_b32_e32 v1, 1
	s_xor_b32 exec_lo, exec_lo, s14
	s_cbranch_execnz .LBB6_19727
.LBB6_19185:                            ;   in Loop: Header=BB6_18683 Depth=3
	s_or_b32 exec_lo, exec_lo, s14
	s_and_saveexec_b32 s14, s15
	s_cbranch_execz .LBB6_19187
.LBB6_19186:                            ;   in Loop: Header=BB6_18683 Depth=3
	v_and_b32_e32 v1, 3, v8
	v_bfe_u32 v26, v8, 2, 5
	s_delay_alu instid0(VALU_DEP_2) | instskip(NEXT) | instid1(VALU_DEP_2)
	v_clz_i32_u32_e32 v3, v1
	v_cmp_eq_u32_e32 vcc_lo, 0, v26
	s_delay_alu instid0(VALU_DEP_2) | instskip(NEXT) | instid1(VALU_DEP_1)
	v_min_u32_e32 v3, 32, v3
	v_subrev_nc_u32_e32 v6, 29, v3
	s_delay_alu instid0(VALU_DEP_1) | instskip(SKIP_1) | instid1(VALU_DEP_1)
	v_lshlrev_b64_e32 v[6:7], v6, v[8:9]
	v_dual_lshlrev_b32 v7, 24, v8 :: v_dual_sub_nc_u32 v3, 30, v3
	v_and_b32_e32 v7, 0x80000000, v7
	s_delay_alu instid0(VALU_DEP_2) | instskip(SKIP_1) | instid1(VALU_DEP_2)
	v_dual_cndmask_b32 v3, v26, v3, vcc_lo :: v_dual_bitop2_b32 v6, 3, v6 bitop3:0x40
	v_bfe_i32 v26, v8, 0, 8
	v_cndmask_b32_e32 v6, v1, v6, vcc_lo
	s_delay_alu instid0(VALU_DEP_3) | instskip(NEXT) | instid1(VALU_DEP_3)
	v_lshl_add_u32 v3, v3, 23, v7
	v_cmp_lt_i16_e32 vcc_lo, -1, v26
	v_mov_b32_e32 v7, 0x7f800000
	s_delay_alu instid0(VALU_DEP_3) | instskip(SKIP_1) | instid1(VALU_DEP_3)
	v_lshl_or_b32 v3, v6, 21, v3
	v_and_b32_e32 v6, 0x7c, v8
	v_cndmask_b32_e32 v7, 0xff800000, v7, vcc_lo
	v_cmp_eq_u32_e32 vcc_lo, 0, v1
	s_delay_alu instid0(VALU_DEP_4) | instskip(NEXT) | instid1(VALU_DEP_3)
	v_add_nc_u32_e32 v3, 0x38000000, v3
	v_cndmask_b32_e32 v1, 0x7f800001, v7, vcc_lo
	v_cmp_eq_u32_e32 vcc_lo, 0x7c, v6
	s_delay_alu instid0(VALU_DEP_2)
	v_cndmask_b32_e32 v1, v3, v1, vcc_lo
.LBB6_19187:                            ;   in Loop: Header=BB6_18683 Depth=3
	s_or_b32 exec_lo, exec_lo, s14
	s_delay_alu instid0(VALU_DEP_1) | instskip(SKIP_2) | instid1(VALU_DEP_2)
	v_dual_add_f32 v6, v2, v1 :: v_dual_mov_b32 v49, v113
	v_mov_b32_e32 v3, v113
                                        ; implicit-def: $vgpr26
	s_mov_b32 s14, exec_lo
	v_and_b32_e32 v48, 0x7f800000, v6
	v_and_b32_e32 v2, 0x7fffff, v6
	v_lshrrev_b32_e32 v1, 24, v6
	s_delay_alu instid0(VALU_DEP_3)
	v_cmpx_ne_u64_e32 0x7f800000, v[48:49]
	s_xor_b32 s15, exec_lo, s14
	s_cbranch_execz .LBB6_19201
; %bb.19188:                            ;   in Loop: Header=BB6_18683 Depth=3
	v_and_b32_e32 v48, 0x7fffffff, v6
	v_mov_b32_e32 v49, v113
	v_and_b32_e32 v1, 0x80, v1
                                        ; implicit-def: $vgpr26
	s_mov_b32 s14, exec_lo
	s_delay_alu instid0(VALU_DEP_2)
	v_cmpx_gt_u64_e32 0x47600001, v[48:49]
	s_xor_b32 s42, exec_lo, s14
	s_cbranch_execz .LBB6_19198
; %bb.19189:                            ;   in Loop: Header=BB6_18683 Depth=3
	v_mov_b32_e32 v26, 0
	s_mov_b32 s43, exec_lo
	v_cmpx_ne_u32_e32 0, v6
	s_cbranch_execz .LBB6_19197
; %bb.19190:                            ;   in Loop: Header=BB6_18683 Depth=3
	v_bfe_u32 v26, v6, 23, 8
	v_or_b32_e32 v7, 0x800000, v2
	s_delay_alu instid0(VALU_DEP_2) | instskip(SKIP_2) | instid1(VALU_DEP_2)
	v_cmp_gt_u32_e64 s14, 0x72, v26
	v_sub_nc_u32_e32 v6, 0x71, v26
	v_cmp_eq_u32_e32 vcc_lo, 0, v26
	v_cndmask_b32_e64 v6, 0, v6, s14
	s_delay_alu instid0(VALU_DEP_1) | instskip(NEXT) | instid1(VALU_DEP_1)
	v_cndmask_b32_e64 v33, v6, 0x70, vcc_lo
	v_dual_cndmask_b32 v2, v7, v2, vcc_lo :: v_dual_add_nc_u32 v6, 21, v33
	v_add_nc_u32_e32 v36, 20, v33
	s_delay_alu instid0(VALU_DEP_2) | instskip(NEXT) | instid1(VALU_DEP_2)
	v_lshlrev_b64_e64 v[6:7], v6, -1
	v_lshlrev_b64_e64 v[48:49], v36, 1
	s_delay_alu instid0(VALU_DEP_2) | instskip(SKIP_1) | instid1(VALU_DEP_4)
	v_bfi_b32 v6, v6, 0, v2
	v_lshrrev_b64 v[2:3], v33, v[2:3]
	v_bfi_b32 v7, v7, 0, 0
	s_delay_alu instid0(VALU_DEP_1) | instskip(NEXT) | instid1(VALU_DEP_3)
	v_cmp_eq_u64_e64 s14, v[6:7], v[48:49]
	v_mov_b64_e32 v[6:7], v[2:3]
	s_and_saveexec_b32 s78, s14
; %bb.19191:                            ;   in Loop: Header=BB6_18683 Depth=3
	v_bfe_u32 v6, v2, 21, 1
	v_mov_b32_e32 v7, v113
	s_delay_alu instid0(VALU_DEP_1) | instskip(NEXT) | instid1(VALU_DEP_1)
	v_add_nc_u64_e32 v[6:7], v[2:3], v[6:7]
	v_add_nc_u64_e32 v[6:7], -1, v[6:7]
; %bb.19192:                            ;   in Loop: Header=BB6_18683 Depth=3
	s_or_b32 exec_lo, exec_lo, s78
	v_add_nc_u32_e32 v3, 0xffffff81, v26
	v_lshrrev_b32_e32 v7, 23, v2
	s_mov_b32 s14, exec_lo
	s_delay_alu instid0(VALU_DEP_2) | instskip(NEXT) | instid1(VALU_DEP_1)
	v_cndmask_b32_e64 v3, v3, 0xffffff82, vcc_lo
	v_add3_u32 v7, v33, v3, v7
	v_and_b32_e32 v3, 0x1fffff, v6
                                        ; implicit-def: $vgpr6
	s_delay_alu instid0(VALU_DEP_1) | instskip(SKIP_1) | instid1(VALU_DEP_2)
	v_dual_add_nc_u32 v26, 14, v7 :: v_dual_add_nc_u32 v2, v3, v2
	v_mov_b32_e32 v3, v113
	v_cmpx_ne_u32_e32 0, v26
	s_xor_b32 s14, exec_lo, s14
; %bb.19193:                            ;   in Loop: Header=BB6_18683 Depth=3
	s_delay_alu instid0(VALU_DEP_2) | instskip(SKIP_2) | instid1(VALU_DEP_2)
	v_cmp_lt_u64_e32 vcc_lo, 0xffffff, v[2:3]
	v_add_nc_u32_e32 v6, 15, v7
	v_cndmask_b32_e64 v7, 0, 1, vcc_lo
	v_cndmask_b32_e32 v6, v26, v6, vcc_lo
	s_delay_alu instid0(VALU_DEP_2)
	v_lshrrev_b64 v[2:3], v7, v[2:3]
; %bb.19194:                            ;   in Loop: Header=BB6_18683 Depth=3
	s_and_not1_saveexec_b32 s14, s14
; %bb.19195:                            ;   in Loop: Header=BB6_18683 Depth=3
	s_delay_alu instid0(VALU_DEP_1)
	v_bfe_u32 v6, v2, 23, 1
; %bb.19196:                            ;   in Loop: Header=BB6_18683 Depth=3
	s_or_b32 exec_lo, exec_lo, s14
	s_delay_alu instid0(VALU_DEP_2) | instskip(NEXT) | instid1(VALU_DEP_2)
	v_lshrrev_b64 v[2:3], 21, v[2:3]
	v_cmp_gt_i32_e32 vcc_lo, 32, v6
	v_min_i32_e32 v7, 31, v6
	v_cmp_eq_u32_e64 s14, 0, v6
	s_delay_alu instid0(VALU_DEP_4) | instskip(NEXT) | instid1(VALU_DEP_3)
	v_cndmask_b32_e32 v3, 0, v3, vcc_lo
	v_dual_cndmask_b32 v2, 3, v2 :: v_dual_lshlrev_b32 v7, 2, v7
	s_delay_alu instid0(VALU_DEP_1) | instskip(NEXT) | instid1(VALU_DEP_2)
	v_and_b32_e32 v7, 0xfc, v7
	v_cmp_eq_u64_e32 vcc_lo, 0, v[2:3]
	s_delay_alu instid0(VALU_DEP_2)
	v_and_or_b32 v2, v2, 3, v7
	s_and_b32 s14, s14, vcc_lo
	s_delay_alu instid0(VALU_DEP_1) | instid1(SALU_CYCLE_1)
	v_cndmask_b32_e64 v2, v2, 0, s14
	s_delay_alu instid0(VALU_DEP_1)
	v_or_b32_e32 v26, v2, v1
.LBB6_19197:                            ;   in Loop: Header=BB6_18683 Depth=3
	s_or_b32 exec_lo, exec_lo, s43
                                        ; implicit-def: $vgpr1
.LBB6_19198:                            ;   in Loop: Header=BB6_18683 Depth=3
	s_and_not1_saveexec_b32 s14, s42
; %bb.19199:                            ;   in Loop: Header=BB6_18683 Depth=3
	v_or_b32_e32 v26, 0x7b, v1
; %bb.19200:                            ;   in Loop: Header=BB6_18683 Depth=3
	s_or_b32 exec_lo, exec_lo, s14
                                        ; implicit-def: $vgpr6
                                        ; implicit-def: $vgpr2_vgpr3
                                        ; implicit-def: $vgpr1
.LBB6_19201:                            ;   in Loop: Header=BB6_18683 Depth=3
	s_and_not1_saveexec_b32 s14, s15
	s_cbranch_execz .LBB6_19207
; %bb.19202:                            ;   in Loop: Header=BB6_18683 Depth=3
	s_mov_b32 s15, exec_lo
                                        ; implicit-def: $vgpr26
	v_cmpx_ne_u64_e32 0, v[2:3]
	s_xor_b32 s15, exec_lo, s15
; %bb.19203:                            ;   in Loop: Header=BB6_18683 Depth=3
	v_or_b32_e32 v26, 0x7f, v1
                                        ; implicit-def: $vgpr6
; %bb.19204:                            ;   in Loop: Header=BB6_18683 Depth=3
	s_and_not1_saveexec_b32 s15, s15
; %bb.19205:                            ;   in Loop: Header=BB6_18683 Depth=3
	v_cmp_lt_i32_e32 vcc_lo, -1, v6
	v_mov_b32_e32 v1, 0x7c
	s_delay_alu instid0(VALU_DEP_1)
	v_cndmask_b32_e32 v26, 0xfc, v1, vcc_lo
; %bb.19206:                            ;   in Loop: Header=BB6_18683 Depth=3
	s_or_b32 exec_lo, exec_lo, s15
.LBB6_19207:                            ;   in Loop: Header=BB6_18683 Depth=3
	s_delay_alu instid0(SALU_CYCLE_1) | instskip(SKIP_3) | instid1(VALU_DEP_2)
	s_or_b32 exec_lo, exec_lo, s14
	v_lshrrev_b16 v2, 8, v28
	v_mov_b32_e32 v1, 0
	s_mov_b32 s14, exec_lo
	v_cmpx_ne_u16_e32 0, v2
	s_cbranch_execz .LBB6_19217
; %bb.19208:                            ;   in Loop: Header=BB6_18683 Depth=3
	v_bfrev_b32_e32 v1, 1
	s_mov_b32 s15, exec_lo
	v_cmpx_ne_u16_e32 0x80, v2
	s_cbranch_execz .LBB6_19216
; %bb.19209:                            ;   in Loop: Header=BB6_18683 Depth=3
	v_and_b32_e32 v6, 0xffff, v2
	s_delay_alu instid0(VALU_DEP_1) | instskip(SKIP_1) | instid1(VALU_DEP_2)
	v_and_b32_e32 v1, 0x7c, v6
	v_and_b32_e32 v3, 3, v6
	v_cmp_ne_u32_e32 vcc_lo, 0x7c, v1
                                        ; implicit-def: $vgpr1
	s_and_saveexec_b32 s42, vcc_lo
	s_delay_alu instid0(SALU_CYCLE_1)
	s_xor_b32 s42, exec_lo, s42
	s_cbranch_execz .LBB6_19213
; %bb.19210:                            ;   in Loop: Header=BB6_18683 Depth=3
	v_bfe_u32 v1, v6, 2, 5
	s_mov_b32 s43, exec_lo
	s_delay_alu instid0(VALU_DEP_1)
	v_cmpx_eq_u32_e32 0, v1
	s_cbranch_execz .LBB6_19212
; %bb.19211:                            ;   in Loop: Header=BB6_18683 Depth=3
	v_clz_i32_u32_e32 v1, v3
	s_delay_alu instid0(VALU_DEP_1) | instskip(SKIP_1) | instid1(VALU_DEP_2)
	v_min_u32_e32 v1, 32, v1
	v_mov_b32_e32 v3, v113
	v_subrev_nc_u32_e32 v6, 29, v1
	v_sub_nc_u32_e32 v1, 30, v1
	s_delay_alu instid0(VALU_DEP_2) | instskip(NEXT) | instid1(VALU_DEP_1)
	v_lshlrev_b64_e32 v[2:3], v6, v[2:3]
	v_and_b32_e32 v3, 3, v2
.LBB6_19212:                            ;   in Loop: Header=BB6_18683 Depth=3
	s_or_b32 exec_lo, exec_lo, s43
	v_lshlrev_b32_e32 v2, 16, v28
                                        ; implicit-def: $vgpr28
	s_delay_alu instid0(VALU_DEP_1) | instskip(NEXT) | instid1(VALU_DEP_1)
	v_and_b32_e32 v2, 0x80000000, v2
	v_lshl_add_u32 v1, v1, 23, v2
	s_delay_alu instid0(VALU_DEP_1) | instskip(NEXT) | instid1(VALU_DEP_1)
	v_lshl_or_b32 v1, v3, 21, v1
                                        ; implicit-def: $vgpr3
	v_add_nc_u32_e32 v1, 0x38000000, v1
.LBB6_19213:                            ;   in Loop: Header=BB6_18683 Depth=3
	s_and_not1_saveexec_b32 s42, s42
; %bb.19214:                            ;   in Loop: Header=BB6_18683 Depth=3
	v_cmp_lt_i16_e32 vcc_lo, -1, v28
	v_mov_b32_e32 v1, 0x7f800000
	s_delay_alu instid0(VALU_DEP_1) | instskip(SKIP_1) | instid1(VALU_DEP_2)
	v_cndmask_b32_e32 v1, 0xff800000, v1, vcc_lo
	v_cmp_eq_u32_e32 vcc_lo, 0, v3
	v_cndmask_b32_e32 v1, 0x7f800001, v1, vcc_lo
; %bb.19215:                            ;   in Loop: Header=BB6_18683 Depth=3
	s_or_b32 exec_lo, exec_lo, s42
.LBB6_19216:                            ;   in Loop: Header=BB6_18683 Depth=3
	s_delay_alu instid0(SALU_CYCLE_1)
	s_or_b32 exec_lo, exec_lo, s15
.LBB6_19217:                            ;   in Loop: Header=BB6_18683 Depth=3
	s_delay_alu instid0(SALU_CYCLE_1) | instskip(SKIP_3) | instid1(VALU_DEP_1)
	s_or_b32 exec_lo, exec_lo, s14
	v_lshrrev_b16 v2, 8, v8
	s_mov_b32 s15, 0
	s_mov_b32 s14, exec_lo
	v_cmpx_lt_i16_e32 0x7f, v2
	s_xor_b32 s14, exec_lo, s14
	s_cbranch_execz .LBB6_19728
; %bb.19218:                            ;   in Loop: Header=BB6_18683 Depth=3
	s_mov_b32 s15, -1
	s_mov_b32 s42, exec_lo
	v_cmpx_eq_u16_e32 0x80, v2
; %bb.19219:                            ;   in Loop: Header=BB6_18683 Depth=3
	s_xor_b32 s15, exec_lo, -1
; %bb.19220:                            ;   in Loop: Header=BB6_18683 Depth=3
	s_or_b32 exec_lo, exec_lo, s42
	s_delay_alu instid0(SALU_CYCLE_1)
	s_and_b32 s15, s15, exec_lo
	s_or_saveexec_b32 s14, s14
	v_bfrev_b32_e32 v3, 1
	s_xor_b32 exec_lo, exec_lo, s14
	s_cbranch_execnz .LBB6_19729
.LBB6_19221:                            ;   in Loop: Header=BB6_18683 Depth=3
	s_or_b32 exec_lo, exec_lo, s14
	s_and_saveexec_b32 s14, s15
	s_cbranch_execz .LBB6_19223
.LBB6_19222:                            ;   in Loop: Header=BB6_18683 Depth=3
	v_and_b32_e32 v28, 0xffff, v2
	s_delay_alu instid0(VALU_DEP_1) | instskip(NEXT) | instid1(VALU_DEP_1)
	v_and_b32_e32 v33, 3, v28
	v_clz_i32_u32_e32 v3, v33
	s_delay_alu instid0(VALU_DEP_1) | instskip(SKIP_1) | instid1(VALU_DEP_2)
	v_min_u32_e32 v36, 32, v3
	v_mov_b32_e32 v3, v113
	v_subrev_nc_u32_e32 v6, 29, v36
	s_delay_alu instid0(VALU_DEP_1) | instskip(SKIP_2) | instid1(VALU_DEP_2)
	v_lshlrev_b64_e32 v[6:7], v6, v[2:3]
	v_bfe_u32 v3, v28, 2, 5
	v_dual_lshlrev_b32 v2, 24, v2 :: v_dual_sub_nc_u32 v7, 30, v36
	v_cmp_eq_u32_e32 vcc_lo, 0, v3
	s_delay_alu instid0(VALU_DEP_2) | instskip(NEXT) | instid1(VALU_DEP_3)
	v_and_b32_e32 v2, 0x80000000, v2
	v_dual_cndmask_b32 v3, v3, v7, vcc_lo :: v_dual_bitop2_b32 v6, 3, v6 bitop3:0x40
	s_delay_alu instid0(VALU_DEP_1) | instskip(SKIP_1) | instid1(VALU_DEP_3)
	v_cndmask_b32_e32 v6, v33, v6, vcc_lo
	v_cmp_lt_i16_e32 vcc_lo, -1, v8
	v_lshl_add_u32 v2, v3, 23, v2
	v_mov_b32_e32 v3, 0x7f800000
	s_delay_alu instid0(VALU_DEP_2) | instskip(NEXT) | instid1(VALU_DEP_2)
	v_lshl_or_b32 v2, v6, 21, v2
	v_cndmask_b32_e32 v3, 0xff800000, v3, vcc_lo
	v_and_b32_e32 v6, 0x7c, v28
	v_cmp_eq_u32_e32 vcc_lo, 0, v33
	s_delay_alu instid0(VALU_DEP_4) | instskip(NEXT) | instid1(VALU_DEP_4)
	v_add_nc_u32_e32 v2, 0x38000000, v2
	v_cndmask_b32_e32 v3, 0x7f800001, v3, vcc_lo
	s_delay_alu instid0(VALU_DEP_4) | instskip(NEXT) | instid1(VALU_DEP_2)
	v_cmp_eq_u32_e32 vcc_lo, 0x7c, v6
	v_cndmask_b32_e32 v3, v2, v3, vcc_lo
.LBB6_19223:                            ;   in Loop: Header=BB6_18683 Depth=3
	s_or_b32 exec_lo, exec_lo, s14
	s_delay_alu instid0(VALU_DEP_1) | instskip(SKIP_2) | instid1(VALU_DEP_2)
	v_add_f32_e32 v6, v1, v3
	v_dual_mov_b32 v49, v113 :: v_dual_mov_b32 v3, v113
                                        ; implicit-def: $vgpr28
	s_mov_b32 s14, exec_lo
	v_and_b32_e32 v48, 0x7f800000, v6
	v_and_b32_e32 v2, 0x7fffff, v6
	v_lshrrev_b32_e32 v1, 24, v6
	s_delay_alu instid0(VALU_DEP_3)
	v_cmpx_ne_u64_e32 0x7f800000, v[48:49]
	s_xor_b32 s15, exec_lo, s14
	s_cbranch_execz .LBB6_19237
; %bb.19224:                            ;   in Loop: Header=BB6_18683 Depth=3
	v_and_b32_e32 v48, 0x7fffffff, v6
	v_mov_b32_e32 v49, v113
	v_and_b32_e32 v1, 0x80, v1
                                        ; implicit-def: $vgpr28
	s_mov_b32 s14, exec_lo
	s_delay_alu instid0(VALU_DEP_2)
	v_cmpx_gt_u64_e32 0x47600001, v[48:49]
	s_xor_b32 s42, exec_lo, s14
	s_cbranch_execz .LBB6_19234
; %bb.19225:                            ;   in Loop: Header=BB6_18683 Depth=3
	v_mov_b32_e32 v28, 0
	s_mov_b32 s43, exec_lo
	v_cmpx_ne_u32_e32 0, v6
	s_cbranch_execz .LBB6_19233
; %bb.19226:                            ;   in Loop: Header=BB6_18683 Depth=3
	v_bfe_u32 v28, v6, 23, 8
	v_or_b32_e32 v7, 0x800000, v2
	s_delay_alu instid0(VALU_DEP_2) | instskip(SKIP_2) | instid1(VALU_DEP_2)
	v_cmp_gt_u32_e64 s14, 0x72, v28
	v_sub_nc_u32_e32 v6, 0x71, v28
	v_cmp_eq_u32_e32 vcc_lo, 0, v28
	v_cndmask_b32_e64 v6, 0, v6, s14
	s_delay_alu instid0(VALU_DEP_1) | instskip(NEXT) | instid1(VALU_DEP_1)
	v_cndmask_b32_e64 v33, v6, 0x70, vcc_lo
	v_dual_cndmask_b32 v2, v7, v2, vcc_lo :: v_dual_add_nc_u32 v6, 21, v33
	v_add_nc_u32_e32 v36, 20, v33
	s_delay_alu instid0(VALU_DEP_2) | instskip(NEXT) | instid1(VALU_DEP_2)
	v_lshlrev_b64_e64 v[6:7], v6, -1
	v_lshlrev_b64_e64 v[48:49], v36, 1
	s_delay_alu instid0(VALU_DEP_2) | instskip(SKIP_1) | instid1(VALU_DEP_4)
	v_bfi_b32 v6, v6, 0, v2
	v_lshrrev_b64 v[2:3], v33, v[2:3]
	v_bfi_b32 v7, v7, 0, 0
	s_delay_alu instid0(VALU_DEP_1) | instskip(NEXT) | instid1(VALU_DEP_3)
	v_cmp_eq_u64_e64 s14, v[6:7], v[48:49]
	v_mov_b64_e32 v[6:7], v[2:3]
	s_and_saveexec_b32 s78, s14
; %bb.19227:                            ;   in Loop: Header=BB6_18683 Depth=3
	v_bfe_u32 v6, v2, 21, 1
	v_mov_b32_e32 v7, v113
	s_delay_alu instid0(VALU_DEP_1) | instskip(NEXT) | instid1(VALU_DEP_1)
	v_add_nc_u64_e32 v[6:7], v[2:3], v[6:7]
	v_add_nc_u64_e32 v[6:7], -1, v[6:7]
; %bb.19228:                            ;   in Loop: Header=BB6_18683 Depth=3
	s_or_b32 exec_lo, exec_lo, s78
	v_add_nc_u32_e32 v3, 0xffffff81, v28
	v_lshrrev_b32_e32 v7, 23, v2
	s_mov_b32 s14, exec_lo
	s_delay_alu instid0(VALU_DEP_2) | instskip(NEXT) | instid1(VALU_DEP_1)
	v_cndmask_b32_e64 v3, v3, 0xffffff82, vcc_lo
	v_add3_u32 v7, v33, v3, v7
	v_and_b32_e32 v3, 0x1fffff, v6
                                        ; implicit-def: $vgpr6
	s_delay_alu instid0(VALU_DEP_1) | instskip(SKIP_1) | instid1(VALU_DEP_2)
	v_dual_add_nc_u32 v28, 14, v7 :: v_dual_add_nc_u32 v2, v3, v2
	v_mov_b32_e32 v3, v113
	v_cmpx_ne_u32_e32 0, v28
	s_xor_b32 s14, exec_lo, s14
; %bb.19229:                            ;   in Loop: Header=BB6_18683 Depth=3
	s_delay_alu instid0(VALU_DEP_2) | instskip(SKIP_2) | instid1(VALU_DEP_2)
	v_cmp_lt_u64_e32 vcc_lo, 0xffffff, v[2:3]
	v_add_nc_u32_e32 v6, 15, v7
	v_cndmask_b32_e64 v7, 0, 1, vcc_lo
	v_cndmask_b32_e32 v6, v28, v6, vcc_lo
	s_delay_alu instid0(VALU_DEP_2)
	v_lshrrev_b64 v[2:3], v7, v[2:3]
; %bb.19230:                            ;   in Loop: Header=BB6_18683 Depth=3
	s_and_not1_saveexec_b32 s14, s14
; %bb.19231:                            ;   in Loop: Header=BB6_18683 Depth=3
	s_delay_alu instid0(VALU_DEP_1)
	v_bfe_u32 v6, v2, 23, 1
; %bb.19232:                            ;   in Loop: Header=BB6_18683 Depth=3
	s_or_b32 exec_lo, exec_lo, s14
	s_delay_alu instid0(VALU_DEP_2) | instskip(NEXT) | instid1(VALU_DEP_2)
	v_lshrrev_b64 v[2:3], 21, v[2:3]
	v_cmp_gt_i32_e32 vcc_lo, 32, v6
	v_min_i32_e32 v7, 31, v6
	v_cmp_eq_u32_e64 s14, 0, v6
	s_delay_alu instid0(VALU_DEP_4) | instskip(NEXT) | instid1(VALU_DEP_3)
	v_cndmask_b32_e32 v3, 0, v3, vcc_lo
	v_dual_cndmask_b32 v2, 3, v2 :: v_dual_lshlrev_b32 v7, 2, v7
	s_delay_alu instid0(VALU_DEP_1) | instskip(NEXT) | instid1(VALU_DEP_2)
	v_and_b32_e32 v7, 0xfc, v7
	v_cmp_eq_u64_e32 vcc_lo, 0, v[2:3]
	s_delay_alu instid0(VALU_DEP_2)
	v_and_or_b32 v2, v2, 3, v7
	s_and_b32 s14, s14, vcc_lo
	s_delay_alu instid0(VALU_DEP_1) | instid1(SALU_CYCLE_1)
	v_cndmask_b32_e64 v2, v2, 0, s14
	s_delay_alu instid0(VALU_DEP_1)
	v_or_b32_e32 v28, v2, v1
.LBB6_19233:                            ;   in Loop: Header=BB6_18683 Depth=3
	s_or_b32 exec_lo, exec_lo, s43
                                        ; implicit-def: $vgpr1
.LBB6_19234:                            ;   in Loop: Header=BB6_18683 Depth=3
	s_and_not1_saveexec_b32 s14, s42
; %bb.19235:                            ;   in Loop: Header=BB6_18683 Depth=3
	v_or_b32_e32 v28, 0x7b, v1
; %bb.19236:                            ;   in Loop: Header=BB6_18683 Depth=3
	s_or_b32 exec_lo, exec_lo, s14
                                        ; implicit-def: $vgpr6
                                        ; implicit-def: $vgpr2_vgpr3
                                        ; implicit-def: $vgpr1
.LBB6_19237:                            ;   in Loop: Header=BB6_18683 Depth=3
	s_and_not1_saveexec_b32 s14, s15
	s_cbranch_execz .LBB6_19243
; %bb.19238:                            ;   in Loop: Header=BB6_18683 Depth=3
	s_mov_b32 s15, exec_lo
                                        ; implicit-def: $vgpr28
	v_cmpx_ne_u64_e32 0, v[2:3]
	s_xor_b32 s15, exec_lo, s15
; %bb.19239:                            ;   in Loop: Header=BB6_18683 Depth=3
	v_or_b32_e32 v28, 0x7f, v1
                                        ; implicit-def: $vgpr6
; %bb.19240:                            ;   in Loop: Header=BB6_18683 Depth=3
	s_and_not1_saveexec_b32 s15, s15
; %bb.19241:                            ;   in Loop: Header=BB6_18683 Depth=3
	v_cmp_lt_i32_e32 vcc_lo, -1, v6
	v_mov_b32_e32 v1, 0x7c
	s_delay_alu instid0(VALU_DEP_1)
	v_cndmask_b32_e32 v28, 0xfc, v1, vcc_lo
; %bb.19242:                            ;   in Loop: Header=BB6_18683 Depth=3
	s_or_b32 exec_lo, exec_lo, s15
.LBB6_19243:                            ;   in Loop: Header=BB6_18683 Depth=3
	s_delay_alu instid0(SALU_CYCLE_1) | instskip(SKIP_2) | instid1(VALU_DEP_1)
	s_or_b32 exec_lo, exec_lo, s14
	v_dual_mov_b32 v1, 0 :: v_dual_lshrrev_b32 v2, 16, v0
	s_mov_b32 s14, exec_lo
	v_and_b32_e32 v3, 0xff, v2
	s_delay_alu instid0(VALU_DEP_1)
	v_cmpx_ne_u16_e32 0, v3
	s_cbranch_execz .LBB6_19253
; %bb.19244:                            ;   in Loop: Header=BB6_18683 Depth=3
	v_bfrev_b32_e32 v1, 1
	s_mov_b32 s15, exec_lo
	v_cmpx_ne_u16_e32 0x80, v3
	s_cbranch_execz .LBB6_19252
; %bb.19245:                            ;   in Loop: Header=BB6_18683 Depth=3
	v_and_b32_e32 v1, 0x7c0000, v0
	v_bfe_u32 v3, v0, 16, 2
	s_delay_alu instid0(VALU_DEP_2) | instskip(SKIP_1) | instid1(SALU_CYCLE_1)
	v_cmp_ne_u32_e32 vcc_lo, 0x7c0000, v1
                                        ; implicit-def: $vgpr1
	s_and_saveexec_b32 s42, vcc_lo
	s_xor_b32 s42, exec_lo, s42
	s_cbranch_execz .LBB6_19249
; %bb.19246:                            ;   in Loop: Header=BB6_18683 Depth=3
	v_bfe_u32 v1, v0, 18, 5
	v_lshrrev_b32_e32 v2, 16, v0
	s_mov_b32 s43, exec_lo
	s_delay_alu instid0(VALU_DEP_2)
	v_cmpx_eq_u32_e32 0, v1
; %bb.19247:                            ;   in Loop: Header=BB6_18683 Depth=3
	v_clz_i32_u32_e32 v1, v3
	s_delay_alu instid0(VALU_DEP_1) | instskip(NEXT) | instid1(VALU_DEP_1)
	v_min_u32_e32 v1, 32, v1
	v_subrev_nc_u32_e32 v3, 29, v1
	s_delay_alu instid0(VALU_DEP_1) | instskip(NEXT) | instid1(VALU_DEP_1)
	v_lshlrev_b64_e32 v[6:7], v3, v[2:3]
	v_dual_sub_nc_u32 v1, 30, v1 :: v_dual_bitop2_b32 v3, 3, v6 bitop3:0x40
; %bb.19248:                            ;   in Loop: Header=BB6_18683 Depth=3
	s_or_b32 exec_lo, exec_lo, s43
	v_lshlrev_b32_e32 v2, 24, v2
	s_delay_alu instid0(VALU_DEP_1) | instskip(NEXT) | instid1(VALU_DEP_1)
	v_and_b32_e32 v2, 0x80000000, v2
	v_lshl_add_u32 v1, v1, 23, v2
                                        ; implicit-def: $vgpr2
	s_delay_alu instid0(VALU_DEP_1) | instskip(NEXT) | instid1(VALU_DEP_1)
	v_lshl_or_b32 v1, v3, 21, v1
                                        ; implicit-def: $vgpr3
	v_add_nc_u32_e32 v1, 0x38000000, v1
.LBB6_19249:                            ;   in Loop: Header=BB6_18683 Depth=3
	s_and_not1_saveexec_b32 s42, s42
; %bb.19250:                            ;   in Loop: Header=BB6_18683 Depth=3
	v_bfe_i32 v1, v2, 0, 8
	s_delay_alu instid0(VALU_DEP_1) | instskip(SKIP_1) | instid1(VALU_DEP_1)
	v_cmp_lt_i16_e32 vcc_lo, -1, v1
	v_mov_b32_e32 v1, 0x7f800000
	v_cndmask_b32_e32 v1, 0xff800000, v1, vcc_lo
	v_cmp_eq_u32_e32 vcc_lo, 0, v3
	s_delay_alu instid0(VALU_DEP_2)
	v_cndmask_b32_e32 v1, 0x7f800001, v1, vcc_lo
; %bb.19251:                            ;   in Loop: Header=BB6_18683 Depth=3
	s_or_b32 exec_lo, exec_lo, s42
.LBB6_19252:                            ;   in Loop: Header=BB6_18683 Depth=3
	s_delay_alu instid0(SALU_CYCLE_1)
	s_or_b32 exec_lo, exec_lo, s15
.LBB6_19253:                            ;   in Loop: Header=BB6_18683 Depth=3
	s_delay_alu instid0(SALU_CYCLE_1) | instskip(SKIP_3) | instid1(VALU_DEP_1)
	s_or_b32 exec_lo, exec_lo, s14
	v_lshrrev_b32_e32 v2, 16, v8
	s_mov_b32 s15, 0
	s_mov_b32 s14, exec_lo
	v_and_b32_e32 v6, 0xff, v2
	s_delay_alu instid0(VALU_DEP_1)
	v_cmpx_lt_i16_e32 0x7f, v6
	s_xor_b32 s14, exec_lo, s14
	s_cbranch_execz .LBB6_19730
; %bb.19254:                            ;   in Loop: Header=BB6_18683 Depth=3
	s_mov_b32 s15, -1
	s_mov_b32 s42, exec_lo
	v_cmpx_eq_u16_e32 0x80, v6
; %bb.19255:                            ;   in Loop: Header=BB6_18683 Depth=3
	s_xor_b32 s15, exec_lo, -1
; %bb.19256:                            ;   in Loop: Header=BB6_18683 Depth=3
	s_or_b32 exec_lo, exec_lo, s42
	s_delay_alu instid0(SALU_CYCLE_1)
	s_and_b32 s15, s15, exec_lo
                                        ; implicit-def: $vgpr6
	s_or_saveexec_b32 s14, s14
	v_bfrev_b32_e32 v3, 1
	s_xor_b32 exec_lo, exec_lo, s14
	s_cbranch_execnz .LBB6_19731
.LBB6_19257:                            ;   in Loop: Header=BB6_18683 Depth=3
	s_or_b32 exec_lo, exec_lo, s14
	s_and_saveexec_b32 s14, s15
	s_cbranch_execz .LBB6_19259
.LBB6_19258:                            ;   in Loop: Header=BB6_18683 Depth=3
	v_and_b32_e32 v3, 3, v2
	v_bfe_u32 v36, v8, 18, 5
	s_delay_alu instid0(VALU_DEP_2) | instskip(NEXT) | instid1(VALU_DEP_2)
	v_clz_i32_u32_e32 v6, v3
	v_cmp_eq_u32_e32 vcc_lo, 0, v36
	s_delay_alu instid0(VALU_DEP_2) | instskip(NEXT) | instid1(VALU_DEP_1)
	v_min_u32_e32 v33, 32, v6
	v_subrev_nc_u32_e32 v6, 29, v33
	s_delay_alu instid0(VALU_DEP_1) | instskip(SKIP_2) | instid1(VALU_DEP_2)
	v_lshlrev_b64_e32 v[6:7], v6, v[2:3]
	v_dual_lshlrev_b32 v7, 24, v2 :: v_dual_sub_nc_u32 v33, 30, v33
	v_bfe_i32 v2, v2, 0, 8
	v_and_b32_e32 v7, 0x80000000, v7
	s_delay_alu instid0(VALU_DEP_3) | instskip(NEXT) | instid1(VALU_DEP_1)
	v_dual_cndmask_b32 v33, v36, v33, vcc_lo :: v_dual_bitop2_b32 v6, 3, v6 bitop3:0x40
	v_cndmask_b32_e32 v6, v3, v6, vcc_lo
	s_delay_alu instid0(VALU_DEP_2) | instskip(SKIP_2) | instid1(VALU_DEP_3)
	v_lshl_add_u32 v7, v33, 23, v7
	v_cmp_lt_i16_e32 vcc_lo, -1, v2
	v_mov_b32_e32 v2, 0x7f800000
	v_lshl_or_b32 v6, v6, 21, v7
	v_and_b32_e32 v7, 0x7c0000, v8
	s_delay_alu instid0(VALU_DEP_3) | instskip(SKIP_1) | instid1(VALU_DEP_4)
	v_cndmask_b32_e32 v2, 0xff800000, v2, vcc_lo
	v_cmp_eq_u32_e32 vcc_lo, 0, v3
	v_add_nc_u32_e32 v3, 0x38000000, v6
	s_delay_alu instid0(VALU_DEP_3) | instskip(SKIP_1) | instid1(VALU_DEP_2)
	v_cndmask_b32_e32 v2, 0x7f800001, v2, vcc_lo
	v_cmp_eq_u32_e32 vcc_lo, 0x7c0000, v7
	v_cndmask_b32_e32 v3, v3, v2, vcc_lo
.LBB6_19259:                            ;   in Loop: Header=BB6_18683 Depth=3
	s_or_b32 exec_lo, exec_lo, s14
	s_delay_alu instid0(VALU_DEP_1) | instskip(SKIP_2) | instid1(VALU_DEP_2)
	v_add_f32_e32 v6, v1, v3
	v_dual_mov_b32 v49, v113 :: v_dual_mov_b32 v3, v113
                                        ; implicit-def: $vgpr33
	s_mov_b32 s14, exec_lo
	v_and_b32_e32 v48, 0x7f800000, v6
	v_and_b32_e32 v2, 0x7fffff, v6
	v_lshrrev_b32_e32 v1, 24, v6
	s_delay_alu instid0(VALU_DEP_3)
	v_cmpx_ne_u64_e32 0x7f800000, v[48:49]
	s_xor_b32 s15, exec_lo, s14
	s_cbranch_execz .LBB6_19273
; %bb.19260:                            ;   in Loop: Header=BB6_18683 Depth=3
	v_and_b32_e32 v48, 0x7fffffff, v6
	v_mov_b32_e32 v49, v113
	v_and_b32_e32 v1, 0x80, v1
                                        ; implicit-def: $vgpr33
	s_mov_b32 s14, exec_lo
	s_delay_alu instid0(VALU_DEP_2)
	v_cmpx_gt_u64_e32 0x47600001, v[48:49]
	s_xor_b32 s42, exec_lo, s14
	s_cbranch_execz .LBB6_19270
; %bb.19261:                            ;   in Loop: Header=BB6_18683 Depth=3
	v_mov_b32_e32 v33, 0
	s_mov_b32 s43, exec_lo
	v_cmpx_ne_u32_e32 0, v6
	s_cbranch_execz .LBB6_19269
; %bb.19262:                            ;   in Loop: Header=BB6_18683 Depth=3
	v_bfe_u32 v33, v6, 23, 8
	v_or_b32_e32 v7, 0x800000, v2
	s_delay_alu instid0(VALU_DEP_2) | instskip(SKIP_2) | instid1(VALU_DEP_2)
	v_cmp_gt_u32_e64 s14, 0x72, v33
	v_sub_nc_u32_e32 v6, 0x71, v33
	v_cmp_eq_u32_e32 vcc_lo, 0, v33
	v_cndmask_b32_e64 v6, 0, v6, s14
	s_delay_alu instid0(VALU_DEP_1) | instskip(NEXT) | instid1(VALU_DEP_1)
	v_cndmask_b32_e64 v36, v6, 0x70, vcc_lo
	v_dual_cndmask_b32 v2, v7, v2, vcc_lo :: v_dual_add_nc_u32 v6, 21, v36
	v_add_nc_u32_e32 v48, 20, v36
	s_delay_alu instid0(VALU_DEP_2) | instskip(NEXT) | instid1(VALU_DEP_2)
	v_lshlrev_b64_e64 v[6:7], v6, -1
	v_lshlrev_b64_e64 v[48:49], v48, 1
	s_delay_alu instid0(VALU_DEP_2) | instskip(SKIP_1) | instid1(VALU_DEP_4)
	v_bfi_b32 v6, v6, 0, v2
	v_lshrrev_b64 v[2:3], v36, v[2:3]
	v_bfi_b32 v7, v7, 0, 0
	s_delay_alu instid0(VALU_DEP_1) | instskip(NEXT) | instid1(VALU_DEP_3)
	v_cmp_eq_u64_e64 s14, v[6:7], v[48:49]
	v_mov_b64_e32 v[6:7], v[2:3]
	s_and_saveexec_b32 s78, s14
; %bb.19263:                            ;   in Loop: Header=BB6_18683 Depth=3
	v_bfe_u32 v6, v2, 21, 1
	v_mov_b32_e32 v7, v113
	s_delay_alu instid0(VALU_DEP_1) | instskip(NEXT) | instid1(VALU_DEP_1)
	v_add_nc_u64_e32 v[6:7], v[2:3], v[6:7]
	v_add_nc_u64_e32 v[6:7], -1, v[6:7]
; %bb.19264:                            ;   in Loop: Header=BB6_18683 Depth=3
	s_or_b32 exec_lo, exec_lo, s78
	v_add_nc_u32_e32 v3, 0xffffff81, v33
	v_lshrrev_b32_e32 v7, 23, v2
	s_mov_b32 s14, exec_lo
	s_delay_alu instid0(VALU_DEP_2) | instskip(NEXT) | instid1(VALU_DEP_1)
	v_cndmask_b32_e64 v3, v3, 0xffffff82, vcc_lo
	v_add3_u32 v7, v36, v3, v7
	v_and_b32_e32 v3, 0x1fffff, v6
                                        ; implicit-def: $vgpr6
	s_delay_alu instid0(VALU_DEP_1) | instskip(SKIP_1) | instid1(VALU_DEP_2)
	v_dual_add_nc_u32 v33, 14, v7 :: v_dual_add_nc_u32 v2, v3, v2
	v_mov_b32_e32 v3, v113
	v_cmpx_ne_u32_e32 0, v33
	s_xor_b32 s14, exec_lo, s14
; %bb.19265:                            ;   in Loop: Header=BB6_18683 Depth=3
	s_delay_alu instid0(VALU_DEP_2) | instskip(SKIP_2) | instid1(VALU_DEP_2)
	v_cmp_lt_u64_e32 vcc_lo, 0xffffff, v[2:3]
	v_add_nc_u32_e32 v6, 15, v7
	v_cndmask_b32_e64 v7, 0, 1, vcc_lo
	v_cndmask_b32_e32 v6, v33, v6, vcc_lo
	s_delay_alu instid0(VALU_DEP_2)
	v_lshrrev_b64 v[2:3], v7, v[2:3]
; %bb.19266:                            ;   in Loop: Header=BB6_18683 Depth=3
	s_and_not1_saveexec_b32 s14, s14
; %bb.19267:                            ;   in Loop: Header=BB6_18683 Depth=3
	s_delay_alu instid0(VALU_DEP_1)
	v_bfe_u32 v6, v2, 23, 1
; %bb.19268:                            ;   in Loop: Header=BB6_18683 Depth=3
	s_or_b32 exec_lo, exec_lo, s14
	s_delay_alu instid0(VALU_DEP_2) | instskip(NEXT) | instid1(VALU_DEP_2)
	v_lshrrev_b64 v[2:3], 21, v[2:3]
	v_cmp_gt_i32_e32 vcc_lo, 32, v6
	v_min_i32_e32 v7, 31, v6
	v_cmp_eq_u32_e64 s14, 0, v6
	s_delay_alu instid0(VALU_DEP_4) | instskip(NEXT) | instid1(VALU_DEP_3)
	v_cndmask_b32_e32 v3, 0, v3, vcc_lo
	v_dual_cndmask_b32 v2, 3, v2 :: v_dual_lshlrev_b32 v7, 2, v7
	s_delay_alu instid0(VALU_DEP_1) | instskip(NEXT) | instid1(VALU_DEP_2)
	v_and_b32_e32 v7, 0xfc, v7
	v_cmp_eq_u64_e32 vcc_lo, 0, v[2:3]
	s_delay_alu instid0(VALU_DEP_2)
	v_and_or_b32 v2, v2, 3, v7
	s_and_b32 s14, s14, vcc_lo
	s_delay_alu instid0(VALU_DEP_1) | instid1(SALU_CYCLE_1)
	v_cndmask_b32_e64 v2, v2, 0, s14
	s_delay_alu instid0(VALU_DEP_1)
	v_or_b32_e32 v33, v2, v1
.LBB6_19269:                            ;   in Loop: Header=BB6_18683 Depth=3
	s_or_b32 exec_lo, exec_lo, s43
                                        ; implicit-def: $vgpr1
.LBB6_19270:                            ;   in Loop: Header=BB6_18683 Depth=3
	s_and_not1_saveexec_b32 s14, s42
; %bb.19271:                            ;   in Loop: Header=BB6_18683 Depth=3
	v_or_b32_e32 v33, 0x7b, v1
; %bb.19272:                            ;   in Loop: Header=BB6_18683 Depth=3
	s_or_b32 exec_lo, exec_lo, s14
                                        ; implicit-def: $vgpr6
                                        ; implicit-def: $vgpr2_vgpr3
                                        ; implicit-def: $vgpr1
.LBB6_19273:                            ;   in Loop: Header=BB6_18683 Depth=3
	s_and_not1_saveexec_b32 s14, s15
	s_cbranch_execz .LBB6_19279
; %bb.19274:                            ;   in Loop: Header=BB6_18683 Depth=3
	s_mov_b32 s15, exec_lo
                                        ; implicit-def: $vgpr33
	v_cmpx_ne_u64_e32 0, v[2:3]
	s_xor_b32 s15, exec_lo, s15
; %bb.19275:                            ;   in Loop: Header=BB6_18683 Depth=3
	v_or_b32_e32 v33, 0x7f, v1
                                        ; implicit-def: $vgpr6
; %bb.19276:                            ;   in Loop: Header=BB6_18683 Depth=3
	s_and_not1_saveexec_b32 s15, s15
; %bb.19277:                            ;   in Loop: Header=BB6_18683 Depth=3
	v_cmp_lt_i32_e32 vcc_lo, -1, v6
	v_mov_b32_e32 v1, 0x7c
	s_delay_alu instid0(VALU_DEP_1)
	v_cndmask_b32_e32 v33, 0xfc, v1, vcc_lo
; %bb.19278:                            ;   in Loop: Header=BB6_18683 Depth=3
	s_or_b32 exec_lo, exec_lo, s15
.LBB6_19279:                            ;   in Loop: Header=BB6_18683 Depth=3
	s_delay_alu instid0(SALU_CYCLE_1)
	s_or_b32 exec_lo, exec_lo, s14
	v_mov_b32_e32 v3, 0
	s_mov_b32 s14, exec_lo
	v_cmpx_lt_u32_e32 0xffffff, v0
	s_cbranch_execz .LBB6_19289
; %bb.19280:                            ;   in Loop: Header=BB6_18683 Depth=3
	v_lshrrev_b32_e32 v2, 24, v0
	v_bfrev_b32_e32 v3, 1
	s_mov_b32 s15, exec_lo
	s_delay_alu instid0(VALU_DEP_2)
	v_cmpx_ne_u32_e32 0x80, v2
	s_cbranch_execz .LBB6_19288
; %bb.19281:                            ;   in Loop: Header=BB6_18683 Depth=3
	v_and_b32_e32 v1, 0x7c000000, v0
	v_bfe_u32 v6, v0, 24, 2
	s_mov_b32 s42, exec_lo
                                        ; implicit-def: $vgpr3
	s_delay_alu instid0(VALU_DEP_2)
	v_cmpx_ne_u32_e32 0x7c000000, v1
	s_xor_b32 s42, exec_lo, s42
	s_cbranch_execz .LBB6_19285
; %bb.19282:                            ;   in Loop: Header=BB6_18683 Depth=3
	v_bfe_u32 v1, v0, 26, 5
	s_mov_b32 s43, exec_lo
	s_delay_alu instid0(VALU_DEP_1)
	v_cmpx_eq_u32_e32 0, v1
; %bb.19283:                            ;   in Loop: Header=BB6_18683 Depth=3
	v_clz_i32_u32_e32 v1, v6
	s_delay_alu instid0(VALU_DEP_1) | instskip(NEXT) | instid1(VALU_DEP_1)
	v_min_u32_e32 v1, 32, v1
	v_subrev_nc_u32_e32 v3, 29, v1
	s_delay_alu instid0(VALU_DEP_1) | instskip(NEXT) | instid1(VALU_DEP_1)
	v_lshlrev_b64_e32 v[2:3], v3, v[2:3]
	v_dual_sub_nc_u32 v1, 30, v1 :: v_dual_bitop2_b32 v6, 3, v2 bitop3:0x40
; %bb.19284:                            ;   in Loop: Header=BB6_18683 Depth=3
	s_or_b32 exec_lo, exec_lo, s43
	v_and_b32_e32 v0, 0x80000000, v0
	s_delay_alu instid0(VALU_DEP_1) | instskip(NEXT) | instid1(VALU_DEP_1)
	v_lshl_add_u32 v0, v1, 23, v0
	v_lshl_or_b32 v0, v6, 21, v0
                                        ; implicit-def: $vgpr6
	s_delay_alu instid0(VALU_DEP_1)
	v_add_nc_u32_e32 v3, 0x38000000, v0
                                        ; implicit-def: $vgpr0_vgpr1
.LBB6_19285:                            ;   in Loop: Header=BB6_18683 Depth=3
	s_and_not1_saveexec_b32 s42, s42
; %bb.19286:                            ;   in Loop: Header=BB6_18683 Depth=3
	v_cmp_lt_i32_e32 vcc_lo, -1, v0
	v_mov_b32_e32 v0, 0x7f800000
	s_delay_alu instid0(VALU_DEP_1) | instskip(SKIP_1) | instid1(VALU_DEP_2)
	v_cndmask_b32_e32 v0, 0xff800000, v0, vcc_lo
	v_cmp_eq_u32_e32 vcc_lo, 0, v6
	v_cndmask_b32_e32 v3, 0x7f800001, v0, vcc_lo
; %bb.19287:                            ;   in Loop: Header=BB6_18683 Depth=3
	s_or_b32 exec_lo, exec_lo, s42
.LBB6_19288:                            ;   in Loop: Header=BB6_18683 Depth=3
	s_delay_alu instid0(SALU_CYCLE_1)
	s_or_b32 exec_lo, exec_lo, s15
.LBB6_19289:                            ;   in Loop: Header=BB6_18683 Depth=3
	s_delay_alu instid0(SALU_CYCLE_1) | instskip(SKIP_3) | instid1(VALU_DEP_2)
	s_or_b32 exec_lo, exec_lo, s14
	v_bfe_u32 v1, v8, 24, 2
	v_bfe_u32 v36, v8, 26, 5
	s_mov_b32 s14, exec_lo
	v_clz_i32_u32_e32 v0, v1
	s_delay_alu instid0(VALU_DEP_2) | instskip(NEXT) | instid1(VALU_DEP_2)
	v_cmp_eq_u32_e32 vcc_lo, 0, v36
	v_min_u32_e32 v2, 32, v0
	v_lshrrev_b32_e32 v0, 24, v8
	s_delay_alu instid0(VALU_DEP_2) | instskip(SKIP_1) | instid1(VALU_DEP_2)
	v_subrev_nc_u32_e32 v6, 29, v2
	v_sub_nc_u32_e32 v2, 30, v2
	v_lshlrev_b64_e32 v[6:7], v6, v[0:1]
	v_and_b32_e32 v7, 0x80000000, v8
	s_delay_alu instid0(VALU_DEP_3) | instskip(NEXT) | instid1(VALU_DEP_1)
	v_cndmask_b32_e32 v2, v36, v2, vcc_lo
                                        ; implicit-def: $vgpr36
	v_lshl_add_u32 v2, v2, 23, v7
	s_delay_alu instid0(VALU_DEP_4) | instskip(NEXT) | instid1(VALU_DEP_1)
	v_and_b32_e32 v6, 3, v6
	v_dual_mov_b32 v7, 0x7f800000 :: v_dual_cndmask_b32 v6, v1, v6
	v_cmp_lt_i32_e32 vcc_lo, -1, v8
	s_delay_alu instid0(VALU_DEP_2) | instskip(NEXT) | instid1(VALU_DEP_3)
	v_lshl_or_b32 v2, v6, 21, v2
	v_cndmask_b32_e32 v7, 0xff800000, v7, vcc_lo
	v_and_b32_e32 v6, 0x7c000000, v8
	v_cmp_eq_u32_e32 vcc_lo, 0, v1
	s_delay_alu instid0(VALU_DEP_4) | instskip(NEXT) | instid1(VALU_DEP_4)
	v_add_nc_u32_e32 v2, 0x38000000, v2
	v_cndmask_b32_e32 v1, 0x7f800001, v7, vcc_lo
	s_delay_alu instid0(VALU_DEP_4) | instskip(NEXT) | instid1(VALU_DEP_2)
	v_cmp_eq_u32_e32 vcc_lo, 0x7c000000, v6
	v_dual_mov_b32 v7, v113 :: v_dual_cndmask_b32 v1, v2, v1, vcc_lo
	v_cmp_ne_u32_e32 vcc_lo, 0x80, v0
	s_delay_alu instid0(VALU_DEP_2) | instskip(SKIP_1) | instid1(VALU_DEP_2)
	v_dual_cndmask_b32 v0, 0x80000000, v1 :: v_dual_mov_b32 v1, v113
	v_cmp_lt_u32_e32 vcc_lo, 0xffffff, v8
	v_cndmask_b32_e32 v0, 0, v0, vcc_lo
	s_delay_alu instid0(VALU_DEP_1) | instskip(NEXT) | instid1(VALU_DEP_1)
	v_add_f32_e32 v2, v0, v3
	v_and_b32_e32 v6, 0x7f800000, v2
	v_and_b32_e32 v0, 0x7fffff, v2
	v_lshrrev_b32_e32 v3, 24, v2
	s_delay_alu instid0(VALU_DEP_3)
	v_cmpx_ne_u64_e32 0x7f800000, v[6:7]
	s_xor_b32 s15, exec_lo, s14
	s_cbranch_execz .LBB6_19303
; %bb.19290:                            ;   in Loop: Header=BB6_18683 Depth=3
	v_and_b32_e32 v6, 0x7fffffff, v2
	v_mov_b32_e32 v7, v113
                                        ; implicit-def: $vgpr36
	s_delay_alu instid0(VALU_DEP_1) | instskip(SKIP_2) | instid1(SALU_CYCLE_1)
	v_cmp_gt_u64_e32 vcc_lo, 0x47600001, v[6:7]
	v_and_b32_e32 v6, 0x80, v3
	s_and_saveexec_b32 s14, vcc_lo
	s_xor_b32 s42, exec_lo, s14
	s_cbranch_execz .LBB6_19300
; %bb.19291:                            ;   in Loop: Header=BB6_18683 Depth=3
	v_mov_b32_e32 v36, 0
	s_mov_b32 s43, exec_lo
	v_cmpx_ne_u32_e32 0, v2
	s_cbranch_execz .LBB6_19299
; %bb.19292:                            ;   in Loop: Header=BB6_18683 Depth=3
	v_bfe_u32 v7, v2, 23, 8
	v_or_b32_e32 v3, 0x800000, v0
	s_delay_alu instid0(VALU_DEP_2) | instskip(SKIP_2) | instid1(VALU_DEP_2)
	v_cmp_gt_u32_e64 s14, 0x72, v7
	v_sub_nc_u32_e32 v2, 0x71, v7
	v_cmp_eq_u32_e32 vcc_lo, 0, v7
	v_dual_cndmask_b32 v2, 0, v2, s14 :: v_dual_cndmask_b32 v0, v3, v0, vcc_lo
	s_delay_alu instid0(VALU_DEP_1) | instskip(NEXT) | instid1(VALU_DEP_1)
	v_cndmask_b32_e64 v36, v2, 0x70, vcc_lo
	v_dual_add_nc_u32 v2, 21, v36 :: v_dual_add_nc_u32 v48, 20, v36
	s_delay_alu instid0(VALU_DEP_1) | instskip(NEXT) | instid1(VALU_DEP_2)
	v_lshlrev_b64_e64 v[2:3], v2, -1
	v_lshlrev_b64_e64 v[48:49], v48, 1
	s_delay_alu instid0(VALU_DEP_2) | instskip(SKIP_1) | instid1(VALU_DEP_4)
	v_bfi_b32 v2, v2, 0, v0
	v_lshrrev_b64 v[0:1], v36, v[0:1]
	v_bfi_b32 v3, v3, 0, 0
	s_delay_alu instid0(VALU_DEP_1) | instskip(NEXT) | instid1(VALU_DEP_3)
	v_cmp_eq_u64_e64 s14, v[2:3], v[48:49]
	v_mov_b64_e32 v[2:3], v[0:1]
	s_and_saveexec_b32 s78, s14
; %bb.19293:                            ;   in Loop: Header=BB6_18683 Depth=3
	v_bfe_u32 v2, v0, 21, 1
	v_mov_b32_e32 v3, v113
	s_delay_alu instid0(VALU_DEP_1) | instskip(NEXT) | instid1(VALU_DEP_1)
	v_add_nc_u64_e32 v[2:3], v[0:1], v[2:3]
	v_add_nc_u64_e32 v[2:3], -1, v[2:3]
; %bb.19294:                            ;   in Loop: Header=BB6_18683 Depth=3
	s_or_b32 exec_lo, exec_lo, s78
	v_add_nc_u32_e32 v1, 0xffffff81, v7
	v_lshrrev_b32_e32 v3, 23, v0
	s_mov_b32 s14, exec_lo
	s_delay_alu instid0(VALU_DEP_2) | instskip(NEXT) | instid1(VALU_DEP_1)
	v_cndmask_b32_e64 v1, v1, 0xffffff82, vcc_lo
	v_add3_u32 v3, v36, v1, v3
	v_and_b32_e32 v1, 0x1fffff, v2
                                        ; implicit-def: $vgpr2
	s_delay_alu instid0(VALU_DEP_1) | instskip(SKIP_1) | instid1(VALU_DEP_2)
	v_dual_add_nc_u32 v7, 14, v3 :: v_dual_add_nc_u32 v0, v1, v0
	v_mov_b32_e32 v1, v113
	v_cmpx_ne_u32_e32 0, v7
	s_xor_b32 s14, exec_lo, s14
; %bb.19295:                            ;   in Loop: Header=BB6_18683 Depth=3
	s_delay_alu instid0(VALU_DEP_2) | instskip(SKIP_2) | instid1(VALU_DEP_2)
	v_cmp_lt_u64_e32 vcc_lo, 0xffffff, v[0:1]
	v_add_nc_u32_e32 v2, 15, v3
	v_cndmask_b32_e64 v3, 0, 1, vcc_lo
	v_cndmask_b32_e32 v2, v7, v2, vcc_lo
	s_delay_alu instid0(VALU_DEP_2)
	v_lshrrev_b64 v[0:1], v3, v[0:1]
; %bb.19296:                            ;   in Loop: Header=BB6_18683 Depth=3
	s_and_not1_saveexec_b32 s14, s14
; %bb.19297:                            ;   in Loop: Header=BB6_18683 Depth=3
	s_delay_alu instid0(VALU_DEP_1)
	v_bfe_u32 v2, v0, 23, 1
; %bb.19298:                            ;   in Loop: Header=BB6_18683 Depth=3
	s_or_b32 exec_lo, exec_lo, s14
	s_delay_alu instid0(VALU_DEP_2) | instskip(NEXT) | instid1(VALU_DEP_2)
	v_lshrrev_b64 v[0:1], 21, v[0:1]
	v_cmp_gt_i32_e32 vcc_lo, 32, v2
	v_min_i32_e32 v3, 31, v2
	v_cmp_eq_u32_e64 s14, 0, v2
	s_delay_alu instid0(VALU_DEP_2) | instskip(SKIP_1) | instid1(VALU_DEP_2)
	v_dual_cndmask_b32 v1, 0, v1, vcc_lo :: v_dual_lshlrev_b32 v3, 2, v3
	v_cndmask_b32_e32 v0, 3, v0, vcc_lo
	v_and_b32_e32 v3, 0xfc, v3
	s_delay_alu instid0(VALU_DEP_2) | instskip(NEXT) | instid1(VALU_DEP_2)
	v_cmp_eq_u64_e32 vcc_lo, 0, v[0:1]
	v_and_or_b32 v0, v0, 3, v3
	s_and_b32 s14, s14, vcc_lo
	s_delay_alu instid0(VALU_DEP_1) | instid1(SALU_CYCLE_1)
	v_cndmask_b32_e64 v0, v0, 0, s14
	s_delay_alu instid0(VALU_DEP_1)
	v_or_b32_e32 v36, v0, v6
.LBB6_19299:                            ;   in Loop: Header=BB6_18683 Depth=3
	s_or_b32 exec_lo, exec_lo, s43
                                        ; implicit-def: $vgpr6
.LBB6_19300:                            ;   in Loop: Header=BB6_18683 Depth=3
	s_and_not1_saveexec_b32 s14, s42
; %bb.19301:                            ;   in Loop: Header=BB6_18683 Depth=3
	v_or_b32_e32 v36, 0x7b, v6
; %bb.19302:                            ;   in Loop: Header=BB6_18683 Depth=3
	s_or_b32 exec_lo, exec_lo, s14
                                        ; implicit-def: $vgpr2
                                        ; implicit-def: $vgpr0_vgpr1
                                        ; implicit-def: $vgpr3
.LBB6_19303:                            ;   in Loop: Header=BB6_18683 Depth=3
	s_and_not1_saveexec_b32 s14, s15
	s_cbranch_execz .LBB6_19309
; %bb.19304:                            ;   in Loop: Header=BB6_18683 Depth=3
	s_mov_b32 s15, exec_lo
                                        ; implicit-def: $vgpr36
	v_cmpx_ne_u64_e32 0, v[0:1]
	s_xor_b32 s15, exec_lo, s15
; %bb.19305:                            ;   in Loop: Header=BB6_18683 Depth=3
	v_or_b32_e32 v36, 0x7f, v3
                                        ; implicit-def: $vgpr2
; %bb.19306:                            ;   in Loop: Header=BB6_18683 Depth=3
	s_and_not1_saveexec_b32 s15, s15
; %bb.19307:                            ;   in Loop: Header=BB6_18683 Depth=3
	v_cmp_lt_i32_e32 vcc_lo, -1, v2
	v_mov_b32_e32 v0, 0x7c
	s_delay_alu instid0(VALU_DEP_1)
	v_cndmask_b32_e32 v36, 0xfc, v0, vcc_lo
; %bb.19308:                            ;   in Loop: Header=BB6_18683 Depth=3
	s_or_b32 exec_lo, exec_lo, s15
.LBB6_19309:                            ;   in Loop: Header=BB6_18683 Depth=3
	s_delay_alu instid0(SALU_CYCLE_1) | instskip(SKIP_4) | instid1(VALU_DEP_2)
	s_or_b32 exec_lo, exec_lo, s14
	v_lshl_or_b32 v48, v19, 8, v18
	v_dual_lshlrev_b32 v0, 16, v38 :: v_dual_lshlrev_b32 v2, 24, v39
	v_dual_mov_b32 v1, v113 :: v_dual_mov_b32 v6, 0
	s_mov_b32 s14, exec_lo
	v_or3_b32 v0, v0, v2, v48
	v_cmpx_ne_u32_e32 0, v18
	s_cbranch_execz .LBB6_19319
; %bb.19310:                            ;   in Loop: Header=BB6_18683 Depth=3
	v_bfrev_b32_e32 v6, 1
	s_mov_b32 s15, exec_lo
	v_cmpx_ne_u32_e32 0x80, v18
	s_cbranch_execz .LBB6_19318
; %bb.19311:                            ;   in Loop: Header=BB6_18683 Depth=3
	v_and_b32_e32 v3, 0x7c, v18
	v_and_b32_e32 v2, 3, v18
	s_mov_b32 s42, exec_lo
                                        ; implicit-def: $vgpr6
	s_delay_alu instid0(VALU_DEP_2)
	v_cmpx_ne_u32_e32 0x7c, v3
	s_xor_b32 s42, exec_lo, s42
	s_cbranch_execz .LBB6_19315
; %bb.19312:                            ;   in Loop: Header=BB6_18683 Depth=3
	v_bfe_u32 v3, v18, 2, 5
	s_mov_b32 s43, exec_lo
	s_delay_alu instid0(VALU_DEP_1)
	v_cmpx_eq_u32_e32 0, v3
; %bb.19313:                            ;   in Loop: Header=BB6_18683 Depth=3
	v_clz_i32_u32_e32 v2, v2
	s_delay_alu instid0(VALU_DEP_1) | instskip(NEXT) | instid1(VALU_DEP_1)
	v_min_u32_e32 v6, 32, v2
	v_subrev_nc_u32_e32 v2, 29, v6
	s_delay_alu instid0(VALU_DEP_1) | instskip(SKIP_1) | instid1(VALU_DEP_2)
	v_lshlrev_b64_e32 v[2:3], v2, v[0:1]
	v_sub_nc_u32_e32 v3, 30, v6
	v_and_b32_e32 v2, 3, v2
; %bb.19314:                            ;   in Loop: Header=BB6_18683 Depth=3
	s_or_b32 exec_lo, exec_lo, s43
	v_lshlrev_b32_e32 v1, 24, v18
                                        ; implicit-def: $vgpr18
	s_delay_alu instid0(VALU_DEP_1) | instskip(NEXT) | instid1(VALU_DEP_1)
	v_and_b32_e32 v1, 0x80000000, v1
	v_lshl_add_u32 v1, v3, 23, v1
	s_delay_alu instid0(VALU_DEP_1) | instskip(NEXT) | instid1(VALU_DEP_1)
	v_lshl_or_b32 v1, v2, 21, v1
                                        ; implicit-def: $vgpr2
	v_add_nc_u32_e32 v6, 0x38000000, v1
.LBB6_19315:                            ;   in Loop: Header=BB6_18683 Depth=3
	s_and_not1_saveexec_b32 s42, s42
; %bb.19316:                            ;   in Loop: Header=BB6_18683 Depth=3
	v_and_b32_e32 v1, 0x80, v18
	s_delay_alu instid0(VALU_DEP_1) | instskip(SKIP_1) | instid1(VALU_DEP_1)
	v_cmp_eq_u32_e32 vcc_lo, 0, v1
	v_mov_b32_e32 v1, 0x7f800000
	v_cndmask_b32_e32 v1, 0xff800000, v1, vcc_lo
	v_cmp_eq_u32_e32 vcc_lo, 0, v2
	s_delay_alu instid0(VALU_DEP_2)
	v_cndmask_b32_e32 v6, 0x7f800001, v1, vcc_lo
; %bb.19317:                            ;   in Loop: Header=BB6_18683 Depth=3
	s_or_b32 exec_lo, exec_lo, s42
.LBB6_19318:                            ;   in Loop: Header=BB6_18683 Depth=3
	s_delay_alu instid0(SALU_CYCLE_1)
	s_or_b32 exec_lo, exec_lo, s15
.LBB6_19319:                            ;   in Loop: Header=BB6_18683 Depth=3
	s_delay_alu instid0(SALU_CYCLE_1) | instskip(SKIP_4) | instid1(VALU_DEP_2)
	s_or_b32 exec_lo, exec_lo, s14
	v_and_b32_e32 v3, 0xff, v9
	v_mov_b32_e32 v2, v9
	s_mov_b32 s15, 0
	s_mov_b32 s14, exec_lo
	v_cmpx_lt_i16_e32 0x7f, v3
	s_xor_b32 s14, exec_lo, s14
	s_cbranch_execz .LBB6_19732
; %bb.19320:                            ;   in Loop: Header=BB6_18683 Depth=3
	s_mov_b32 s15, -1
	s_mov_b32 s42, exec_lo
	v_cmpx_eq_u16_e32 0x80, v3
; %bb.19321:                            ;   in Loop: Header=BB6_18683 Depth=3
	s_xor_b32 s15, exec_lo, -1
; %bb.19322:                            ;   in Loop: Header=BB6_18683 Depth=3
	s_or_b32 exec_lo, exec_lo, s42
	s_delay_alu instid0(SALU_CYCLE_1)
	s_and_b32 s15, s15, exec_lo
                                        ; implicit-def: $vgpr3
	s_or_saveexec_b32 s14, s14
	v_bfrev_b32_e32 v1, 1
	s_xor_b32 exec_lo, exec_lo, s14
	s_cbranch_execnz .LBB6_19733
.LBB6_19323:                            ;   in Loop: Header=BB6_18683 Depth=3
	s_or_b32 exec_lo, exec_lo, s14
	v_mov_b32_e32 v3, v113
	s_and_saveexec_b32 s14, s15
	s_cbranch_execz .LBB6_19325
.LBB6_19324:                            ;   in Loop: Header=BB6_18683 Depth=3
	v_and_b32_e32 v1, 3, v9
	s_delay_alu instid0(VALU_DEP_1) | instskip(NEXT) | instid1(VALU_DEP_1)
	v_clz_i32_u32_e32 v7, v1
	v_min_u32_e32 v7, 32, v7
	s_delay_alu instid0(VALU_DEP_1) | instskip(NEXT) | instid1(VALU_DEP_1)
	v_subrev_nc_u32_e32 v18, 29, v7
	v_lshlrev_b64_e32 v[18:19], v18, v[2:3]
	v_bfe_u32 v19, v9, 2, 5
	v_dual_lshlrev_b32 v3, 24, v9 :: v_dual_sub_nc_u32 v7, 30, v7
	s_delay_alu instid0(VALU_DEP_2) | instskip(NEXT) | instid1(VALU_DEP_2)
	v_cmp_eq_u32_e32 vcc_lo, 0, v19
	v_and_b32_e32 v3, 0x80000000, v3
	s_delay_alu instid0(VALU_DEP_3) | instskip(SKIP_1) | instid1(VALU_DEP_2)
	v_dual_cndmask_b32 v7, v19, v7, vcc_lo :: v_dual_bitop2_b32 v18, 3, v18 bitop3:0x40
	v_bfe_i32 v19, v9, 0, 8
	v_cndmask_b32_e32 v18, v1, v18, vcc_lo
	s_delay_alu instid0(VALU_DEP_3) | instskip(NEXT) | instid1(VALU_DEP_3)
	v_lshl_add_u32 v3, v7, 23, v3
	v_cmp_lt_i16_e32 vcc_lo, -1, v19
	v_mov_b32_e32 v7, 0x7f800000
	s_delay_alu instid0(VALU_DEP_3) | instskip(SKIP_1) | instid1(VALU_DEP_3)
	v_lshl_or_b32 v3, v18, 21, v3
	v_and_b32_e32 v18, 0x7c, v9
	v_cndmask_b32_e32 v7, 0xff800000, v7, vcc_lo
	v_cmp_eq_u32_e32 vcc_lo, 0, v1
	s_delay_alu instid0(VALU_DEP_4) | instskip(NEXT) | instid1(VALU_DEP_3)
	v_add_nc_u32_e32 v3, 0x38000000, v3
	v_cndmask_b32_e32 v1, 0x7f800001, v7, vcc_lo
	v_cmp_eq_u32_e32 vcc_lo, 0x7c, v18
	s_delay_alu instid0(VALU_DEP_2)
	v_cndmask_b32_e32 v1, v3, v1, vcc_lo
.LBB6_19325:                            ;   in Loop: Header=BB6_18683 Depth=3
	s_or_b32 exec_lo, exec_lo, s14
	s_delay_alu instid0(VALU_DEP_1) | instskip(NEXT) | instid1(VALU_DEP_1)
	v_dual_add_f32 v3, v6, v1 :: v_dual_mov_b32 v19, v113
	v_dual_mov_b32 v7, v113 :: v_dual_lshrrev_b32 v1, 24, v3
	v_and_b32_e32 v18, 0x7f800000, v3
	v_and_b32_e32 v6, 0x7fffff, v3
	s_delay_alu instid0(VALU_DEP_2) | instskip(SKIP_1) | instid1(SALU_CYCLE_1)
	v_cmp_ne_u64_e32 vcc_lo, 0x7f800000, v[18:19]
                                        ; implicit-def: $vgpr18
	s_and_saveexec_b32 s14, vcc_lo
	s_xor_b32 s15, exec_lo, s14
	s_cbranch_execz .LBB6_19339
; %bb.19326:                            ;   in Loop: Header=BB6_18683 Depth=3
	v_and_b32_e32 v18, 0x7fffffff, v3
	v_mov_b32_e32 v19, v113
	v_and_b32_e32 v1, 0x80, v1
	s_delay_alu instid0(VALU_DEP_2) | instskip(SKIP_1) | instid1(SALU_CYCLE_1)
	v_cmp_gt_u64_e32 vcc_lo, 0x47600001, v[18:19]
                                        ; implicit-def: $vgpr18
	s_and_saveexec_b32 s14, vcc_lo
	s_xor_b32 s42, exec_lo, s14
	s_cbranch_execz .LBB6_19336
; %bb.19327:                            ;   in Loop: Header=BB6_18683 Depth=3
	v_mov_b32_e32 v18, 0
	s_mov_b32 s43, exec_lo
	v_cmpx_ne_u32_e32 0, v3
	s_cbranch_execz .LBB6_19335
; %bb.19328:                            ;   in Loop: Header=BB6_18683 Depth=3
	v_bfe_u32 v3, v3, 23, 8
	v_or_b32_e32 v19, 0x800000, v6
	s_delay_alu instid0(VALU_DEP_2) | instskip(SKIP_2) | instid1(VALU_DEP_2)
	v_cmp_gt_u32_e64 s14, 0x72, v3
	v_sub_nc_u32_e32 v18, 0x71, v3
	v_cmp_eq_u32_e32 vcc_lo, 0, v3
	v_cndmask_b32_e64 v18, 0, v18, s14
	v_cndmask_b32_e32 v6, v19, v6, vcc_lo
	s_delay_alu instid0(VALU_DEP_2) | instskip(NEXT) | instid1(VALU_DEP_1)
	v_cndmask_b32_e64 v38, v18, 0x70, vcc_lo
	v_dual_add_nc_u32 v18, 21, v38 :: v_dual_add_nc_u32 v39, 20, v38
	s_delay_alu instid0(VALU_DEP_1) | instskip(NEXT) | instid1(VALU_DEP_2)
	v_lshlrev_b64_e64 v[18:19], v18, -1
	v_lshlrev_b64_e64 v[50:51], v39, 1
	s_delay_alu instid0(VALU_DEP_2) | instskip(SKIP_1) | instid1(VALU_DEP_4)
	v_bfi_b32 v18, v18, 0, v6
	v_lshrrev_b64 v[6:7], v38, v[6:7]
	v_bfi_b32 v19, v19, 0, 0
	s_delay_alu instid0(VALU_DEP_1) | instskip(NEXT) | instid1(VALU_DEP_3)
	v_cmp_eq_u64_e64 s14, v[18:19], v[50:51]
	v_mov_b64_e32 v[18:19], v[6:7]
	s_and_saveexec_b32 s78, s14
; %bb.19329:                            ;   in Loop: Header=BB6_18683 Depth=3
	v_bfe_u32 v18, v6, 21, 1
	v_mov_b32_e32 v19, v113
	s_delay_alu instid0(VALU_DEP_1) | instskip(NEXT) | instid1(VALU_DEP_1)
	v_add_nc_u64_e32 v[18:19], v[6:7], v[18:19]
	v_add_nc_u64_e32 v[18:19], -1, v[18:19]
; %bb.19330:                            ;   in Loop: Header=BB6_18683 Depth=3
	s_or_b32 exec_lo, exec_lo, s78
	v_add_nc_u32_e32 v3, 0xffffff81, v3
	v_lshrrev_b32_e32 v7, 23, v6
	s_mov_b32 s14, exec_lo
	s_delay_alu instid0(VALU_DEP_2) | instskip(NEXT) | instid1(VALU_DEP_1)
	v_cndmask_b32_e64 v3, v3, 0xffffff82, vcc_lo
	v_add3_u32 v19, v38, v3, v7
	v_and_b32_e32 v3, 0x1fffff, v18
	s_delay_alu instid0(VALU_DEP_2) | instskip(NEXT) | instid1(VALU_DEP_2)
	v_dual_mov_b32 v7, v113 :: v_dual_add_nc_u32 v18, 14, v19
	v_add_nc_u32_e32 v6, v3, v6
                                        ; implicit-def: $vgpr3
	s_delay_alu instid0(VALU_DEP_2)
	v_cmpx_ne_u32_e32 0, v18
	s_xor_b32 s14, exec_lo, s14
; %bb.19331:                            ;   in Loop: Header=BB6_18683 Depth=3
	s_delay_alu instid0(VALU_DEP_2) | instskip(SKIP_1) | instid1(VALU_DEP_1)
	v_cmp_lt_u64_e32 vcc_lo, 0xffffff, v[6:7]
	v_add_nc_u32_e32 v3, 15, v19
	v_cndmask_b32_e32 v3, v18, v3, vcc_lo
	v_cndmask_b32_e64 v18, 0, 1, vcc_lo
	s_delay_alu instid0(VALU_DEP_1)
	v_lshrrev_b64 v[6:7], v18, v[6:7]
; %bb.19332:                            ;   in Loop: Header=BB6_18683 Depth=3
	s_and_not1_saveexec_b32 s14, s14
; %bb.19333:                            ;   in Loop: Header=BB6_18683 Depth=3
	s_delay_alu instid0(VALU_DEP_1)
	v_bfe_u32 v3, v6, 23, 1
; %bb.19334:                            ;   in Loop: Header=BB6_18683 Depth=3
	s_or_b32 exec_lo, exec_lo, s14
	s_delay_alu instid0(VALU_DEP_2) | instskip(NEXT) | instid1(VALU_DEP_2)
	v_lshrrev_b64 v[6:7], 21, v[6:7]
	v_cmp_gt_i32_e32 vcc_lo, 32, v3
	v_min_i32_e32 v18, 31, v3
	v_cmp_eq_u32_e64 s14, 0, v3
	s_delay_alu instid0(VALU_DEP_4) | instskip(NEXT) | instid1(VALU_DEP_3)
	v_cndmask_b32_e32 v6, 3, v6, vcc_lo
	v_dual_cndmask_b32 v7, 0, v7 :: v_dual_lshlrev_b32 v18, 2, v18
	s_delay_alu instid0(VALU_DEP_1) | instskip(NEXT) | instid1(VALU_DEP_2)
	v_and_b32_e32 v18, 0xfc, v18
	v_cmp_eq_u64_e32 vcc_lo, 0, v[6:7]
	s_delay_alu instid0(VALU_DEP_2)
	v_and_or_b32 v3, v6, 3, v18
	s_and_b32 s14, s14, vcc_lo
	s_delay_alu instid0(VALU_DEP_1) | instid1(SALU_CYCLE_1)
	v_cndmask_b32_e64 v3, v3, 0, s14
	s_delay_alu instid0(VALU_DEP_1)
	v_or_b32_e32 v18, v3, v1
.LBB6_19335:                            ;   in Loop: Header=BB6_18683 Depth=3
	s_or_b32 exec_lo, exec_lo, s43
                                        ; implicit-def: $vgpr1
.LBB6_19336:                            ;   in Loop: Header=BB6_18683 Depth=3
	s_and_not1_saveexec_b32 s14, s42
; %bb.19337:                            ;   in Loop: Header=BB6_18683 Depth=3
	v_or_b32_e32 v18, 0x7b, v1
; %bb.19338:                            ;   in Loop: Header=BB6_18683 Depth=3
	s_or_b32 exec_lo, exec_lo, s14
                                        ; implicit-def: $vgpr3
                                        ; implicit-def: $vgpr6_vgpr7
                                        ; implicit-def: $vgpr1
.LBB6_19339:                            ;   in Loop: Header=BB6_18683 Depth=3
	s_and_not1_saveexec_b32 s14, s15
	s_cbranch_execz .LBB6_19345
; %bb.19340:                            ;   in Loop: Header=BB6_18683 Depth=3
	s_mov_b32 s15, exec_lo
                                        ; implicit-def: $vgpr18
	v_cmpx_ne_u64_e32 0, v[6:7]
	s_xor_b32 s15, exec_lo, s15
; %bb.19341:                            ;   in Loop: Header=BB6_18683 Depth=3
	v_or_b32_e32 v18, 0x7f, v1
                                        ; implicit-def: $vgpr3
; %bb.19342:                            ;   in Loop: Header=BB6_18683 Depth=3
	s_and_not1_saveexec_b32 s15, s15
; %bb.19343:                            ;   in Loop: Header=BB6_18683 Depth=3
	v_cmp_lt_i32_e32 vcc_lo, -1, v3
	v_mov_b32_e32 v1, 0x7c
	s_delay_alu instid0(VALU_DEP_1)
	v_cndmask_b32_e32 v18, 0xfc, v1, vcc_lo
; %bb.19344:                            ;   in Loop: Header=BB6_18683 Depth=3
	s_or_b32 exec_lo, exec_lo, s15
.LBB6_19345:                            ;   in Loop: Header=BB6_18683 Depth=3
	s_delay_alu instid0(SALU_CYCLE_1) | instskip(SKIP_3) | instid1(VALU_DEP_2)
	s_or_b32 exec_lo, exec_lo, s14
	v_lshrrev_b16 v6, 8, v48
	v_mov_b32_e32 v1, 0
	s_mov_b32 s14, exec_lo
	v_cmpx_ne_u16_e32 0, v6
	s_cbranch_execz .LBB6_19355
; %bb.19346:                            ;   in Loop: Header=BB6_18683 Depth=3
	v_bfrev_b32_e32 v1, 1
	s_mov_b32 s15, exec_lo
	v_cmpx_ne_u16_e32 0x80, v6
	s_cbranch_execz .LBB6_19354
; %bb.19347:                            ;   in Loop: Header=BB6_18683 Depth=3
	v_and_b32_e32 v7, 0xffff, v6
	s_delay_alu instid0(VALU_DEP_1) | instskip(SKIP_1) | instid1(VALU_DEP_2)
	v_and_b32_e32 v1, 0x7c, v7
	v_and_b32_e32 v3, 3, v7
	v_cmp_ne_u32_e32 vcc_lo, 0x7c, v1
                                        ; implicit-def: $vgpr1
	s_and_saveexec_b32 s42, vcc_lo
	s_delay_alu instid0(SALU_CYCLE_1)
	s_xor_b32 s42, exec_lo, s42
	s_cbranch_execz .LBB6_19351
; %bb.19348:                            ;   in Loop: Header=BB6_18683 Depth=3
	v_bfe_u32 v1, v7, 2, 5
	s_mov_b32 s43, exec_lo
	s_delay_alu instid0(VALU_DEP_1)
	v_cmpx_eq_u32_e32 0, v1
	s_cbranch_execz .LBB6_19350
; %bb.19349:                            ;   in Loop: Header=BB6_18683 Depth=3
	v_clz_i32_u32_e32 v1, v3
	s_delay_alu instid0(VALU_DEP_1) | instskip(SKIP_1) | instid1(VALU_DEP_2)
	v_min_u32_e32 v1, 32, v1
	v_mov_b32_e32 v7, v113
	v_subrev_nc_u32_e32 v3, 29, v1
	v_sub_nc_u32_e32 v1, 30, v1
	s_delay_alu instid0(VALU_DEP_2) | instskip(NEXT) | instid1(VALU_DEP_1)
	v_lshlrev_b64_e32 v[6:7], v3, v[6:7]
	v_and_b32_e32 v3, 3, v6
.LBB6_19350:                            ;   in Loop: Header=BB6_18683 Depth=3
	s_or_b32 exec_lo, exec_lo, s43
	v_lshlrev_b32_e32 v6, 16, v48
                                        ; implicit-def: $vgpr48
	s_delay_alu instid0(VALU_DEP_1) | instskip(NEXT) | instid1(VALU_DEP_1)
	v_and_b32_e32 v6, 0x80000000, v6
	v_lshl_add_u32 v1, v1, 23, v6
	s_delay_alu instid0(VALU_DEP_1) | instskip(NEXT) | instid1(VALU_DEP_1)
	v_lshl_or_b32 v1, v3, 21, v1
                                        ; implicit-def: $vgpr3
	v_add_nc_u32_e32 v1, 0x38000000, v1
.LBB6_19351:                            ;   in Loop: Header=BB6_18683 Depth=3
	s_and_not1_saveexec_b32 s42, s42
; %bb.19352:                            ;   in Loop: Header=BB6_18683 Depth=3
	v_cmp_lt_i16_e32 vcc_lo, -1, v48
	v_mov_b32_e32 v1, 0x7f800000
	s_delay_alu instid0(VALU_DEP_1) | instskip(SKIP_1) | instid1(VALU_DEP_2)
	v_cndmask_b32_e32 v1, 0xff800000, v1, vcc_lo
	v_cmp_eq_u32_e32 vcc_lo, 0, v3
	v_cndmask_b32_e32 v1, 0x7f800001, v1, vcc_lo
; %bb.19353:                            ;   in Loop: Header=BB6_18683 Depth=3
	s_or_b32 exec_lo, exec_lo, s42
.LBB6_19354:                            ;   in Loop: Header=BB6_18683 Depth=3
	s_delay_alu instid0(SALU_CYCLE_1)
	s_or_b32 exec_lo, exec_lo, s15
.LBB6_19355:                            ;   in Loop: Header=BB6_18683 Depth=3
	s_delay_alu instid0(SALU_CYCLE_1) | instskip(SKIP_3) | instid1(VALU_DEP_1)
	s_or_b32 exec_lo, exec_lo, s14
	v_lshrrev_b16 v6, 8, v2
	s_mov_b32 s15, 0
	s_mov_b32 s14, exec_lo
	v_cmpx_lt_i16_e32 0x7f, v6
	s_xor_b32 s14, exec_lo, s14
	s_cbranch_execz .LBB6_19734
; %bb.19356:                            ;   in Loop: Header=BB6_18683 Depth=3
	s_mov_b32 s15, -1
	s_mov_b32 s42, exec_lo
	v_cmpx_eq_u16_e32 0x80, v6
; %bb.19357:                            ;   in Loop: Header=BB6_18683 Depth=3
	s_xor_b32 s15, exec_lo, -1
; %bb.19358:                            ;   in Loop: Header=BB6_18683 Depth=3
	s_or_b32 exec_lo, exec_lo, s42
	s_delay_alu instid0(SALU_CYCLE_1)
	s_and_b32 s15, s15, exec_lo
	s_or_saveexec_b32 s14, s14
	v_bfrev_b32_e32 v3, 1
	s_xor_b32 exec_lo, exec_lo, s14
	s_cbranch_execnz .LBB6_19735
.LBB6_19359:                            ;   in Loop: Header=BB6_18683 Depth=3
	s_or_b32 exec_lo, exec_lo, s14
	s_and_saveexec_b32 s14, s15
	s_cbranch_execz .LBB6_19361
.LBB6_19360:                            ;   in Loop: Header=BB6_18683 Depth=3
	v_and_b32_e32 v3, 0xffff, v6
	s_delay_alu instid0(VALU_DEP_1) | instskip(NEXT) | instid1(VALU_DEP_1)
	v_and_b32_e32 v19, 3, v3
	v_clz_i32_u32_e32 v7, v19
	s_delay_alu instid0(VALU_DEP_1) | instskip(SKIP_1) | instid1(VALU_DEP_2)
	v_min_u32_e32 v48, 32, v7
	v_mov_b32_e32 v7, v113
	v_subrev_nc_u32_e32 v38, 29, v48
	s_delay_alu instid0(VALU_DEP_1) | instskip(SKIP_3) | instid1(VALU_DEP_3)
	v_lshlrev_b64_e32 v[38:39], v38, v[6:7]
	v_bfe_u32 v7, v3, 2, 5
	v_dual_lshlrev_b32 v6, 24, v6 :: v_dual_sub_nc_u32 v39, 30, v48
	v_and_b32_e32 v3, 0x7c, v3
	v_cmp_eq_u32_e32 vcc_lo, 0, v7
	s_delay_alu instid0(VALU_DEP_3) | instskip(NEXT) | instid1(VALU_DEP_4)
	v_and_b32_e32 v6, 0x80000000, v6
	v_dual_cndmask_b32 v7, v7, v39, vcc_lo :: v_dual_bitop2_b32 v38, 3, v38 bitop3:0x40
	s_delay_alu instid0(VALU_DEP_1) | instskip(SKIP_2) | instid1(VALU_DEP_4)
	v_cndmask_b32_e32 v38, v19, v38, vcc_lo
	v_cmp_lt_i16_e32 vcc_lo, -1, v2
	v_mov_b32_e32 v2, 0x7f800000
	v_lshl_add_u32 v6, v7, 23, v6
	s_delay_alu instid0(VALU_DEP_2) | instskip(NEXT) | instid1(VALU_DEP_2)
	v_cndmask_b32_e32 v2, 0xff800000, v2, vcc_lo
	v_lshl_or_b32 v6, v38, 21, v6
	v_cmp_eq_u32_e32 vcc_lo, 0, v19
	s_delay_alu instid0(VALU_DEP_2) | instskip(NEXT) | instid1(VALU_DEP_4)
	v_add_nc_u32_e32 v6, 0x38000000, v6
	v_cndmask_b32_e32 v2, 0x7f800001, v2, vcc_lo
	v_cmp_eq_u32_e32 vcc_lo, 0x7c, v3
	s_delay_alu instid0(VALU_DEP_2)
	v_cndmask_b32_e32 v3, v6, v2, vcc_lo
.LBB6_19361:                            ;   in Loop: Header=BB6_18683 Depth=3
	s_or_b32 exec_lo, exec_lo, s14
	s_delay_alu instid0(VALU_DEP_1) | instskip(SKIP_2) | instid1(VALU_DEP_2)
	v_add_f32_e32 v6, v1, v3
	v_dual_mov_b32 v39, v113 :: v_dual_mov_b32 v3, v113
                                        ; implicit-def: $vgpr19
	s_mov_b32 s14, exec_lo
	v_and_b32_e32 v38, 0x7f800000, v6
	v_and_b32_e32 v2, 0x7fffff, v6
	v_lshrrev_b32_e32 v1, 24, v6
	s_delay_alu instid0(VALU_DEP_3)
	v_cmpx_ne_u64_e32 0x7f800000, v[38:39]
	s_xor_b32 s15, exec_lo, s14
	s_cbranch_execz .LBB6_19375
; %bb.19362:                            ;   in Loop: Header=BB6_18683 Depth=3
	v_and_b32_e32 v38, 0x7fffffff, v6
	v_mov_b32_e32 v39, v113
	v_and_b32_e32 v1, 0x80, v1
                                        ; implicit-def: $vgpr19
	s_mov_b32 s14, exec_lo
	s_delay_alu instid0(VALU_DEP_2)
	v_cmpx_gt_u64_e32 0x47600001, v[38:39]
	s_xor_b32 s42, exec_lo, s14
	s_cbranch_execz .LBB6_19372
; %bb.19363:                            ;   in Loop: Header=BB6_18683 Depth=3
	v_mov_b32_e32 v19, 0
	s_mov_b32 s43, exec_lo
	v_cmpx_ne_u32_e32 0, v6
	s_cbranch_execz .LBB6_19371
; %bb.19364:                            ;   in Loop: Header=BB6_18683 Depth=3
	v_bfe_u32 v19, v6, 23, 8
	v_or_b32_e32 v7, 0x800000, v2
	s_delay_alu instid0(VALU_DEP_2) | instskip(SKIP_2) | instid1(VALU_DEP_2)
	v_cmp_gt_u32_e64 s14, 0x72, v19
	v_sub_nc_u32_e32 v6, 0x71, v19
	v_cmp_eq_u32_e32 vcc_lo, 0, v19
	v_cndmask_b32_e64 v6, 0, v6, s14
	v_cndmask_b32_e32 v2, v7, v2, vcc_lo
	s_delay_alu instid0(VALU_DEP_2) | instskip(NEXT) | instid1(VALU_DEP_1)
	v_cndmask_b32_e64 v38, v6, 0x70, vcc_lo
	v_dual_add_nc_u32 v6, 21, v38 :: v_dual_add_nc_u32 v39, 20, v38
	s_delay_alu instid0(VALU_DEP_1) | instskip(NEXT) | instid1(VALU_DEP_2)
	v_lshlrev_b64_e64 v[6:7], v6, -1
	v_lshlrev_b64_e64 v[48:49], v39, 1
	s_delay_alu instid0(VALU_DEP_2) | instskip(SKIP_1) | instid1(VALU_DEP_4)
	v_bfi_b32 v6, v6, 0, v2
	v_lshrrev_b64 v[2:3], v38, v[2:3]
	v_bfi_b32 v7, v7, 0, 0
	s_delay_alu instid0(VALU_DEP_1) | instskip(NEXT) | instid1(VALU_DEP_3)
	v_cmp_eq_u64_e64 s14, v[6:7], v[48:49]
	v_mov_b64_e32 v[6:7], v[2:3]
	s_and_saveexec_b32 s78, s14
; %bb.19365:                            ;   in Loop: Header=BB6_18683 Depth=3
	v_bfe_u32 v6, v2, 21, 1
	v_mov_b32_e32 v7, v113
	s_delay_alu instid0(VALU_DEP_1) | instskip(NEXT) | instid1(VALU_DEP_1)
	v_add_nc_u64_e32 v[6:7], v[2:3], v[6:7]
	v_add_nc_u64_e32 v[6:7], -1, v[6:7]
; %bb.19366:                            ;   in Loop: Header=BB6_18683 Depth=3
	s_or_b32 exec_lo, exec_lo, s78
	v_add_nc_u32_e32 v3, 0xffffff81, v19
	v_lshrrev_b32_e32 v7, 23, v2
	s_mov_b32 s14, exec_lo
	s_delay_alu instid0(VALU_DEP_2) | instskip(NEXT) | instid1(VALU_DEP_1)
	v_cndmask_b32_e64 v3, v3, 0xffffff82, vcc_lo
	v_add3_u32 v7, v38, v3, v7
	v_and_b32_e32 v3, 0x1fffff, v6
                                        ; implicit-def: $vgpr6
	s_delay_alu instid0(VALU_DEP_1) | instskip(SKIP_1) | instid1(VALU_DEP_2)
	v_dual_add_nc_u32 v19, 14, v7 :: v_dual_add_nc_u32 v2, v3, v2
	v_mov_b32_e32 v3, v113
	v_cmpx_ne_u32_e32 0, v19
	s_xor_b32 s14, exec_lo, s14
; %bb.19367:                            ;   in Loop: Header=BB6_18683 Depth=3
	s_delay_alu instid0(VALU_DEP_2) | instskip(SKIP_2) | instid1(VALU_DEP_2)
	v_cmp_lt_u64_e32 vcc_lo, 0xffffff, v[2:3]
	v_add_nc_u32_e32 v6, 15, v7
	v_cndmask_b32_e64 v7, 0, 1, vcc_lo
	v_cndmask_b32_e32 v6, v19, v6, vcc_lo
	s_delay_alu instid0(VALU_DEP_2)
	v_lshrrev_b64 v[2:3], v7, v[2:3]
; %bb.19368:                            ;   in Loop: Header=BB6_18683 Depth=3
	s_and_not1_saveexec_b32 s14, s14
; %bb.19369:                            ;   in Loop: Header=BB6_18683 Depth=3
	s_delay_alu instid0(VALU_DEP_1)
	v_bfe_u32 v6, v2, 23, 1
; %bb.19370:                            ;   in Loop: Header=BB6_18683 Depth=3
	s_or_b32 exec_lo, exec_lo, s14
	s_delay_alu instid0(VALU_DEP_2) | instskip(NEXT) | instid1(VALU_DEP_2)
	v_lshrrev_b64 v[2:3], 21, v[2:3]
	v_cmp_gt_i32_e32 vcc_lo, 32, v6
	v_min_i32_e32 v7, 31, v6
	v_cmp_eq_u32_e64 s14, 0, v6
	s_delay_alu instid0(VALU_DEP_4) | instskip(NEXT) | instid1(VALU_DEP_3)
	v_cndmask_b32_e32 v3, 0, v3, vcc_lo
	v_dual_cndmask_b32 v2, 3, v2 :: v_dual_lshlrev_b32 v7, 2, v7
	s_delay_alu instid0(VALU_DEP_1) | instskip(NEXT) | instid1(VALU_DEP_2)
	v_and_b32_e32 v7, 0xfc, v7
	v_cmp_eq_u64_e32 vcc_lo, 0, v[2:3]
	s_delay_alu instid0(VALU_DEP_2)
	v_and_or_b32 v2, v2, 3, v7
	s_and_b32 s14, s14, vcc_lo
	s_delay_alu instid0(VALU_DEP_1) | instid1(SALU_CYCLE_1)
	v_cndmask_b32_e64 v2, v2, 0, s14
	s_delay_alu instid0(VALU_DEP_1)
	v_or_b32_e32 v19, v2, v1
.LBB6_19371:                            ;   in Loop: Header=BB6_18683 Depth=3
	s_or_b32 exec_lo, exec_lo, s43
                                        ; implicit-def: $vgpr1
.LBB6_19372:                            ;   in Loop: Header=BB6_18683 Depth=3
	s_and_not1_saveexec_b32 s14, s42
; %bb.19373:                            ;   in Loop: Header=BB6_18683 Depth=3
	v_or_b32_e32 v19, 0x7b, v1
; %bb.19374:                            ;   in Loop: Header=BB6_18683 Depth=3
	s_or_b32 exec_lo, exec_lo, s14
                                        ; implicit-def: $vgpr6
                                        ; implicit-def: $vgpr2_vgpr3
                                        ; implicit-def: $vgpr1
.LBB6_19375:                            ;   in Loop: Header=BB6_18683 Depth=3
	s_and_not1_saveexec_b32 s14, s15
	s_cbranch_execz .LBB6_19381
; %bb.19376:                            ;   in Loop: Header=BB6_18683 Depth=3
	s_mov_b32 s15, exec_lo
                                        ; implicit-def: $vgpr19
	v_cmpx_ne_u64_e32 0, v[2:3]
	s_xor_b32 s15, exec_lo, s15
; %bb.19377:                            ;   in Loop: Header=BB6_18683 Depth=3
	v_or_b32_e32 v19, 0x7f, v1
                                        ; implicit-def: $vgpr6
; %bb.19378:                            ;   in Loop: Header=BB6_18683 Depth=3
	s_and_not1_saveexec_b32 s15, s15
; %bb.19379:                            ;   in Loop: Header=BB6_18683 Depth=3
	v_cmp_lt_i32_e32 vcc_lo, -1, v6
	v_mov_b32_e32 v1, 0x7c
	s_delay_alu instid0(VALU_DEP_1)
	v_cndmask_b32_e32 v19, 0xfc, v1, vcc_lo
; %bb.19380:                            ;   in Loop: Header=BB6_18683 Depth=3
	s_or_b32 exec_lo, exec_lo, s15
.LBB6_19381:                            ;   in Loop: Header=BB6_18683 Depth=3
	s_delay_alu instid0(SALU_CYCLE_1) | instskip(SKIP_2) | instid1(VALU_DEP_1)
	s_or_b32 exec_lo, exec_lo, s14
	v_dual_mov_b32 v1, 0 :: v_dual_lshrrev_b32 v2, 16, v0
	s_mov_b32 s14, exec_lo
	v_and_b32_e32 v3, 0xff, v2
	s_delay_alu instid0(VALU_DEP_1)
	v_cmpx_ne_u16_e32 0, v3
	s_cbranch_execz .LBB6_19391
; %bb.19382:                            ;   in Loop: Header=BB6_18683 Depth=3
	v_bfrev_b32_e32 v1, 1
	s_mov_b32 s15, exec_lo
	v_cmpx_ne_u16_e32 0x80, v3
	s_cbranch_execz .LBB6_19390
; %bb.19383:                            ;   in Loop: Header=BB6_18683 Depth=3
	v_and_b32_e32 v1, 0x7c0000, v0
	v_bfe_u32 v3, v0, 16, 2
	s_delay_alu instid0(VALU_DEP_2) | instskip(SKIP_1) | instid1(SALU_CYCLE_1)
	v_cmp_ne_u32_e32 vcc_lo, 0x7c0000, v1
                                        ; implicit-def: $vgpr1
	s_and_saveexec_b32 s42, vcc_lo
	s_xor_b32 s42, exec_lo, s42
	s_cbranch_execz .LBB6_19387
; %bb.19384:                            ;   in Loop: Header=BB6_18683 Depth=3
	v_bfe_u32 v1, v0, 18, 5
	s_mov_b32 s43, exec_lo
	s_delay_alu instid0(VALU_DEP_1)
	v_cmpx_eq_u32_e32 0, v1
; %bb.19385:                            ;   in Loop: Header=BB6_18683 Depth=3
	v_clz_i32_u32_e32 v1, v3
	s_delay_alu instid0(VALU_DEP_1) | instskip(NEXT) | instid1(VALU_DEP_1)
	v_min_u32_e32 v1, 32, v1
	v_subrev_nc_u32_e32 v3, 29, v1
	s_delay_alu instid0(VALU_DEP_1) | instskip(NEXT) | instid1(VALU_DEP_1)
	v_lshlrev_b64_e32 v[6:7], v3, v[2:3]
	v_dual_sub_nc_u32 v1, 30, v1 :: v_dual_bitop2_b32 v3, 3, v6 bitop3:0x40
; %bb.19386:                            ;   in Loop: Header=BB6_18683 Depth=3
	s_or_b32 exec_lo, exec_lo, s43
	v_lshlrev_b32_e32 v2, 24, v2
	s_delay_alu instid0(VALU_DEP_1) | instskip(NEXT) | instid1(VALU_DEP_1)
	v_and_b32_e32 v2, 0x80000000, v2
	v_lshl_add_u32 v1, v1, 23, v2
                                        ; implicit-def: $vgpr2
	s_delay_alu instid0(VALU_DEP_1) | instskip(NEXT) | instid1(VALU_DEP_1)
	v_lshl_or_b32 v1, v3, 21, v1
                                        ; implicit-def: $vgpr3
	v_add_nc_u32_e32 v1, 0x38000000, v1
.LBB6_19387:                            ;   in Loop: Header=BB6_18683 Depth=3
	s_and_not1_saveexec_b32 s42, s42
; %bb.19388:                            ;   in Loop: Header=BB6_18683 Depth=3
	v_bfe_i32 v1, v2, 0, 8
	s_delay_alu instid0(VALU_DEP_1) | instskip(SKIP_1) | instid1(VALU_DEP_1)
	v_cmp_lt_i16_e32 vcc_lo, -1, v1
	v_mov_b32_e32 v1, 0x7f800000
	v_cndmask_b32_e32 v1, 0xff800000, v1, vcc_lo
	v_cmp_eq_u32_e32 vcc_lo, 0, v3
	s_delay_alu instid0(VALU_DEP_2)
	v_cndmask_b32_e32 v1, 0x7f800001, v1, vcc_lo
; %bb.19389:                            ;   in Loop: Header=BB6_18683 Depth=3
	s_or_b32 exec_lo, exec_lo, s42
.LBB6_19390:                            ;   in Loop: Header=BB6_18683 Depth=3
	s_delay_alu instid0(SALU_CYCLE_1)
	s_or_b32 exec_lo, exec_lo, s15
.LBB6_19391:                            ;   in Loop: Header=BB6_18683 Depth=3
	s_delay_alu instid0(SALU_CYCLE_1) | instskip(SKIP_3) | instid1(VALU_DEP_1)
	s_or_b32 exec_lo, exec_lo, s14
	v_lshrrev_b32_e32 v2, 16, v9
	s_mov_b32 s15, 0
	s_mov_b32 s14, exec_lo
	v_and_b32_e32 v6, 0xff, v2
	s_delay_alu instid0(VALU_DEP_1)
	v_cmpx_lt_i16_e32 0x7f, v6
	s_xor_b32 s14, exec_lo, s14
	s_cbranch_execz .LBB6_19736
; %bb.19392:                            ;   in Loop: Header=BB6_18683 Depth=3
	s_mov_b32 s15, -1
	s_mov_b32 s42, exec_lo
	v_cmpx_eq_u16_e32 0x80, v6
; %bb.19393:                            ;   in Loop: Header=BB6_18683 Depth=3
	s_xor_b32 s15, exec_lo, -1
; %bb.19394:                            ;   in Loop: Header=BB6_18683 Depth=3
	s_or_b32 exec_lo, exec_lo, s42
	s_delay_alu instid0(SALU_CYCLE_1)
	s_and_b32 s15, s15, exec_lo
                                        ; implicit-def: $vgpr6
	s_or_saveexec_b32 s14, s14
	v_bfrev_b32_e32 v3, 1
	s_xor_b32 exec_lo, exec_lo, s14
	s_cbranch_execnz .LBB6_19737
.LBB6_19395:                            ;   in Loop: Header=BB6_18683 Depth=3
	s_or_b32 exec_lo, exec_lo, s14
	s_and_saveexec_b32 s14, s15
	s_cbranch_execz .LBB6_19397
.LBB6_19396:                            ;   in Loop: Header=BB6_18683 Depth=3
	v_and_b32_e32 v3, 3, v2
	v_bfe_u32 v39, v9, 18, 5
	s_delay_alu instid0(VALU_DEP_2) | instskip(NEXT) | instid1(VALU_DEP_2)
	v_clz_i32_u32_e32 v6, v3
	v_cmp_eq_u32_e32 vcc_lo, 0, v39
	s_delay_alu instid0(VALU_DEP_2) | instskip(NEXT) | instid1(VALU_DEP_1)
	v_min_u32_e32 v38, 32, v6
	v_subrev_nc_u32_e32 v6, 29, v38
	v_sub_nc_u32_e32 v38, 30, v38
	s_delay_alu instid0(VALU_DEP_2) | instskip(SKIP_1) | instid1(VALU_DEP_3)
	v_lshlrev_b64_e32 v[6:7], v6, v[2:3]
	v_lshlrev_b32_e32 v7, 24, v2
	v_cndmask_b32_e32 v38, v39, v38, vcc_lo
	v_bfe_i32 v2, v2, 0, 8
	s_delay_alu instid0(VALU_DEP_3) | instskip(SKIP_1) | instid1(VALU_DEP_2)
	v_and_b32_e32 v7, 0x80000000, v7
	v_and_b32_e32 v6, 3, v6
	v_lshl_add_u32 v7, v38, 23, v7
	s_delay_alu instid0(VALU_DEP_2) | instskip(SKIP_2) | instid1(VALU_DEP_3)
	v_cndmask_b32_e32 v6, v3, v6, vcc_lo
	v_cmp_lt_i16_e32 vcc_lo, -1, v2
	v_mov_b32_e32 v2, 0x7f800000
	v_lshl_or_b32 v6, v6, 21, v7
	v_and_b32_e32 v7, 0x7c0000, v9
	s_delay_alu instid0(VALU_DEP_3) | instskip(SKIP_1) | instid1(VALU_DEP_4)
	v_cndmask_b32_e32 v2, 0xff800000, v2, vcc_lo
	v_cmp_eq_u32_e32 vcc_lo, 0, v3
	v_add_nc_u32_e32 v3, 0x38000000, v6
	s_delay_alu instid0(VALU_DEP_3) | instskip(SKIP_1) | instid1(VALU_DEP_2)
	v_cndmask_b32_e32 v2, 0x7f800001, v2, vcc_lo
	v_cmp_eq_u32_e32 vcc_lo, 0x7c0000, v7
	v_cndmask_b32_e32 v3, v3, v2, vcc_lo
.LBB6_19397:                            ;   in Loop: Header=BB6_18683 Depth=3
	s_or_b32 exec_lo, exec_lo, s14
	s_delay_alu instid0(VALU_DEP_1) | instskip(SKIP_1) | instid1(VALU_DEP_2)
	v_add_f32_e32 v6, v1, v3
	v_dual_mov_b32 v39, v113 :: v_dual_mov_b32 v3, v113
	v_and_b32_e32 v38, 0x7f800000, v6
	v_and_b32_e32 v2, 0x7fffff, v6
	v_lshrrev_b32_e32 v1, 24, v6
	s_delay_alu instid0(VALU_DEP_3) | instskip(SKIP_1) | instid1(SALU_CYCLE_1)
	v_cmp_ne_u64_e32 vcc_lo, 0x7f800000, v[38:39]
                                        ; implicit-def: $vgpr38
	s_and_saveexec_b32 s14, vcc_lo
	s_xor_b32 s15, exec_lo, s14
	s_cbranch_execz .LBB6_19411
; %bb.19398:                            ;   in Loop: Header=BB6_18683 Depth=3
	v_and_b32_e32 v38, 0x7fffffff, v6
	v_mov_b32_e32 v39, v113
	v_and_b32_e32 v1, 0x80, v1
	s_delay_alu instid0(VALU_DEP_2) | instskip(SKIP_1) | instid1(SALU_CYCLE_1)
	v_cmp_gt_u64_e32 vcc_lo, 0x47600001, v[38:39]
                                        ; implicit-def: $vgpr38
	s_and_saveexec_b32 s14, vcc_lo
	s_xor_b32 s42, exec_lo, s14
	s_cbranch_execz .LBB6_19408
; %bb.19399:                            ;   in Loop: Header=BB6_18683 Depth=3
	v_mov_b32_e32 v38, 0
	s_mov_b32 s43, exec_lo
	v_cmpx_ne_u32_e32 0, v6
	s_cbranch_execz .LBB6_19407
; %bb.19400:                            ;   in Loop: Header=BB6_18683 Depth=3
	v_bfe_u32 v38, v6, 23, 8
	v_or_b32_e32 v7, 0x800000, v2
	s_delay_alu instid0(VALU_DEP_2) | instskip(SKIP_2) | instid1(VALU_DEP_2)
	v_cmp_gt_u32_e64 s14, 0x72, v38
	v_sub_nc_u32_e32 v6, 0x71, v38
	v_cmp_eq_u32_e32 vcc_lo, 0, v38
	v_cndmask_b32_e64 v6, 0, v6, s14
	s_delay_alu instid0(VALU_DEP_1) | instskip(NEXT) | instid1(VALU_DEP_1)
	v_cndmask_b32_e64 v39, v6, 0x70, vcc_lo
	v_dual_cndmask_b32 v2, v7, v2, vcc_lo :: v_dual_add_nc_u32 v6, 21, v39
	v_add_nc_u32_e32 v48, 20, v39
	s_delay_alu instid0(VALU_DEP_2) | instskip(NEXT) | instid1(VALU_DEP_2)
	v_lshlrev_b64_e64 v[6:7], v6, -1
	v_lshlrev_b64_e64 v[48:49], v48, 1
	s_delay_alu instid0(VALU_DEP_2) | instskip(SKIP_1) | instid1(VALU_DEP_4)
	v_bfi_b32 v6, v6, 0, v2
	v_lshrrev_b64 v[2:3], v39, v[2:3]
	v_bfi_b32 v7, v7, 0, 0
	s_delay_alu instid0(VALU_DEP_1) | instskip(NEXT) | instid1(VALU_DEP_3)
	v_cmp_eq_u64_e64 s14, v[6:7], v[48:49]
	v_mov_b64_e32 v[6:7], v[2:3]
	s_and_saveexec_b32 s78, s14
; %bb.19401:                            ;   in Loop: Header=BB6_18683 Depth=3
	v_bfe_u32 v6, v2, 21, 1
	v_mov_b32_e32 v7, v113
	s_delay_alu instid0(VALU_DEP_1) | instskip(NEXT) | instid1(VALU_DEP_1)
	v_add_nc_u64_e32 v[6:7], v[2:3], v[6:7]
	v_add_nc_u64_e32 v[6:7], -1, v[6:7]
; %bb.19402:                            ;   in Loop: Header=BB6_18683 Depth=3
	s_or_b32 exec_lo, exec_lo, s78
	v_add_nc_u32_e32 v3, 0xffffff81, v38
	v_lshrrev_b32_e32 v7, 23, v2
	s_mov_b32 s14, exec_lo
	s_delay_alu instid0(VALU_DEP_2) | instskip(NEXT) | instid1(VALU_DEP_1)
	v_cndmask_b32_e64 v3, v3, 0xffffff82, vcc_lo
	v_add3_u32 v7, v39, v3, v7
	v_and_b32_e32 v3, 0x1fffff, v6
                                        ; implicit-def: $vgpr6
	s_delay_alu instid0(VALU_DEP_1) | instskip(SKIP_1) | instid1(VALU_DEP_2)
	v_dual_add_nc_u32 v38, 14, v7 :: v_dual_add_nc_u32 v2, v3, v2
	v_mov_b32_e32 v3, v113
	v_cmpx_ne_u32_e32 0, v38
	s_xor_b32 s14, exec_lo, s14
; %bb.19403:                            ;   in Loop: Header=BB6_18683 Depth=3
	s_delay_alu instid0(VALU_DEP_2) | instskip(SKIP_2) | instid1(VALU_DEP_2)
	v_cmp_lt_u64_e32 vcc_lo, 0xffffff, v[2:3]
	v_add_nc_u32_e32 v6, 15, v7
	v_cndmask_b32_e64 v7, 0, 1, vcc_lo
	v_cndmask_b32_e32 v6, v38, v6, vcc_lo
	s_delay_alu instid0(VALU_DEP_2)
	v_lshrrev_b64 v[2:3], v7, v[2:3]
; %bb.19404:                            ;   in Loop: Header=BB6_18683 Depth=3
	s_and_not1_saveexec_b32 s14, s14
; %bb.19405:                            ;   in Loop: Header=BB6_18683 Depth=3
	s_delay_alu instid0(VALU_DEP_1)
	v_bfe_u32 v6, v2, 23, 1
; %bb.19406:                            ;   in Loop: Header=BB6_18683 Depth=3
	s_or_b32 exec_lo, exec_lo, s14
	s_delay_alu instid0(VALU_DEP_2) | instskip(NEXT) | instid1(VALU_DEP_2)
	v_lshrrev_b64 v[2:3], 21, v[2:3]
	v_cmp_gt_i32_e32 vcc_lo, 32, v6
	v_min_i32_e32 v7, 31, v6
	v_cmp_eq_u32_e64 s14, 0, v6
	s_delay_alu instid0(VALU_DEP_4) | instskip(NEXT) | instid1(VALU_DEP_3)
	v_cndmask_b32_e32 v3, 0, v3, vcc_lo
	v_dual_cndmask_b32 v2, 3, v2 :: v_dual_lshlrev_b32 v7, 2, v7
	s_delay_alu instid0(VALU_DEP_1) | instskip(NEXT) | instid1(VALU_DEP_2)
	v_and_b32_e32 v7, 0xfc, v7
	v_cmp_eq_u64_e32 vcc_lo, 0, v[2:3]
	s_delay_alu instid0(VALU_DEP_2)
	v_and_or_b32 v2, v2, 3, v7
	s_and_b32 s14, s14, vcc_lo
	s_delay_alu instid0(VALU_DEP_1) | instid1(SALU_CYCLE_1)
	v_cndmask_b32_e64 v2, v2, 0, s14
	s_delay_alu instid0(VALU_DEP_1)
	v_or_b32_e32 v38, v2, v1
.LBB6_19407:                            ;   in Loop: Header=BB6_18683 Depth=3
	s_or_b32 exec_lo, exec_lo, s43
                                        ; implicit-def: $vgpr1
.LBB6_19408:                            ;   in Loop: Header=BB6_18683 Depth=3
	s_and_not1_saveexec_b32 s14, s42
; %bb.19409:                            ;   in Loop: Header=BB6_18683 Depth=3
	v_or_b32_e32 v38, 0x7b, v1
; %bb.19410:                            ;   in Loop: Header=BB6_18683 Depth=3
	s_or_b32 exec_lo, exec_lo, s14
                                        ; implicit-def: $vgpr6
                                        ; implicit-def: $vgpr2_vgpr3
                                        ; implicit-def: $vgpr1
.LBB6_19411:                            ;   in Loop: Header=BB6_18683 Depth=3
	s_and_not1_saveexec_b32 s14, s15
	s_cbranch_execz .LBB6_19417
; %bb.19412:                            ;   in Loop: Header=BB6_18683 Depth=3
	s_mov_b32 s15, exec_lo
                                        ; implicit-def: $vgpr38
	v_cmpx_ne_u64_e32 0, v[2:3]
	s_xor_b32 s15, exec_lo, s15
; %bb.19413:                            ;   in Loop: Header=BB6_18683 Depth=3
	v_or_b32_e32 v38, 0x7f, v1
                                        ; implicit-def: $vgpr6
; %bb.19414:                            ;   in Loop: Header=BB6_18683 Depth=3
	s_and_not1_saveexec_b32 s15, s15
; %bb.19415:                            ;   in Loop: Header=BB6_18683 Depth=3
	v_cmp_lt_i32_e32 vcc_lo, -1, v6
	v_mov_b32_e32 v1, 0x7c
	s_delay_alu instid0(VALU_DEP_1)
	v_cndmask_b32_e32 v38, 0xfc, v1, vcc_lo
; %bb.19416:                            ;   in Loop: Header=BB6_18683 Depth=3
	s_or_b32 exec_lo, exec_lo, s15
.LBB6_19417:                            ;   in Loop: Header=BB6_18683 Depth=3
	s_delay_alu instid0(SALU_CYCLE_1)
	s_or_b32 exec_lo, exec_lo, s14
	v_mov_b32_e32 v3, 0
	s_mov_b32 s14, exec_lo
	v_cmpx_lt_u32_e32 0xffffff, v0
	s_cbranch_execz .LBB6_19427
; %bb.19418:                            ;   in Loop: Header=BB6_18683 Depth=3
	v_lshrrev_b32_e32 v2, 24, v0
	v_bfrev_b32_e32 v3, 1
	s_mov_b32 s15, exec_lo
	s_delay_alu instid0(VALU_DEP_2)
	v_cmpx_ne_u32_e32 0x80, v2
	s_cbranch_execz .LBB6_19426
; %bb.19419:                            ;   in Loop: Header=BB6_18683 Depth=3
	v_and_b32_e32 v1, 0x7c000000, v0
	v_bfe_u32 v6, v0, 24, 2
	s_mov_b32 s42, exec_lo
                                        ; implicit-def: $vgpr3
	s_delay_alu instid0(VALU_DEP_2)
	v_cmpx_ne_u32_e32 0x7c000000, v1
	s_xor_b32 s42, exec_lo, s42
	s_cbranch_execz .LBB6_19423
; %bb.19420:                            ;   in Loop: Header=BB6_18683 Depth=3
	v_bfe_u32 v1, v0, 26, 5
	s_mov_b32 s43, exec_lo
	s_delay_alu instid0(VALU_DEP_1)
	v_cmpx_eq_u32_e32 0, v1
; %bb.19421:                            ;   in Loop: Header=BB6_18683 Depth=3
	v_clz_i32_u32_e32 v1, v6
	s_delay_alu instid0(VALU_DEP_1) | instskip(NEXT) | instid1(VALU_DEP_1)
	v_min_u32_e32 v1, 32, v1
	v_subrev_nc_u32_e32 v3, 29, v1
	s_delay_alu instid0(VALU_DEP_1) | instskip(NEXT) | instid1(VALU_DEP_1)
	v_lshlrev_b64_e32 v[2:3], v3, v[2:3]
	v_dual_sub_nc_u32 v1, 30, v1 :: v_dual_bitop2_b32 v6, 3, v2 bitop3:0x40
; %bb.19422:                            ;   in Loop: Header=BB6_18683 Depth=3
	s_or_b32 exec_lo, exec_lo, s43
	v_and_b32_e32 v0, 0x80000000, v0
	s_delay_alu instid0(VALU_DEP_1) | instskip(NEXT) | instid1(VALU_DEP_1)
	v_lshl_add_u32 v0, v1, 23, v0
	v_lshl_or_b32 v0, v6, 21, v0
                                        ; implicit-def: $vgpr6
	s_delay_alu instid0(VALU_DEP_1)
	v_add_nc_u32_e32 v3, 0x38000000, v0
                                        ; implicit-def: $vgpr0_vgpr1
.LBB6_19423:                            ;   in Loop: Header=BB6_18683 Depth=3
	s_and_not1_saveexec_b32 s42, s42
; %bb.19424:                            ;   in Loop: Header=BB6_18683 Depth=3
	v_cmp_lt_i32_e32 vcc_lo, -1, v0
	v_mov_b32_e32 v0, 0x7f800000
	s_delay_alu instid0(VALU_DEP_1) | instskip(SKIP_1) | instid1(VALU_DEP_2)
	v_cndmask_b32_e32 v0, 0xff800000, v0, vcc_lo
	v_cmp_eq_u32_e32 vcc_lo, 0, v6
	v_cndmask_b32_e32 v3, 0x7f800001, v0, vcc_lo
; %bb.19425:                            ;   in Loop: Header=BB6_18683 Depth=3
	s_or_b32 exec_lo, exec_lo, s42
.LBB6_19426:                            ;   in Loop: Header=BB6_18683 Depth=3
	s_delay_alu instid0(SALU_CYCLE_1)
	s_or_b32 exec_lo, exec_lo, s15
.LBB6_19427:                            ;   in Loop: Header=BB6_18683 Depth=3
	s_delay_alu instid0(SALU_CYCLE_1) | instskip(SKIP_3) | instid1(VALU_DEP_2)
	s_or_b32 exec_lo, exec_lo, s14
	v_bfe_u32 v1, v9, 24, 2
	v_bfe_u32 v39, v9, 26, 5
	s_mov_b32 s14, exec_lo
	v_clz_i32_u32_e32 v0, v1
	s_delay_alu instid0(VALU_DEP_2) | instskip(NEXT) | instid1(VALU_DEP_2)
	v_cmp_eq_u32_e32 vcc_lo, 0, v39
	v_min_u32_e32 v2, 32, v0
	v_lshrrev_b32_e32 v0, 24, v9
	s_delay_alu instid0(VALU_DEP_2) | instskip(SKIP_1) | instid1(VALU_DEP_2)
	v_subrev_nc_u32_e32 v6, 29, v2
	v_sub_nc_u32_e32 v2, 30, v2
	v_lshlrev_b64_e32 v[6:7], v6, v[0:1]
	v_and_b32_e32 v7, 0x80000000, v9
	s_delay_alu instid0(VALU_DEP_3) | instskip(NEXT) | instid1(VALU_DEP_1)
	v_cndmask_b32_e32 v2, v39, v2, vcc_lo
                                        ; implicit-def: $vgpr39
	v_lshl_add_u32 v2, v2, 23, v7
	s_delay_alu instid0(VALU_DEP_4) | instskip(NEXT) | instid1(VALU_DEP_1)
	v_and_b32_e32 v6, 3, v6
	v_dual_mov_b32 v7, 0x7f800000 :: v_dual_cndmask_b32 v6, v1, v6
	v_cmp_lt_i64_e32 vcc_lo, -1, v[8:9]
	s_delay_alu instid0(VALU_DEP_2) | instskip(SKIP_1) | instid1(VALU_DEP_4)
	v_lshl_or_b32 v2, v6, 21, v2
	v_and_b32_e32 v6, 0x7c000000, v9
	v_cndmask_b32_e32 v7, 0xff800000, v7, vcc_lo
	v_cmp_eq_u32_e32 vcc_lo, 0, v1
	s_delay_alu instid0(VALU_DEP_4) | instskip(NEXT) | instid1(VALU_DEP_3)
	v_add_nc_u32_e32 v2, 0x38000000, v2
	v_cndmask_b32_e32 v1, 0x7f800001, v7, vcc_lo
	v_cmp_eq_u32_e32 vcc_lo, 0x7c000000, v6
	s_delay_alu instid0(VALU_DEP_2) | instskip(SKIP_1) | instid1(VALU_DEP_2)
	v_dual_mov_b32 v7, v113 :: v_dual_cndmask_b32 v1, v2, v1, vcc_lo
	v_cmp_ne_u32_e32 vcc_lo, 0x80, v0
	v_dual_cndmask_b32 v0, 0x80000000, v1 :: v_dual_mov_b32 v1, v113
	v_cmp_lt_u64_e32 vcc_lo, s[22:23], v[8:9]
	s_delay_alu instid0(VALU_DEP_2) | instskip(NEXT) | instid1(VALU_DEP_1)
	v_cndmask_b32_e32 v0, 0, v0, vcc_lo
	v_add_f32_e32 v2, v0, v3
	s_delay_alu instid0(VALU_DEP_1) | instskip(SKIP_2) | instid1(VALU_DEP_3)
	v_and_b32_e32 v6, 0x7f800000, v2
	v_and_b32_e32 v0, 0x7fffff, v2
	v_lshrrev_b32_e32 v3, 24, v2
	v_cmpx_ne_u64_e32 0x7f800000, v[6:7]
	s_xor_b32 s15, exec_lo, s14
	s_cbranch_execz .LBB6_19441
; %bb.19428:                            ;   in Loop: Header=BB6_18683 Depth=3
	v_and_b32_e32 v6, 0x7fffffff, v2
	v_mov_b32_e32 v7, v113
                                        ; implicit-def: $vgpr39
	s_delay_alu instid0(VALU_DEP_1) | instskip(SKIP_2) | instid1(SALU_CYCLE_1)
	v_cmp_gt_u64_e32 vcc_lo, 0x47600001, v[6:7]
	v_and_b32_e32 v6, 0x80, v3
	s_and_saveexec_b32 s14, vcc_lo
	s_xor_b32 s42, exec_lo, s14
	s_cbranch_execz .LBB6_19438
; %bb.19429:                            ;   in Loop: Header=BB6_18683 Depth=3
	v_mov_b32_e32 v39, 0
	s_mov_b32 s43, exec_lo
	v_cmpx_ne_u32_e32 0, v2
	s_cbranch_execz .LBB6_19437
; %bb.19430:                            ;   in Loop: Header=BB6_18683 Depth=3
	v_bfe_u32 v7, v2, 23, 8
	v_or_b32_e32 v9, 0x800000, v0
	s_delay_alu instid0(VALU_DEP_2) | instskip(SKIP_1) | instid1(VALU_DEP_2)
	v_sub_nc_u32_e32 v2, 0x71, v7
	v_cmp_gt_u32_e32 vcc_lo, 0x72, v7
	v_cndmask_b32_e32 v2, 0, v2, vcc_lo
	v_cmp_eq_u32_e32 vcc_lo, 0, v7
	s_delay_alu instid0(VALU_DEP_2) | instskip(SKIP_1) | instid1(VALU_DEP_2)
	v_cndmask_b32_e64 v8, v2, 0x70, vcc_lo
	v_cndmask_b32_e32 v0, v9, v0, vcc_lo
	v_dual_add_nc_u32 v2, 21, v8 :: v_dual_add_nc_u32 v39, 20, v8
	s_delay_alu instid0(VALU_DEP_1) | instskip(NEXT) | instid1(VALU_DEP_2)
	v_lshlrev_b64_e64 v[2:3], v2, -1
	v_lshlrev_b64_e64 v[48:49], v39, 1
	s_delay_alu instid0(VALU_DEP_2) | instskip(SKIP_1) | instid1(VALU_DEP_4)
	v_bfi_b32 v2, v2, 0, v0
	v_lshrrev_b64 v[0:1], v8, v[0:1]
	v_bfi_b32 v3, v3, 0, 0
	s_delay_alu instid0(VALU_DEP_1) | instskip(NEXT) | instid1(VALU_DEP_3)
	v_cmp_eq_u64_e64 s14, v[2:3], v[48:49]
	v_mov_b64_e32 v[2:3], v[0:1]
	s_and_saveexec_b32 s78, s14
; %bb.19431:                            ;   in Loop: Header=BB6_18683 Depth=3
	v_bfe_u32 v2, v0, 21, 1
	v_mov_b32_e32 v3, v113
	s_delay_alu instid0(VALU_DEP_1) | instskip(NEXT) | instid1(VALU_DEP_1)
	v_add_nc_u64_e32 v[2:3], v[0:1], v[2:3]
	v_add_nc_u64_e32 v[2:3], -1, v[2:3]
; %bb.19432:                            ;   in Loop: Header=BB6_18683 Depth=3
	s_or_b32 exec_lo, exec_lo, s78
	v_add_nc_u32_e32 v1, 0xffffff81, v7
	v_lshrrev_b32_e32 v3, 23, v0
	s_mov_b32 s14, exec_lo
	s_delay_alu instid0(VALU_DEP_2) | instskip(NEXT) | instid1(VALU_DEP_1)
	v_cndmask_b32_e64 v1, v1, 0xffffff82, vcc_lo
	v_add3_u32 v3, v8, v1, v3
	v_and_b32_e32 v1, 0x1fffff, v2
                                        ; implicit-def: $vgpr2
	s_delay_alu instid0(VALU_DEP_1) | instskip(SKIP_1) | instid1(VALU_DEP_2)
	v_dual_add_nc_u32 v7, 14, v3 :: v_dual_add_nc_u32 v0, v1, v0
	v_mov_b32_e32 v1, v113
	v_cmpx_ne_u32_e32 0, v7
	s_xor_b32 s14, exec_lo, s14
; %bb.19433:                            ;   in Loop: Header=BB6_18683 Depth=3
	s_delay_alu instid0(VALU_DEP_2) | instskip(SKIP_2) | instid1(VALU_DEP_2)
	v_cmp_lt_u64_e32 vcc_lo, 0xffffff, v[0:1]
	v_add_nc_u32_e32 v2, 15, v3
	v_cndmask_b32_e64 v3, 0, 1, vcc_lo
	v_cndmask_b32_e32 v2, v7, v2, vcc_lo
	s_delay_alu instid0(VALU_DEP_2)
	v_lshrrev_b64 v[0:1], v3, v[0:1]
; %bb.19434:                            ;   in Loop: Header=BB6_18683 Depth=3
	s_and_not1_saveexec_b32 s14, s14
; %bb.19435:                            ;   in Loop: Header=BB6_18683 Depth=3
	s_delay_alu instid0(VALU_DEP_1)
	v_bfe_u32 v2, v0, 23, 1
; %bb.19436:                            ;   in Loop: Header=BB6_18683 Depth=3
	s_or_b32 exec_lo, exec_lo, s14
	s_delay_alu instid0(VALU_DEP_2) | instskip(NEXT) | instid1(VALU_DEP_2)
	v_lshrrev_b64 v[0:1], 21, v[0:1]
	v_cmp_gt_i32_e32 vcc_lo, 32, v2
	v_min_i32_e32 v3, 31, v2
	v_cmp_eq_u32_e64 s14, 0, v2
	s_delay_alu instid0(VALU_DEP_2) | instskip(SKIP_1) | instid1(VALU_DEP_2)
	v_dual_cndmask_b32 v1, 0, v1, vcc_lo :: v_dual_lshlrev_b32 v3, 2, v3
	v_cndmask_b32_e32 v0, 3, v0, vcc_lo
	v_and_b32_e32 v3, 0xfc, v3
	s_delay_alu instid0(VALU_DEP_2) | instskip(NEXT) | instid1(VALU_DEP_2)
	v_cmp_eq_u64_e32 vcc_lo, 0, v[0:1]
	v_and_or_b32 v0, v0, 3, v3
	s_and_b32 s14, s14, vcc_lo
	s_delay_alu instid0(VALU_DEP_1) | instid1(SALU_CYCLE_1)
	v_cndmask_b32_e64 v0, v0, 0, s14
	s_delay_alu instid0(VALU_DEP_1)
	v_or_b32_e32 v39, v0, v6
.LBB6_19437:                            ;   in Loop: Header=BB6_18683 Depth=3
	s_or_b32 exec_lo, exec_lo, s43
                                        ; implicit-def: $vgpr6
.LBB6_19438:                            ;   in Loop: Header=BB6_18683 Depth=3
	s_and_not1_saveexec_b32 s14, s42
; %bb.19439:                            ;   in Loop: Header=BB6_18683 Depth=3
	v_or_b32_e32 v39, 0x7b, v6
; %bb.19440:                            ;   in Loop: Header=BB6_18683 Depth=3
	s_or_b32 exec_lo, exec_lo, s14
                                        ; implicit-def: $vgpr2
                                        ; implicit-def: $vgpr0_vgpr1
                                        ; implicit-def: $vgpr3
.LBB6_19441:                            ;   in Loop: Header=BB6_18683 Depth=3
	s_and_not1_saveexec_b32 s14, s15
	s_cbranch_execz .LBB6_19447
; %bb.19442:                            ;   in Loop: Header=BB6_18683 Depth=3
	s_mov_b32 s15, exec_lo
                                        ; implicit-def: $vgpr39
	v_cmpx_ne_u64_e32 0, v[0:1]
	s_xor_b32 s15, exec_lo, s15
; %bb.19443:                            ;   in Loop: Header=BB6_18683 Depth=3
	v_or_b32_e32 v39, 0x7f, v3
                                        ; implicit-def: $vgpr2
; %bb.19444:                            ;   in Loop: Header=BB6_18683 Depth=3
	s_and_not1_saveexec_b32 s15, s15
; %bb.19445:                            ;   in Loop: Header=BB6_18683 Depth=3
	v_cmp_lt_i32_e32 vcc_lo, -1, v2
	v_mov_b32_e32 v0, 0x7c
	s_delay_alu instid0(VALU_DEP_1)
	v_cndmask_b32_e32 v39, 0xfc, v0, vcc_lo
; %bb.19446:                            ;   in Loop: Header=BB6_18683 Depth=3
	s_or_b32 exec_lo, exec_lo, s15
.LBB6_19447:                            ;   in Loop: Header=BB6_18683 Depth=3
	s_delay_alu instid0(SALU_CYCLE_1) | instskip(SKIP_4) | instid1(VALU_DEP_2)
	s_or_b32 exec_lo, exec_lo, s14
	v_lshl_or_b32 v8, v32, 8, v29
	v_dual_lshlrev_b32 v0, 16, v35 :: v_dual_lshlrev_b32 v2, 24, v37
	v_mov_b32_e32 v1, v113
	s_mov_b32 s14, exec_lo
	v_or3_b32 v0, v0, v2, v8
	v_mov_b32_e32 v2, 0
	v_cmpx_ne_u32_e32 0, v29
	s_cbranch_execz .LBB6_19457
; %bb.19448:                            ;   in Loop: Header=BB6_18683 Depth=3
	v_bfrev_b32_e32 v2, 1
	s_mov_b32 s15, exec_lo
	v_cmpx_ne_u32_e32 0x80, v29
	s_cbranch_execz .LBB6_19456
; %bb.19449:                            ;   in Loop: Header=BB6_18683 Depth=3
	v_and_b32_e32 v2, 0x7c, v29
	v_and_b32_e32 v3, 3, v29
	s_delay_alu instid0(VALU_DEP_2) | instskip(SKIP_1) | instid1(SALU_CYCLE_1)
	v_cmp_ne_u32_e32 vcc_lo, 0x7c, v2
                                        ; implicit-def: $vgpr2
	s_and_saveexec_b32 s42, vcc_lo
	s_xor_b32 s42, exec_lo, s42
	s_cbranch_execz .LBB6_19453
; %bb.19450:                            ;   in Loop: Header=BB6_18683 Depth=3
	v_bfe_u32 v2, v29, 2, 5
	s_mov_b32 s43, exec_lo
	s_delay_alu instid0(VALU_DEP_1)
	v_cmpx_eq_u32_e32 0, v2
; %bb.19451:                            ;   in Loop: Header=BB6_18683 Depth=3
	v_clz_i32_u32_e32 v2, v3
	s_delay_alu instid0(VALU_DEP_1) | instskip(NEXT) | instid1(VALU_DEP_1)
	v_min_u32_e32 v2, 32, v2
	v_subrev_nc_u32_e32 v3, 29, v2
	v_sub_nc_u32_e32 v2, 30, v2
	s_delay_alu instid0(VALU_DEP_2) | instskip(NEXT) | instid1(VALU_DEP_1)
	v_lshlrev_b64_e32 v[6:7], v3, v[0:1]
	v_and_b32_e32 v3, 3, v6
; %bb.19452:                            ;   in Loop: Header=BB6_18683 Depth=3
	s_or_b32 exec_lo, exec_lo, s43
	v_lshlrev_b32_e32 v1, 24, v29
                                        ; implicit-def: $vgpr29
	s_delay_alu instid0(VALU_DEP_1) | instskip(NEXT) | instid1(VALU_DEP_1)
	v_and_b32_e32 v1, 0x80000000, v1
	v_lshl_add_u32 v1, v2, 23, v1
	s_delay_alu instid0(VALU_DEP_1) | instskip(NEXT) | instid1(VALU_DEP_1)
	v_lshl_or_b32 v1, v3, 21, v1
                                        ; implicit-def: $vgpr3
	v_add_nc_u32_e32 v2, 0x38000000, v1
.LBB6_19453:                            ;   in Loop: Header=BB6_18683 Depth=3
	s_and_not1_saveexec_b32 s42, s42
; %bb.19454:                            ;   in Loop: Header=BB6_18683 Depth=3
	v_and_b32_e32 v1, 0x80, v29
	s_delay_alu instid0(VALU_DEP_1) | instskip(SKIP_1) | instid1(VALU_DEP_1)
	v_cmp_eq_u32_e32 vcc_lo, 0, v1
	v_mov_b32_e32 v1, 0x7f800000
	v_cndmask_b32_e32 v1, 0xff800000, v1, vcc_lo
	v_cmp_eq_u32_e32 vcc_lo, 0, v3
	s_delay_alu instid0(VALU_DEP_2)
	v_cndmask_b32_e32 v2, 0x7f800001, v1, vcc_lo
; %bb.19455:                            ;   in Loop: Header=BB6_18683 Depth=3
	s_or_b32 exec_lo, exec_lo, s42
.LBB6_19456:                            ;   in Loop: Header=BB6_18683 Depth=3
	s_delay_alu instid0(SALU_CYCLE_1)
	s_or_b32 exec_lo, exec_lo, s15
.LBB6_19457:                            ;   in Loop: Header=BB6_18683 Depth=3
	s_delay_alu instid0(SALU_CYCLE_1) | instskip(SKIP_3) | instid1(VALU_DEP_1)
	s_or_b32 exec_lo, exec_lo, s14
	v_and_b32_e32 v3, 0xff, v10
	s_mov_b32 s15, 0
	s_mov_b32 s14, exec_lo
	v_cmpx_lt_i16_e32 0x7f, v3
	s_xor_b32 s14, exec_lo, s14
	s_cbranch_execz .LBB6_19738
; %bb.19458:                            ;   in Loop: Header=BB6_18683 Depth=3
	s_mov_b32 s15, -1
	s_mov_b32 s42, exec_lo
	v_cmpx_eq_u16_e32 0x80, v3
; %bb.19459:                            ;   in Loop: Header=BB6_18683 Depth=3
	s_xor_b32 s15, exec_lo, -1
; %bb.19460:                            ;   in Loop: Header=BB6_18683 Depth=3
	s_or_b32 exec_lo, exec_lo, s42
	s_delay_alu instid0(SALU_CYCLE_1)
	s_and_b32 s15, s15, exec_lo
                                        ; implicit-def: $vgpr3
	s_or_saveexec_b32 s14, s14
	v_bfrev_b32_e32 v1, 1
	s_xor_b32 exec_lo, exec_lo, s14
	s_cbranch_execnz .LBB6_19739
.LBB6_19461:                            ;   in Loop: Header=BB6_18683 Depth=3
	s_or_b32 exec_lo, exec_lo, s14
	s_and_saveexec_b32 s14, s15
	s_cbranch_execz .LBB6_19463
.LBB6_19462:                            ;   in Loop: Header=BB6_18683 Depth=3
	v_and_b32_e32 v1, 3, v10
	v_bfe_u32 v9, v10, 2, 5
	s_delay_alu instid0(VALU_DEP_2) | instskip(NEXT) | instid1(VALU_DEP_2)
	v_clz_i32_u32_e32 v3, v1
	v_cmp_eq_u32_e32 vcc_lo, 0, v9
	s_delay_alu instid0(VALU_DEP_2) | instskip(NEXT) | instid1(VALU_DEP_1)
	v_min_u32_e32 v3, 32, v3
	v_subrev_nc_u32_e32 v6, 29, v3
	s_delay_alu instid0(VALU_DEP_1) | instskip(SKIP_1) | instid1(VALU_DEP_1)
	v_lshlrev_b64_e32 v[6:7], v6, v[10:11]
	v_dual_lshlrev_b32 v7, 24, v10 :: v_dual_sub_nc_u32 v3, 30, v3
	v_and_b32_e32 v7, 0x80000000, v7
	s_delay_alu instid0(VALU_DEP_2) | instskip(SKIP_1) | instid1(VALU_DEP_2)
	v_dual_cndmask_b32 v3, v9, v3, vcc_lo :: v_dual_bitop2_b32 v6, 3, v6 bitop3:0x40
	v_bfe_i32 v9, v10, 0, 8
	v_cndmask_b32_e32 v6, v1, v6, vcc_lo
	s_delay_alu instid0(VALU_DEP_3) | instskip(NEXT) | instid1(VALU_DEP_3)
	v_lshl_add_u32 v3, v3, 23, v7
	v_cmp_lt_i16_e32 vcc_lo, -1, v9
	v_mov_b32_e32 v7, 0x7f800000
	s_delay_alu instid0(VALU_DEP_3) | instskip(SKIP_1) | instid1(VALU_DEP_3)
	v_lshl_or_b32 v3, v6, 21, v3
	v_and_b32_e32 v6, 0x7c, v10
	v_cndmask_b32_e32 v7, 0xff800000, v7, vcc_lo
	v_cmp_eq_u32_e32 vcc_lo, 0, v1
	s_delay_alu instid0(VALU_DEP_4) | instskip(NEXT) | instid1(VALU_DEP_3)
	v_add_nc_u32_e32 v3, 0x38000000, v3
	v_cndmask_b32_e32 v1, 0x7f800001, v7, vcc_lo
	v_cmp_eq_u32_e32 vcc_lo, 0x7c, v6
	s_delay_alu instid0(VALU_DEP_2)
	v_cndmask_b32_e32 v1, v3, v1, vcc_lo
.LBB6_19463:                            ;   in Loop: Header=BB6_18683 Depth=3
	s_or_b32 exec_lo, exec_lo, s14
	s_delay_alu instid0(VALU_DEP_1) | instskip(SKIP_2) | instid1(VALU_DEP_2)
	v_dual_add_f32 v6, v2, v1 :: v_dual_mov_b32 v49, v113
	v_mov_b32_e32 v3, v113
                                        ; implicit-def: $vgpr29
	s_mov_b32 s14, exec_lo
	v_and_b32_e32 v48, 0x7f800000, v6
	v_and_b32_e32 v2, 0x7fffff, v6
	v_lshrrev_b32_e32 v1, 24, v6
	s_delay_alu instid0(VALU_DEP_3)
	v_cmpx_ne_u64_e32 0x7f800000, v[48:49]
	s_xor_b32 s15, exec_lo, s14
	s_cbranch_execz .LBB6_19477
; %bb.19464:                            ;   in Loop: Header=BB6_18683 Depth=3
	v_and_b32_e32 v48, 0x7fffffff, v6
	v_mov_b32_e32 v49, v113
	v_and_b32_e32 v1, 0x80, v1
                                        ; implicit-def: $vgpr29
	s_mov_b32 s14, exec_lo
	s_delay_alu instid0(VALU_DEP_2)
	v_cmpx_gt_u64_e32 0x47600001, v[48:49]
	s_xor_b32 s42, exec_lo, s14
	s_cbranch_execz .LBB6_19474
; %bb.19465:                            ;   in Loop: Header=BB6_18683 Depth=3
	v_mov_b32_e32 v29, 0
	s_mov_b32 s43, exec_lo
	v_cmpx_ne_u32_e32 0, v6
	s_cbranch_execz .LBB6_19473
; %bb.19466:                            ;   in Loop: Header=BB6_18683 Depth=3
	v_bfe_u32 v9, v6, 23, 8
	v_or_b32_e32 v32, 0x800000, v2
	s_delay_alu instid0(VALU_DEP_2) | instskip(SKIP_1) | instid1(VALU_DEP_2)
	v_sub_nc_u32_e32 v6, 0x71, v9
	v_cmp_gt_u32_e32 vcc_lo, 0x72, v9
	v_cndmask_b32_e32 v6, 0, v6, vcc_lo
	v_cmp_eq_u32_e32 vcc_lo, 0, v9
	s_delay_alu instid0(VALU_DEP_2) | instskip(NEXT) | instid1(VALU_DEP_1)
	v_cndmask_b32_e64 v29, v6, 0x70, vcc_lo
	v_dual_cndmask_b32 v2, v32, v2, vcc_lo :: v_dual_add_nc_u32 v6, 21, v29
	v_add_nc_u32_e32 v35, 20, v29
	s_delay_alu instid0(VALU_DEP_2) | instskip(NEXT) | instid1(VALU_DEP_2)
	v_lshlrev_b64_e64 v[6:7], v6, -1
	v_lshlrev_b64_e64 v[48:49], v35, 1
	s_delay_alu instid0(VALU_DEP_2) | instskip(SKIP_1) | instid1(VALU_DEP_4)
	v_bfi_b32 v6, v6, 0, v2
	v_lshrrev_b64 v[2:3], v29, v[2:3]
	v_bfi_b32 v7, v7, 0, 0
	s_delay_alu instid0(VALU_DEP_1) | instskip(NEXT) | instid1(VALU_DEP_3)
	v_cmp_eq_u64_e64 s14, v[6:7], v[48:49]
	v_mov_b64_e32 v[6:7], v[2:3]
	s_and_saveexec_b32 s78, s14
; %bb.19467:                            ;   in Loop: Header=BB6_18683 Depth=3
	v_bfe_u32 v6, v2, 21, 1
	v_mov_b32_e32 v7, v113
	s_delay_alu instid0(VALU_DEP_1) | instskip(NEXT) | instid1(VALU_DEP_1)
	v_add_nc_u64_e32 v[6:7], v[2:3], v[6:7]
	v_add_nc_u64_e32 v[6:7], -1, v[6:7]
; %bb.19468:                            ;   in Loop: Header=BB6_18683 Depth=3
	s_or_b32 exec_lo, exec_lo, s78
	v_add_nc_u32_e32 v3, 0xffffff81, v9
	v_lshrrev_b32_e32 v7, 23, v2
	s_mov_b32 s14, exec_lo
	s_delay_alu instid0(VALU_DEP_2) | instskip(NEXT) | instid1(VALU_DEP_1)
	v_cndmask_b32_e64 v3, v3, 0xffffff82, vcc_lo
	v_add3_u32 v7, v29, v3, v7
	v_and_b32_e32 v3, 0x1fffff, v6
                                        ; implicit-def: $vgpr6
	s_delay_alu instid0(VALU_DEP_1) | instskip(SKIP_1) | instid1(VALU_DEP_2)
	v_dual_add_nc_u32 v9, 14, v7 :: v_dual_add_nc_u32 v2, v3, v2
	v_mov_b32_e32 v3, v113
	v_cmpx_ne_u32_e32 0, v9
	s_xor_b32 s14, exec_lo, s14
; %bb.19469:                            ;   in Loop: Header=BB6_18683 Depth=3
	s_delay_alu instid0(VALU_DEP_2) | instskip(SKIP_2) | instid1(VALU_DEP_2)
	v_cmp_lt_u64_e32 vcc_lo, 0xffffff, v[2:3]
	v_add_nc_u32_e32 v6, 15, v7
	v_cndmask_b32_e64 v7, 0, 1, vcc_lo
	v_cndmask_b32_e32 v6, v9, v6, vcc_lo
	s_delay_alu instid0(VALU_DEP_2)
	v_lshrrev_b64 v[2:3], v7, v[2:3]
; %bb.19470:                            ;   in Loop: Header=BB6_18683 Depth=3
	s_and_not1_saveexec_b32 s14, s14
; %bb.19471:                            ;   in Loop: Header=BB6_18683 Depth=3
	s_delay_alu instid0(VALU_DEP_1)
	v_bfe_u32 v6, v2, 23, 1
; %bb.19472:                            ;   in Loop: Header=BB6_18683 Depth=3
	s_or_b32 exec_lo, exec_lo, s14
	s_delay_alu instid0(VALU_DEP_2) | instskip(NEXT) | instid1(VALU_DEP_2)
	v_lshrrev_b64 v[2:3], 21, v[2:3]
	v_cmp_gt_i32_e32 vcc_lo, 32, v6
	v_min_i32_e32 v7, 31, v6
	v_cmp_eq_u32_e64 s14, 0, v6
	s_delay_alu instid0(VALU_DEP_4) | instskip(NEXT) | instid1(VALU_DEP_3)
	v_cndmask_b32_e32 v3, 0, v3, vcc_lo
	v_dual_cndmask_b32 v2, 3, v2 :: v_dual_lshlrev_b32 v7, 2, v7
	s_delay_alu instid0(VALU_DEP_1) | instskip(NEXT) | instid1(VALU_DEP_2)
	v_and_b32_e32 v7, 0xfc, v7
	v_cmp_eq_u64_e32 vcc_lo, 0, v[2:3]
	s_delay_alu instid0(VALU_DEP_2)
	v_and_or_b32 v2, v2, 3, v7
	s_and_b32 s14, s14, vcc_lo
	s_delay_alu instid0(VALU_DEP_1) | instid1(SALU_CYCLE_1)
	v_cndmask_b32_e64 v2, v2, 0, s14
	s_delay_alu instid0(VALU_DEP_1)
	v_or_b32_e32 v29, v2, v1
.LBB6_19473:                            ;   in Loop: Header=BB6_18683 Depth=3
	s_or_b32 exec_lo, exec_lo, s43
                                        ; implicit-def: $vgpr1
.LBB6_19474:                            ;   in Loop: Header=BB6_18683 Depth=3
	s_and_not1_saveexec_b32 s14, s42
; %bb.19475:                            ;   in Loop: Header=BB6_18683 Depth=3
	v_or_b32_e32 v29, 0x7b, v1
; %bb.19476:                            ;   in Loop: Header=BB6_18683 Depth=3
	s_or_b32 exec_lo, exec_lo, s14
                                        ; implicit-def: $vgpr6
                                        ; implicit-def: $vgpr2_vgpr3
                                        ; implicit-def: $vgpr1
.LBB6_19477:                            ;   in Loop: Header=BB6_18683 Depth=3
	s_and_not1_saveexec_b32 s14, s15
	s_cbranch_execz .LBB6_19483
; %bb.19478:                            ;   in Loop: Header=BB6_18683 Depth=3
	s_mov_b32 s15, exec_lo
                                        ; implicit-def: $vgpr29
	v_cmpx_ne_u64_e32 0, v[2:3]
	s_xor_b32 s15, exec_lo, s15
; %bb.19479:                            ;   in Loop: Header=BB6_18683 Depth=3
	v_or_b32_e32 v29, 0x7f, v1
                                        ; implicit-def: $vgpr6
; %bb.19480:                            ;   in Loop: Header=BB6_18683 Depth=3
	s_and_not1_saveexec_b32 s15, s15
; %bb.19481:                            ;   in Loop: Header=BB6_18683 Depth=3
	v_cmp_lt_i32_e32 vcc_lo, -1, v6
	v_mov_b32_e32 v1, 0x7c
	s_delay_alu instid0(VALU_DEP_1)
	v_cndmask_b32_e32 v29, 0xfc, v1, vcc_lo
; %bb.19482:                            ;   in Loop: Header=BB6_18683 Depth=3
	s_or_b32 exec_lo, exec_lo, s15
.LBB6_19483:                            ;   in Loop: Header=BB6_18683 Depth=3
	s_delay_alu instid0(SALU_CYCLE_1) | instskip(SKIP_3) | instid1(VALU_DEP_2)
	s_or_b32 exec_lo, exec_lo, s14
	v_lshrrev_b16 v2, 8, v8
	v_mov_b32_e32 v1, 0
	s_mov_b32 s14, exec_lo
	v_cmpx_ne_u16_e32 0, v2
	s_cbranch_execz .LBB6_19493
; %bb.19484:                            ;   in Loop: Header=BB6_18683 Depth=3
	v_bfrev_b32_e32 v1, 1
	s_mov_b32 s15, exec_lo
	v_cmpx_ne_u16_e32 0x80, v2
	s_cbranch_execz .LBB6_19492
; %bb.19485:                            ;   in Loop: Header=BB6_18683 Depth=3
	v_and_b32_e32 v6, 0xffff, v2
	s_delay_alu instid0(VALU_DEP_1) | instskip(SKIP_1) | instid1(VALU_DEP_2)
	v_and_b32_e32 v1, 0x7c, v6
	v_and_b32_e32 v3, 3, v6
	v_cmp_ne_u32_e32 vcc_lo, 0x7c, v1
                                        ; implicit-def: $vgpr1
	s_and_saveexec_b32 s42, vcc_lo
	s_delay_alu instid0(SALU_CYCLE_1)
	s_xor_b32 s42, exec_lo, s42
	s_cbranch_execz .LBB6_19489
; %bb.19486:                            ;   in Loop: Header=BB6_18683 Depth=3
	v_bfe_u32 v1, v6, 2, 5
	s_mov_b32 s43, exec_lo
	s_delay_alu instid0(VALU_DEP_1)
	v_cmpx_eq_u32_e32 0, v1
	s_cbranch_execz .LBB6_19488
; %bb.19487:                            ;   in Loop: Header=BB6_18683 Depth=3
	v_clz_i32_u32_e32 v1, v3
	s_delay_alu instid0(VALU_DEP_1) | instskip(SKIP_1) | instid1(VALU_DEP_2)
	v_min_u32_e32 v1, 32, v1
	v_mov_b32_e32 v3, v113
	v_subrev_nc_u32_e32 v6, 29, v1
	v_sub_nc_u32_e32 v1, 30, v1
	s_delay_alu instid0(VALU_DEP_2) | instskip(NEXT) | instid1(VALU_DEP_1)
	v_lshlrev_b64_e32 v[2:3], v6, v[2:3]
	v_and_b32_e32 v3, 3, v2
.LBB6_19488:                            ;   in Loop: Header=BB6_18683 Depth=3
	s_or_b32 exec_lo, exec_lo, s43
	v_lshlrev_b32_e32 v2, 16, v8
                                        ; implicit-def: $vgpr8
	s_delay_alu instid0(VALU_DEP_1) | instskip(NEXT) | instid1(VALU_DEP_1)
	v_and_b32_e32 v2, 0x80000000, v2
	v_lshl_add_u32 v1, v1, 23, v2
	s_delay_alu instid0(VALU_DEP_1) | instskip(NEXT) | instid1(VALU_DEP_1)
	v_lshl_or_b32 v1, v3, 21, v1
                                        ; implicit-def: $vgpr3
	v_add_nc_u32_e32 v1, 0x38000000, v1
.LBB6_19489:                            ;   in Loop: Header=BB6_18683 Depth=3
	s_and_not1_saveexec_b32 s42, s42
; %bb.19490:                            ;   in Loop: Header=BB6_18683 Depth=3
	v_cmp_lt_i16_e32 vcc_lo, -1, v8
	v_mov_b32_e32 v1, 0x7f800000
	s_delay_alu instid0(VALU_DEP_1) | instskip(SKIP_1) | instid1(VALU_DEP_2)
	v_cndmask_b32_e32 v1, 0xff800000, v1, vcc_lo
	v_cmp_eq_u32_e32 vcc_lo, 0, v3
	v_cndmask_b32_e32 v1, 0x7f800001, v1, vcc_lo
; %bb.19491:                            ;   in Loop: Header=BB6_18683 Depth=3
	s_or_b32 exec_lo, exec_lo, s42
.LBB6_19492:                            ;   in Loop: Header=BB6_18683 Depth=3
	s_delay_alu instid0(SALU_CYCLE_1)
	s_or_b32 exec_lo, exec_lo, s15
.LBB6_19493:                            ;   in Loop: Header=BB6_18683 Depth=3
	s_delay_alu instid0(SALU_CYCLE_1) | instskip(SKIP_3) | instid1(VALU_DEP_1)
	s_or_b32 exec_lo, exec_lo, s14
	v_lshrrev_b16 v2, 8, v10
	s_mov_b32 s15, 0
	s_mov_b32 s14, exec_lo
	v_cmpx_lt_i16_e32 0x7f, v2
	s_xor_b32 s14, exec_lo, s14
	s_cbranch_execz .LBB6_19740
; %bb.19494:                            ;   in Loop: Header=BB6_18683 Depth=3
	s_mov_b32 s15, -1
	s_mov_b32 s42, exec_lo
	v_cmpx_eq_u16_e32 0x80, v2
; %bb.19495:                            ;   in Loop: Header=BB6_18683 Depth=3
	s_xor_b32 s15, exec_lo, -1
; %bb.19496:                            ;   in Loop: Header=BB6_18683 Depth=3
	s_or_b32 exec_lo, exec_lo, s42
	s_delay_alu instid0(SALU_CYCLE_1)
	s_and_b32 s15, s15, exec_lo
	s_or_saveexec_b32 s14, s14
	v_bfrev_b32_e32 v3, 1
	s_xor_b32 exec_lo, exec_lo, s14
	s_cbranch_execnz .LBB6_19741
.LBB6_19497:                            ;   in Loop: Header=BB6_18683 Depth=3
	s_or_b32 exec_lo, exec_lo, s14
	s_and_saveexec_b32 s14, s15
	s_cbranch_execz .LBB6_19499
.LBB6_19498:                            ;   in Loop: Header=BB6_18683 Depth=3
	v_and_b32_e32 v8, 0xffff, v2
	s_delay_alu instid0(VALU_DEP_1) | instskip(NEXT) | instid1(VALU_DEP_1)
	v_and_b32_e32 v9, 3, v8
	v_clz_i32_u32_e32 v3, v9
	s_delay_alu instid0(VALU_DEP_1) | instskip(SKIP_1) | instid1(VALU_DEP_2)
	v_min_u32_e32 v32, 32, v3
	v_mov_b32_e32 v3, v113
	v_subrev_nc_u32_e32 v6, 29, v32
	s_delay_alu instid0(VALU_DEP_1) | instskip(SKIP_2) | instid1(VALU_DEP_2)
	v_lshlrev_b64_e32 v[6:7], v6, v[2:3]
	v_bfe_u32 v3, v8, 2, 5
	v_dual_lshlrev_b32 v2, 24, v2 :: v_dual_sub_nc_u32 v7, 30, v32
	v_cmp_eq_u32_e32 vcc_lo, 0, v3
	s_delay_alu instid0(VALU_DEP_2) | instskip(NEXT) | instid1(VALU_DEP_3)
	v_and_b32_e32 v2, 0x80000000, v2
	v_dual_cndmask_b32 v3, v3, v7, vcc_lo :: v_dual_bitop2_b32 v6, 3, v6 bitop3:0x40
	s_delay_alu instid0(VALU_DEP_1) | instskip(SKIP_1) | instid1(VALU_DEP_3)
	v_cndmask_b32_e32 v6, v9, v6, vcc_lo
	v_cmp_lt_i16_e32 vcc_lo, -1, v10
	v_lshl_add_u32 v2, v3, 23, v2
	v_mov_b32_e32 v3, 0x7f800000
	s_delay_alu instid0(VALU_DEP_2) | instskip(NEXT) | instid1(VALU_DEP_2)
	v_lshl_or_b32 v2, v6, 21, v2
	v_cndmask_b32_e32 v3, 0xff800000, v3, vcc_lo
	v_and_b32_e32 v6, 0x7c, v8
	v_cmp_eq_u32_e32 vcc_lo, 0, v9
	s_delay_alu instid0(VALU_DEP_4) | instskip(NEXT) | instid1(VALU_DEP_4)
	v_add_nc_u32_e32 v2, 0x38000000, v2
	v_cndmask_b32_e32 v3, 0x7f800001, v3, vcc_lo
	s_delay_alu instid0(VALU_DEP_4) | instskip(NEXT) | instid1(VALU_DEP_2)
	v_cmp_eq_u32_e32 vcc_lo, 0x7c, v6
	v_cndmask_b32_e32 v3, v2, v3, vcc_lo
.LBB6_19499:                            ;   in Loop: Header=BB6_18683 Depth=3
	s_or_b32 exec_lo, exec_lo, s14
	s_delay_alu instid0(VALU_DEP_1) | instskip(SKIP_2) | instid1(VALU_DEP_2)
	v_add_f32_e32 v6, v1, v3
	v_dual_mov_b32 v9, v113 :: v_dual_mov_b32 v3, v113
                                        ; implicit-def: $vgpr32
	s_mov_b32 s14, exec_lo
	v_and_b32_e32 v8, 0x7f800000, v6
	v_and_b32_e32 v2, 0x7fffff, v6
	v_lshrrev_b32_e32 v1, 24, v6
	s_delay_alu instid0(VALU_DEP_3)
	v_cmpx_ne_u64_e32 0x7f800000, v[8:9]
	s_xor_b32 s15, exec_lo, s14
	s_cbranch_execz .LBB6_19513
; %bb.19500:                            ;   in Loop: Header=BB6_18683 Depth=3
	v_and_b32_e32 v8, 0x7fffffff, v6
	v_mov_b32_e32 v9, v113
	v_and_b32_e32 v1, 0x80, v1
                                        ; implicit-def: $vgpr32
	s_mov_b32 s14, exec_lo
	s_delay_alu instid0(VALU_DEP_2)
	v_cmpx_gt_u64_e32 0x47600001, v[8:9]
	s_xor_b32 s42, exec_lo, s14
	s_cbranch_execz .LBB6_19510
; %bb.19501:                            ;   in Loop: Header=BB6_18683 Depth=3
	v_mov_b32_e32 v32, 0
	s_mov_b32 s43, exec_lo
	v_cmpx_ne_u32_e32 0, v6
	s_cbranch_execz .LBB6_19509
; %bb.19502:                            ;   in Loop: Header=BB6_18683 Depth=3
	v_bfe_u32 v8, v6, 23, 8
	v_or_b32_e32 v32, 0x800000, v2
	s_delay_alu instid0(VALU_DEP_2) | instskip(SKIP_1) | instid1(VALU_DEP_2)
	v_sub_nc_u32_e32 v6, 0x71, v8
	v_cmp_gt_u32_e32 vcc_lo, 0x72, v8
	v_cndmask_b32_e32 v6, 0, v6, vcc_lo
	v_cmp_eq_u32_e32 vcc_lo, 0, v8
	s_delay_alu instid0(VALU_DEP_2) | instskip(NEXT) | instid1(VALU_DEP_1)
	v_cndmask_b32_e64 v9, v6, 0x70, vcc_lo
	v_dual_cndmask_b32 v2, v32, v2, vcc_lo :: v_dual_add_nc_u32 v6, 21, v9
	v_add_nc_u32_e32 v35, 20, v9
	s_delay_alu instid0(VALU_DEP_2) | instskip(NEXT) | instid1(VALU_DEP_2)
	v_lshlrev_b64_e64 v[6:7], v6, -1
	v_lshlrev_b64_e64 v[48:49], v35, 1
	s_delay_alu instid0(VALU_DEP_2) | instskip(SKIP_1) | instid1(VALU_DEP_4)
	v_bfi_b32 v6, v6, 0, v2
	v_lshrrev_b64 v[2:3], v9, v[2:3]
	v_bfi_b32 v7, v7, 0, 0
	s_delay_alu instid0(VALU_DEP_1) | instskip(NEXT) | instid1(VALU_DEP_3)
	v_cmp_eq_u64_e64 s14, v[6:7], v[48:49]
	v_mov_b64_e32 v[6:7], v[2:3]
	s_and_saveexec_b32 s78, s14
; %bb.19503:                            ;   in Loop: Header=BB6_18683 Depth=3
	v_bfe_u32 v6, v2, 21, 1
	v_mov_b32_e32 v7, v113
	s_delay_alu instid0(VALU_DEP_1) | instskip(NEXT) | instid1(VALU_DEP_1)
	v_add_nc_u64_e32 v[6:7], v[2:3], v[6:7]
	v_add_nc_u64_e32 v[6:7], -1, v[6:7]
; %bb.19504:                            ;   in Loop: Header=BB6_18683 Depth=3
	s_or_b32 exec_lo, exec_lo, s78
	v_add_nc_u32_e32 v3, 0xffffff81, v8
	v_lshrrev_b32_e32 v7, 23, v2
	s_mov_b32 s14, exec_lo
	s_delay_alu instid0(VALU_DEP_2) | instskip(NEXT) | instid1(VALU_DEP_1)
	v_cndmask_b32_e64 v3, v3, 0xffffff82, vcc_lo
	v_add3_u32 v7, v9, v3, v7
	v_and_b32_e32 v3, 0x1fffff, v6
                                        ; implicit-def: $vgpr6
	s_delay_alu instid0(VALU_DEP_1) | instskip(SKIP_1) | instid1(VALU_DEP_2)
	v_dual_add_nc_u32 v8, 14, v7 :: v_dual_add_nc_u32 v2, v3, v2
	v_mov_b32_e32 v3, v113
	v_cmpx_ne_u32_e32 0, v8
	s_xor_b32 s14, exec_lo, s14
; %bb.19505:                            ;   in Loop: Header=BB6_18683 Depth=3
	s_delay_alu instid0(VALU_DEP_2) | instskip(SKIP_2) | instid1(VALU_DEP_2)
	v_cmp_lt_u64_e32 vcc_lo, 0xffffff, v[2:3]
	v_add_nc_u32_e32 v6, 15, v7
	v_cndmask_b32_e64 v7, 0, 1, vcc_lo
	v_cndmask_b32_e32 v6, v8, v6, vcc_lo
	s_delay_alu instid0(VALU_DEP_2)
	v_lshrrev_b64 v[2:3], v7, v[2:3]
; %bb.19506:                            ;   in Loop: Header=BB6_18683 Depth=3
	s_and_not1_saveexec_b32 s14, s14
; %bb.19507:                            ;   in Loop: Header=BB6_18683 Depth=3
	s_delay_alu instid0(VALU_DEP_1)
	v_bfe_u32 v6, v2, 23, 1
; %bb.19508:                            ;   in Loop: Header=BB6_18683 Depth=3
	s_or_b32 exec_lo, exec_lo, s14
	s_delay_alu instid0(VALU_DEP_2) | instskip(NEXT) | instid1(VALU_DEP_2)
	v_lshrrev_b64 v[2:3], 21, v[2:3]
	v_cmp_gt_i32_e32 vcc_lo, 32, v6
	v_min_i32_e32 v7, 31, v6
	v_cmp_eq_u32_e64 s14, 0, v6
	s_delay_alu instid0(VALU_DEP_4) | instskip(NEXT) | instid1(VALU_DEP_3)
	v_cndmask_b32_e32 v3, 0, v3, vcc_lo
	v_dual_cndmask_b32 v2, 3, v2 :: v_dual_lshlrev_b32 v7, 2, v7
	s_delay_alu instid0(VALU_DEP_1) | instskip(NEXT) | instid1(VALU_DEP_2)
	v_and_b32_e32 v7, 0xfc, v7
	v_cmp_eq_u64_e32 vcc_lo, 0, v[2:3]
	s_delay_alu instid0(VALU_DEP_2)
	v_and_or_b32 v2, v2, 3, v7
	s_and_b32 s14, s14, vcc_lo
	s_delay_alu instid0(VALU_DEP_1) | instid1(SALU_CYCLE_1)
	v_cndmask_b32_e64 v2, v2, 0, s14
	s_delay_alu instid0(VALU_DEP_1)
	v_or_b32_e32 v32, v2, v1
.LBB6_19509:                            ;   in Loop: Header=BB6_18683 Depth=3
	s_or_b32 exec_lo, exec_lo, s43
                                        ; implicit-def: $vgpr1
.LBB6_19510:                            ;   in Loop: Header=BB6_18683 Depth=3
	s_and_not1_saveexec_b32 s14, s42
; %bb.19511:                            ;   in Loop: Header=BB6_18683 Depth=3
	v_or_b32_e32 v32, 0x7b, v1
; %bb.19512:                            ;   in Loop: Header=BB6_18683 Depth=3
	s_or_b32 exec_lo, exec_lo, s14
                                        ; implicit-def: $vgpr6
                                        ; implicit-def: $vgpr2_vgpr3
                                        ; implicit-def: $vgpr1
.LBB6_19513:                            ;   in Loop: Header=BB6_18683 Depth=3
	s_and_not1_saveexec_b32 s14, s15
	s_cbranch_execz .LBB6_19519
; %bb.19514:                            ;   in Loop: Header=BB6_18683 Depth=3
	s_mov_b32 s15, exec_lo
                                        ; implicit-def: $vgpr32
	v_cmpx_ne_u64_e32 0, v[2:3]
	s_xor_b32 s15, exec_lo, s15
; %bb.19515:                            ;   in Loop: Header=BB6_18683 Depth=3
	v_or_b32_e32 v32, 0x7f, v1
                                        ; implicit-def: $vgpr6
; %bb.19516:                            ;   in Loop: Header=BB6_18683 Depth=3
	s_and_not1_saveexec_b32 s15, s15
; %bb.19517:                            ;   in Loop: Header=BB6_18683 Depth=3
	v_cmp_lt_i32_e32 vcc_lo, -1, v6
	v_mov_b32_e32 v1, 0x7c
	s_delay_alu instid0(VALU_DEP_1)
	v_cndmask_b32_e32 v32, 0xfc, v1, vcc_lo
; %bb.19518:                            ;   in Loop: Header=BB6_18683 Depth=3
	s_or_b32 exec_lo, exec_lo, s15
.LBB6_19519:                            ;   in Loop: Header=BB6_18683 Depth=3
	s_delay_alu instid0(SALU_CYCLE_1) | instskip(SKIP_2) | instid1(VALU_DEP_1)
	s_or_b32 exec_lo, exec_lo, s14
	v_dual_mov_b32 v1, 0 :: v_dual_lshrrev_b32 v2, 16, v0
	s_mov_b32 s14, exec_lo
	v_and_b32_e32 v3, 0xff, v2
	s_delay_alu instid0(VALU_DEP_1)
	v_cmpx_ne_u16_e32 0, v3
	s_cbranch_execz .LBB6_19529
; %bb.19520:                            ;   in Loop: Header=BB6_18683 Depth=3
	v_bfrev_b32_e32 v1, 1
	s_mov_b32 s15, exec_lo
	v_cmpx_ne_u16_e32 0x80, v3
	s_cbranch_execz .LBB6_19528
; %bb.19521:                            ;   in Loop: Header=BB6_18683 Depth=3
	v_and_b32_e32 v1, 0x7c0000, v0
	v_bfe_u32 v3, v0, 16, 2
	s_delay_alu instid0(VALU_DEP_2) | instskip(SKIP_1) | instid1(SALU_CYCLE_1)
	v_cmp_ne_u32_e32 vcc_lo, 0x7c0000, v1
                                        ; implicit-def: $vgpr1
	s_and_saveexec_b32 s42, vcc_lo
	s_xor_b32 s42, exec_lo, s42
	s_cbranch_execz .LBB6_19525
; %bb.19522:                            ;   in Loop: Header=BB6_18683 Depth=3
	v_bfe_u32 v1, v0, 18, 5
	s_mov_b32 s43, exec_lo
	s_delay_alu instid0(VALU_DEP_1)
	v_cmpx_eq_u32_e32 0, v1
; %bb.19523:                            ;   in Loop: Header=BB6_18683 Depth=3
	v_clz_i32_u32_e32 v1, v3
	s_delay_alu instid0(VALU_DEP_1) | instskip(NEXT) | instid1(VALU_DEP_1)
	v_min_u32_e32 v1, 32, v1
	v_subrev_nc_u32_e32 v3, 29, v1
	s_delay_alu instid0(VALU_DEP_1) | instskip(NEXT) | instid1(VALU_DEP_1)
	v_lshlrev_b64_e32 v[6:7], v3, v[2:3]
	v_dual_sub_nc_u32 v1, 30, v1 :: v_dual_bitop2_b32 v3, 3, v6 bitop3:0x40
; %bb.19524:                            ;   in Loop: Header=BB6_18683 Depth=3
	s_or_b32 exec_lo, exec_lo, s43
	v_lshlrev_b32_e32 v2, 24, v2
	s_delay_alu instid0(VALU_DEP_1) | instskip(NEXT) | instid1(VALU_DEP_1)
	v_and_b32_e32 v2, 0x80000000, v2
	v_lshl_add_u32 v1, v1, 23, v2
                                        ; implicit-def: $vgpr2
	s_delay_alu instid0(VALU_DEP_1) | instskip(NEXT) | instid1(VALU_DEP_1)
	v_lshl_or_b32 v1, v3, 21, v1
                                        ; implicit-def: $vgpr3
	v_add_nc_u32_e32 v1, 0x38000000, v1
.LBB6_19525:                            ;   in Loop: Header=BB6_18683 Depth=3
	s_and_not1_saveexec_b32 s42, s42
; %bb.19526:                            ;   in Loop: Header=BB6_18683 Depth=3
	v_bfe_i32 v1, v2, 0, 8
	s_delay_alu instid0(VALU_DEP_1) | instskip(SKIP_1) | instid1(VALU_DEP_1)
	v_cmp_lt_i16_e32 vcc_lo, -1, v1
	v_mov_b32_e32 v1, 0x7f800000
	v_cndmask_b32_e32 v1, 0xff800000, v1, vcc_lo
	v_cmp_eq_u32_e32 vcc_lo, 0, v3
	s_delay_alu instid0(VALU_DEP_2)
	v_cndmask_b32_e32 v1, 0x7f800001, v1, vcc_lo
; %bb.19527:                            ;   in Loop: Header=BB6_18683 Depth=3
	s_or_b32 exec_lo, exec_lo, s42
.LBB6_19528:                            ;   in Loop: Header=BB6_18683 Depth=3
	s_delay_alu instid0(SALU_CYCLE_1)
	s_or_b32 exec_lo, exec_lo, s15
.LBB6_19529:                            ;   in Loop: Header=BB6_18683 Depth=3
	s_delay_alu instid0(SALU_CYCLE_1) | instskip(SKIP_3) | instid1(VALU_DEP_1)
	s_or_b32 exec_lo, exec_lo, s14
	v_lshrrev_b32_e32 v2, 16, v10
	s_mov_b32 s15, 0
	s_mov_b32 s14, exec_lo
	v_and_b32_e32 v6, 0xff, v2
	s_delay_alu instid0(VALU_DEP_1)
	v_cmpx_lt_i16_e32 0x7f, v6
	s_xor_b32 s14, exec_lo, s14
	s_cbranch_execz .LBB6_19742
; %bb.19530:                            ;   in Loop: Header=BB6_18683 Depth=3
	s_mov_b32 s15, -1
	s_mov_b32 s42, exec_lo
	v_cmpx_eq_u16_e32 0x80, v6
; %bb.19531:                            ;   in Loop: Header=BB6_18683 Depth=3
	s_xor_b32 s15, exec_lo, -1
; %bb.19532:                            ;   in Loop: Header=BB6_18683 Depth=3
	s_or_b32 exec_lo, exec_lo, s42
	s_delay_alu instid0(SALU_CYCLE_1)
	s_and_b32 s15, s15, exec_lo
                                        ; implicit-def: $vgpr6
	s_or_saveexec_b32 s14, s14
	v_bfrev_b32_e32 v3, 1
	s_xor_b32 exec_lo, exec_lo, s14
	s_cbranch_execnz .LBB6_19743
.LBB6_19533:                            ;   in Loop: Header=BB6_18683 Depth=3
	s_or_b32 exec_lo, exec_lo, s14
	s_and_saveexec_b32 s14, s15
	s_cbranch_execz .LBB6_19535
.LBB6_19534:                            ;   in Loop: Header=BB6_18683 Depth=3
	v_and_b32_e32 v3, 3, v2
	v_bfe_u32 v9, v10, 18, 5
	s_delay_alu instid0(VALU_DEP_2) | instskip(NEXT) | instid1(VALU_DEP_2)
	v_clz_i32_u32_e32 v6, v3
	v_cmp_eq_u32_e32 vcc_lo, 0, v9
	s_delay_alu instid0(VALU_DEP_2) | instskip(NEXT) | instid1(VALU_DEP_1)
	v_min_u32_e32 v8, 32, v6
	v_subrev_nc_u32_e32 v6, 29, v8
	s_delay_alu instid0(VALU_DEP_1) | instskip(SKIP_2) | instid1(VALU_DEP_2)
	v_lshlrev_b64_e32 v[6:7], v6, v[2:3]
	v_dual_lshlrev_b32 v7, 24, v2 :: v_dual_sub_nc_u32 v8, 30, v8
	v_bfe_i32 v2, v2, 0, 8
	v_and_b32_e32 v7, 0x80000000, v7
	s_delay_alu instid0(VALU_DEP_3) | instskip(NEXT) | instid1(VALU_DEP_1)
	v_dual_cndmask_b32 v8, v9, v8, vcc_lo :: v_dual_bitop2_b32 v6, 3, v6 bitop3:0x40
	v_cndmask_b32_e32 v6, v3, v6, vcc_lo
	s_delay_alu instid0(VALU_DEP_2) | instskip(SKIP_2) | instid1(VALU_DEP_3)
	v_lshl_add_u32 v7, v8, 23, v7
	v_cmp_lt_i16_e32 vcc_lo, -1, v2
	v_mov_b32_e32 v2, 0x7f800000
	v_lshl_or_b32 v6, v6, 21, v7
	v_and_b32_e32 v7, 0x7c0000, v10
	s_delay_alu instid0(VALU_DEP_3) | instskip(SKIP_1) | instid1(VALU_DEP_4)
	v_cndmask_b32_e32 v2, 0xff800000, v2, vcc_lo
	v_cmp_eq_u32_e32 vcc_lo, 0, v3
	v_add_nc_u32_e32 v3, 0x38000000, v6
	s_delay_alu instid0(VALU_DEP_3) | instskip(SKIP_1) | instid1(VALU_DEP_2)
	v_cndmask_b32_e32 v2, 0x7f800001, v2, vcc_lo
	v_cmp_eq_u32_e32 vcc_lo, 0x7c0000, v7
	v_cndmask_b32_e32 v3, v3, v2, vcc_lo
.LBB6_19535:                            ;   in Loop: Header=BB6_18683 Depth=3
	s_or_b32 exec_lo, exec_lo, s14
	s_delay_alu instid0(VALU_DEP_1) | instskip(SKIP_2) | instid1(VALU_DEP_2)
	v_add_f32_e32 v6, v1, v3
	v_dual_mov_b32 v9, v113 :: v_dual_mov_b32 v3, v113
                                        ; implicit-def: $vgpr35
	s_mov_b32 s14, exec_lo
	v_and_b32_e32 v8, 0x7f800000, v6
	v_and_b32_e32 v2, 0x7fffff, v6
	v_lshrrev_b32_e32 v1, 24, v6
	s_delay_alu instid0(VALU_DEP_3)
	v_cmpx_ne_u64_e32 0x7f800000, v[8:9]
	s_xor_b32 s15, exec_lo, s14
	s_cbranch_execz .LBB6_19549
; %bb.19536:                            ;   in Loop: Header=BB6_18683 Depth=3
	v_and_b32_e32 v8, 0x7fffffff, v6
	v_mov_b32_e32 v9, v113
	v_and_b32_e32 v1, 0x80, v1
                                        ; implicit-def: $vgpr35
	s_mov_b32 s14, exec_lo
	s_delay_alu instid0(VALU_DEP_2)
	v_cmpx_gt_u64_e32 0x47600001, v[8:9]
	s_xor_b32 s42, exec_lo, s14
	s_cbranch_execz .LBB6_19546
; %bb.19537:                            ;   in Loop: Header=BB6_18683 Depth=3
	v_mov_b32_e32 v35, 0
	s_mov_b32 s43, exec_lo
	v_cmpx_ne_u32_e32 0, v6
	s_cbranch_execz .LBB6_19545
; %bb.19538:                            ;   in Loop: Header=BB6_18683 Depth=3
	v_bfe_u32 v8, v6, 23, 8
	v_or_b32_e32 v35, 0x800000, v2
	s_delay_alu instid0(VALU_DEP_2) | instskip(SKIP_1) | instid1(VALU_DEP_2)
	v_sub_nc_u32_e32 v6, 0x71, v8
	v_cmp_gt_u32_e32 vcc_lo, 0x72, v8
	v_cndmask_b32_e32 v6, 0, v6, vcc_lo
	v_cmp_eq_u32_e32 vcc_lo, 0, v8
	s_delay_alu instid0(VALU_DEP_2) | instskip(NEXT) | instid1(VALU_DEP_1)
	v_cndmask_b32_e64 v9, v6, 0x70, vcc_lo
	v_dual_cndmask_b32 v2, v35, v2, vcc_lo :: v_dual_add_nc_u32 v6, 21, v9
	v_add_nc_u32_e32 v37, 20, v9
	s_delay_alu instid0(VALU_DEP_2) | instskip(NEXT) | instid1(VALU_DEP_2)
	v_lshlrev_b64_e64 v[6:7], v6, -1
	v_lshlrev_b64_e64 v[48:49], v37, 1
	s_delay_alu instid0(VALU_DEP_2) | instskip(SKIP_1) | instid1(VALU_DEP_4)
	v_bfi_b32 v6, v6, 0, v2
	v_lshrrev_b64 v[2:3], v9, v[2:3]
	v_bfi_b32 v7, v7, 0, 0
	s_delay_alu instid0(VALU_DEP_1) | instskip(NEXT) | instid1(VALU_DEP_3)
	v_cmp_eq_u64_e64 s14, v[6:7], v[48:49]
	v_mov_b64_e32 v[6:7], v[2:3]
	s_and_saveexec_b32 s78, s14
; %bb.19539:                            ;   in Loop: Header=BB6_18683 Depth=3
	v_bfe_u32 v6, v2, 21, 1
	v_mov_b32_e32 v7, v113
	s_delay_alu instid0(VALU_DEP_1) | instskip(NEXT) | instid1(VALU_DEP_1)
	v_add_nc_u64_e32 v[6:7], v[2:3], v[6:7]
	v_add_nc_u64_e32 v[6:7], -1, v[6:7]
; %bb.19540:                            ;   in Loop: Header=BB6_18683 Depth=3
	s_or_b32 exec_lo, exec_lo, s78
	v_add_nc_u32_e32 v3, 0xffffff81, v8
	v_lshrrev_b32_e32 v7, 23, v2
	s_mov_b32 s14, exec_lo
	s_delay_alu instid0(VALU_DEP_2) | instskip(NEXT) | instid1(VALU_DEP_1)
	v_cndmask_b32_e64 v3, v3, 0xffffff82, vcc_lo
	v_add3_u32 v7, v9, v3, v7
	v_and_b32_e32 v3, 0x1fffff, v6
                                        ; implicit-def: $vgpr6
	s_delay_alu instid0(VALU_DEP_1) | instskip(SKIP_1) | instid1(VALU_DEP_2)
	v_dual_add_nc_u32 v8, 14, v7 :: v_dual_add_nc_u32 v2, v3, v2
	v_mov_b32_e32 v3, v113
	v_cmpx_ne_u32_e32 0, v8
	s_xor_b32 s14, exec_lo, s14
; %bb.19541:                            ;   in Loop: Header=BB6_18683 Depth=3
	s_delay_alu instid0(VALU_DEP_2) | instskip(SKIP_2) | instid1(VALU_DEP_2)
	v_cmp_lt_u64_e32 vcc_lo, 0xffffff, v[2:3]
	v_add_nc_u32_e32 v6, 15, v7
	v_cndmask_b32_e64 v7, 0, 1, vcc_lo
	v_cndmask_b32_e32 v6, v8, v6, vcc_lo
	s_delay_alu instid0(VALU_DEP_2)
	v_lshrrev_b64 v[2:3], v7, v[2:3]
; %bb.19542:                            ;   in Loop: Header=BB6_18683 Depth=3
	s_and_not1_saveexec_b32 s14, s14
; %bb.19543:                            ;   in Loop: Header=BB6_18683 Depth=3
	s_delay_alu instid0(VALU_DEP_1)
	v_bfe_u32 v6, v2, 23, 1
; %bb.19544:                            ;   in Loop: Header=BB6_18683 Depth=3
	s_or_b32 exec_lo, exec_lo, s14
	s_delay_alu instid0(VALU_DEP_2) | instskip(NEXT) | instid1(VALU_DEP_2)
	v_lshrrev_b64 v[2:3], 21, v[2:3]
	v_cmp_gt_i32_e32 vcc_lo, 32, v6
	v_min_i32_e32 v7, 31, v6
	v_cmp_eq_u32_e64 s14, 0, v6
	s_delay_alu instid0(VALU_DEP_4) | instskip(NEXT) | instid1(VALU_DEP_3)
	v_cndmask_b32_e32 v3, 0, v3, vcc_lo
	v_dual_cndmask_b32 v2, 3, v2 :: v_dual_lshlrev_b32 v7, 2, v7
	s_delay_alu instid0(VALU_DEP_1) | instskip(NEXT) | instid1(VALU_DEP_2)
	v_and_b32_e32 v7, 0xfc, v7
	v_cmp_eq_u64_e32 vcc_lo, 0, v[2:3]
	s_delay_alu instid0(VALU_DEP_2)
	v_and_or_b32 v2, v2, 3, v7
	s_and_b32 s14, s14, vcc_lo
	s_delay_alu instid0(VALU_DEP_1) | instid1(SALU_CYCLE_1)
	v_cndmask_b32_e64 v2, v2, 0, s14
	s_delay_alu instid0(VALU_DEP_1)
	v_or_b32_e32 v35, v2, v1
.LBB6_19545:                            ;   in Loop: Header=BB6_18683 Depth=3
	s_or_b32 exec_lo, exec_lo, s43
                                        ; implicit-def: $vgpr1
.LBB6_19546:                            ;   in Loop: Header=BB6_18683 Depth=3
	s_and_not1_saveexec_b32 s14, s42
; %bb.19547:                            ;   in Loop: Header=BB6_18683 Depth=3
	v_or_b32_e32 v35, 0x7b, v1
; %bb.19548:                            ;   in Loop: Header=BB6_18683 Depth=3
	s_or_b32 exec_lo, exec_lo, s14
                                        ; implicit-def: $vgpr6
                                        ; implicit-def: $vgpr2_vgpr3
                                        ; implicit-def: $vgpr1
.LBB6_19549:                            ;   in Loop: Header=BB6_18683 Depth=3
	s_and_not1_saveexec_b32 s14, s15
	s_cbranch_execz .LBB6_19555
; %bb.19550:                            ;   in Loop: Header=BB6_18683 Depth=3
	s_mov_b32 s15, exec_lo
                                        ; implicit-def: $vgpr35
	v_cmpx_ne_u64_e32 0, v[2:3]
	s_xor_b32 s15, exec_lo, s15
; %bb.19551:                            ;   in Loop: Header=BB6_18683 Depth=3
	v_or_b32_e32 v35, 0x7f, v1
                                        ; implicit-def: $vgpr6
; %bb.19552:                            ;   in Loop: Header=BB6_18683 Depth=3
	s_and_not1_saveexec_b32 s15, s15
; %bb.19553:                            ;   in Loop: Header=BB6_18683 Depth=3
	v_cmp_lt_i32_e32 vcc_lo, -1, v6
	v_mov_b32_e32 v1, 0x7c
	s_delay_alu instid0(VALU_DEP_1)
	v_cndmask_b32_e32 v35, 0xfc, v1, vcc_lo
; %bb.19554:                            ;   in Loop: Header=BB6_18683 Depth=3
	s_or_b32 exec_lo, exec_lo, s15
.LBB6_19555:                            ;   in Loop: Header=BB6_18683 Depth=3
	s_delay_alu instid0(SALU_CYCLE_1)
	s_or_b32 exec_lo, exec_lo, s14
	v_mov_b32_e32 v3, 0
	s_mov_b32 s14, exec_lo
	v_cmpx_lt_u32_e32 0xffffff, v0
	s_cbranch_execz .LBB6_19565
; %bb.19556:                            ;   in Loop: Header=BB6_18683 Depth=3
	v_lshrrev_b32_e32 v2, 24, v0
	v_bfrev_b32_e32 v3, 1
	s_mov_b32 s15, exec_lo
	s_delay_alu instid0(VALU_DEP_2)
	v_cmpx_ne_u32_e32 0x80, v2
	s_cbranch_execz .LBB6_19564
; %bb.19557:                            ;   in Loop: Header=BB6_18683 Depth=3
	v_and_b32_e32 v1, 0x7c000000, v0
	v_bfe_u32 v6, v0, 24, 2
	s_mov_b32 s42, exec_lo
                                        ; implicit-def: $vgpr3
	s_delay_alu instid0(VALU_DEP_2)
	v_cmpx_ne_u32_e32 0x7c000000, v1
	s_xor_b32 s42, exec_lo, s42
	s_cbranch_execz .LBB6_19561
; %bb.19558:                            ;   in Loop: Header=BB6_18683 Depth=3
	v_bfe_u32 v1, v0, 26, 5
	s_mov_b32 s43, exec_lo
	s_delay_alu instid0(VALU_DEP_1)
	v_cmpx_eq_u32_e32 0, v1
; %bb.19559:                            ;   in Loop: Header=BB6_18683 Depth=3
	v_clz_i32_u32_e32 v1, v6
	s_delay_alu instid0(VALU_DEP_1) | instskip(NEXT) | instid1(VALU_DEP_1)
	v_min_u32_e32 v1, 32, v1
	v_subrev_nc_u32_e32 v3, 29, v1
	s_delay_alu instid0(VALU_DEP_1) | instskip(NEXT) | instid1(VALU_DEP_1)
	v_lshlrev_b64_e32 v[2:3], v3, v[2:3]
	v_dual_sub_nc_u32 v1, 30, v1 :: v_dual_bitop2_b32 v6, 3, v2 bitop3:0x40
; %bb.19560:                            ;   in Loop: Header=BB6_18683 Depth=3
	s_or_b32 exec_lo, exec_lo, s43
	v_and_b32_e32 v0, 0x80000000, v0
	s_delay_alu instid0(VALU_DEP_1) | instskip(NEXT) | instid1(VALU_DEP_1)
	v_lshl_add_u32 v0, v1, 23, v0
	v_lshl_or_b32 v0, v6, 21, v0
                                        ; implicit-def: $vgpr6
	s_delay_alu instid0(VALU_DEP_1)
	v_add_nc_u32_e32 v3, 0x38000000, v0
                                        ; implicit-def: $vgpr0_vgpr1
.LBB6_19561:                            ;   in Loop: Header=BB6_18683 Depth=3
	s_and_not1_saveexec_b32 s42, s42
; %bb.19562:                            ;   in Loop: Header=BB6_18683 Depth=3
	v_cmp_lt_i32_e32 vcc_lo, -1, v0
	v_mov_b32_e32 v0, 0x7f800000
	s_delay_alu instid0(VALU_DEP_1) | instskip(SKIP_1) | instid1(VALU_DEP_2)
	v_cndmask_b32_e32 v0, 0xff800000, v0, vcc_lo
	v_cmp_eq_u32_e32 vcc_lo, 0, v6
	v_cndmask_b32_e32 v3, 0x7f800001, v0, vcc_lo
; %bb.19563:                            ;   in Loop: Header=BB6_18683 Depth=3
	s_or_b32 exec_lo, exec_lo, s42
.LBB6_19564:                            ;   in Loop: Header=BB6_18683 Depth=3
	s_delay_alu instid0(SALU_CYCLE_1)
	s_or_b32 exec_lo, exec_lo, s15
.LBB6_19565:                            ;   in Loop: Header=BB6_18683 Depth=3
	s_delay_alu instid0(SALU_CYCLE_1) | instskip(SKIP_3) | instid1(VALU_DEP_2)
	s_or_b32 exec_lo, exec_lo, s14
	v_bfe_u32 v1, v10, 24, 2
	v_bfe_u32 v8, v10, 26, 5
                                        ; implicit-def: $vgpr37
	s_mov_b32 s14, exec_lo
	v_clz_i32_u32_e32 v0, v1
	s_delay_alu instid0(VALU_DEP_2) | instskip(NEXT) | instid1(VALU_DEP_2)
	v_cmp_eq_u32_e32 vcc_lo, 0, v8
	v_min_u32_e32 v2, 32, v0
	v_lshrrev_b32_e32 v0, 24, v10
	s_delay_alu instid0(VALU_DEP_2) | instskip(SKIP_1) | instid1(VALU_DEP_2)
	v_subrev_nc_u32_e32 v6, 29, v2
	v_sub_nc_u32_e32 v2, 30, v2
	v_lshlrev_b64_e32 v[6:7], v6, v[0:1]
	v_and_b32_e32 v7, 0x80000000, v10
	s_delay_alu instid0(VALU_DEP_3) | instskip(NEXT) | instid1(VALU_DEP_1)
	v_cndmask_b32_e32 v2, v8, v2, vcc_lo
	v_lshl_add_u32 v2, v2, 23, v7
	s_delay_alu instid0(VALU_DEP_4) | instskip(NEXT) | instid1(VALU_DEP_1)
	v_and_b32_e32 v6, 3, v6
	v_dual_mov_b32 v7, 0x7f800000 :: v_dual_cndmask_b32 v6, v1, v6
	v_cmp_lt_i32_e32 vcc_lo, -1, v10
	s_delay_alu instid0(VALU_DEP_2) | instskip(NEXT) | instid1(VALU_DEP_3)
	v_lshl_or_b32 v2, v6, 21, v2
	v_cndmask_b32_e32 v7, 0xff800000, v7, vcc_lo
	v_and_b32_e32 v6, 0x7c000000, v10
	v_cmp_eq_u32_e32 vcc_lo, 0, v1
	s_delay_alu instid0(VALU_DEP_4) | instskip(NEXT) | instid1(VALU_DEP_4)
	v_add_nc_u32_e32 v2, 0x38000000, v2
	v_cndmask_b32_e32 v1, 0x7f800001, v7, vcc_lo
	s_delay_alu instid0(VALU_DEP_4) | instskip(NEXT) | instid1(VALU_DEP_2)
	v_cmp_eq_u32_e32 vcc_lo, 0x7c000000, v6
	v_dual_mov_b32 v7, v113 :: v_dual_cndmask_b32 v1, v2, v1, vcc_lo
	v_cmp_ne_u32_e32 vcc_lo, 0x80, v0
	s_delay_alu instid0(VALU_DEP_2) | instskip(SKIP_1) | instid1(VALU_DEP_2)
	v_dual_cndmask_b32 v0, 0x80000000, v1 :: v_dual_mov_b32 v1, v113
	v_cmp_lt_u32_e32 vcc_lo, 0xffffff, v10
	v_cndmask_b32_e32 v0, 0, v0, vcc_lo
	s_delay_alu instid0(VALU_DEP_1) | instskip(NEXT) | instid1(VALU_DEP_1)
	v_add_f32_e32 v2, v0, v3
	v_and_b32_e32 v6, 0x7f800000, v2
	v_and_b32_e32 v0, 0x7fffff, v2
	v_lshrrev_b32_e32 v3, 24, v2
	s_delay_alu instid0(VALU_DEP_3)
	v_cmpx_ne_u64_e32 0x7f800000, v[6:7]
	s_xor_b32 s15, exec_lo, s14
	s_cbranch_execz .LBB6_19579
; %bb.19566:                            ;   in Loop: Header=BB6_18683 Depth=3
	v_and_b32_e32 v6, 0x7fffffff, v2
	v_mov_b32_e32 v7, v113
                                        ; implicit-def: $vgpr37
	s_delay_alu instid0(VALU_DEP_1) | instskip(SKIP_2) | instid1(SALU_CYCLE_1)
	v_cmp_gt_u64_e32 vcc_lo, 0x47600001, v[6:7]
	v_and_b32_e32 v6, 0x80, v3
	s_and_saveexec_b32 s14, vcc_lo
	s_xor_b32 s42, exec_lo, s14
	s_cbranch_execz .LBB6_19576
; %bb.19567:                            ;   in Loop: Header=BB6_18683 Depth=3
	v_mov_b32_e32 v37, 0
	s_mov_b32 s43, exec_lo
	v_cmpx_ne_u32_e32 0, v2
	s_cbranch_execz .LBB6_19575
; %bb.19568:                            ;   in Loop: Header=BB6_18683 Depth=3
	v_bfe_u32 v7, v2, 23, 8
	v_or_b32_e32 v9, 0x800000, v0
	s_delay_alu instid0(VALU_DEP_2) | instskip(SKIP_1) | instid1(VALU_DEP_2)
	v_sub_nc_u32_e32 v2, 0x71, v7
	v_cmp_gt_u32_e32 vcc_lo, 0x72, v7
	v_cndmask_b32_e32 v2, 0, v2, vcc_lo
	v_cmp_eq_u32_e32 vcc_lo, 0, v7
	s_delay_alu instid0(VALU_DEP_2) | instskip(SKIP_1) | instid1(VALU_DEP_2)
	v_cndmask_b32_e64 v8, v2, 0x70, vcc_lo
	v_cndmask_b32_e32 v0, v9, v0, vcc_lo
	v_dual_add_nc_u32 v2, 21, v8 :: v_dual_add_nc_u32 v37, 20, v8
	s_delay_alu instid0(VALU_DEP_1) | instskip(NEXT) | instid1(VALU_DEP_2)
	v_lshlrev_b64_e64 v[2:3], v2, -1
	v_lshlrev_b64_e64 v[48:49], v37, 1
	s_delay_alu instid0(VALU_DEP_2) | instskip(SKIP_1) | instid1(VALU_DEP_4)
	v_bfi_b32 v2, v2, 0, v0
	v_lshrrev_b64 v[0:1], v8, v[0:1]
	v_bfi_b32 v3, v3, 0, 0
	s_delay_alu instid0(VALU_DEP_1) | instskip(NEXT) | instid1(VALU_DEP_3)
	v_cmp_eq_u64_e64 s14, v[2:3], v[48:49]
	v_mov_b64_e32 v[2:3], v[0:1]
	s_and_saveexec_b32 s78, s14
; %bb.19569:                            ;   in Loop: Header=BB6_18683 Depth=3
	v_bfe_u32 v2, v0, 21, 1
	v_mov_b32_e32 v3, v113
	s_delay_alu instid0(VALU_DEP_1) | instskip(NEXT) | instid1(VALU_DEP_1)
	v_add_nc_u64_e32 v[2:3], v[0:1], v[2:3]
	v_add_nc_u64_e32 v[2:3], -1, v[2:3]
; %bb.19570:                            ;   in Loop: Header=BB6_18683 Depth=3
	s_or_b32 exec_lo, exec_lo, s78
	v_add_nc_u32_e32 v1, 0xffffff81, v7
	v_lshrrev_b32_e32 v3, 23, v0
	s_mov_b32 s14, exec_lo
	s_delay_alu instid0(VALU_DEP_2) | instskip(NEXT) | instid1(VALU_DEP_1)
	v_cndmask_b32_e64 v1, v1, 0xffffff82, vcc_lo
	v_add3_u32 v3, v8, v1, v3
	v_and_b32_e32 v1, 0x1fffff, v2
                                        ; implicit-def: $vgpr2
	s_delay_alu instid0(VALU_DEP_1) | instskip(SKIP_1) | instid1(VALU_DEP_2)
	v_dual_add_nc_u32 v7, 14, v3 :: v_dual_add_nc_u32 v0, v1, v0
	v_mov_b32_e32 v1, v113
	v_cmpx_ne_u32_e32 0, v7
	s_xor_b32 s14, exec_lo, s14
; %bb.19571:                            ;   in Loop: Header=BB6_18683 Depth=3
	s_delay_alu instid0(VALU_DEP_2) | instskip(SKIP_2) | instid1(VALU_DEP_2)
	v_cmp_lt_u64_e32 vcc_lo, 0xffffff, v[0:1]
	v_add_nc_u32_e32 v2, 15, v3
	v_cndmask_b32_e64 v3, 0, 1, vcc_lo
	v_cndmask_b32_e32 v2, v7, v2, vcc_lo
	s_delay_alu instid0(VALU_DEP_2)
	v_lshrrev_b64 v[0:1], v3, v[0:1]
; %bb.19572:                            ;   in Loop: Header=BB6_18683 Depth=3
	s_and_not1_saveexec_b32 s14, s14
; %bb.19573:                            ;   in Loop: Header=BB6_18683 Depth=3
	s_delay_alu instid0(VALU_DEP_1)
	v_bfe_u32 v2, v0, 23, 1
; %bb.19574:                            ;   in Loop: Header=BB6_18683 Depth=3
	s_or_b32 exec_lo, exec_lo, s14
	s_delay_alu instid0(VALU_DEP_2) | instskip(NEXT) | instid1(VALU_DEP_2)
	v_lshrrev_b64 v[0:1], 21, v[0:1]
	v_cmp_gt_i32_e32 vcc_lo, 32, v2
	v_min_i32_e32 v3, 31, v2
	v_cmp_eq_u32_e64 s14, 0, v2
	s_delay_alu instid0(VALU_DEP_2) | instskip(SKIP_1) | instid1(VALU_DEP_2)
	v_dual_cndmask_b32 v1, 0, v1, vcc_lo :: v_dual_lshlrev_b32 v3, 2, v3
	v_cndmask_b32_e32 v0, 3, v0, vcc_lo
	v_and_b32_e32 v3, 0xfc, v3
	s_delay_alu instid0(VALU_DEP_2) | instskip(NEXT) | instid1(VALU_DEP_2)
	v_cmp_eq_u64_e32 vcc_lo, 0, v[0:1]
	v_and_or_b32 v0, v0, 3, v3
	s_and_b32 s14, s14, vcc_lo
	s_delay_alu instid0(VALU_DEP_1) | instid1(SALU_CYCLE_1)
	v_cndmask_b32_e64 v0, v0, 0, s14
	s_delay_alu instid0(VALU_DEP_1)
	v_or_b32_e32 v37, v0, v6
.LBB6_19575:                            ;   in Loop: Header=BB6_18683 Depth=3
	s_or_b32 exec_lo, exec_lo, s43
                                        ; implicit-def: $vgpr6
.LBB6_19576:                            ;   in Loop: Header=BB6_18683 Depth=3
	s_and_not1_saveexec_b32 s14, s42
; %bb.19577:                            ;   in Loop: Header=BB6_18683 Depth=3
	v_or_b32_e32 v37, 0x7b, v6
; %bb.19578:                            ;   in Loop: Header=BB6_18683 Depth=3
	s_or_b32 exec_lo, exec_lo, s14
                                        ; implicit-def: $vgpr2
                                        ; implicit-def: $vgpr0_vgpr1
                                        ; implicit-def: $vgpr3
.LBB6_19579:                            ;   in Loop: Header=BB6_18683 Depth=3
	s_and_not1_saveexec_b32 s14, s15
	s_cbranch_execz .LBB6_19585
; %bb.19580:                            ;   in Loop: Header=BB6_18683 Depth=3
	s_mov_b32 s15, exec_lo
                                        ; implicit-def: $vgpr37
	v_cmpx_ne_u64_e32 0, v[0:1]
	s_xor_b32 s15, exec_lo, s15
; %bb.19581:                            ;   in Loop: Header=BB6_18683 Depth=3
	v_or_b32_e32 v37, 0x7f, v3
                                        ; implicit-def: $vgpr2
; %bb.19582:                            ;   in Loop: Header=BB6_18683 Depth=3
	s_and_not1_saveexec_b32 s15, s15
; %bb.19583:                            ;   in Loop: Header=BB6_18683 Depth=3
	v_cmp_lt_i32_e32 vcc_lo, -1, v2
	v_mov_b32_e32 v0, 0x7c
	s_delay_alu instid0(VALU_DEP_1)
	v_cndmask_b32_e32 v37, 0xfc, v0, vcc_lo
; %bb.19584:                            ;   in Loop: Header=BB6_18683 Depth=3
	s_or_b32 exec_lo, exec_lo, s15
.LBB6_19585:                            ;   in Loop: Header=BB6_18683 Depth=3
	s_delay_alu instid0(SALU_CYCLE_1) | instskip(SKIP_4) | instid1(VALU_DEP_2)
	s_or_b32 exec_lo, exec_lo, s14
	v_dual_lshlrev_b32 v0, 24, v34 :: v_dual_lshlrev_b32 v2, 16, v31
	v_lshl_or_b32 v30, v30, 8, v27
	v_dual_mov_b32 v1, v113 :: v_dual_mov_b32 v6, 0
	s_mov_b32 s14, exec_lo
	v_or3_b32 v0, v2, v0, v30
	v_cmpx_ne_u32_e32 0, v27
	s_cbranch_execz .LBB6_19595
; %bb.19586:                            ;   in Loop: Header=BB6_18683 Depth=3
	v_bfrev_b32_e32 v6, 1
	s_mov_b32 s15, exec_lo
	v_cmpx_ne_u32_e32 0x80, v27
	s_cbranch_execz .LBB6_19594
; %bb.19587:                            ;   in Loop: Header=BB6_18683 Depth=3
	v_and_b32_e32 v3, 0x7c, v27
	v_and_b32_e32 v2, 3, v27
	s_mov_b32 s42, exec_lo
                                        ; implicit-def: $vgpr6
	s_delay_alu instid0(VALU_DEP_2)
	v_cmpx_ne_u32_e32 0x7c, v3
	s_xor_b32 s42, exec_lo, s42
	s_cbranch_execz .LBB6_19591
; %bb.19588:                            ;   in Loop: Header=BB6_18683 Depth=3
	v_bfe_u32 v3, v27, 2, 5
	s_mov_b32 s43, exec_lo
	s_delay_alu instid0(VALU_DEP_1)
	v_cmpx_eq_u32_e32 0, v3
; %bb.19589:                            ;   in Loop: Header=BB6_18683 Depth=3
	v_clz_i32_u32_e32 v2, v2
	s_delay_alu instid0(VALU_DEP_1) | instskip(NEXT) | instid1(VALU_DEP_1)
	v_min_u32_e32 v6, 32, v2
	v_subrev_nc_u32_e32 v2, 29, v6
	s_delay_alu instid0(VALU_DEP_1) | instskip(SKIP_1) | instid1(VALU_DEP_2)
	v_lshlrev_b64_e32 v[2:3], v2, v[0:1]
	v_sub_nc_u32_e32 v3, 30, v6
	v_and_b32_e32 v2, 3, v2
; %bb.19590:                            ;   in Loop: Header=BB6_18683 Depth=3
	s_or_b32 exec_lo, exec_lo, s43
	v_lshlrev_b32_e32 v1, 24, v27
                                        ; implicit-def: $vgpr27
	s_delay_alu instid0(VALU_DEP_1) | instskip(NEXT) | instid1(VALU_DEP_1)
	v_and_b32_e32 v1, 0x80000000, v1
	v_lshl_add_u32 v1, v3, 23, v1
	s_delay_alu instid0(VALU_DEP_1) | instskip(NEXT) | instid1(VALU_DEP_1)
	v_lshl_or_b32 v1, v2, 21, v1
                                        ; implicit-def: $vgpr2
	v_add_nc_u32_e32 v6, 0x38000000, v1
.LBB6_19591:                            ;   in Loop: Header=BB6_18683 Depth=3
	s_and_not1_saveexec_b32 s42, s42
; %bb.19592:                            ;   in Loop: Header=BB6_18683 Depth=3
	v_and_b32_e32 v1, 0x80, v27
	s_delay_alu instid0(VALU_DEP_1) | instskip(SKIP_1) | instid1(VALU_DEP_1)
	v_cmp_eq_u32_e32 vcc_lo, 0, v1
	v_mov_b32_e32 v1, 0x7f800000
	v_cndmask_b32_e32 v1, 0xff800000, v1, vcc_lo
	v_cmp_eq_u32_e32 vcc_lo, 0, v2
	s_delay_alu instid0(VALU_DEP_2)
	v_cndmask_b32_e32 v6, 0x7f800001, v1, vcc_lo
; %bb.19593:                            ;   in Loop: Header=BB6_18683 Depth=3
	s_or_b32 exec_lo, exec_lo, s42
.LBB6_19594:                            ;   in Loop: Header=BB6_18683 Depth=3
	s_delay_alu instid0(SALU_CYCLE_1)
	s_or_b32 exec_lo, exec_lo, s15
.LBB6_19595:                            ;   in Loop: Header=BB6_18683 Depth=3
	s_delay_alu instid0(SALU_CYCLE_1) | instskip(SKIP_4) | instid1(VALU_DEP_2)
	s_or_b32 exec_lo, exec_lo, s14
	v_and_b32_e32 v3, 0xff, v11
	v_mov_b32_e32 v2, v11
	s_mov_b32 s15, 0
	s_mov_b32 s14, exec_lo
	v_cmpx_lt_i16_e32 0x7f, v3
	s_xor_b32 s14, exec_lo, s14
	s_cbranch_execz .LBB6_19744
; %bb.19596:                            ;   in Loop: Header=BB6_18683 Depth=3
	s_mov_b32 s15, -1
	s_mov_b32 s42, exec_lo
	v_cmpx_eq_u16_e32 0x80, v3
; %bb.19597:                            ;   in Loop: Header=BB6_18683 Depth=3
	s_xor_b32 s15, exec_lo, -1
; %bb.19598:                            ;   in Loop: Header=BB6_18683 Depth=3
	s_or_b32 exec_lo, exec_lo, s42
	s_delay_alu instid0(SALU_CYCLE_1)
	s_and_b32 s15, s15, exec_lo
                                        ; implicit-def: $vgpr3
	s_or_saveexec_b32 s14, s14
	v_bfrev_b32_e32 v1, 1
	s_xor_b32 exec_lo, exec_lo, s14
	s_cbranch_execnz .LBB6_19745
.LBB6_19599:                            ;   in Loop: Header=BB6_18683 Depth=3
	s_or_b32 exec_lo, exec_lo, s14
	v_mov_b32_e32 v3, v113
	s_and_saveexec_b32 s14, s15
	s_cbranch_execz .LBB6_19601
.LBB6_19600:                            ;   in Loop: Header=BB6_18683 Depth=3
	v_and_b32_e32 v1, 3, v11
	s_delay_alu instid0(VALU_DEP_1) | instskip(NEXT) | instid1(VALU_DEP_1)
	v_clz_i32_u32_e32 v7, v1
	v_min_u32_e32 v7, 32, v7
	s_delay_alu instid0(VALU_DEP_1) | instskip(NEXT) | instid1(VALU_DEP_1)
	v_subrev_nc_u32_e32 v8, 29, v7
	v_lshlrev_b64_e32 v[8:9], v8, v[2:3]
	v_bfe_u32 v9, v11, 2, 5
	v_lshlrev_b32_e32 v3, 24, v11
	v_sub_nc_u32_e32 v7, 30, v7
	s_delay_alu instid0(VALU_DEP_3) | instskip(NEXT) | instid1(VALU_DEP_3)
	v_cmp_eq_u32_e32 vcc_lo, 0, v9
	v_and_b32_e32 v3, 0x80000000, v3
	s_delay_alu instid0(VALU_DEP_3) | instskip(SKIP_1) | instid1(VALU_DEP_2)
	v_dual_cndmask_b32 v7, v9, v7, vcc_lo :: v_dual_bitop2_b32 v8, 3, v8 bitop3:0x40
	v_bfe_i32 v9, v11, 0, 8
	v_cndmask_b32_e32 v8, v1, v8, vcc_lo
	s_delay_alu instid0(VALU_DEP_3) | instskip(NEXT) | instid1(VALU_DEP_3)
	v_lshl_add_u32 v3, v7, 23, v3
	v_cmp_lt_i16_e32 vcc_lo, -1, v9
	v_mov_b32_e32 v7, 0x7f800000
	s_delay_alu instid0(VALU_DEP_3) | instskip(SKIP_1) | instid1(VALU_DEP_3)
	v_lshl_or_b32 v3, v8, 21, v3
	v_and_b32_e32 v8, 0x7c, v11
	v_cndmask_b32_e32 v7, 0xff800000, v7, vcc_lo
	v_cmp_eq_u32_e32 vcc_lo, 0, v1
	s_delay_alu instid0(VALU_DEP_4) | instskip(NEXT) | instid1(VALU_DEP_3)
	v_add_nc_u32_e32 v3, 0x38000000, v3
	v_cndmask_b32_e32 v1, 0x7f800001, v7, vcc_lo
	v_cmp_eq_u32_e32 vcc_lo, 0x7c, v8
	s_delay_alu instid0(VALU_DEP_2)
	v_cndmask_b32_e32 v1, v3, v1, vcc_lo
.LBB6_19601:                            ;   in Loop: Header=BB6_18683 Depth=3
	s_or_b32 exec_lo, exec_lo, s14
	s_delay_alu instid0(VALU_DEP_1) | instskip(NEXT) | instid1(VALU_DEP_1)
	v_dual_add_f32 v3, v6, v1 :: v_dual_mov_b32 v9, v113
	v_dual_mov_b32 v7, v113 :: v_dual_lshrrev_b32 v1, 24, v3
	v_and_b32_e32 v8, 0x7f800000, v3
	v_and_b32_e32 v6, 0x7fffff, v3
	s_delay_alu instid0(VALU_DEP_2) | instskip(SKIP_1) | instid1(SALU_CYCLE_1)
	v_cmp_ne_u64_e32 vcc_lo, 0x7f800000, v[8:9]
                                        ; implicit-def: $vgpr8
	s_and_saveexec_b32 s14, vcc_lo
	s_xor_b32 s15, exec_lo, s14
	s_cbranch_execz .LBB6_19615
; %bb.19602:                            ;   in Loop: Header=BB6_18683 Depth=3
	v_and_b32_e32 v8, 0x7fffffff, v3
	v_mov_b32_e32 v9, v113
	v_and_b32_e32 v1, 0x80, v1
	s_delay_alu instid0(VALU_DEP_2) | instskip(SKIP_1) | instid1(SALU_CYCLE_1)
	v_cmp_gt_u64_e32 vcc_lo, 0x47600001, v[8:9]
                                        ; implicit-def: $vgpr8
	s_and_saveexec_b32 s14, vcc_lo
	s_xor_b32 s42, exec_lo, s14
	s_cbranch_execz .LBB6_19612
; %bb.19603:                            ;   in Loop: Header=BB6_18683 Depth=3
	v_mov_b32_e32 v8, 0
	s_mov_b32 s43, exec_lo
	v_cmpx_ne_u32_e32 0, v3
	s_cbranch_execz .LBB6_19611
; %bb.19604:                            ;   in Loop: Header=BB6_18683 Depth=3
	v_bfe_u32 v3, v3, 23, 8
	v_or_b32_e32 v31, 0x800000, v6
	s_delay_alu instid0(VALU_DEP_2) | instskip(SKIP_1) | instid1(VALU_DEP_2)
	v_sub_nc_u32_e32 v8, 0x71, v3
	v_cmp_gt_u32_e32 vcc_lo, 0x72, v3
	v_cndmask_b32_e32 v8, 0, v8, vcc_lo
	v_cmp_eq_u32_e32 vcc_lo, 0, v3
	s_delay_alu instid0(VALU_DEP_2) | instskip(NEXT) | instid1(VALU_DEP_1)
	v_cndmask_b32_e64 v27, v8, 0x70, vcc_lo
	v_dual_cndmask_b32 v6, v31, v6, vcc_lo :: v_dual_add_nc_u32 v8, 21, v27
	v_add_nc_u32_e32 v34, 20, v27
	s_delay_alu instid0(VALU_DEP_2) | instskip(NEXT) | instid1(VALU_DEP_2)
	v_lshlrev_b64_e64 v[8:9], v8, -1
	v_lshlrev_b64_e64 v[48:49], v34, 1
	s_delay_alu instid0(VALU_DEP_2) | instskip(SKIP_1) | instid1(VALU_DEP_4)
	v_bfi_b32 v8, v8, 0, v6
	v_lshrrev_b64 v[6:7], v27, v[6:7]
	v_bfi_b32 v9, v9, 0, 0
	s_delay_alu instid0(VALU_DEP_1) | instskip(NEXT) | instid1(VALU_DEP_3)
	v_cmp_eq_u64_e64 s14, v[8:9], v[48:49]
	v_mov_b64_e32 v[8:9], v[6:7]
	s_and_saveexec_b32 s78, s14
; %bb.19605:                            ;   in Loop: Header=BB6_18683 Depth=3
	v_bfe_u32 v8, v6, 21, 1
	v_mov_b32_e32 v9, v113
	s_delay_alu instid0(VALU_DEP_1) | instskip(NEXT) | instid1(VALU_DEP_1)
	v_add_nc_u64_e32 v[8:9], v[6:7], v[8:9]
	v_add_nc_u64_e32 v[8:9], -1, v[8:9]
; %bb.19606:                            ;   in Loop: Header=BB6_18683 Depth=3
	s_or_b32 exec_lo, exec_lo, s78
	v_add_nc_u32_e32 v3, 0xffffff81, v3
	v_lshrrev_b32_e32 v7, 23, v6
	s_mov_b32 s14, exec_lo
	s_delay_alu instid0(VALU_DEP_2) | instskip(NEXT) | instid1(VALU_DEP_1)
	v_cndmask_b32_e64 v3, v3, 0xffffff82, vcc_lo
	v_add3_u32 v9, v27, v3, v7
	v_and_b32_e32 v3, 0x1fffff, v8
	s_delay_alu instid0(VALU_DEP_2) | instskip(NEXT) | instid1(VALU_DEP_2)
	v_dual_mov_b32 v7, v113 :: v_dual_add_nc_u32 v8, 14, v9
	v_add_nc_u32_e32 v6, v3, v6
                                        ; implicit-def: $vgpr3
	s_delay_alu instid0(VALU_DEP_2)
	v_cmpx_ne_u32_e32 0, v8
	s_xor_b32 s14, exec_lo, s14
; %bb.19607:                            ;   in Loop: Header=BB6_18683 Depth=3
	s_delay_alu instid0(VALU_DEP_2) | instskip(SKIP_1) | instid1(VALU_DEP_1)
	v_cmp_lt_u64_e32 vcc_lo, 0xffffff, v[6:7]
	v_add_nc_u32_e32 v3, 15, v9
	v_cndmask_b32_e32 v3, v8, v3, vcc_lo
	v_cndmask_b32_e64 v8, 0, 1, vcc_lo
	s_delay_alu instid0(VALU_DEP_1)
	v_lshrrev_b64 v[6:7], v8, v[6:7]
; %bb.19608:                            ;   in Loop: Header=BB6_18683 Depth=3
	s_and_not1_saveexec_b32 s14, s14
; %bb.19609:                            ;   in Loop: Header=BB6_18683 Depth=3
	s_delay_alu instid0(VALU_DEP_1)
	v_bfe_u32 v3, v6, 23, 1
; %bb.19610:                            ;   in Loop: Header=BB6_18683 Depth=3
	s_or_b32 exec_lo, exec_lo, s14
	s_delay_alu instid0(VALU_DEP_2) | instskip(NEXT) | instid1(VALU_DEP_2)
	v_lshrrev_b64 v[6:7], 21, v[6:7]
	v_cmp_gt_i32_e32 vcc_lo, 32, v3
	v_min_i32_e32 v8, 31, v3
	v_cmp_eq_u32_e64 s14, 0, v3
	s_delay_alu instid0(VALU_DEP_2) | instskip(SKIP_1) | instid1(VALU_DEP_2)
	v_dual_cndmask_b32 v6, 3, v6, vcc_lo :: v_dual_lshlrev_b32 v8, 2, v8
	v_cndmask_b32_e32 v7, 0, v7, vcc_lo
	v_and_b32_e32 v8, 0xfc, v8
	s_delay_alu instid0(VALU_DEP_2) | instskip(NEXT) | instid1(VALU_DEP_2)
	v_cmp_eq_u64_e32 vcc_lo, 0, v[6:7]
	v_and_or_b32 v3, v6, 3, v8
	s_and_b32 s14, s14, vcc_lo
	s_delay_alu instid0(VALU_DEP_1) | instid1(SALU_CYCLE_1)
	v_cndmask_b32_e64 v3, v3, 0, s14
	s_delay_alu instid0(VALU_DEP_1)
	v_or_b32_e32 v8, v3, v1
.LBB6_19611:                            ;   in Loop: Header=BB6_18683 Depth=3
	s_or_b32 exec_lo, exec_lo, s43
                                        ; implicit-def: $vgpr1
.LBB6_19612:                            ;   in Loop: Header=BB6_18683 Depth=3
	s_and_not1_saveexec_b32 s14, s42
; %bb.19613:                            ;   in Loop: Header=BB6_18683 Depth=3
	v_or_b32_e32 v8, 0x7b, v1
; %bb.19614:                            ;   in Loop: Header=BB6_18683 Depth=3
	s_or_b32 exec_lo, exec_lo, s14
                                        ; implicit-def: $vgpr3
                                        ; implicit-def: $vgpr6_vgpr7
                                        ; implicit-def: $vgpr1
.LBB6_19615:                            ;   in Loop: Header=BB6_18683 Depth=3
	s_and_not1_saveexec_b32 s14, s15
	s_cbranch_execz .LBB6_19621
; %bb.19616:                            ;   in Loop: Header=BB6_18683 Depth=3
	s_mov_b32 s15, exec_lo
                                        ; implicit-def: $vgpr8
	v_cmpx_ne_u64_e32 0, v[6:7]
	s_xor_b32 s15, exec_lo, s15
; %bb.19617:                            ;   in Loop: Header=BB6_18683 Depth=3
	v_or_b32_e32 v8, 0x7f, v1
                                        ; implicit-def: $vgpr3
; %bb.19618:                            ;   in Loop: Header=BB6_18683 Depth=3
	s_and_not1_saveexec_b32 s15, s15
; %bb.19619:                            ;   in Loop: Header=BB6_18683 Depth=3
	v_cmp_lt_i32_e32 vcc_lo, -1, v3
	v_mov_b32_e32 v1, 0x7c
	s_delay_alu instid0(VALU_DEP_1)
	v_cndmask_b32_e32 v8, 0xfc, v1, vcc_lo
; %bb.19620:                            ;   in Loop: Header=BB6_18683 Depth=3
	s_or_b32 exec_lo, exec_lo, s15
.LBB6_19621:                            ;   in Loop: Header=BB6_18683 Depth=3
	s_delay_alu instid0(SALU_CYCLE_1) | instskip(SKIP_3) | instid1(VALU_DEP_2)
	s_or_b32 exec_lo, exec_lo, s14
	v_lshrrev_b16 v6, 8, v30
	v_mov_b32_e32 v1, 0
	s_mov_b32 s14, exec_lo
	v_cmpx_ne_u16_e32 0, v6
	s_cbranch_execz .LBB6_19631
; %bb.19622:                            ;   in Loop: Header=BB6_18683 Depth=3
	v_bfrev_b32_e32 v1, 1
	s_mov_b32 s15, exec_lo
	v_cmpx_ne_u16_e32 0x80, v6
	s_cbranch_execz .LBB6_19630
; %bb.19623:                            ;   in Loop: Header=BB6_18683 Depth=3
	v_and_b32_e32 v7, 0xffff, v6
	s_delay_alu instid0(VALU_DEP_1) | instskip(SKIP_1) | instid1(VALU_DEP_2)
	v_and_b32_e32 v1, 0x7c, v7
	v_and_b32_e32 v3, 3, v7
	v_cmp_ne_u32_e32 vcc_lo, 0x7c, v1
                                        ; implicit-def: $vgpr1
	s_and_saveexec_b32 s42, vcc_lo
	s_delay_alu instid0(SALU_CYCLE_1)
	s_xor_b32 s42, exec_lo, s42
	s_cbranch_execz .LBB6_19627
; %bb.19624:                            ;   in Loop: Header=BB6_18683 Depth=3
	v_bfe_u32 v1, v7, 2, 5
	s_mov_b32 s43, exec_lo
	s_delay_alu instid0(VALU_DEP_1)
	v_cmpx_eq_u32_e32 0, v1
	s_cbranch_execz .LBB6_19626
; %bb.19625:                            ;   in Loop: Header=BB6_18683 Depth=3
	v_clz_i32_u32_e32 v1, v3
	s_delay_alu instid0(VALU_DEP_1) | instskip(SKIP_1) | instid1(VALU_DEP_2)
	v_min_u32_e32 v1, 32, v1
	v_mov_b32_e32 v7, v113
	v_subrev_nc_u32_e32 v3, 29, v1
	v_sub_nc_u32_e32 v1, 30, v1
	s_delay_alu instid0(VALU_DEP_2) | instskip(NEXT) | instid1(VALU_DEP_1)
	v_lshlrev_b64_e32 v[6:7], v3, v[6:7]
	v_and_b32_e32 v3, 3, v6
.LBB6_19626:                            ;   in Loop: Header=BB6_18683 Depth=3
	s_or_b32 exec_lo, exec_lo, s43
	v_lshlrev_b32_e32 v6, 16, v30
                                        ; implicit-def: $vgpr30
	s_delay_alu instid0(VALU_DEP_1) | instskip(NEXT) | instid1(VALU_DEP_1)
	v_and_b32_e32 v6, 0x80000000, v6
	v_lshl_add_u32 v1, v1, 23, v6
	s_delay_alu instid0(VALU_DEP_1) | instskip(NEXT) | instid1(VALU_DEP_1)
	v_lshl_or_b32 v1, v3, 21, v1
                                        ; implicit-def: $vgpr3
	v_add_nc_u32_e32 v1, 0x38000000, v1
.LBB6_19627:                            ;   in Loop: Header=BB6_18683 Depth=3
	s_and_not1_saveexec_b32 s42, s42
; %bb.19628:                            ;   in Loop: Header=BB6_18683 Depth=3
	v_cmp_lt_i16_e32 vcc_lo, -1, v30
	v_mov_b32_e32 v1, 0x7f800000
	s_delay_alu instid0(VALU_DEP_1) | instskip(SKIP_1) | instid1(VALU_DEP_2)
	v_cndmask_b32_e32 v1, 0xff800000, v1, vcc_lo
	v_cmp_eq_u32_e32 vcc_lo, 0, v3
	v_cndmask_b32_e32 v1, 0x7f800001, v1, vcc_lo
; %bb.19629:                            ;   in Loop: Header=BB6_18683 Depth=3
	s_or_b32 exec_lo, exec_lo, s42
.LBB6_19630:                            ;   in Loop: Header=BB6_18683 Depth=3
	s_delay_alu instid0(SALU_CYCLE_1)
	s_or_b32 exec_lo, exec_lo, s15
.LBB6_19631:                            ;   in Loop: Header=BB6_18683 Depth=3
	s_delay_alu instid0(SALU_CYCLE_1) | instskip(SKIP_3) | instid1(VALU_DEP_1)
	s_or_b32 exec_lo, exec_lo, s14
	v_lshrrev_b16 v6, 8, v2
	s_mov_b32 s15, 0
	s_mov_b32 s14, exec_lo
	v_cmpx_lt_i16_e32 0x7f, v6
	s_xor_b32 s14, exec_lo, s14
	s_cbranch_execz .LBB6_19746
; %bb.19632:                            ;   in Loop: Header=BB6_18683 Depth=3
	s_mov_b32 s15, -1
	s_mov_b32 s42, exec_lo
	v_cmpx_eq_u16_e32 0x80, v6
; %bb.19633:                            ;   in Loop: Header=BB6_18683 Depth=3
	s_xor_b32 s15, exec_lo, -1
; %bb.19634:                            ;   in Loop: Header=BB6_18683 Depth=3
	s_or_b32 exec_lo, exec_lo, s42
	s_delay_alu instid0(SALU_CYCLE_1)
	s_and_b32 s15, s15, exec_lo
	s_or_saveexec_b32 s14, s14
	v_bfrev_b32_e32 v3, 1
	s_xor_b32 exec_lo, exec_lo, s14
	s_cbranch_execnz .LBB6_19747
.LBB6_19635:                            ;   in Loop: Header=BB6_18683 Depth=3
	s_or_b32 exec_lo, exec_lo, s14
	s_and_saveexec_b32 s14, s15
	s_cbranch_execz .LBB6_19637
.LBB6_19636:                            ;   in Loop: Header=BB6_18683 Depth=3
	v_and_b32_e32 v3, 0xffff, v6
	s_delay_alu instid0(VALU_DEP_1) | instskip(NEXT) | instid1(VALU_DEP_1)
	v_and_b32_e32 v9, 3, v3
	v_clz_i32_u32_e32 v7, v9
	s_delay_alu instid0(VALU_DEP_1) | instskip(SKIP_1) | instid1(VALU_DEP_2)
	v_min_u32_e32 v27, 32, v7
	v_mov_b32_e32 v7, v113
	v_subrev_nc_u32_e32 v30, 29, v27
	v_sub_nc_u32_e32 v27, 30, v27
	s_delay_alu instid0(VALU_DEP_2) | instskip(SKIP_3) | instid1(VALU_DEP_3)
	v_lshlrev_b64_e32 v[30:31], v30, v[6:7]
	v_bfe_u32 v7, v3, 2, 5
	v_lshlrev_b32_e32 v6, 24, v6
	v_and_b32_e32 v3, 0x7c, v3
	v_cmp_eq_u32_e32 vcc_lo, 0, v7
	s_delay_alu instid0(VALU_DEP_3) | instskip(SKIP_1) | instid1(VALU_DEP_1)
	v_and_b32_e32 v6, 0x80000000, v6
	v_dual_cndmask_b32 v7, v7, v27, vcc_lo :: v_dual_bitop2_b32 v30, 3, v30 bitop3:0x40
	v_cndmask_b32_e32 v27, v9, v30, vcc_lo
	v_cmp_lt_i16_e32 vcc_lo, -1, v2
	v_mov_b32_e32 v2, 0x7f800000
	s_delay_alu instid0(VALU_DEP_4) | instskip(NEXT) | instid1(VALU_DEP_2)
	v_lshl_add_u32 v6, v7, 23, v6
	v_cndmask_b32_e32 v2, 0xff800000, v2, vcc_lo
	s_delay_alu instid0(VALU_DEP_2) | instskip(SKIP_1) | instid1(VALU_DEP_2)
	v_lshl_or_b32 v6, v27, 21, v6
	v_cmp_eq_u32_e32 vcc_lo, 0, v9
	v_add_nc_u32_e32 v6, 0x38000000, v6
	s_delay_alu instid0(VALU_DEP_4) | instskip(SKIP_1) | instid1(VALU_DEP_2)
	v_cndmask_b32_e32 v2, 0x7f800001, v2, vcc_lo
	v_cmp_eq_u32_e32 vcc_lo, 0x7c, v3
	v_cndmask_b32_e32 v3, v6, v2, vcc_lo
.LBB6_19637:                            ;   in Loop: Header=BB6_18683 Depth=3
	s_or_b32 exec_lo, exec_lo, s14
	s_delay_alu instid0(VALU_DEP_1) | instskip(SKIP_2) | instid1(VALU_DEP_2)
	v_add_f32_e32 v6, v1, v3
	v_dual_mov_b32 v31, v113 :: v_dual_mov_b32 v3, v113
                                        ; implicit-def: $vgpr9
	s_mov_b32 s14, exec_lo
	v_and_b32_e32 v30, 0x7f800000, v6
	v_and_b32_e32 v2, 0x7fffff, v6
	v_lshrrev_b32_e32 v1, 24, v6
	s_delay_alu instid0(VALU_DEP_3)
	v_cmpx_ne_u64_e32 0x7f800000, v[30:31]
	s_xor_b32 s15, exec_lo, s14
	s_cbranch_execz .LBB6_19651
; %bb.19638:                            ;   in Loop: Header=BB6_18683 Depth=3
	v_and_b32_e32 v30, 0x7fffffff, v6
	v_mov_b32_e32 v31, v113
	v_and_b32_e32 v1, 0x80, v1
                                        ; implicit-def: $vgpr9
	s_mov_b32 s14, exec_lo
	s_delay_alu instid0(VALU_DEP_2)
	v_cmpx_gt_u64_e32 0x47600001, v[30:31]
	s_xor_b32 s42, exec_lo, s14
	s_cbranch_execz .LBB6_19648
; %bb.19639:                            ;   in Loop: Header=BB6_18683 Depth=3
	v_mov_b32_e32 v9, 0
	s_mov_b32 s43, exec_lo
	v_cmpx_ne_u32_e32 0, v6
	s_cbranch_execz .LBB6_19647
; %bb.19640:                            ;   in Loop: Header=BB6_18683 Depth=3
	v_bfe_u32 v9, v6, 23, 8
	v_or_b32_e32 v30, 0x800000, v2
	s_delay_alu instid0(VALU_DEP_2) | instskip(SKIP_1) | instid1(VALU_DEP_2)
	v_sub_nc_u32_e32 v6, 0x71, v9
	v_cmp_gt_u32_e32 vcc_lo, 0x72, v9
	v_cndmask_b32_e32 v6, 0, v6, vcc_lo
	v_cmp_eq_u32_e32 vcc_lo, 0, v9
	s_delay_alu instid0(VALU_DEP_2) | instskip(NEXT) | instid1(VALU_DEP_1)
	v_cndmask_b32_e64 v27, v6, 0x70, vcc_lo
	v_dual_cndmask_b32 v2, v30, v2, vcc_lo :: v_dual_add_nc_u32 v6, 21, v27
	v_add_nc_u32_e32 v31, 20, v27
	s_delay_alu instid0(VALU_DEP_2) | instskip(NEXT) | instid1(VALU_DEP_2)
	v_lshlrev_b64_e64 v[6:7], v6, -1
	v_lshlrev_b64_e64 v[30:31], v31, 1
	s_delay_alu instid0(VALU_DEP_2) | instskip(SKIP_1) | instid1(VALU_DEP_4)
	v_bfi_b32 v6, v6, 0, v2
	v_lshrrev_b64 v[2:3], v27, v[2:3]
	v_bfi_b32 v7, v7, 0, 0
	s_delay_alu instid0(VALU_DEP_1) | instskip(NEXT) | instid1(VALU_DEP_3)
	v_cmp_eq_u64_e64 s14, v[6:7], v[30:31]
	v_mov_b64_e32 v[6:7], v[2:3]
	s_and_saveexec_b32 s78, s14
; %bb.19641:                            ;   in Loop: Header=BB6_18683 Depth=3
	v_bfe_u32 v6, v2, 21, 1
	v_mov_b32_e32 v7, v113
	s_delay_alu instid0(VALU_DEP_1) | instskip(NEXT) | instid1(VALU_DEP_1)
	v_add_nc_u64_e32 v[6:7], v[2:3], v[6:7]
	v_add_nc_u64_e32 v[6:7], -1, v[6:7]
; %bb.19642:                            ;   in Loop: Header=BB6_18683 Depth=3
	s_or_b32 exec_lo, exec_lo, s78
	v_add_nc_u32_e32 v3, 0xffffff81, v9
	v_lshrrev_b32_e32 v7, 23, v2
	s_mov_b32 s14, exec_lo
	s_delay_alu instid0(VALU_DEP_2) | instskip(NEXT) | instid1(VALU_DEP_1)
	v_cndmask_b32_e64 v3, v3, 0xffffff82, vcc_lo
	v_add3_u32 v7, v27, v3, v7
	v_and_b32_e32 v3, 0x1fffff, v6
                                        ; implicit-def: $vgpr6
	s_delay_alu instid0(VALU_DEP_1) | instskip(SKIP_1) | instid1(VALU_DEP_2)
	v_dual_add_nc_u32 v9, 14, v7 :: v_dual_add_nc_u32 v2, v3, v2
	v_mov_b32_e32 v3, v113
	v_cmpx_ne_u32_e32 0, v9
	s_xor_b32 s14, exec_lo, s14
; %bb.19643:                            ;   in Loop: Header=BB6_18683 Depth=3
	s_delay_alu instid0(VALU_DEP_2) | instskip(SKIP_2) | instid1(VALU_DEP_2)
	v_cmp_lt_u64_e32 vcc_lo, 0xffffff, v[2:3]
	v_add_nc_u32_e32 v6, 15, v7
	v_cndmask_b32_e64 v7, 0, 1, vcc_lo
	v_cndmask_b32_e32 v6, v9, v6, vcc_lo
	s_delay_alu instid0(VALU_DEP_2)
	v_lshrrev_b64 v[2:3], v7, v[2:3]
; %bb.19644:                            ;   in Loop: Header=BB6_18683 Depth=3
	s_and_not1_saveexec_b32 s14, s14
; %bb.19645:                            ;   in Loop: Header=BB6_18683 Depth=3
	s_delay_alu instid0(VALU_DEP_1)
	v_bfe_u32 v6, v2, 23, 1
; %bb.19646:                            ;   in Loop: Header=BB6_18683 Depth=3
	s_or_b32 exec_lo, exec_lo, s14
	s_delay_alu instid0(VALU_DEP_2) | instskip(NEXT) | instid1(VALU_DEP_2)
	v_lshrrev_b64 v[2:3], 21, v[2:3]
	v_cmp_gt_i32_e32 vcc_lo, 32, v6
	v_min_i32_e32 v7, 31, v6
	v_cmp_eq_u32_e64 s14, 0, v6
	s_delay_alu instid0(VALU_DEP_4) | instskip(NEXT) | instid1(VALU_DEP_3)
	v_cndmask_b32_e32 v3, 0, v3, vcc_lo
	v_dual_cndmask_b32 v2, 3, v2 :: v_dual_lshlrev_b32 v7, 2, v7
	s_delay_alu instid0(VALU_DEP_1) | instskip(NEXT) | instid1(VALU_DEP_2)
	v_and_b32_e32 v7, 0xfc, v7
	v_cmp_eq_u64_e32 vcc_lo, 0, v[2:3]
	s_delay_alu instid0(VALU_DEP_2)
	v_and_or_b32 v2, v2, 3, v7
	s_and_b32 s14, s14, vcc_lo
	s_delay_alu instid0(VALU_DEP_1) | instid1(SALU_CYCLE_1)
	v_cndmask_b32_e64 v2, v2, 0, s14
	s_delay_alu instid0(VALU_DEP_1)
	v_or_b32_e32 v9, v2, v1
.LBB6_19647:                            ;   in Loop: Header=BB6_18683 Depth=3
	s_or_b32 exec_lo, exec_lo, s43
                                        ; implicit-def: $vgpr1
.LBB6_19648:                            ;   in Loop: Header=BB6_18683 Depth=3
	s_and_not1_saveexec_b32 s14, s42
; %bb.19649:                            ;   in Loop: Header=BB6_18683 Depth=3
	v_or_b32_e32 v9, 0x7b, v1
; %bb.19650:                            ;   in Loop: Header=BB6_18683 Depth=3
	s_or_b32 exec_lo, exec_lo, s14
                                        ; implicit-def: $vgpr6
                                        ; implicit-def: $vgpr2_vgpr3
                                        ; implicit-def: $vgpr1
.LBB6_19651:                            ;   in Loop: Header=BB6_18683 Depth=3
	s_and_not1_saveexec_b32 s14, s15
	s_cbranch_execz .LBB6_19657
; %bb.19652:                            ;   in Loop: Header=BB6_18683 Depth=3
	s_mov_b32 s15, exec_lo
                                        ; implicit-def: $vgpr9
	v_cmpx_ne_u64_e32 0, v[2:3]
	s_xor_b32 s15, exec_lo, s15
; %bb.19653:                            ;   in Loop: Header=BB6_18683 Depth=3
	v_or_b32_e32 v9, 0x7f, v1
                                        ; implicit-def: $vgpr6
; %bb.19654:                            ;   in Loop: Header=BB6_18683 Depth=3
	s_and_not1_saveexec_b32 s15, s15
; %bb.19655:                            ;   in Loop: Header=BB6_18683 Depth=3
	v_cmp_lt_i32_e32 vcc_lo, -1, v6
	v_mov_b32_e32 v1, 0x7c
	s_delay_alu instid0(VALU_DEP_1)
	v_cndmask_b32_e32 v9, 0xfc, v1, vcc_lo
; %bb.19656:                            ;   in Loop: Header=BB6_18683 Depth=3
	s_or_b32 exec_lo, exec_lo, s15
.LBB6_19657:                            ;   in Loop: Header=BB6_18683 Depth=3
	s_delay_alu instid0(SALU_CYCLE_1) | instskip(SKIP_2) | instid1(VALU_DEP_1)
	s_or_b32 exec_lo, exec_lo, s14
	v_dual_mov_b32 v1, 0 :: v_dual_lshrrev_b32 v2, 16, v0
	s_mov_b32 s14, exec_lo
	v_and_b32_e32 v3, 0xff, v2
	s_delay_alu instid0(VALU_DEP_1)
	v_cmpx_ne_u16_e32 0, v3
	s_cbranch_execz .LBB6_19667
; %bb.19658:                            ;   in Loop: Header=BB6_18683 Depth=3
	v_bfrev_b32_e32 v1, 1
	s_mov_b32 s15, exec_lo
	v_cmpx_ne_u16_e32 0x80, v3
	s_cbranch_execz .LBB6_19666
; %bb.19659:                            ;   in Loop: Header=BB6_18683 Depth=3
	v_and_b32_e32 v1, 0x7c0000, v0
	v_bfe_u32 v3, v0, 16, 2
	s_delay_alu instid0(VALU_DEP_2) | instskip(SKIP_1) | instid1(SALU_CYCLE_1)
	v_cmp_ne_u32_e32 vcc_lo, 0x7c0000, v1
                                        ; implicit-def: $vgpr1
	s_and_saveexec_b32 s42, vcc_lo
	s_xor_b32 s42, exec_lo, s42
	s_cbranch_execz .LBB6_19663
; %bb.19660:                            ;   in Loop: Header=BB6_18683 Depth=3
	v_bfe_u32 v1, v0, 18, 5
	s_mov_b32 s43, exec_lo
	s_delay_alu instid0(VALU_DEP_1)
	v_cmpx_eq_u32_e32 0, v1
; %bb.19661:                            ;   in Loop: Header=BB6_18683 Depth=3
	v_clz_i32_u32_e32 v1, v3
	s_delay_alu instid0(VALU_DEP_1) | instskip(NEXT) | instid1(VALU_DEP_1)
	v_min_u32_e32 v1, 32, v1
	v_subrev_nc_u32_e32 v3, 29, v1
	s_delay_alu instid0(VALU_DEP_1) | instskip(NEXT) | instid1(VALU_DEP_1)
	v_lshlrev_b64_e32 v[6:7], v3, v[2:3]
	v_dual_sub_nc_u32 v1, 30, v1 :: v_dual_bitop2_b32 v3, 3, v6 bitop3:0x40
; %bb.19662:                            ;   in Loop: Header=BB6_18683 Depth=3
	s_or_b32 exec_lo, exec_lo, s43
	v_lshlrev_b32_e32 v2, 24, v2
	s_delay_alu instid0(VALU_DEP_1) | instskip(NEXT) | instid1(VALU_DEP_1)
	v_and_b32_e32 v2, 0x80000000, v2
	v_lshl_add_u32 v1, v1, 23, v2
                                        ; implicit-def: $vgpr2
	s_delay_alu instid0(VALU_DEP_1) | instskip(NEXT) | instid1(VALU_DEP_1)
	v_lshl_or_b32 v1, v3, 21, v1
                                        ; implicit-def: $vgpr3
	v_add_nc_u32_e32 v1, 0x38000000, v1
.LBB6_19663:                            ;   in Loop: Header=BB6_18683 Depth=3
	s_and_not1_saveexec_b32 s42, s42
; %bb.19664:                            ;   in Loop: Header=BB6_18683 Depth=3
	v_bfe_i32 v1, v2, 0, 8
	s_delay_alu instid0(VALU_DEP_1) | instskip(SKIP_1) | instid1(VALU_DEP_1)
	v_cmp_lt_i16_e32 vcc_lo, -1, v1
	v_mov_b32_e32 v1, 0x7f800000
	v_cndmask_b32_e32 v1, 0xff800000, v1, vcc_lo
	v_cmp_eq_u32_e32 vcc_lo, 0, v3
	s_delay_alu instid0(VALU_DEP_2)
	v_cndmask_b32_e32 v1, 0x7f800001, v1, vcc_lo
; %bb.19665:                            ;   in Loop: Header=BB6_18683 Depth=3
	s_or_b32 exec_lo, exec_lo, s42
.LBB6_19666:                            ;   in Loop: Header=BB6_18683 Depth=3
	s_delay_alu instid0(SALU_CYCLE_1)
	s_or_b32 exec_lo, exec_lo, s15
.LBB6_19667:                            ;   in Loop: Header=BB6_18683 Depth=3
	s_delay_alu instid0(SALU_CYCLE_1) | instskip(SKIP_3) | instid1(VALU_DEP_1)
	s_or_b32 exec_lo, exec_lo, s14
	v_lshrrev_b32_e32 v2, 16, v11
	s_mov_b32 s15, 0
	s_mov_b32 s14, exec_lo
	v_and_b32_e32 v6, 0xff, v2
	s_delay_alu instid0(VALU_DEP_1)
	v_cmpx_lt_i16_e32 0x7f, v6
	s_xor_b32 s14, exec_lo, s14
	s_cbranch_execz .LBB6_19748
; %bb.19668:                            ;   in Loop: Header=BB6_18683 Depth=3
	s_mov_b32 s15, -1
	s_mov_b32 s42, exec_lo
	v_cmpx_eq_u16_e32 0x80, v6
; %bb.19669:                            ;   in Loop: Header=BB6_18683 Depth=3
	s_xor_b32 s15, exec_lo, -1
; %bb.19670:                            ;   in Loop: Header=BB6_18683 Depth=3
	s_or_b32 exec_lo, exec_lo, s42
	s_delay_alu instid0(SALU_CYCLE_1)
	s_and_b32 s15, s15, exec_lo
                                        ; implicit-def: $vgpr6
	s_or_saveexec_b32 s14, s14
	v_bfrev_b32_e32 v3, 1
	s_xor_b32 exec_lo, exec_lo, s14
	s_cbranch_execnz .LBB6_19749
.LBB6_19671:                            ;   in Loop: Header=BB6_18683 Depth=3
	s_or_b32 exec_lo, exec_lo, s14
	s_and_saveexec_b32 s14, s15
	s_cbranch_execz .LBB6_19673
.LBB6_19672:                            ;   in Loop: Header=BB6_18683 Depth=3
	v_and_b32_e32 v3, 3, v2
	v_bfe_u32 v30, v11, 18, 5
	s_delay_alu instid0(VALU_DEP_2) | instskip(NEXT) | instid1(VALU_DEP_2)
	v_clz_i32_u32_e32 v6, v3
	v_cmp_eq_u32_e32 vcc_lo, 0, v30
	s_delay_alu instid0(VALU_DEP_2) | instskip(NEXT) | instid1(VALU_DEP_1)
	v_min_u32_e32 v27, 32, v6
	v_subrev_nc_u32_e32 v6, 29, v27
	s_delay_alu instid0(VALU_DEP_1) | instskip(SKIP_2) | instid1(VALU_DEP_2)
	v_lshlrev_b64_e32 v[6:7], v6, v[2:3]
	v_dual_lshlrev_b32 v7, 24, v2 :: v_dual_sub_nc_u32 v27, 30, v27
	v_bfe_i32 v2, v2, 0, 8
	v_and_b32_e32 v7, 0x80000000, v7
	s_delay_alu instid0(VALU_DEP_3) | instskip(NEXT) | instid1(VALU_DEP_1)
	v_dual_cndmask_b32 v27, v30, v27, vcc_lo :: v_dual_bitop2_b32 v6, 3, v6 bitop3:0x40
	v_cndmask_b32_e32 v6, v3, v6, vcc_lo
	s_delay_alu instid0(VALU_DEP_2) | instskip(SKIP_2) | instid1(VALU_DEP_3)
	v_lshl_add_u32 v7, v27, 23, v7
	v_cmp_lt_i16_e32 vcc_lo, -1, v2
	v_mov_b32_e32 v2, 0x7f800000
	v_lshl_or_b32 v6, v6, 21, v7
	v_and_b32_e32 v7, 0x7c0000, v11
	s_delay_alu instid0(VALU_DEP_3) | instskip(SKIP_1) | instid1(VALU_DEP_4)
	v_cndmask_b32_e32 v2, 0xff800000, v2, vcc_lo
	v_cmp_eq_u32_e32 vcc_lo, 0, v3
	v_add_nc_u32_e32 v3, 0x38000000, v6
	s_delay_alu instid0(VALU_DEP_3) | instskip(SKIP_1) | instid1(VALU_DEP_2)
	v_cndmask_b32_e32 v2, 0x7f800001, v2, vcc_lo
	v_cmp_eq_u32_e32 vcc_lo, 0x7c0000, v7
	v_cndmask_b32_e32 v3, v3, v2, vcc_lo
.LBB6_19673:                            ;   in Loop: Header=BB6_18683 Depth=3
	s_or_b32 exec_lo, exec_lo, s14
	s_delay_alu instid0(VALU_DEP_1) | instskip(SKIP_2) | instid1(VALU_DEP_2)
	v_add_f32_e32 v7, v1, v3
	v_dual_mov_b32 v31, v113 :: v_dual_mov_b32 v3, v113
                                        ; implicit-def: $vgpr6
	s_mov_b32 s14, exec_lo
	v_and_b32_e32 v30, 0x7f800000, v7
	v_and_b32_e32 v2, 0x7fffff, v7
	v_lshrrev_b32_e32 v1, 24, v7
	s_delay_alu instid0(VALU_DEP_3)
	v_cmpx_ne_u64_e32 0x7f800000, v[30:31]
	s_xor_b32 s15, exec_lo, s14
	s_cbranch_execz .LBB6_19687
; %bb.19674:                            ;   in Loop: Header=BB6_18683 Depth=3
	v_and_b32_e32 v30, 0x7fffffff, v7
	v_mov_b32_e32 v31, v113
	v_and_b32_e32 v1, 0x80, v1
                                        ; implicit-def: $vgpr6
	s_mov_b32 s14, exec_lo
	s_delay_alu instid0(VALU_DEP_2)
	v_cmpx_gt_u64_e32 0x47600001, v[30:31]
	s_xor_b32 s42, exec_lo, s14
	s_cbranch_execz .LBB6_19684
; %bb.19675:                            ;   in Loop: Header=BB6_18683 Depth=3
	v_mov_b32_e32 v6, 0
	s_mov_b32 s43, exec_lo
	v_cmpx_ne_u32_e32 0, v7
	s_cbranch_execz .LBB6_19683
; %bb.19676:                            ;   in Loop: Header=BB6_18683 Depth=3
	v_bfe_u32 v27, v7, 23, 8
	v_or_b32_e32 v31, 0x800000, v2
	s_delay_alu instid0(VALU_DEP_2) | instskip(SKIP_1) | instid1(VALU_DEP_2)
	v_sub_nc_u32_e32 v6, 0x71, v27
	v_cmp_gt_u32_e32 vcc_lo, 0x72, v27
	v_cndmask_b32_e32 v6, 0, v6, vcc_lo
	v_cmp_eq_u32_e32 vcc_lo, 0, v27
	s_delay_alu instid0(VALU_DEP_2) | instskip(SKIP_1) | instid1(VALU_DEP_2)
	v_cndmask_b32_e64 v30, v6, 0x70, vcc_lo
	v_cndmask_b32_e32 v2, v31, v2, vcc_lo
	v_dual_add_nc_u32 v6, 21, v30 :: v_dual_add_nc_u32 v34, 20, v30
	s_delay_alu instid0(VALU_DEP_1) | instskip(NEXT) | instid1(VALU_DEP_2)
	v_lshlrev_b64_e64 v[6:7], v6, -1
	v_lshlrev_b64_e64 v[48:49], v34, 1
	s_delay_alu instid0(VALU_DEP_2) | instskip(SKIP_1) | instid1(VALU_DEP_4)
	v_bfi_b32 v6, v6, 0, v2
	v_lshrrev_b64 v[2:3], v30, v[2:3]
	v_bfi_b32 v7, v7, 0, 0
	s_delay_alu instid0(VALU_DEP_1) | instskip(NEXT) | instid1(VALU_DEP_3)
	v_cmp_eq_u64_e64 s14, v[6:7], v[48:49]
	v_mov_b64_e32 v[6:7], v[2:3]
	s_and_saveexec_b32 s78, s14
; %bb.19677:                            ;   in Loop: Header=BB6_18683 Depth=3
	v_bfe_u32 v6, v2, 21, 1
	v_mov_b32_e32 v7, v113
	s_delay_alu instid0(VALU_DEP_1) | instskip(NEXT) | instid1(VALU_DEP_1)
	v_add_nc_u64_e32 v[6:7], v[2:3], v[6:7]
	v_add_nc_u64_e32 v[6:7], -1, v[6:7]
; %bb.19678:                            ;   in Loop: Header=BB6_18683 Depth=3
	s_or_b32 exec_lo, exec_lo, s78
	v_add_nc_u32_e32 v3, 0xffffff81, v27
	v_lshrrev_b32_e32 v7, 23, v2
	s_mov_b32 s14, exec_lo
	s_delay_alu instid0(VALU_DEP_2) | instskip(NEXT) | instid1(VALU_DEP_1)
	v_cndmask_b32_e64 v3, v3, 0xffffff82, vcc_lo
	v_add3_u32 v7, v30, v3, v7
	v_and_b32_e32 v3, 0x1fffff, v6
                                        ; implicit-def: $vgpr6
	s_delay_alu instid0(VALU_DEP_1) | instskip(SKIP_1) | instid1(VALU_DEP_2)
	v_dual_add_nc_u32 v27, 14, v7 :: v_dual_add_nc_u32 v2, v3, v2
	v_mov_b32_e32 v3, v113
	v_cmpx_ne_u32_e32 0, v27
	s_xor_b32 s14, exec_lo, s14
; %bb.19679:                            ;   in Loop: Header=BB6_18683 Depth=3
	s_delay_alu instid0(VALU_DEP_2) | instskip(SKIP_2) | instid1(VALU_DEP_2)
	v_cmp_lt_u64_e32 vcc_lo, 0xffffff, v[2:3]
	v_add_nc_u32_e32 v6, 15, v7
	v_cndmask_b32_e64 v7, 0, 1, vcc_lo
	v_cndmask_b32_e32 v6, v27, v6, vcc_lo
	s_delay_alu instid0(VALU_DEP_2)
	v_lshrrev_b64 v[2:3], v7, v[2:3]
; %bb.19680:                            ;   in Loop: Header=BB6_18683 Depth=3
	s_and_not1_saveexec_b32 s14, s14
; %bb.19681:                            ;   in Loop: Header=BB6_18683 Depth=3
	s_delay_alu instid0(VALU_DEP_1)
	v_bfe_u32 v6, v2, 23, 1
; %bb.19682:                            ;   in Loop: Header=BB6_18683 Depth=3
	s_or_b32 exec_lo, exec_lo, s14
	s_delay_alu instid0(VALU_DEP_2) | instskip(NEXT) | instid1(VALU_DEP_2)
	v_lshrrev_b64 v[2:3], 21, v[2:3]
	v_cmp_gt_i32_e32 vcc_lo, 32, v6
	v_min_i32_e32 v7, 31, v6
	v_cmp_eq_u32_e64 s14, 0, v6
	s_delay_alu instid0(VALU_DEP_4) | instskip(NEXT) | instid1(VALU_DEP_3)
	v_cndmask_b32_e32 v3, 0, v3, vcc_lo
	v_dual_cndmask_b32 v2, 3, v2 :: v_dual_lshlrev_b32 v7, 2, v7
	s_delay_alu instid0(VALU_DEP_1) | instskip(NEXT) | instid1(VALU_DEP_2)
	v_and_b32_e32 v7, 0xfc, v7
	v_cmp_eq_u64_e32 vcc_lo, 0, v[2:3]
	s_delay_alu instid0(VALU_DEP_2)
	v_and_or_b32 v2, v2, 3, v7
	s_and_b32 s14, s14, vcc_lo
	s_delay_alu instid0(VALU_DEP_1) | instid1(SALU_CYCLE_1)
	v_cndmask_b32_e64 v2, v2, 0, s14
	s_delay_alu instid0(VALU_DEP_1)
	v_or_b32_e32 v6, v2, v1
.LBB6_19683:                            ;   in Loop: Header=BB6_18683 Depth=3
	s_or_b32 exec_lo, exec_lo, s43
                                        ; implicit-def: $vgpr1
.LBB6_19684:                            ;   in Loop: Header=BB6_18683 Depth=3
	s_and_not1_saveexec_b32 s14, s42
; %bb.19685:                            ;   in Loop: Header=BB6_18683 Depth=3
	v_or_b32_e32 v6, 0x7b, v1
; %bb.19686:                            ;   in Loop: Header=BB6_18683 Depth=3
	s_or_b32 exec_lo, exec_lo, s14
                                        ; implicit-def: $vgpr7
                                        ; implicit-def: $vgpr2_vgpr3
                                        ; implicit-def: $vgpr1
.LBB6_19687:                            ;   in Loop: Header=BB6_18683 Depth=3
	s_and_not1_saveexec_b32 s14, s15
	s_cbranch_execz .LBB6_19693
; %bb.19688:                            ;   in Loop: Header=BB6_18683 Depth=3
	s_mov_b32 s15, exec_lo
                                        ; implicit-def: $vgpr6
	v_cmpx_ne_u64_e32 0, v[2:3]
	s_xor_b32 s15, exec_lo, s15
; %bb.19689:                            ;   in Loop: Header=BB6_18683 Depth=3
	v_or_b32_e32 v6, 0x7f, v1
                                        ; implicit-def: $vgpr7
; %bb.19690:                            ;   in Loop: Header=BB6_18683 Depth=3
	s_and_not1_saveexec_b32 s15, s15
; %bb.19691:                            ;   in Loop: Header=BB6_18683 Depth=3
	v_cmp_lt_i32_e32 vcc_lo, -1, v7
	v_mov_b32_e32 v1, 0x7c
	s_delay_alu instid0(VALU_DEP_1)
	v_cndmask_b32_e32 v6, 0xfc, v1, vcc_lo
; %bb.19692:                            ;   in Loop: Header=BB6_18683 Depth=3
	s_or_b32 exec_lo, exec_lo, s15
.LBB6_19693:                            ;   in Loop: Header=BB6_18683 Depth=3
	s_delay_alu instid0(SALU_CYCLE_1)
	s_or_b32 exec_lo, exec_lo, s14
	v_mov_b32_e32 v3, 0
	s_mov_b32 s14, exec_lo
	v_cmpx_lt_u32_e32 0xffffff, v0
	s_cbranch_execz .LBB6_19703
; %bb.19694:                            ;   in Loop: Header=BB6_18683 Depth=3
	v_lshrrev_b32_e32 v2, 24, v0
	v_bfrev_b32_e32 v3, 1
	s_mov_b32 s15, exec_lo
	s_delay_alu instid0(VALU_DEP_2)
	v_cmpx_ne_u32_e32 0x80, v2
	s_cbranch_execz .LBB6_19702
; %bb.19695:                            ;   in Loop: Header=BB6_18683 Depth=3
	v_and_b32_e32 v1, 0x7c000000, v0
	v_bfe_u32 v7, v0, 24, 2
	s_mov_b32 s42, exec_lo
                                        ; implicit-def: $vgpr3
	s_delay_alu instid0(VALU_DEP_2)
	v_cmpx_ne_u32_e32 0x7c000000, v1
	s_xor_b32 s42, exec_lo, s42
	s_cbranch_execz .LBB6_19699
; %bb.19696:                            ;   in Loop: Header=BB6_18683 Depth=3
	v_bfe_u32 v1, v0, 26, 5
	s_mov_b32 s43, exec_lo
	s_delay_alu instid0(VALU_DEP_1)
	v_cmpx_eq_u32_e32 0, v1
; %bb.19697:                            ;   in Loop: Header=BB6_18683 Depth=3
	v_clz_i32_u32_e32 v1, v7
	s_delay_alu instid0(VALU_DEP_1) | instskip(NEXT) | instid1(VALU_DEP_1)
	v_min_u32_e32 v1, 32, v1
	v_subrev_nc_u32_e32 v3, 29, v1
	s_delay_alu instid0(VALU_DEP_1) | instskip(NEXT) | instid1(VALU_DEP_1)
	v_lshlrev_b64_e32 v[2:3], v3, v[2:3]
	v_dual_sub_nc_u32 v1, 30, v1 :: v_dual_bitop2_b32 v7, 3, v2 bitop3:0x40
; %bb.19698:                            ;   in Loop: Header=BB6_18683 Depth=3
	s_or_b32 exec_lo, exec_lo, s43
	v_and_b32_e32 v0, 0x80000000, v0
	s_delay_alu instid0(VALU_DEP_1) | instskip(NEXT) | instid1(VALU_DEP_1)
	v_lshl_add_u32 v0, v1, 23, v0
	v_lshl_or_b32 v0, v7, 21, v0
                                        ; implicit-def: $vgpr7
	s_delay_alu instid0(VALU_DEP_1)
	v_add_nc_u32_e32 v3, 0x38000000, v0
                                        ; implicit-def: $vgpr0_vgpr1
.LBB6_19699:                            ;   in Loop: Header=BB6_18683 Depth=3
	s_and_not1_saveexec_b32 s42, s42
; %bb.19700:                            ;   in Loop: Header=BB6_18683 Depth=3
	v_cmp_lt_i32_e32 vcc_lo, -1, v0
	v_mov_b32_e32 v0, 0x7f800000
	s_delay_alu instid0(VALU_DEP_1) | instskip(SKIP_1) | instid1(VALU_DEP_2)
	v_cndmask_b32_e32 v0, 0xff800000, v0, vcc_lo
	v_cmp_eq_u32_e32 vcc_lo, 0, v7
	v_cndmask_b32_e32 v3, 0x7f800001, v0, vcc_lo
; %bb.19701:                            ;   in Loop: Header=BB6_18683 Depth=3
	s_or_b32 exec_lo, exec_lo, s42
.LBB6_19702:                            ;   in Loop: Header=BB6_18683 Depth=3
	s_delay_alu instid0(SALU_CYCLE_1)
	s_or_b32 exec_lo, exec_lo, s15
.LBB6_19703:                            ;   in Loop: Header=BB6_18683 Depth=3
	s_delay_alu instid0(SALU_CYCLE_1) | instskip(SKIP_3) | instid1(VALU_DEP_2)
	s_or_b32 exec_lo, exec_lo, s14
	v_bfe_u32 v1, v11, 24, 2
	v_bfe_u32 v27, v11, 26, 5
	s_mov_b32 s14, exec_lo
	v_clz_i32_u32_e32 v0, v1
	s_delay_alu instid0(VALU_DEP_2) | instskip(NEXT) | instid1(VALU_DEP_2)
	v_cmp_eq_u32_e32 vcc_lo, 0, v27
	v_min_u32_e32 v2, 32, v0
	v_lshrrev_b32_e32 v0, 24, v11
	s_delay_alu instid0(VALU_DEP_2) | instskip(SKIP_1) | instid1(VALU_DEP_2)
	v_subrev_nc_u32_e32 v7, 29, v2
	v_sub_nc_u32_e32 v2, 30, v2
	v_lshlrev_b64_e32 v[30:31], v7, v[0:1]
	v_and_b32_e32 v7, 0x80000000, v11
	s_delay_alu instid0(VALU_DEP_3) | instskip(NEXT) | instid1(VALU_DEP_1)
	v_cndmask_b32_e32 v2, v27, v2, vcc_lo
	v_lshl_add_u32 v2, v2, 23, v7
	s_delay_alu instid0(VALU_DEP_4) | instskip(NEXT) | instid1(VALU_DEP_1)
	v_and_b32_e32 v27, 3, v30
	v_cndmask_b32_e32 v7, v1, v27, vcc_lo
	v_cmp_lt_i64_e32 vcc_lo, -1, v[10:11]
	v_mov_b32_e32 v27, 0x7f800000
	s_delay_alu instid0(VALU_DEP_3) | instskip(SKIP_1) | instid1(VALU_DEP_3)
	v_lshl_or_b32 v2, v7, 21, v2
	v_and_b32_e32 v7, 0x7c000000, v11
	v_cndmask_b32_e32 v27, 0xff800000, v27, vcc_lo
	v_cmp_eq_u32_e32 vcc_lo, 0, v1
	s_delay_alu instid0(VALU_DEP_4) | instskip(NEXT) | instid1(VALU_DEP_3)
	v_add_nc_u32_e32 v2, 0x38000000, v2
	v_cndmask_b32_e32 v1, 0x7f800001, v27, vcc_lo
	v_cmp_eq_u32_e32 vcc_lo, 0x7c000000, v7
	s_delay_alu instid0(VALU_DEP_2) | instskip(SKIP_1) | instid1(VALU_DEP_2)
	v_cndmask_b32_e32 v1, v2, v1, vcc_lo
	v_cmp_ne_u32_e32 vcc_lo, 0x80, v0
                                        ; implicit-def: $vgpr2
	v_cndmask_b32_e32 v0, 0x80000000, v1, vcc_lo
	v_cmp_lt_u64_e32 vcc_lo, s[22:23], v[10:11]
	s_delay_alu instid0(VALU_DEP_2) | instskip(NEXT) | instid1(VALU_DEP_1)
	v_dual_mov_b32 v11, v113 :: v_dual_cndmask_b32 v0, 0, v0
	v_dual_add_f32 v3, v0, v3 :: v_dual_mov_b32 v1, v113
	s_delay_alu instid0(VALU_DEP_1) | instskip(SKIP_2) | instid1(VALU_DEP_2)
	v_lshrrev_b32_e32 v7, 24, v3
	v_and_b32_e32 v10, 0x7f800000, v3
	v_and_b32_e32 v0, 0x7fffff, v3
	v_cmpx_ne_u64_e32 0x7f800000, v[10:11]
	s_xor_b32 s15, exec_lo, s14
	s_cbranch_execz .LBB6_19717
; %bb.19704:                            ;   in Loop: Header=BB6_18683 Depth=3
	v_and_b32_e32 v10, 0x7fffffff, v3
	v_mov_b32_e32 v11, v113
	v_and_b32_e32 v7, 0x80, v7
                                        ; implicit-def: $vgpr2
	s_mov_b32 s14, exec_lo
	s_delay_alu instid0(VALU_DEP_2)
	v_cmpx_gt_u64_e32 0x47600001, v[10:11]
	s_xor_b32 s42, exec_lo, s14
	s_cbranch_execz .LBB6_19714
; %bb.19705:                            ;   in Loop: Header=BB6_18683 Depth=3
	v_mov_b32_e32 v2, 0
	s_mov_b32 s43, exec_lo
	v_cmpx_ne_u32_e32 0, v3
	s_cbranch_execz .LBB6_19713
; %bb.19706:                            ;   in Loop: Header=BB6_18683 Depth=3
	v_bfe_u32 v10, v3, 23, 8
	v_or_b32_e32 v27, 0x800000, v0
	s_delay_alu instid0(VALU_DEP_2) | instskip(SKIP_1) | instid1(VALU_DEP_2)
	v_sub_nc_u32_e32 v2, 0x71, v10
	v_cmp_gt_u32_e32 vcc_lo, 0x72, v10
	v_cndmask_b32_e32 v2, 0, v2, vcc_lo
	v_cmp_eq_u32_e32 vcc_lo, 0, v10
	s_delay_alu instid0(VALU_DEP_2) | instskip(NEXT) | instid1(VALU_DEP_1)
	v_cndmask_b32_e64 v11, v2, 0x70, vcc_lo
	v_dual_cndmask_b32 v0, v27, v0, vcc_lo :: v_dual_add_nc_u32 v2, 21, v11
	v_add_nc_u32_e32 v30, 20, v11
	s_delay_alu instid0(VALU_DEP_2) | instskip(NEXT) | instid1(VALU_DEP_2)
	v_lshlrev_b64_e64 v[2:3], v2, -1
	v_lshlrev_b64_e64 v[30:31], v30, 1
	s_delay_alu instid0(VALU_DEP_2) | instskip(SKIP_1) | instid1(VALU_DEP_4)
	v_bfi_b32 v2, v2, 0, v0
	v_lshrrev_b64 v[0:1], v11, v[0:1]
	v_bfi_b32 v3, v3, 0, 0
	s_delay_alu instid0(VALU_DEP_1) | instskip(NEXT) | instid1(VALU_DEP_3)
	v_cmp_eq_u64_e64 s14, v[2:3], v[30:31]
	v_mov_b64_e32 v[2:3], v[0:1]
	s_and_saveexec_b32 s78, s14
; %bb.19707:                            ;   in Loop: Header=BB6_18683 Depth=3
	v_bfe_u32 v2, v0, 21, 1
	v_mov_b32_e32 v3, v113
	s_delay_alu instid0(VALU_DEP_1) | instskip(NEXT) | instid1(VALU_DEP_1)
	v_add_nc_u64_e32 v[2:3], v[0:1], v[2:3]
	v_add_nc_u64_e32 v[2:3], -1, v[2:3]
; %bb.19708:                            ;   in Loop: Header=BB6_18683 Depth=3
	s_or_b32 exec_lo, exec_lo, s78
	v_add_nc_u32_e32 v1, 0xffffff81, v10
	v_lshrrev_b32_e32 v3, 23, v0
	s_mov_b32 s14, exec_lo
	s_delay_alu instid0(VALU_DEP_2) | instskip(NEXT) | instid1(VALU_DEP_1)
	v_cndmask_b32_e64 v1, v1, 0xffffff82, vcc_lo
	v_add3_u32 v3, v11, v1, v3
	v_and_b32_e32 v1, 0x1fffff, v2
                                        ; implicit-def: $vgpr2
	s_delay_alu instid0(VALU_DEP_1) | instskip(SKIP_1) | instid1(VALU_DEP_2)
	v_dual_add_nc_u32 v10, 14, v3 :: v_dual_add_nc_u32 v0, v1, v0
	v_mov_b32_e32 v1, v113
	v_cmpx_ne_u32_e32 0, v10
	s_xor_b32 s14, exec_lo, s14
; %bb.19709:                            ;   in Loop: Header=BB6_18683 Depth=3
	s_delay_alu instid0(VALU_DEP_2) | instskip(SKIP_2) | instid1(VALU_DEP_2)
	v_cmp_lt_u64_e32 vcc_lo, 0xffffff, v[0:1]
	v_add_nc_u32_e32 v2, 15, v3
	v_cndmask_b32_e64 v3, 0, 1, vcc_lo
	v_cndmask_b32_e32 v2, v10, v2, vcc_lo
	s_delay_alu instid0(VALU_DEP_2)
	v_lshrrev_b64 v[0:1], v3, v[0:1]
; %bb.19710:                            ;   in Loop: Header=BB6_18683 Depth=3
	s_and_not1_saveexec_b32 s14, s14
; %bb.19711:                            ;   in Loop: Header=BB6_18683 Depth=3
	s_delay_alu instid0(VALU_DEP_1)
	v_bfe_u32 v2, v0, 23, 1
; %bb.19712:                            ;   in Loop: Header=BB6_18683 Depth=3
	s_or_b32 exec_lo, exec_lo, s14
	s_delay_alu instid0(VALU_DEP_2) | instskip(NEXT) | instid1(VALU_DEP_2)
	v_lshrrev_b64 v[0:1], 21, v[0:1]
	v_cmp_gt_i32_e32 vcc_lo, 32, v2
	v_min_i32_e32 v3, 31, v2
	v_cmp_eq_u32_e64 s14, 0, v2
	s_delay_alu instid0(VALU_DEP_2) | instskip(SKIP_1) | instid1(VALU_DEP_2)
	v_dual_cndmask_b32 v1, 0, v1, vcc_lo :: v_dual_lshlrev_b32 v3, 2, v3
	v_cndmask_b32_e32 v0, 3, v0, vcc_lo
	v_and_b32_e32 v3, 0xfc, v3
	s_delay_alu instid0(VALU_DEP_2) | instskip(NEXT) | instid1(VALU_DEP_2)
	v_cmp_eq_u64_e32 vcc_lo, 0, v[0:1]
	v_and_or_b32 v0, v0, 3, v3
	s_and_b32 s14, s14, vcc_lo
	s_delay_alu instid0(VALU_DEP_1) | instid1(SALU_CYCLE_1)
	v_cndmask_b32_e64 v0, v0, 0, s14
	s_delay_alu instid0(VALU_DEP_1)
	v_or_b32_e32 v2, v0, v7
.LBB6_19713:                            ;   in Loop: Header=BB6_18683 Depth=3
	s_or_b32 exec_lo, exec_lo, s43
                                        ; implicit-def: $vgpr7
.LBB6_19714:                            ;   in Loop: Header=BB6_18683 Depth=3
	s_and_not1_saveexec_b32 s14, s42
; %bb.19715:                            ;   in Loop: Header=BB6_18683 Depth=3
	v_or_b32_e32 v2, 0x7b, v7
; %bb.19716:                            ;   in Loop: Header=BB6_18683 Depth=3
	s_or_b32 exec_lo, exec_lo, s14
                                        ; implicit-def: $vgpr3
                                        ; implicit-def: $vgpr0_vgpr1
                                        ; implicit-def: $vgpr7
.LBB6_19717:                            ;   in Loop: Header=BB6_18683 Depth=3
	s_and_not1_saveexec_b32 s14, s15
	s_cbranch_execz .LBB6_19723
; %bb.19718:                            ;   in Loop: Header=BB6_18683 Depth=3
	s_mov_b32 s15, exec_lo
                                        ; implicit-def: $vgpr2
	v_cmpx_ne_u64_e32 0, v[0:1]
	s_xor_b32 s15, exec_lo, s15
; %bb.19719:                            ;   in Loop: Header=BB6_18683 Depth=3
	v_or_b32_e32 v2, 0x7f, v7
                                        ; implicit-def: $vgpr3
; %bb.19720:                            ;   in Loop: Header=BB6_18683 Depth=3
	s_and_not1_saveexec_b32 s15, s15
; %bb.19721:                            ;   in Loop: Header=BB6_18683 Depth=3
	v_cmp_lt_i32_e32 vcc_lo, -1, v3
	v_mov_b32_e32 v0, 0x7c
	s_delay_alu instid0(VALU_DEP_1)
	v_cndmask_b32_e32 v2, 0xfc, v0, vcc_lo
; %bb.19722:                            ;   in Loop: Header=BB6_18683 Depth=3
	s_or_b32 exec_lo, exec_lo, s15
.LBB6_19723:                            ;   in Loop: Header=BB6_18683 Depth=3
	s_delay_alu instid0(SALU_CYCLE_1)
	s_or_b32 exec_lo, exec_lo, s14
	v_lshl_or_b32 v0, v19, 8, v18
	v_dual_lshlrev_b32 v1, 16, v38 :: v_dual_lshlrev_b32 v3, 24, v39
	v_lshl_or_b32 v7, v28, 8, v26
	v_dual_lshlrev_b32 v10, 16, v33 :: v_dual_lshlrev_b32 v11, 24, v36
	;; [unrolled: 2-line block ×3, first 2 shown]
	v_lshlrev_b32_e32 v2, 24, v2
	v_lshlrev_b32_e32 v6, 16, v6
	v_lshl_or_b32 v27, v9, 8, v8
	v_or3_b32 v9, v0, v1, v3
	v_or3_b32 v8, v7, v10, v11
	;; [unrolled: 1-line block ×3, first 2 shown]
	s_mov_b64 s[42:43], 0
	v_or3_b32 v11, v27, v6, v2
	s_mov_b32 s78, -1
.LBB6_19724:                            ;   Parent Loop BB6_47 Depth=1
                                        ;     Parent Loop BB6_14108 Depth=2
                                        ;       Parent Loop BB6_18683 Depth=3
                                        ; =>      This Inner Loop Header: Depth=4
	s_cmp_eq_u32 s42, 1
	s_cselect_b32 vcc_lo, -1, 0
	s_cmp_eq_u32 s42, 0
	s_wait_xcnt 0x0
	v_dual_cndmask_b32 v1, v13, v15 :: v_dual_cndmask_b32 v0, v12, v14
	s_cselect_b32 s14, -1, 0
	s_and_b32 s15, exec_lo, s78
	s_mov_b64 s[42:43], 1
	s_mov_b32 s78, 0
	v_add_nc_u64_e32 v[2:3], 0x200, v[0:1]
	global_store_b128 v[0:1], v[8:11], off th:TH_STORE_NT
	v_dual_cndmask_b32 v15, v15, v3 :: v_dual_cndmask_b32 v14, v14, v2
	v_dual_cndmask_b32 v13, v13, v3, s14 :: v_dual_cndmask_b32 v12, v12, v2, s14
	s_mov_b32 vcc_lo, s15
	s_cbranch_vccnz .LBB6_19724
; %bb.19725:                            ;   in Loop: Header=BB6_18683 Depth=3
	scratch_load_b64 v[0:1], off, s33 offset:336 ; 8-byte Folded Reload
	s_wait_loadcnt 0x0
	v_sub_nc_u32_e32 v25, v25, v0
	scratch_load_b64 v[0:1], off, s33 offset:396 ; 8-byte Folded Reload
	s_wait_loadcnt 0x0
	v_add_nc_u64_e32 v[4:5], v[4:5], v[0:1]
	v_add_nc_u64_e32 v[16:17], v[16:17], v[0:1]
	scratch_load_b64 v[0:1], off, s33 offset:388 ; 8-byte Folded Reload
	s_wait_loadcnt 0x0
	v_add_nc_u64_e32 v[12:13], v[12:13], v[0:1]
	v_add_nc_u64_e32 v[14:15], v[14:15], v[0:1]
	scratch_load_b64 v[0:1], off, s33 offset:272 ; 8-byte Folded Reload
	s_wait_loadcnt 0x0
	v_sub_nc_u32_e32 v24, v24, v0
	v_cmp_gt_i32_e32 vcc_lo, 16, v25
	s_or_b32 s75, vcc_lo, s75
	s_wait_xcnt 0x0
	s_and_not1_b32 exec_lo, exec_lo, s75
	s_cbranch_execnz .LBB6_18683
	s_branch .LBB6_19750
.LBB6_19726:                            ;   in Loop: Header=BB6_18683 Depth=3
	s_or_saveexec_b32 s14, s14
	v_bfrev_b32_e32 v1, 1
	s_xor_b32 exec_lo, exec_lo, s14
	s_cbranch_execz .LBB6_19185
.LBB6_19727:                            ;   in Loop: Header=BB6_18683 Depth=3
	v_cmp_ne_u16_e32 vcc_lo, 0, v3
	v_mov_b32_e32 v1, 0
	s_and_not1_b32 s15, s15, exec_lo
	s_and_b32 s42, vcc_lo, exec_lo
	s_delay_alu instid0(SALU_CYCLE_1)
	s_or_b32 s15, s15, s42
	s_or_b32 exec_lo, exec_lo, s14
	s_and_saveexec_b32 s14, s15
	s_cbranch_execnz .LBB6_19186
	s_branch .LBB6_19187
.LBB6_19728:                            ;   in Loop: Header=BB6_18683 Depth=3
	s_or_saveexec_b32 s14, s14
	v_bfrev_b32_e32 v3, 1
	s_xor_b32 exec_lo, exec_lo, s14
	s_cbranch_execz .LBB6_19221
.LBB6_19729:                            ;   in Loop: Header=BB6_18683 Depth=3
	v_cmp_ne_u16_e32 vcc_lo, 0, v2
	v_mov_b32_e32 v3, 0
	s_and_not1_b32 s15, s15, exec_lo
	s_and_b32 s42, vcc_lo, exec_lo
	s_delay_alu instid0(SALU_CYCLE_1)
	s_or_b32 s15, s15, s42
	s_or_b32 exec_lo, exec_lo, s14
	s_and_saveexec_b32 s14, s15
	s_cbranch_execnz .LBB6_19222
	s_branch .LBB6_19223
.LBB6_19730:                            ;   in Loop: Header=BB6_18683 Depth=3
	s_or_saveexec_b32 s14, s14
	v_bfrev_b32_e32 v3, 1
	s_xor_b32 exec_lo, exec_lo, s14
	s_cbranch_execz .LBB6_19257
.LBB6_19731:                            ;   in Loop: Header=BB6_18683 Depth=3
	v_cmp_ne_u16_e32 vcc_lo, 0, v6
	v_mov_b32_e32 v3, 0
	s_and_not1_b32 s15, s15, exec_lo
	s_and_b32 s42, vcc_lo, exec_lo
	s_delay_alu instid0(SALU_CYCLE_1)
	s_or_b32 s15, s15, s42
	s_or_b32 exec_lo, exec_lo, s14
	s_and_saveexec_b32 s14, s15
	s_cbranch_execnz .LBB6_19258
	s_branch .LBB6_19259
.LBB6_19732:                            ;   in Loop: Header=BB6_18683 Depth=3
	s_or_saveexec_b32 s14, s14
	v_bfrev_b32_e32 v1, 1
	s_xor_b32 exec_lo, exec_lo, s14
	s_cbranch_execz .LBB6_19323
.LBB6_19733:                            ;   in Loop: Header=BB6_18683 Depth=3
	v_cmp_ne_u16_e32 vcc_lo, 0, v3
	v_mov_b32_e32 v1, 0
	s_and_not1_b32 s15, s15, exec_lo
	s_and_b32 s42, vcc_lo, exec_lo
	s_delay_alu instid0(SALU_CYCLE_1)
	s_or_b32 s15, s15, s42
	s_or_b32 exec_lo, exec_lo, s14
	v_mov_b32_e32 v3, v113
	s_and_saveexec_b32 s14, s15
	s_cbranch_execnz .LBB6_19324
	s_branch .LBB6_19325
.LBB6_19734:                            ;   in Loop: Header=BB6_18683 Depth=3
	s_or_saveexec_b32 s14, s14
	v_bfrev_b32_e32 v3, 1
	s_xor_b32 exec_lo, exec_lo, s14
	s_cbranch_execz .LBB6_19359
.LBB6_19735:                            ;   in Loop: Header=BB6_18683 Depth=3
	v_cmp_ne_u16_e32 vcc_lo, 0, v6
	v_mov_b32_e32 v3, 0
	s_and_not1_b32 s15, s15, exec_lo
	s_and_b32 s42, vcc_lo, exec_lo
	s_delay_alu instid0(SALU_CYCLE_1)
	s_or_b32 s15, s15, s42
	s_or_b32 exec_lo, exec_lo, s14
	s_and_saveexec_b32 s14, s15
	s_cbranch_execnz .LBB6_19360
	s_branch .LBB6_19361
.LBB6_19736:                            ;   in Loop: Header=BB6_18683 Depth=3
	s_or_saveexec_b32 s14, s14
	v_bfrev_b32_e32 v3, 1
	s_xor_b32 exec_lo, exec_lo, s14
	s_cbranch_execz .LBB6_19395
.LBB6_19737:                            ;   in Loop: Header=BB6_18683 Depth=3
	v_cmp_ne_u16_e32 vcc_lo, 0, v6
	v_mov_b32_e32 v3, 0
	s_and_not1_b32 s15, s15, exec_lo
	s_and_b32 s42, vcc_lo, exec_lo
	s_delay_alu instid0(SALU_CYCLE_1)
	s_or_b32 s15, s15, s42
	s_or_b32 exec_lo, exec_lo, s14
	s_and_saveexec_b32 s14, s15
	s_cbranch_execnz .LBB6_19396
	s_branch .LBB6_19397
.LBB6_19738:                            ;   in Loop: Header=BB6_18683 Depth=3
	s_or_saveexec_b32 s14, s14
	v_bfrev_b32_e32 v1, 1
	s_xor_b32 exec_lo, exec_lo, s14
	s_cbranch_execz .LBB6_19461
.LBB6_19739:                            ;   in Loop: Header=BB6_18683 Depth=3
	v_cmp_ne_u16_e32 vcc_lo, 0, v3
	v_mov_b32_e32 v1, 0
	s_and_not1_b32 s15, s15, exec_lo
	s_and_b32 s42, vcc_lo, exec_lo
	s_delay_alu instid0(SALU_CYCLE_1)
	s_or_b32 s15, s15, s42
	s_or_b32 exec_lo, exec_lo, s14
	s_and_saveexec_b32 s14, s15
	s_cbranch_execnz .LBB6_19462
	s_branch .LBB6_19463
.LBB6_19740:                            ;   in Loop: Header=BB6_18683 Depth=3
	s_or_saveexec_b32 s14, s14
	v_bfrev_b32_e32 v3, 1
	s_xor_b32 exec_lo, exec_lo, s14
	s_cbranch_execz .LBB6_19497
.LBB6_19741:                            ;   in Loop: Header=BB6_18683 Depth=3
	v_cmp_ne_u16_e32 vcc_lo, 0, v2
	v_mov_b32_e32 v3, 0
	s_and_not1_b32 s15, s15, exec_lo
	s_and_b32 s42, vcc_lo, exec_lo
	s_delay_alu instid0(SALU_CYCLE_1)
	s_or_b32 s15, s15, s42
	s_or_b32 exec_lo, exec_lo, s14
	s_and_saveexec_b32 s14, s15
	s_cbranch_execnz .LBB6_19498
	s_branch .LBB6_19499
.LBB6_19742:                            ;   in Loop: Header=BB6_18683 Depth=3
	s_or_saveexec_b32 s14, s14
	v_bfrev_b32_e32 v3, 1
	s_xor_b32 exec_lo, exec_lo, s14
	s_cbranch_execz .LBB6_19533
.LBB6_19743:                            ;   in Loop: Header=BB6_18683 Depth=3
	v_cmp_ne_u16_e32 vcc_lo, 0, v6
	v_mov_b32_e32 v3, 0
	s_and_not1_b32 s15, s15, exec_lo
	s_and_b32 s42, vcc_lo, exec_lo
	s_delay_alu instid0(SALU_CYCLE_1)
	s_or_b32 s15, s15, s42
	s_or_b32 exec_lo, exec_lo, s14
	s_and_saveexec_b32 s14, s15
	s_cbranch_execnz .LBB6_19534
	s_branch .LBB6_19535
.LBB6_19744:                            ;   in Loop: Header=BB6_18683 Depth=3
	s_or_saveexec_b32 s14, s14
	v_bfrev_b32_e32 v1, 1
	s_xor_b32 exec_lo, exec_lo, s14
	s_cbranch_execz .LBB6_19599
.LBB6_19745:                            ;   in Loop: Header=BB6_18683 Depth=3
	v_cmp_ne_u16_e32 vcc_lo, 0, v3
	v_mov_b32_e32 v1, 0
	s_and_not1_b32 s15, s15, exec_lo
	s_and_b32 s42, vcc_lo, exec_lo
	s_delay_alu instid0(SALU_CYCLE_1)
	s_or_b32 s15, s15, s42
	s_or_b32 exec_lo, exec_lo, s14
	v_mov_b32_e32 v3, v113
	s_and_saveexec_b32 s14, s15
	s_cbranch_execnz .LBB6_19600
	s_branch .LBB6_19601
.LBB6_19746:                            ;   in Loop: Header=BB6_18683 Depth=3
	s_or_saveexec_b32 s14, s14
	v_bfrev_b32_e32 v3, 1
	s_xor_b32 exec_lo, exec_lo, s14
	s_cbranch_execz .LBB6_19635
.LBB6_19747:                            ;   in Loop: Header=BB6_18683 Depth=3
	v_cmp_ne_u16_e32 vcc_lo, 0, v6
	v_mov_b32_e32 v3, 0
	s_and_not1_b32 s15, s15, exec_lo
	s_and_b32 s42, vcc_lo, exec_lo
	s_delay_alu instid0(SALU_CYCLE_1)
	s_or_b32 s15, s15, s42
	s_or_b32 exec_lo, exec_lo, s14
	s_and_saveexec_b32 s14, s15
	s_cbranch_execnz .LBB6_19636
	s_branch .LBB6_19637
.LBB6_19748:                            ;   in Loop: Header=BB6_18683 Depth=3
	s_or_saveexec_b32 s14, s14
	v_bfrev_b32_e32 v3, 1
	s_xor_b32 exec_lo, exec_lo, s14
	s_cbranch_execz .LBB6_19671
.LBB6_19749:                            ;   in Loop: Header=BB6_18683 Depth=3
	v_cmp_ne_u16_e32 vcc_lo, 0, v6
	v_mov_b32_e32 v3, 0
	s_and_not1_b32 s15, s15, exec_lo
	s_and_b32 s42, vcc_lo, exec_lo
	s_delay_alu instid0(SALU_CYCLE_1)
	s_or_b32 s15, s15, s42
	s_or_b32 exec_lo, exec_lo, s14
	s_and_saveexec_b32 s14, s15
	s_cbranch_execnz .LBB6_19672
	s_branch .LBB6_19673
.LBB6_19750:                            ;   in Loop: Header=BB6_14108 Depth=2
	s_or_b32 exec_lo, exec_lo, s75
.LBB6_19751:                            ;   in Loop: Header=BB6_14108 Depth=2
	s_delay_alu instid0(SALU_CYCLE_1)
	s_or_b32 exec_lo, exec_lo, s74
	s_clause 0x1
	scratch_load_b32 v0, off, s33 offset:432
	scratch_load_b64 v[2:3], off, s33 offset:272
	v_cmp_lt_i32_e32 vcc_lo, 0, v24
	s_wait_loadcnt 0x0
	v_dual_cndmask_b32 v2, 0, v2, vcc_lo :: v_dual_bitop2_b32 v0, 15, v0 bitop3:0x40
	s_delay_alu instid0(VALU_DEP_1) | instskip(NEXT) | instid1(VALU_DEP_1)
	v_dual_sub_nc_u32 v1, v23, v0 :: v_dual_cndmask_b32 v112, v23, v0, s13
	v_dual_cndmask_b32 v0, 0, v1, s13 :: v_dual_sub_nc_u32 v1, v2, v24
	s_delay_alu instid0(VALU_DEP_2) | instskip(NEXT) | instid1(VALU_DEP_2)
	v_cmp_ne_u32_e32 vcc_lo, 0, v112
	v_add3_u32 v7, v22, v20, v0
	s_delay_alu instid0(VALU_DEP_3)
	v_lshl_add_u32 v4, v1, 5, v21
	s_and_b32 s13, vcc_lo, exec_lo
.LBB6_19752:                            ;   in Loop: Header=BB6_14108 Depth=2
	s_wait_xcnt 0x0
	s_or_b32 exec_lo, exec_lo, s73
	s_and_saveexec_b32 s73, s13
	s_cbranch_execz .LBB6_22353
.LBB6_19753:                            ;   in Loop: Header=BB6_14108 Depth=2
	s_wait_loadcnt 0x1
	v_ashrrev_i32_e32 v1, 31, v112
	s_wait_loadcnt 0x0
	v_ashrrev_i32_e32 v0, 31, v4
	s_mov_b32 s42, exec_lo
	s_delay_alu instid0(VALU_DEP_1) | instskip(NEXT) | instid1(VALU_DEP_1)
	v_dual_lshrrev_b32 v1, 22, v1 :: v_dual_lshrrev_b32 v0, 27, v0
	v_add_nc_u32_e32 v1, v112, v1
	s_delay_alu instid0(VALU_DEP_1) | instskip(NEXT) | instid1(VALU_DEP_1)
	v_dual_add_nc_u32 v0, v4, v0 :: v_dual_ashrrev_i32 v1, 10, v1
	v_ashrrev_i32_e32 v3, 5, v0
	s_delay_alu instid0(VALU_DEP_1) | instskip(NEXT) | instid1(VALU_DEP_1)
	v_sub_nc_u32_e32 v126, v1, v3
	v_cmpx_lt_i32_e32 0, v126
	s_cbranch_execz .LBB6_22261
; %bb.19754:                            ;   in Loop: Header=BB6_14108 Depth=2
	scratch_store_b32 off, v1, s33 offset:476 ; 4-byte Folded Spill
	v_and_b32_e32 v2, 0xffffffe0, v0
	s_trap 2
	s_wait_xcnt 0x0
	ds_load_b64 v[0:1], v0
	s_clause 0x2
	scratch_store_b32 off, v3, s33 offset:472
	scratch_store_b32 off, v4, s33 offset:468
	;; [unrolled: 1-line block ×3, first 2 shown]
	s_wait_xcnt 0x2
	v_dual_lshlrev_b32 v3, 10, v3 :: v_dual_sub_nc_u32 v2, v4, v2
	scratch_load_b64 v[4:5], off, s33 offset:444 ; 8-byte Folded Reload
	s_mov_b32 s43, 0
	v_add3_u32 v2, v7, v2, v3
	s_delay_alu instid0(VALU_DEP_1) | instskip(SKIP_1) | instid1(VALU_DEP_1)
	v_ashrrev_i32_e32 v3, 31, v2
	s_wait_dscnt 0x0
	v_add_nc_u64_e32 v[10:11], v[0:1], v[2:3]
	scratch_load_b64 v[0:1], off, s33 offset:436 ; 8-byte Folded Reload
	v_add_nc_u64_e32 v[14:15], v[2:3], v[60:61]
	s_wait_loadcnt 0x1
	v_add_nc_u64_e32 v[8:9], v[2:3], v[4:5]
	s_wait_loadcnt 0x0
	v_add_nc_u64_e32 v[12:13], v[2:3], v[0:1]
	s_branch .LBB6_19757
.LBB6_19755:                            ;   in Loop: Header=BB6_19757 Depth=3
	s_or_b32 exec_lo, exec_lo, s14
.LBB6_19756:                            ;   in Loop: Header=BB6_19757 Depth=3
	s_delay_alu instid0(SALU_CYCLE_1)
	s_or_b32 exec_lo, exec_lo, s13
	s_clause 0x1f
	flat_store_b8 v[12:13], v72 th:TH_STORE_NT
	flat_store_b8 v[12:13], v42 offset:32 th:TH_STORE_NT
	flat_store_b8 v[12:13], v102 offset:64 th:TH_STORE_NT
	;; [unrolled: 1-line block ×31, first 2 shown]
	s_clause 0x17
	flat_store_b8 v[14:15], v72 th:TH_STORE_NT
	flat_store_b8 v[14:15], v42 offset:32 th:TH_STORE_NT
	flat_store_b8 v[14:15], v102 offset:64 th:TH_STORE_NT
	flat_store_b8 v[14:15], v34 offset:96 th:TH_STORE_NT
	flat_store_b8 v[14:15], v22 offset:128 th:TH_STORE_NT
	flat_store_b8 v[14:15], v23 offset:160 th:TH_STORE_NT
	flat_store_b8 v[14:15], v35 offset:192 th:TH_STORE_NT
	flat_store_b8 v[14:15], v32 offset:224 th:TH_STORE_NT
	flat_store_b8 v[14:15], v33 offset:256 th:TH_STORE_NT
	flat_store_b8 v[14:15], v50 offset:288 th:TH_STORE_NT
	flat_store_b8 v[14:15], v48 offset:320 th:TH_STORE_NT
	flat_store_b8 v[14:15], v49 offset:352 th:TH_STORE_NT
	flat_store_b8 v[14:15], v24 offset:384 th:TH_STORE_NT
	flat_store_b8 v[14:15], v25 offset:416 th:TH_STORE_NT
	flat_store_b8 v[14:15], v26 offset:448 th:TH_STORE_NT
	flat_store_b8 v[14:15], v27 offset:480 th:TH_STORE_NT
	flat_store_b8 v[14:15], v30 offset:512 th:TH_STORE_NT
	flat_store_b8 v[14:15], v20 offset:544 th:TH_STORE_NT
	flat_store_b8 v[14:15], v21 offset:576 th:TH_STORE_NT
	flat_store_b8 v[14:15], v16 offset:608 th:TH_STORE_NT
	flat_store_b8 v[14:15], v17 offset:640 th:TH_STORE_NT
	flat_store_b8 v[14:15], v31 offset:672 th:TH_STORE_NT
	flat_store_b8 v[14:15], v6 offset:704 th:TH_STORE_NT
	flat_store_b8 v[14:15], v7 offset:736 th:TH_STORE_NT
	scratch_load_b64 v[0:1], off, s33 offset:272 ; 8-byte Folded Reload
	s_clause 0x7
	flat_store_b8 v[14:15], v36 offset:768 th:TH_STORE_NT
	flat_store_b8 v[14:15], v37 offset:800 th:TH_STORE_NT
	;; [unrolled: 1-line block ×8, first 2 shown]
	s_wait_loadcnt 0x0
	v_sub_nc_u32_e32 v126, v126, v0
	scratch_load_b64 v[0:1], off, s33 offset:280 ; 8-byte Folded Reload
	v_cmp_gt_i32_e32 vcc_lo, 1, v126
	s_or_b32 s43, vcc_lo, s43
	s_wait_loadcnt 0x0
	v_add_nc_u64_e32 v[8:9], v[8:9], v[0:1]
	v_add_nc_u64_e32 v[10:11], v[10:11], v[0:1]
	s_wait_xcnt 0x22
	v_add_nc_u64_e32 v[12:13], v[12:13], v[0:1]
	s_wait_xcnt 0x1
	;; [unrolled: 2-line block ×3, first 2 shown]
	s_and_not1_b32 exec_lo, exec_lo, s43
	s_cbranch_execz .LBB6_22260
.LBB6_19757:                            ;   Parent Loop BB6_47 Depth=1
                                        ;     Parent Loop BB6_14108 Depth=2
                                        ; =>    This Inner Loop Header: Depth=3
	s_trap 2
	ds_load_b64 v[0:1], v0
	s_mov_b32 s74, 0
	s_wait_dscnt 0x0
	v_and_b32_e32 v2, 0xff, v0
	v_readfirstlane_b32 s14, v0
	v_readfirstlane_b32 s15, v1
	s_delay_alu instid0(VALU_DEP_3)
	v_cmp_eq_u32_e32 vcc_lo, 0, v2
	s_cbranch_vccnz .LBB6_19765
; %bb.19758:                            ;   in Loop: Header=BB6_19757 Depth=3
	s_bfe_i32 s75, s14, 0x80000
	s_brev_b32 s74, 1
	s_and_b32 s13, 0xffff, s75
	s_delay_alu instid0(SALU_CYCLE_1)
	s_cmp_eq_u32 s13, 0xff80
	s_cbranch_scc1 .LBB6_19765
; %bb.19759:                            ;   in Loop: Header=BB6_19757 Depth=3
	s_and_b32 s74, s14, 0x7c
	s_and_b32 s13, s14, 3
	s_mov_b32 s76, -1
	s_cmp_lg_u32 s74, 0x7c
	s_sext_i32_i16 s75, s75
                                        ; implicit-def: $sgpr74
	s_cbranch_scc0 .LBB6_19763
; %bb.19760:                            ;   in Loop: Header=BB6_19757 Depth=3
	s_bfe_u32 s74, s14, 0x50002
	s_mov_b32 s76, s13
	s_cmp_lg_u32 s74, 0
	s_cbranch_scc1 .LBB6_19762
; %bb.19761:                            ;   in Loop: Header=BB6_19757 Depth=3
	s_clz_i32_u32 s74, s13
	s_delay_alu instid0(SALU_CYCLE_1) | instskip(NEXT) | instid1(SALU_CYCLE_1)
	s_min_u32 s74, s74, 32
	s_sub_co_i32 s76, s74, 29
	s_sub_co_i32 s74, 30, s74
	s_lshl_b64 s[14:15], s[14:15], s76
	s_delay_alu instid0(SALU_CYCLE_1)
	s_and_b32 s76, s14, 3
.LBB6_19762:                            ;   in Loop: Header=BB6_19757 Depth=3
	s_and_b32 s14, s75, 0x80000000
	s_lshl_b32 s15, s74, 23
	s_lshl_b32 s74, s76, 21
	s_add_co_i32 s15, s15, s14
	s_mov_b32 s76, 0
	s_or_b32 s14, s15, s74
	s_delay_alu instid0(SALU_CYCLE_1)
	s_add_co_i32 s74, s14, 0x38000000
.LBB6_19763:                            ;   in Loop: Header=BB6_19757 Depth=3
	s_and_b32 vcc_lo, exec_lo, s76
	s_cbranch_vccz .LBB6_19765
; %bb.19764:                            ;   in Loop: Header=BB6_19757 Depth=3
	s_cmp_gt_i32 s75, -1
	s_cselect_b32 s14, s47, 0xff800000
	s_cmp_eq_u32 s13, 0
	s_cselect_b32 s74, s14, 0x7f800001
.LBB6_19765:                            ;   in Loop: Header=BB6_19757 Depth=3
	flat_load_i8 v0, v[8:9] th:TH_LOAD_NT
	v_mov_b32_e32 v2, 0
	s_mov_b32 s13, exec_lo
	s_wait_loadcnt_dscnt 0x0
	s_wait_xcnt 0x0
	v_cmpx_ne_u16_e32 0, v0
	s_cbranch_execz .LBB6_19775
; %bb.19766:                            ;   in Loop: Header=BB6_19757 Depth=3
	v_bfrev_b32_e32 v2, 1
	s_mov_b32 s14, exec_lo
	v_cmpx_ne_u16_e32 0xff80, v0
	s_cbranch_execz .LBB6_19774
; %bb.19767:                            ;   in Loop: Header=BB6_19757 Depth=3
	v_and_b32_e32 v2, 0x7c, v0
	v_and_b32_e32 v1, 3, v0
	s_delay_alu instid0(VALU_DEP_2) | instskip(SKIP_1) | instid1(SALU_CYCLE_1)
	v_cmp_ne_u32_e32 vcc_lo, 0x7c, v2
                                        ; implicit-def: $vgpr2
	s_and_saveexec_b32 s15, vcc_lo
	s_xor_b32 s15, exec_lo, s15
	s_cbranch_execz .LBB6_19771
; %bb.19768:                            ;   in Loop: Header=BB6_19757 Depth=3
	v_and_b32_e32 v2, 0xff, v0
	s_mov_b32 s75, exec_lo
	s_delay_alu instid0(VALU_DEP_1) | instskip(NEXT) | instid1(VALU_DEP_1)
	v_bfe_u32 v2, v2, 2, 5
	v_cmpx_eq_u32_e32 0, v2
	s_cbranch_execz .LBB6_19770
; %bb.19769:                            ;   in Loop: Header=BB6_19757 Depth=3
	v_clz_i32_u32_e32 v1, v1
	s_delay_alu instid0(VALU_DEP_1) | instskip(SKIP_1) | instid1(VALU_DEP_2)
	v_min_u32_e32 v2, 32, v1
	v_mov_b32_e32 v1, v113
	v_subrev_nc_u32_e32 v3, 29, v2
	v_sub_nc_u32_e32 v2, 30, v2
	s_delay_alu instid0(VALU_DEP_2) | instskip(NEXT) | instid1(VALU_DEP_1)
	v_lshlrev_b64_e32 v[4:5], v3, v[0:1]
	v_and_b32_e32 v1, 3, v4
.LBB6_19770:                            ;   in Loop: Header=BB6_19757 Depth=3
	s_or_b32 exec_lo, exec_lo, s75
	v_bfe_i32 v0, v0, 0, 16
	s_delay_alu instid0(VALU_DEP_1) | instskip(NEXT) | instid1(VALU_DEP_1)
	v_and_b32_e32 v0, 0x80000000, v0
	v_lshl_add_u32 v0, v2, 23, v0
	s_delay_alu instid0(VALU_DEP_1) | instskip(NEXT) | instid1(VALU_DEP_1)
	v_lshl_or_b32 v0, v1, 21, v0
                                        ; implicit-def: $vgpr1
	v_add_nc_u32_e32 v2, 0x38000000, v0
                                        ; implicit-def: $vgpr0
.LBB6_19771:                            ;   in Loop: Header=BB6_19757 Depth=3
	s_and_not1_saveexec_b32 s15, s15
; %bb.19772:                            ;   in Loop: Header=BB6_19757 Depth=3
	v_cmp_lt_i16_e32 vcc_lo, -1, v0
	v_mov_b32_e32 v0, 0x7f800000
	s_delay_alu instid0(VALU_DEP_1) | instskip(SKIP_1) | instid1(VALU_DEP_2)
	v_cndmask_b32_e32 v0, 0xff800000, v0, vcc_lo
	v_cmp_eq_u32_e32 vcc_lo, 0, v1
	v_cndmask_b32_e32 v2, 0x7f800001, v0, vcc_lo
; %bb.19773:                            ;   in Loop: Header=BB6_19757 Depth=3
	s_or_b32 exec_lo, exec_lo, s15
.LBB6_19774:                            ;   in Loop: Header=BB6_19757 Depth=3
	s_delay_alu instid0(SALU_CYCLE_1)
	s_or_b32 exec_lo, exec_lo, s14
.LBB6_19775:                            ;   in Loop: Header=BB6_19757 Depth=3
	s_delay_alu instid0(SALU_CYCLE_1) | instskip(NEXT) | instid1(VALU_DEP_1)
	s_or_b32 exec_lo, exec_lo, s13
	v_dual_mul_f32 v2, s74, v2 :: v_dual_mov_b32 v1, v113
                                        ; implicit-def: $vgpr42
	s_delay_alu instid0(VALU_DEP_1) | instskip(NEXT) | instid1(VALU_DEP_1)
	v_and_b32_e32 v0, 0x7f800000, v2
	v_cmp_ne_u64_e32 vcc_lo, 0x7f800000, v[0:1]
	v_and_b32_e32 v0, 0x7fffff, v2
	s_and_saveexec_b32 s13, vcc_lo
	s_delay_alu instid0(SALU_CYCLE_1)
	s_xor_b32 s14, exec_lo, s13
	s_cbranch_execz .LBB6_19793
; %bb.19776:                            ;   in Loop: Header=BB6_19757 Depth=3
	v_and_b32_e32 v4, 0x7fffffff, v2
	v_dual_mov_b32 v5, v113 :: v_dual_lshrrev_b32 v3, 24, v2
                                        ; implicit-def: $vgpr42
	s_delay_alu instid0(VALU_DEP_1) | instskip(NEXT) | instid1(VALU_DEP_2)
	v_cmp_gt_u64_e32 vcc_lo, 0x47600001, v[4:5]
	v_and_b32_e32 v4, 0x80, v3
	s_and_saveexec_b32 s13, vcc_lo
	s_delay_alu instid0(SALU_CYCLE_1)
	s_xor_b32 s15, exec_lo, s13
	s_cbranch_execz .LBB6_19790
; %bb.19777:                            ;   in Loop: Header=BB6_19757 Depth=3
	v_mov_b32_e32 v42, 0
	s_mov_b32 s75, exec_lo
	v_cmpx_ne_u32_e32 0, v2
	s_cbranch_execz .LBB6_19789
; %bb.19778:                            ;   in Loop: Header=BB6_19757 Depth=3
	v_bfe_u32 v5, v2, 23, 8
	v_or_b32_e32 v7, 0x800000, v0
	s_delay_alu instid0(VALU_DEP_2) | instskip(SKIP_1) | instid1(VALU_DEP_2)
	v_sub_nc_u32_e32 v2, 0x71, v5
	v_cmp_gt_u32_e32 vcc_lo, 0x72, v5
	v_cndmask_b32_e32 v2, 0, v2, vcc_lo
	v_cmp_eq_u32_e32 vcc_lo, 0, v5
	v_cndmask_b32_e32 v0, v7, v0, vcc_lo
	s_delay_alu instid0(VALU_DEP_3) | instskip(NEXT) | instid1(VALU_DEP_1)
	v_cndmask_b32_e64 v6, v2, 0x70, vcc_lo
	v_dual_add_nc_u32 v2, 21, v6 :: v_dual_add_nc_u32 v16, 20, v6
	s_delay_alu instid0(VALU_DEP_1) | instskip(NEXT) | instid1(VALU_DEP_2)
	v_lshlrev_b64_e64 v[2:3], v2, -1
	v_lshlrev_b64_e64 v[16:17], v16, 1
	s_delay_alu instid0(VALU_DEP_2) | instskip(SKIP_1) | instid1(VALU_DEP_4)
	v_bfi_b32 v2, v2, 0, v0
	v_lshrrev_b64 v[0:1], v6, v[0:1]
	v_bfi_b32 v3, v3, 0, 0
	s_delay_alu instid0(VALU_DEP_1) | instskip(NEXT) | instid1(VALU_DEP_3)
	v_cmp_eq_u64_e64 s13, v[2:3], v[16:17]
	v_mov_b64_e32 v[2:3], v[0:1]
	s_and_saveexec_b32 s76, s13
; %bb.19779:                            ;   in Loop: Header=BB6_19757 Depth=3
	v_bfe_u32 v2, v0, 21, 1
	v_mov_b32_e32 v3, v113
	s_delay_alu instid0(VALU_DEP_1) | instskip(NEXT) | instid1(VALU_DEP_1)
	v_add_nc_u64_e32 v[2:3], v[0:1], v[2:3]
	v_add_nc_u64_e32 v[2:3], -1, v[2:3]
; %bb.19780:                            ;   in Loop: Header=BB6_19757 Depth=3
	s_or_b32 exec_lo, exec_lo, s76
	v_add_nc_u32_e32 v1, 0xffffff81, v5
	v_lshrrev_b32_e32 v3, 23, v0
	s_mov_b32 s13, exec_lo
	s_delay_alu instid0(VALU_DEP_2) | instskip(NEXT) | instid1(VALU_DEP_1)
	v_cndmask_b32_e64 v1, v1, 0xffffff82, vcc_lo
	v_add3_u32 v3, v6, v1, v3
	v_and_b32_e32 v1, 0x1fffff, v2
                                        ; implicit-def: $vgpr2
	s_delay_alu instid0(VALU_DEP_1) | instskip(SKIP_1) | instid1(VALU_DEP_2)
	v_dual_add_nc_u32 v5, 14, v3 :: v_dual_add_nc_u32 v0, v1, v0
	v_mov_b32_e32 v1, v113
	v_cmpx_ne_u32_e32 0, v5
	s_xor_b32 s13, exec_lo, s13
; %bb.19781:                            ;   in Loop: Header=BB6_19757 Depth=3
	s_delay_alu instid0(VALU_DEP_2) | instskip(SKIP_2) | instid1(VALU_DEP_2)
	v_cmp_lt_u64_e32 vcc_lo, 0xffffff, v[0:1]
	v_add_nc_u32_e32 v2, 15, v3
	v_cndmask_b32_e64 v3, 0, 1, vcc_lo
	v_cndmask_b32_e32 v2, v5, v2, vcc_lo
	s_delay_alu instid0(VALU_DEP_2)
	v_lshrrev_b64 v[0:1], v3, v[0:1]
; %bb.19782:                            ;   in Loop: Header=BB6_19757 Depth=3
	s_and_not1_saveexec_b32 s13, s13
; %bb.19783:                            ;   in Loop: Header=BB6_19757 Depth=3
	s_delay_alu instid0(VALU_DEP_1)
	v_bfe_u32 v2, v0, 23, 1
; %bb.19784:                            ;   in Loop: Header=BB6_19757 Depth=3
	s_or_b32 exec_lo, exec_lo, s13
	s_delay_alu instid0(VALU_DEP_2) | instskip(NEXT) | instid1(VALU_DEP_2)
	v_lshrrev_b64 v[0:1], 21, v[0:1]
	v_cmp_gt_i32_e32 vcc_lo, 32, v2
	v_cmp_ne_u32_e64 s13, 0, v2
                                        ; implicit-def: $vgpr42
	s_delay_alu instid0(VALU_DEP_3) | instskip(NEXT) | instid1(VALU_DEP_1)
	v_dual_cndmask_b32 v1, 0, v1 :: v_dual_cndmask_b32 v0, 3, v0
	v_cmp_ne_u64_e32 vcc_lo, 0, v[0:1]
	s_or_b32 s13, s13, vcc_lo
	s_delay_alu instid0(SALU_CYCLE_1) | instskip(NEXT) | instid1(SALU_CYCLE_1)
	s_and_saveexec_b32 s76, s13
	s_xor_b32 s13, exec_lo, s76
; %bb.19785:                            ;   in Loop: Header=BB6_19757 Depth=3
	v_min_i32_e32 v1, 31, v2
	s_delay_alu instid0(VALU_DEP_1) | instskip(NEXT) | instid1(VALU_DEP_1)
	v_lshl_or_b32 v1, v1, 2, v4
                                        ; implicit-def: $vgpr4
	v_and_or_b32 v42, v0, 3, v1
; %bb.19786:                            ;   in Loop: Header=BB6_19757 Depth=3
	s_and_not1_saveexec_b32 s13, s13
; %bb.19787:                            ;   in Loop: Header=BB6_19757 Depth=3
	v_mov_b32_e32 v42, v4
; %bb.19788:                            ;   in Loop: Header=BB6_19757 Depth=3
	s_or_b32 exec_lo, exec_lo, s13
.LBB6_19789:                            ;   in Loop: Header=BB6_19757 Depth=3
	s_delay_alu instid0(SALU_CYCLE_1)
	s_or_b32 exec_lo, exec_lo, s75
                                        ; implicit-def: $vgpr4
.LBB6_19790:                            ;   in Loop: Header=BB6_19757 Depth=3
	s_and_not1_saveexec_b32 s13, s15
; %bb.19791:                            ;   in Loop: Header=BB6_19757 Depth=3
	v_or_b32_e32 v42, 0x7b, v4
; %bb.19792:                            ;   in Loop: Header=BB6_19757 Depth=3
	s_or_b32 exec_lo, exec_lo, s13
                                        ; implicit-def: $vgpr2
                                        ; implicit-def: $vgpr0_vgpr1
.LBB6_19793:                            ;   in Loop: Header=BB6_19757 Depth=3
	s_and_not1_saveexec_b32 s13, s14
	s_cbranch_execz .LBB6_19799
; %bb.19794:                            ;   in Loop: Header=BB6_19757 Depth=3
	s_mov_b32 s14, exec_lo
                                        ; implicit-def: $vgpr42
	v_cmpx_ne_u64_e32 0, v[0:1]
	s_xor_b32 s14, exec_lo, s14
; %bb.19795:                            ;   in Loop: Header=BB6_19757 Depth=3
	v_lshrrev_b32_e32 v0, 24, v2
                                        ; implicit-def: $vgpr2
	s_delay_alu instid0(VALU_DEP_1)
	v_or_b32_e32 v42, 0x7f, v0
; %bb.19796:                            ;   in Loop: Header=BB6_19757 Depth=3
	s_and_not1_saveexec_b32 s14, s14
; %bb.19797:                            ;   in Loop: Header=BB6_19757 Depth=3
	v_cmp_lt_i32_e32 vcc_lo, -1, v2
	v_cndmask_b32_e64 v42, -4, 0x7c, vcc_lo
; %bb.19798:                            ;   in Loop: Header=BB6_19757 Depth=3
	s_or_b32 exec_lo, exec_lo, s14
.LBB6_19799:                            ;   in Loop: Header=BB6_19757 Depth=3
	s_delay_alu instid0(SALU_CYCLE_1)
	s_or_b32 exec_lo, exec_lo, s13
	flat_load_i8 v0, v[8:9] offset:32 th:TH_LOAD_NT
	v_mov_b32_e32 v2, 0
	s_mov_b32 s13, exec_lo
	s_wait_loadcnt_dscnt 0x0
	s_wait_xcnt 0x0
	v_cmpx_ne_u16_e32 0, v0
	s_cbranch_execz .LBB6_19809
; %bb.19800:                            ;   in Loop: Header=BB6_19757 Depth=3
	v_bfrev_b32_e32 v2, 1
	s_mov_b32 s14, exec_lo
	v_cmpx_ne_u16_e32 0xff80, v0
	s_cbranch_execz .LBB6_19808
; %bb.19801:                            ;   in Loop: Header=BB6_19757 Depth=3
	v_and_b32_e32 v2, 0x7c, v0
	v_and_b32_e32 v1, 3, v0
	s_delay_alu instid0(VALU_DEP_2) | instskip(SKIP_1) | instid1(SALU_CYCLE_1)
	v_cmp_ne_u32_e32 vcc_lo, 0x7c, v2
                                        ; implicit-def: $vgpr2
	s_and_saveexec_b32 s15, vcc_lo
	s_xor_b32 s15, exec_lo, s15
	s_cbranch_execz .LBB6_19805
; %bb.19802:                            ;   in Loop: Header=BB6_19757 Depth=3
	v_and_b32_e32 v2, 0xff, v0
	s_mov_b32 s75, exec_lo
	s_delay_alu instid0(VALU_DEP_1) | instskip(NEXT) | instid1(VALU_DEP_1)
	v_bfe_u32 v2, v2, 2, 5
	v_cmpx_eq_u32_e32 0, v2
	s_cbranch_execz .LBB6_19804
; %bb.19803:                            ;   in Loop: Header=BB6_19757 Depth=3
	v_clz_i32_u32_e32 v1, v1
	s_delay_alu instid0(VALU_DEP_1) | instskip(SKIP_1) | instid1(VALU_DEP_2)
	v_min_u32_e32 v2, 32, v1
	v_mov_b32_e32 v1, v113
	v_subrev_nc_u32_e32 v3, 29, v2
	v_sub_nc_u32_e32 v2, 30, v2
	s_delay_alu instid0(VALU_DEP_2) | instskip(NEXT) | instid1(VALU_DEP_1)
	v_lshlrev_b64_e32 v[4:5], v3, v[0:1]
	v_and_b32_e32 v1, 3, v4
.LBB6_19804:                            ;   in Loop: Header=BB6_19757 Depth=3
	s_or_b32 exec_lo, exec_lo, s75
	v_bfe_i32 v0, v0, 0, 16
	s_delay_alu instid0(VALU_DEP_1) | instskip(NEXT) | instid1(VALU_DEP_1)
	v_and_b32_e32 v0, 0x80000000, v0
	v_lshl_add_u32 v0, v2, 23, v0
	s_delay_alu instid0(VALU_DEP_1) | instskip(NEXT) | instid1(VALU_DEP_1)
	v_lshl_or_b32 v0, v1, 21, v0
                                        ; implicit-def: $vgpr1
	v_add_nc_u32_e32 v2, 0x38000000, v0
                                        ; implicit-def: $vgpr0
.LBB6_19805:                            ;   in Loop: Header=BB6_19757 Depth=3
	s_and_not1_saveexec_b32 s15, s15
; %bb.19806:                            ;   in Loop: Header=BB6_19757 Depth=3
	v_cmp_lt_i16_e32 vcc_lo, -1, v0
	v_mov_b32_e32 v0, 0x7f800000
	s_delay_alu instid0(VALU_DEP_1) | instskip(SKIP_1) | instid1(VALU_DEP_2)
	v_cndmask_b32_e32 v0, 0xff800000, v0, vcc_lo
	v_cmp_eq_u32_e32 vcc_lo, 0, v1
	v_cndmask_b32_e32 v2, 0x7f800001, v0, vcc_lo
; %bb.19807:                            ;   in Loop: Header=BB6_19757 Depth=3
	s_or_b32 exec_lo, exec_lo, s15
.LBB6_19808:                            ;   in Loop: Header=BB6_19757 Depth=3
	s_delay_alu instid0(SALU_CYCLE_1)
	s_or_b32 exec_lo, exec_lo, s14
.LBB6_19809:                            ;   in Loop: Header=BB6_19757 Depth=3
	s_delay_alu instid0(SALU_CYCLE_1) | instskip(NEXT) | instid1(VALU_DEP_1)
	s_or_b32 exec_lo, exec_lo, s13
	v_dual_mul_f32 v2, s74, v2 :: v_dual_mov_b32 v1, v113
                                        ; implicit-def: $vgpr100
	s_delay_alu instid0(VALU_DEP_1) | instskip(NEXT) | instid1(VALU_DEP_1)
	v_and_b32_e32 v0, 0x7f800000, v2
	v_cmp_ne_u64_e32 vcc_lo, 0x7f800000, v[0:1]
	v_and_b32_e32 v0, 0x7fffff, v2
	s_and_saveexec_b32 s13, vcc_lo
	s_delay_alu instid0(SALU_CYCLE_1)
	s_xor_b32 s14, exec_lo, s13
	s_cbranch_execz .LBB6_19827
; %bb.19810:                            ;   in Loop: Header=BB6_19757 Depth=3
	v_and_b32_e32 v4, 0x7fffffff, v2
	v_dual_mov_b32 v5, v113 :: v_dual_lshrrev_b32 v3, 24, v2
                                        ; implicit-def: $vgpr100
	s_delay_alu instid0(VALU_DEP_1) | instskip(NEXT) | instid1(VALU_DEP_2)
	v_cmp_gt_u64_e32 vcc_lo, 0x47600001, v[4:5]
	v_and_b32_e32 v4, 0x80, v3
	s_and_saveexec_b32 s13, vcc_lo
	s_delay_alu instid0(SALU_CYCLE_1)
	s_xor_b32 s15, exec_lo, s13
	s_cbranch_execz .LBB6_19824
; %bb.19811:                            ;   in Loop: Header=BB6_19757 Depth=3
	v_mov_b32_e32 v100, 0
	s_mov_b32 s75, exec_lo
	v_cmpx_ne_u32_e32 0, v2
	s_cbranch_execz .LBB6_19823
; %bb.19812:                            ;   in Loop: Header=BB6_19757 Depth=3
	v_bfe_u32 v5, v2, 23, 8
	v_or_b32_e32 v7, 0x800000, v0
	s_delay_alu instid0(VALU_DEP_2) | instskip(SKIP_1) | instid1(VALU_DEP_2)
	v_sub_nc_u32_e32 v2, 0x71, v5
	v_cmp_gt_u32_e32 vcc_lo, 0x72, v5
	v_cndmask_b32_e32 v2, 0, v2, vcc_lo
	v_cmp_eq_u32_e32 vcc_lo, 0, v5
	v_cndmask_b32_e32 v0, v7, v0, vcc_lo
	s_delay_alu instid0(VALU_DEP_3) | instskip(NEXT) | instid1(VALU_DEP_1)
	v_cndmask_b32_e64 v6, v2, 0x70, vcc_lo
	v_dual_add_nc_u32 v2, 21, v6 :: v_dual_add_nc_u32 v16, 20, v6
	s_delay_alu instid0(VALU_DEP_1) | instskip(NEXT) | instid1(VALU_DEP_2)
	v_lshlrev_b64_e64 v[2:3], v2, -1
	v_lshlrev_b64_e64 v[16:17], v16, 1
	s_delay_alu instid0(VALU_DEP_2) | instskip(SKIP_1) | instid1(VALU_DEP_4)
	v_bfi_b32 v2, v2, 0, v0
	v_lshrrev_b64 v[0:1], v6, v[0:1]
	v_bfi_b32 v3, v3, 0, 0
	s_delay_alu instid0(VALU_DEP_1) | instskip(NEXT) | instid1(VALU_DEP_3)
	v_cmp_eq_u64_e64 s13, v[2:3], v[16:17]
	v_mov_b64_e32 v[2:3], v[0:1]
	s_and_saveexec_b32 s76, s13
; %bb.19813:                            ;   in Loop: Header=BB6_19757 Depth=3
	v_bfe_u32 v2, v0, 21, 1
	v_mov_b32_e32 v3, v113
	s_delay_alu instid0(VALU_DEP_1) | instskip(NEXT) | instid1(VALU_DEP_1)
	v_add_nc_u64_e32 v[2:3], v[0:1], v[2:3]
	v_add_nc_u64_e32 v[2:3], -1, v[2:3]
; %bb.19814:                            ;   in Loop: Header=BB6_19757 Depth=3
	s_or_b32 exec_lo, exec_lo, s76
	v_add_nc_u32_e32 v1, 0xffffff81, v5
	v_lshrrev_b32_e32 v3, 23, v0
	s_mov_b32 s13, exec_lo
	s_delay_alu instid0(VALU_DEP_2) | instskip(NEXT) | instid1(VALU_DEP_1)
	v_cndmask_b32_e64 v1, v1, 0xffffff82, vcc_lo
	v_add3_u32 v3, v6, v1, v3
	v_and_b32_e32 v1, 0x1fffff, v2
                                        ; implicit-def: $vgpr2
	s_delay_alu instid0(VALU_DEP_1) | instskip(SKIP_1) | instid1(VALU_DEP_2)
	v_dual_add_nc_u32 v5, 14, v3 :: v_dual_add_nc_u32 v0, v1, v0
	v_mov_b32_e32 v1, v113
	v_cmpx_ne_u32_e32 0, v5
	s_xor_b32 s13, exec_lo, s13
; %bb.19815:                            ;   in Loop: Header=BB6_19757 Depth=3
	s_delay_alu instid0(VALU_DEP_2) | instskip(SKIP_2) | instid1(VALU_DEP_2)
	v_cmp_lt_u64_e32 vcc_lo, 0xffffff, v[0:1]
	v_add_nc_u32_e32 v2, 15, v3
	v_cndmask_b32_e64 v3, 0, 1, vcc_lo
	v_cndmask_b32_e32 v2, v5, v2, vcc_lo
	s_delay_alu instid0(VALU_DEP_2)
	v_lshrrev_b64 v[0:1], v3, v[0:1]
; %bb.19816:                            ;   in Loop: Header=BB6_19757 Depth=3
	s_and_not1_saveexec_b32 s13, s13
; %bb.19817:                            ;   in Loop: Header=BB6_19757 Depth=3
	s_delay_alu instid0(VALU_DEP_1)
	v_bfe_u32 v2, v0, 23, 1
; %bb.19818:                            ;   in Loop: Header=BB6_19757 Depth=3
	s_or_b32 exec_lo, exec_lo, s13
	s_delay_alu instid0(VALU_DEP_2) | instskip(NEXT) | instid1(VALU_DEP_2)
	v_lshrrev_b64 v[0:1], 21, v[0:1]
	v_cmp_gt_i32_e32 vcc_lo, 32, v2
	v_cmp_ne_u32_e64 s13, 0, v2
                                        ; implicit-def: $vgpr100
	s_delay_alu instid0(VALU_DEP_3) | instskip(NEXT) | instid1(VALU_DEP_1)
	v_dual_cndmask_b32 v1, 0, v1 :: v_dual_cndmask_b32 v0, 3, v0
	v_cmp_ne_u64_e32 vcc_lo, 0, v[0:1]
	s_or_b32 s13, s13, vcc_lo
	s_delay_alu instid0(SALU_CYCLE_1) | instskip(NEXT) | instid1(SALU_CYCLE_1)
	s_and_saveexec_b32 s76, s13
	s_xor_b32 s13, exec_lo, s76
; %bb.19819:                            ;   in Loop: Header=BB6_19757 Depth=3
	v_min_i32_e32 v1, 31, v2
	s_delay_alu instid0(VALU_DEP_1) | instskip(NEXT) | instid1(VALU_DEP_1)
	v_lshl_or_b32 v1, v1, 2, v4
                                        ; implicit-def: $vgpr4
	v_and_or_b32 v100, v0, 3, v1
; %bb.19820:                            ;   in Loop: Header=BB6_19757 Depth=3
	s_and_not1_saveexec_b32 s13, s13
; %bb.19821:                            ;   in Loop: Header=BB6_19757 Depth=3
	v_mov_b32_e32 v100, v4
; %bb.19822:                            ;   in Loop: Header=BB6_19757 Depth=3
	s_or_b32 exec_lo, exec_lo, s13
.LBB6_19823:                            ;   in Loop: Header=BB6_19757 Depth=3
	s_delay_alu instid0(SALU_CYCLE_1)
	s_or_b32 exec_lo, exec_lo, s75
                                        ; implicit-def: $vgpr4
.LBB6_19824:                            ;   in Loop: Header=BB6_19757 Depth=3
	s_and_not1_saveexec_b32 s13, s15
; %bb.19825:                            ;   in Loop: Header=BB6_19757 Depth=3
	v_or_b32_e32 v100, 0x7b, v4
; %bb.19826:                            ;   in Loop: Header=BB6_19757 Depth=3
	s_or_b32 exec_lo, exec_lo, s13
                                        ; implicit-def: $vgpr2
                                        ; implicit-def: $vgpr0_vgpr1
.LBB6_19827:                            ;   in Loop: Header=BB6_19757 Depth=3
	s_and_not1_saveexec_b32 s13, s14
	s_cbranch_execz .LBB6_19833
; %bb.19828:                            ;   in Loop: Header=BB6_19757 Depth=3
	s_mov_b32 s14, exec_lo
                                        ; implicit-def: $vgpr100
	v_cmpx_ne_u64_e32 0, v[0:1]
	s_xor_b32 s14, exec_lo, s14
; %bb.19829:                            ;   in Loop: Header=BB6_19757 Depth=3
	v_lshrrev_b32_e32 v0, 24, v2
                                        ; implicit-def: $vgpr2
	s_delay_alu instid0(VALU_DEP_1)
	v_or_b32_e32 v100, 0x7f, v0
; %bb.19830:                            ;   in Loop: Header=BB6_19757 Depth=3
	s_and_not1_saveexec_b32 s14, s14
; %bb.19831:                            ;   in Loop: Header=BB6_19757 Depth=3
	v_cmp_lt_i32_e32 vcc_lo, -1, v2
	v_cndmask_b32_e64 v100, -4, 0x7c, vcc_lo
; %bb.19832:                            ;   in Loop: Header=BB6_19757 Depth=3
	s_or_b32 exec_lo, exec_lo, s14
.LBB6_19833:                            ;   in Loop: Header=BB6_19757 Depth=3
	s_delay_alu instid0(SALU_CYCLE_1)
	s_or_b32 exec_lo, exec_lo, s13
	flat_load_i8 v0, v[8:9] offset:64 th:TH_LOAD_NT
	v_mov_b32_e32 v2, 0
	s_mov_b32 s13, exec_lo
	s_wait_loadcnt_dscnt 0x0
	s_wait_xcnt 0x0
	v_cmpx_ne_u16_e32 0, v0
	s_cbranch_execz .LBB6_19843
; %bb.19834:                            ;   in Loop: Header=BB6_19757 Depth=3
	v_bfrev_b32_e32 v2, 1
	s_mov_b32 s14, exec_lo
	v_cmpx_ne_u16_e32 0xff80, v0
	s_cbranch_execz .LBB6_19842
; %bb.19835:                            ;   in Loop: Header=BB6_19757 Depth=3
	v_and_b32_e32 v2, 0x7c, v0
	v_and_b32_e32 v1, 3, v0
	s_delay_alu instid0(VALU_DEP_2) | instskip(SKIP_1) | instid1(SALU_CYCLE_1)
	v_cmp_ne_u32_e32 vcc_lo, 0x7c, v2
                                        ; implicit-def: $vgpr2
	s_and_saveexec_b32 s15, vcc_lo
	s_xor_b32 s15, exec_lo, s15
	s_cbranch_execz .LBB6_19839
; %bb.19836:                            ;   in Loop: Header=BB6_19757 Depth=3
	v_and_b32_e32 v2, 0xff, v0
	s_mov_b32 s75, exec_lo
	s_delay_alu instid0(VALU_DEP_1) | instskip(NEXT) | instid1(VALU_DEP_1)
	v_bfe_u32 v2, v2, 2, 5
	v_cmpx_eq_u32_e32 0, v2
	s_cbranch_execz .LBB6_19838
; %bb.19837:                            ;   in Loop: Header=BB6_19757 Depth=3
	v_clz_i32_u32_e32 v1, v1
	s_delay_alu instid0(VALU_DEP_1) | instskip(SKIP_1) | instid1(VALU_DEP_2)
	v_min_u32_e32 v2, 32, v1
	v_mov_b32_e32 v1, v113
	v_subrev_nc_u32_e32 v3, 29, v2
	v_sub_nc_u32_e32 v2, 30, v2
	s_delay_alu instid0(VALU_DEP_2) | instskip(NEXT) | instid1(VALU_DEP_1)
	v_lshlrev_b64_e32 v[4:5], v3, v[0:1]
	v_and_b32_e32 v1, 3, v4
.LBB6_19838:                            ;   in Loop: Header=BB6_19757 Depth=3
	s_or_b32 exec_lo, exec_lo, s75
	v_bfe_i32 v0, v0, 0, 16
	s_delay_alu instid0(VALU_DEP_1) | instskip(NEXT) | instid1(VALU_DEP_1)
	v_and_b32_e32 v0, 0x80000000, v0
	v_lshl_add_u32 v0, v2, 23, v0
	s_delay_alu instid0(VALU_DEP_1) | instskip(NEXT) | instid1(VALU_DEP_1)
	v_lshl_or_b32 v0, v1, 21, v0
                                        ; implicit-def: $vgpr1
	v_add_nc_u32_e32 v2, 0x38000000, v0
                                        ; implicit-def: $vgpr0
.LBB6_19839:                            ;   in Loop: Header=BB6_19757 Depth=3
	s_and_not1_saveexec_b32 s15, s15
; %bb.19840:                            ;   in Loop: Header=BB6_19757 Depth=3
	v_cmp_lt_i16_e32 vcc_lo, -1, v0
	v_mov_b32_e32 v0, 0x7f800000
	s_delay_alu instid0(VALU_DEP_1) | instskip(SKIP_1) | instid1(VALU_DEP_2)
	v_cndmask_b32_e32 v0, 0xff800000, v0, vcc_lo
	v_cmp_eq_u32_e32 vcc_lo, 0, v1
	v_cndmask_b32_e32 v2, 0x7f800001, v0, vcc_lo
; %bb.19841:                            ;   in Loop: Header=BB6_19757 Depth=3
	s_or_b32 exec_lo, exec_lo, s15
.LBB6_19842:                            ;   in Loop: Header=BB6_19757 Depth=3
	s_delay_alu instid0(SALU_CYCLE_1)
	s_or_b32 exec_lo, exec_lo, s14
.LBB6_19843:                            ;   in Loop: Header=BB6_19757 Depth=3
	s_delay_alu instid0(SALU_CYCLE_1) | instskip(NEXT) | instid1(VALU_DEP_1)
	s_or_b32 exec_lo, exec_lo, s13
	v_dual_mul_f32 v2, s74, v2 :: v_dual_mov_b32 v1, v113
                                        ; implicit-def: $vgpr102
	s_delay_alu instid0(VALU_DEP_1) | instskip(NEXT) | instid1(VALU_DEP_1)
	v_and_b32_e32 v0, 0x7f800000, v2
	v_cmp_ne_u64_e32 vcc_lo, 0x7f800000, v[0:1]
	v_and_b32_e32 v0, 0x7fffff, v2
	s_and_saveexec_b32 s13, vcc_lo
	s_delay_alu instid0(SALU_CYCLE_1)
	s_xor_b32 s14, exec_lo, s13
	s_cbranch_execz .LBB6_19861
; %bb.19844:                            ;   in Loop: Header=BB6_19757 Depth=3
	v_and_b32_e32 v4, 0x7fffffff, v2
	v_dual_mov_b32 v5, v113 :: v_dual_lshrrev_b32 v3, 24, v2
                                        ; implicit-def: $vgpr102
	s_delay_alu instid0(VALU_DEP_1) | instskip(NEXT) | instid1(VALU_DEP_2)
	v_cmp_gt_u64_e32 vcc_lo, 0x47600001, v[4:5]
	v_and_b32_e32 v4, 0x80, v3
	s_and_saveexec_b32 s13, vcc_lo
	s_delay_alu instid0(SALU_CYCLE_1)
	s_xor_b32 s15, exec_lo, s13
	s_cbranch_execz .LBB6_19858
; %bb.19845:                            ;   in Loop: Header=BB6_19757 Depth=3
	v_mov_b32_e32 v102, 0
	s_mov_b32 s75, exec_lo
	v_cmpx_ne_u32_e32 0, v2
	s_cbranch_execz .LBB6_19857
; %bb.19846:                            ;   in Loop: Header=BB6_19757 Depth=3
	v_bfe_u32 v5, v2, 23, 8
	v_or_b32_e32 v7, 0x800000, v0
	s_delay_alu instid0(VALU_DEP_2) | instskip(SKIP_1) | instid1(VALU_DEP_2)
	v_sub_nc_u32_e32 v2, 0x71, v5
	v_cmp_gt_u32_e32 vcc_lo, 0x72, v5
	v_cndmask_b32_e32 v2, 0, v2, vcc_lo
	v_cmp_eq_u32_e32 vcc_lo, 0, v5
	v_cndmask_b32_e32 v0, v7, v0, vcc_lo
	s_delay_alu instid0(VALU_DEP_3) | instskip(NEXT) | instid1(VALU_DEP_1)
	v_cndmask_b32_e64 v6, v2, 0x70, vcc_lo
	v_dual_add_nc_u32 v2, 21, v6 :: v_dual_add_nc_u32 v16, 20, v6
	s_delay_alu instid0(VALU_DEP_1) | instskip(NEXT) | instid1(VALU_DEP_2)
	v_lshlrev_b64_e64 v[2:3], v2, -1
	v_lshlrev_b64_e64 v[16:17], v16, 1
	s_delay_alu instid0(VALU_DEP_2) | instskip(SKIP_1) | instid1(VALU_DEP_4)
	v_bfi_b32 v2, v2, 0, v0
	v_lshrrev_b64 v[0:1], v6, v[0:1]
	v_bfi_b32 v3, v3, 0, 0
	s_delay_alu instid0(VALU_DEP_1) | instskip(NEXT) | instid1(VALU_DEP_3)
	v_cmp_eq_u64_e64 s13, v[2:3], v[16:17]
	v_mov_b64_e32 v[2:3], v[0:1]
	s_and_saveexec_b32 s76, s13
; %bb.19847:                            ;   in Loop: Header=BB6_19757 Depth=3
	v_bfe_u32 v2, v0, 21, 1
	v_mov_b32_e32 v3, v113
	s_delay_alu instid0(VALU_DEP_1) | instskip(NEXT) | instid1(VALU_DEP_1)
	v_add_nc_u64_e32 v[2:3], v[0:1], v[2:3]
	v_add_nc_u64_e32 v[2:3], -1, v[2:3]
; %bb.19848:                            ;   in Loop: Header=BB6_19757 Depth=3
	s_or_b32 exec_lo, exec_lo, s76
	v_add_nc_u32_e32 v1, 0xffffff81, v5
	v_lshrrev_b32_e32 v3, 23, v0
	s_mov_b32 s13, exec_lo
	s_delay_alu instid0(VALU_DEP_2) | instskip(NEXT) | instid1(VALU_DEP_1)
	v_cndmask_b32_e64 v1, v1, 0xffffff82, vcc_lo
	v_add3_u32 v3, v6, v1, v3
	v_and_b32_e32 v1, 0x1fffff, v2
                                        ; implicit-def: $vgpr2
	s_delay_alu instid0(VALU_DEP_1) | instskip(SKIP_1) | instid1(VALU_DEP_2)
	v_dual_add_nc_u32 v5, 14, v3 :: v_dual_add_nc_u32 v0, v1, v0
	v_mov_b32_e32 v1, v113
	v_cmpx_ne_u32_e32 0, v5
	s_xor_b32 s13, exec_lo, s13
; %bb.19849:                            ;   in Loop: Header=BB6_19757 Depth=3
	s_delay_alu instid0(VALU_DEP_2) | instskip(SKIP_2) | instid1(VALU_DEP_2)
	v_cmp_lt_u64_e32 vcc_lo, 0xffffff, v[0:1]
	v_add_nc_u32_e32 v2, 15, v3
	v_cndmask_b32_e64 v3, 0, 1, vcc_lo
	v_cndmask_b32_e32 v2, v5, v2, vcc_lo
	s_delay_alu instid0(VALU_DEP_2)
	v_lshrrev_b64 v[0:1], v3, v[0:1]
; %bb.19850:                            ;   in Loop: Header=BB6_19757 Depth=3
	s_and_not1_saveexec_b32 s13, s13
; %bb.19851:                            ;   in Loop: Header=BB6_19757 Depth=3
	s_delay_alu instid0(VALU_DEP_1)
	v_bfe_u32 v2, v0, 23, 1
; %bb.19852:                            ;   in Loop: Header=BB6_19757 Depth=3
	s_or_b32 exec_lo, exec_lo, s13
	s_delay_alu instid0(VALU_DEP_2) | instskip(NEXT) | instid1(VALU_DEP_2)
	v_lshrrev_b64 v[0:1], 21, v[0:1]
	v_cmp_gt_i32_e32 vcc_lo, 32, v2
	v_cmp_ne_u32_e64 s13, 0, v2
                                        ; implicit-def: $vgpr102
	s_delay_alu instid0(VALU_DEP_3) | instskip(NEXT) | instid1(VALU_DEP_1)
	v_dual_cndmask_b32 v1, 0, v1 :: v_dual_cndmask_b32 v0, 3, v0
	v_cmp_ne_u64_e32 vcc_lo, 0, v[0:1]
	s_or_b32 s13, s13, vcc_lo
	s_delay_alu instid0(SALU_CYCLE_1) | instskip(NEXT) | instid1(SALU_CYCLE_1)
	s_and_saveexec_b32 s76, s13
	s_xor_b32 s13, exec_lo, s76
; %bb.19853:                            ;   in Loop: Header=BB6_19757 Depth=3
	v_min_i32_e32 v1, 31, v2
	s_delay_alu instid0(VALU_DEP_1) | instskip(NEXT) | instid1(VALU_DEP_1)
	v_lshl_or_b32 v1, v1, 2, v4
                                        ; implicit-def: $vgpr4
	v_and_or_b32 v102, v0, 3, v1
; %bb.19854:                            ;   in Loop: Header=BB6_19757 Depth=3
	s_and_not1_saveexec_b32 s13, s13
; %bb.19855:                            ;   in Loop: Header=BB6_19757 Depth=3
	v_mov_b32_e32 v102, v4
; %bb.19856:                            ;   in Loop: Header=BB6_19757 Depth=3
	s_or_b32 exec_lo, exec_lo, s13
.LBB6_19857:                            ;   in Loop: Header=BB6_19757 Depth=3
	s_delay_alu instid0(SALU_CYCLE_1)
	s_or_b32 exec_lo, exec_lo, s75
                                        ; implicit-def: $vgpr4
.LBB6_19858:                            ;   in Loop: Header=BB6_19757 Depth=3
	s_and_not1_saveexec_b32 s13, s15
; %bb.19859:                            ;   in Loop: Header=BB6_19757 Depth=3
	v_or_b32_e32 v102, 0x7b, v4
; %bb.19860:                            ;   in Loop: Header=BB6_19757 Depth=3
	s_or_b32 exec_lo, exec_lo, s13
                                        ; implicit-def: $vgpr2
                                        ; implicit-def: $vgpr0_vgpr1
.LBB6_19861:                            ;   in Loop: Header=BB6_19757 Depth=3
	s_and_not1_saveexec_b32 s13, s14
	s_cbranch_execz .LBB6_19867
; %bb.19862:                            ;   in Loop: Header=BB6_19757 Depth=3
	s_mov_b32 s14, exec_lo
                                        ; implicit-def: $vgpr102
	v_cmpx_ne_u64_e32 0, v[0:1]
	s_xor_b32 s14, exec_lo, s14
; %bb.19863:                            ;   in Loop: Header=BB6_19757 Depth=3
	v_lshrrev_b32_e32 v0, 24, v2
                                        ; implicit-def: $vgpr2
	s_delay_alu instid0(VALU_DEP_1)
	v_or_b32_e32 v102, 0x7f, v0
; %bb.19864:                            ;   in Loop: Header=BB6_19757 Depth=3
	s_and_not1_saveexec_b32 s14, s14
; %bb.19865:                            ;   in Loop: Header=BB6_19757 Depth=3
	v_cmp_lt_i32_e32 vcc_lo, -1, v2
	v_cndmask_b32_e64 v102, -4, 0x7c, vcc_lo
; %bb.19866:                            ;   in Loop: Header=BB6_19757 Depth=3
	s_or_b32 exec_lo, exec_lo, s14
.LBB6_19867:                            ;   in Loop: Header=BB6_19757 Depth=3
	s_delay_alu instid0(SALU_CYCLE_1)
	s_or_b32 exec_lo, exec_lo, s13
	flat_load_i8 v0, v[8:9] offset:96 th:TH_LOAD_NT
	v_mov_b32_e32 v2, 0
	s_mov_b32 s13, exec_lo
	s_wait_loadcnt_dscnt 0x0
	s_wait_xcnt 0x0
	v_cmpx_ne_u16_e32 0, v0
	s_cbranch_execz .LBB6_19877
; %bb.19868:                            ;   in Loop: Header=BB6_19757 Depth=3
	v_bfrev_b32_e32 v2, 1
	s_mov_b32 s14, exec_lo
	v_cmpx_ne_u16_e32 0xff80, v0
	s_cbranch_execz .LBB6_19876
; %bb.19869:                            ;   in Loop: Header=BB6_19757 Depth=3
	v_and_b32_e32 v2, 0x7c, v0
	v_and_b32_e32 v1, 3, v0
	s_delay_alu instid0(VALU_DEP_2) | instskip(SKIP_1) | instid1(SALU_CYCLE_1)
	v_cmp_ne_u32_e32 vcc_lo, 0x7c, v2
                                        ; implicit-def: $vgpr2
	s_and_saveexec_b32 s15, vcc_lo
	s_xor_b32 s15, exec_lo, s15
	s_cbranch_execz .LBB6_19873
; %bb.19870:                            ;   in Loop: Header=BB6_19757 Depth=3
	v_and_b32_e32 v2, 0xff, v0
	s_mov_b32 s75, exec_lo
	s_delay_alu instid0(VALU_DEP_1) | instskip(NEXT) | instid1(VALU_DEP_1)
	v_bfe_u32 v2, v2, 2, 5
	v_cmpx_eq_u32_e32 0, v2
	s_cbranch_execz .LBB6_19872
; %bb.19871:                            ;   in Loop: Header=BB6_19757 Depth=3
	v_clz_i32_u32_e32 v1, v1
	s_delay_alu instid0(VALU_DEP_1) | instskip(SKIP_1) | instid1(VALU_DEP_2)
	v_min_u32_e32 v2, 32, v1
	v_mov_b32_e32 v1, v113
	v_subrev_nc_u32_e32 v3, 29, v2
	v_sub_nc_u32_e32 v2, 30, v2
	s_delay_alu instid0(VALU_DEP_2) | instskip(NEXT) | instid1(VALU_DEP_1)
	v_lshlrev_b64_e32 v[4:5], v3, v[0:1]
	v_and_b32_e32 v1, 3, v4
.LBB6_19872:                            ;   in Loop: Header=BB6_19757 Depth=3
	s_or_b32 exec_lo, exec_lo, s75
	v_bfe_i32 v0, v0, 0, 16
	s_delay_alu instid0(VALU_DEP_1) | instskip(NEXT) | instid1(VALU_DEP_1)
	v_and_b32_e32 v0, 0x80000000, v0
	v_lshl_add_u32 v0, v2, 23, v0
	s_delay_alu instid0(VALU_DEP_1) | instskip(NEXT) | instid1(VALU_DEP_1)
	v_lshl_or_b32 v0, v1, 21, v0
                                        ; implicit-def: $vgpr1
	v_add_nc_u32_e32 v2, 0x38000000, v0
                                        ; implicit-def: $vgpr0
.LBB6_19873:                            ;   in Loop: Header=BB6_19757 Depth=3
	s_and_not1_saveexec_b32 s15, s15
; %bb.19874:                            ;   in Loop: Header=BB6_19757 Depth=3
	v_cmp_lt_i16_e32 vcc_lo, -1, v0
	v_mov_b32_e32 v0, 0x7f800000
	s_delay_alu instid0(VALU_DEP_1) | instskip(SKIP_1) | instid1(VALU_DEP_2)
	v_cndmask_b32_e32 v0, 0xff800000, v0, vcc_lo
	v_cmp_eq_u32_e32 vcc_lo, 0, v1
	v_cndmask_b32_e32 v2, 0x7f800001, v0, vcc_lo
; %bb.19875:                            ;   in Loop: Header=BB6_19757 Depth=3
	s_or_b32 exec_lo, exec_lo, s15
.LBB6_19876:                            ;   in Loop: Header=BB6_19757 Depth=3
	s_delay_alu instid0(SALU_CYCLE_1)
	s_or_b32 exec_lo, exec_lo, s14
.LBB6_19877:                            ;   in Loop: Header=BB6_19757 Depth=3
	s_delay_alu instid0(SALU_CYCLE_1) | instskip(NEXT) | instid1(VALU_DEP_1)
	s_or_b32 exec_lo, exec_lo, s13
	v_dual_mul_f32 v2, s74, v2 :: v_dual_mov_b32 v1, v113
                                        ; implicit-def: $vgpr34
	s_delay_alu instid0(VALU_DEP_1) | instskip(NEXT) | instid1(VALU_DEP_1)
	v_and_b32_e32 v0, 0x7f800000, v2
	v_cmp_ne_u64_e32 vcc_lo, 0x7f800000, v[0:1]
	v_and_b32_e32 v0, 0x7fffff, v2
	s_and_saveexec_b32 s13, vcc_lo
	s_delay_alu instid0(SALU_CYCLE_1)
	s_xor_b32 s14, exec_lo, s13
	s_cbranch_execz .LBB6_19895
; %bb.19878:                            ;   in Loop: Header=BB6_19757 Depth=3
	v_and_b32_e32 v4, 0x7fffffff, v2
	v_dual_mov_b32 v5, v113 :: v_dual_lshrrev_b32 v3, 24, v2
                                        ; implicit-def: $vgpr34
	s_delay_alu instid0(VALU_DEP_1) | instskip(NEXT) | instid1(VALU_DEP_2)
	v_cmp_gt_u64_e32 vcc_lo, 0x47600001, v[4:5]
	v_and_b32_e32 v4, 0x80, v3
	s_and_saveexec_b32 s13, vcc_lo
	s_delay_alu instid0(SALU_CYCLE_1)
	s_xor_b32 s15, exec_lo, s13
	s_cbranch_execz .LBB6_19892
; %bb.19879:                            ;   in Loop: Header=BB6_19757 Depth=3
	v_mov_b32_e32 v34, 0
	s_mov_b32 s75, exec_lo
	v_cmpx_ne_u32_e32 0, v2
	s_cbranch_execz .LBB6_19891
; %bb.19880:                            ;   in Loop: Header=BB6_19757 Depth=3
	v_bfe_u32 v5, v2, 23, 8
	v_or_b32_e32 v7, 0x800000, v0
	s_delay_alu instid0(VALU_DEP_2) | instskip(SKIP_1) | instid1(VALU_DEP_2)
	v_sub_nc_u32_e32 v2, 0x71, v5
	v_cmp_gt_u32_e32 vcc_lo, 0x72, v5
	v_cndmask_b32_e32 v2, 0, v2, vcc_lo
	v_cmp_eq_u32_e32 vcc_lo, 0, v5
	v_cndmask_b32_e32 v0, v7, v0, vcc_lo
	s_delay_alu instid0(VALU_DEP_3) | instskip(NEXT) | instid1(VALU_DEP_1)
	v_cndmask_b32_e64 v6, v2, 0x70, vcc_lo
	v_dual_add_nc_u32 v2, 21, v6 :: v_dual_add_nc_u32 v16, 20, v6
	s_delay_alu instid0(VALU_DEP_1) | instskip(NEXT) | instid1(VALU_DEP_2)
	v_lshlrev_b64_e64 v[2:3], v2, -1
	v_lshlrev_b64_e64 v[16:17], v16, 1
	s_delay_alu instid0(VALU_DEP_2) | instskip(SKIP_1) | instid1(VALU_DEP_4)
	v_bfi_b32 v2, v2, 0, v0
	v_lshrrev_b64 v[0:1], v6, v[0:1]
	v_bfi_b32 v3, v3, 0, 0
	s_delay_alu instid0(VALU_DEP_1) | instskip(NEXT) | instid1(VALU_DEP_3)
	v_cmp_eq_u64_e64 s13, v[2:3], v[16:17]
	v_mov_b64_e32 v[2:3], v[0:1]
	s_and_saveexec_b32 s76, s13
; %bb.19881:                            ;   in Loop: Header=BB6_19757 Depth=3
	v_bfe_u32 v2, v0, 21, 1
	v_mov_b32_e32 v3, v113
	s_delay_alu instid0(VALU_DEP_1) | instskip(NEXT) | instid1(VALU_DEP_1)
	v_add_nc_u64_e32 v[2:3], v[0:1], v[2:3]
	v_add_nc_u64_e32 v[2:3], -1, v[2:3]
; %bb.19882:                            ;   in Loop: Header=BB6_19757 Depth=3
	s_or_b32 exec_lo, exec_lo, s76
	v_add_nc_u32_e32 v1, 0xffffff81, v5
	v_lshrrev_b32_e32 v3, 23, v0
	s_mov_b32 s13, exec_lo
	s_delay_alu instid0(VALU_DEP_2) | instskip(NEXT) | instid1(VALU_DEP_1)
	v_cndmask_b32_e64 v1, v1, 0xffffff82, vcc_lo
	v_add3_u32 v3, v6, v1, v3
	v_and_b32_e32 v1, 0x1fffff, v2
                                        ; implicit-def: $vgpr2
	s_delay_alu instid0(VALU_DEP_1) | instskip(SKIP_1) | instid1(VALU_DEP_2)
	v_dual_add_nc_u32 v5, 14, v3 :: v_dual_add_nc_u32 v0, v1, v0
	v_mov_b32_e32 v1, v113
	v_cmpx_ne_u32_e32 0, v5
	s_xor_b32 s13, exec_lo, s13
; %bb.19883:                            ;   in Loop: Header=BB6_19757 Depth=3
	s_delay_alu instid0(VALU_DEP_2) | instskip(SKIP_2) | instid1(VALU_DEP_2)
	v_cmp_lt_u64_e32 vcc_lo, 0xffffff, v[0:1]
	v_add_nc_u32_e32 v2, 15, v3
	v_cndmask_b32_e64 v3, 0, 1, vcc_lo
	v_cndmask_b32_e32 v2, v5, v2, vcc_lo
	s_delay_alu instid0(VALU_DEP_2)
	v_lshrrev_b64 v[0:1], v3, v[0:1]
; %bb.19884:                            ;   in Loop: Header=BB6_19757 Depth=3
	s_and_not1_saveexec_b32 s13, s13
; %bb.19885:                            ;   in Loop: Header=BB6_19757 Depth=3
	s_delay_alu instid0(VALU_DEP_1)
	v_bfe_u32 v2, v0, 23, 1
; %bb.19886:                            ;   in Loop: Header=BB6_19757 Depth=3
	s_or_b32 exec_lo, exec_lo, s13
	s_delay_alu instid0(VALU_DEP_2) | instskip(NEXT) | instid1(VALU_DEP_2)
	v_lshrrev_b64 v[0:1], 21, v[0:1]
	v_cmp_gt_i32_e32 vcc_lo, 32, v2
	v_cmp_ne_u32_e64 s13, 0, v2
                                        ; implicit-def: $vgpr34
	s_delay_alu instid0(VALU_DEP_3) | instskip(NEXT) | instid1(VALU_DEP_1)
	v_dual_cndmask_b32 v1, 0, v1 :: v_dual_cndmask_b32 v0, 3, v0
	v_cmp_ne_u64_e32 vcc_lo, 0, v[0:1]
	s_or_b32 s13, s13, vcc_lo
	s_delay_alu instid0(SALU_CYCLE_1) | instskip(NEXT) | instid1(SALU_CYCLE_1)
	s_and_saveexec_b32 s76, s13
	s_xor_b32 s13, exec_lo, s76
; %bb.19887:                            ;   in Loop: Header=BB6_19757 Depth=3
	v_min_i32_e32 v1, 31, v2
	s_delay_alu instid0(VALU_DEP_1) | instskip(NEXT) | instid1(VALU_DEP_1)
	v_lshl_or_b32 v1, v1, 2, v4
                                        ; implicit-def: $vgpr4
	v_and_or_b32 v34, v0, 3, v1
; %bb.19888:                            ;   in Loop: Header=BB6_19757 Depth=3
	s_and_not1_saveexec_b32 s13, s13
; %bb.19889:                            ;   in Loop: Header=BB6_19757 Depth=3
	v_mov_b32_e32 v34, v4
; %bb.19890:                            ;   in Loop: Header=BB6_19757 Depth=3
	s_or_b32 exec_lo, exec_lo, s13
.LBB6_19891:                            ;   in Loop: Header=BB6_19757 Depth=3
	s_delay_alu instid0(SALU_CYCLE_1)
	s_or_b32 exec_lo, exec_lo, s75
                                        ; implicit-def: $vgpr4
.LBB6_19892:                            ;   in Loop: Header=BB6_19757 Depth=3
	s_and_not1_saveexec_b32 s13, s15
; %bb.19893:                            ;   in Loop: Header=BB6_19757 Depth=3
	v_or_b32_e32 v34, 0x7b, v4
; %bb.19894:                            ;   in Loop: Header=BB6_19757 Depth=3
	s_or_b32 exec_lo, exec_lo, s13
                                        ; implicit-def: $vgpr2
                                        ; implicit-def: $vgpr0_vgpr1
.LBB6_19895:                            ;   in Loop: Header=BB6_19757 Depth=3
	s_and_not1_saveexec_b32 s13, s14
	s_cbranch_execz .LBB6_19901
; %bb.19896:                            ;   in Loop: Header=BB6_19757 Depth=3
	s_mov_b32 s14, exec_lo
                                        ; implicit-def: $vgpr34
	v_cmpx_ne_u64_e32 0, v[0:1]
	s_xor_b32 s14, exec_lo, s14
; %bb.19897:                            ;   in Loop: Header=BB6_19757 Depth=3
	v_lshrrev_b32_e32 v0, 24, v2
                                        ; implicit-def: $vgpr2
	s_delay_alu instid0(VALU_DEP_1)
	v_or_b32_e32 v34, 0x7f, v0
; %bb.19898:                            ;   in Loop: Header=BB6_19757 Depth=3
	s_and_not1_saveexec_b32 s14, s14
; %bb.19899:                            ;   in Loop: Header=BB6_19757 Depth=3
	v_cmp_lt_i32_e32 vcc_lo, -1, v2
	v_cndmask_b32_e64 v34, -4, 0x7c, vcc_lo
; %bb.19900:                            ;   in Loop: Header=BB6_19757 Depth=3
	s_or_b32 exec_lo, exec_lo, s14
.LBB6_19901:                            ;   in Loop: Header=BB6_19757 Depth=3
	s_delay_alu instid0(SALU_CYCLE_1)
	s_or_b32 exec_lo, exec_lo, s13
	flat_load_i8 v0, v[8:9] offset:128 th:TH_LOAD_NT
	v_mov_b32_e32 v2, 0
	s_mov_b32 s13, exec_lo
	s_wait_loadcnt_dscnt 0x0
	s_wait_xcnt 0x0
	v_cmpx_ne_u16_e32 0, v0
	s_cbranch_execz .LBB6_19911
; %bb.19902:                            ;   in Loop: Header=BB6_19757 Depth=3
	v_bfrev_b32_e32 v2, 1
	s_mov_b32 s14, exec_lo
	v_cmpx_ne_u16_e32 0xff80, v0
	s_cbranch_execz .LBB6_19910
; %bb.19903:                            ;   in Loop: Header=BB6_19757 Depth=3
	v_and_b32_e32 v2, 0x7c, v0
	v_and_b32_e32 v1, 3, v0
	s_delay_alu instid0(VALU_DEP_2) | instskip(SKIP_1) | instid1(SALU_CYCLE_1)
	v_cmp_ne_u32_e32 vcc_lo, 0x7c, v2
                                        ; implicit-def: $vgpr2
	s_and_saveexec_b32 s15, vcc_lo
	s_xor_b32 s15, exec_lo, s15
	s_cbranch_execz .LBB6_19907
; %bb.19904:                            ;   in Loop: Header=BB6_19757 Depth=3
	v_and_b32_e32 v2, 0xff, v0
	s_mov_b32 s75, exec_lo
	s_delay_alu instid0(VALU_DEP_1) | instskip(NEXT) | instid1(VALU_DEP_1)
	v_bfe_u32 v2, v2, 2, 5
	v_cmpx_eq_u32_e32 0, v2
	s_cbranch_execz .LBB6_19906
; %bb.19905:                            ;   in Loop: Header=BB6_19757 Depth=3
	v_clz_i32_u32_e32 v1, v1
	s_delay_alu instid0(VALU_DEP_1) | instskip(SKIP_1) | instid1(VALU_DEP_2)
	v_min_u32_e32 v2, 32, v1
	v_mov_b32_e32 v1, v113
	v_subrev_nc_u32_e32 v3, 29, v2
	v_sub_nc_u32_e32 v2, 30, v2
	s_delay_alu instid0(VALU_DEP_2) | instskip(NEXT) | instid1(VALU_DEP_1)
	v_lshlrev_b64_e32 v[4:5], v3, v[0:1]
	v_and_b32_e32 v1, 3, v4
.LBB6_19906:                            ;   in Loop: Header=BB6_19757 Depth=3
	s_or_b32 exec_lo, exec_lo, s75
	v_bfe_i32 v0, v0, 0, 16
	s_delay_alu instid0(VALU_DEP_1) | instskip(NEXT) | instid1(VALU_DEP_1)
	v_and_b32_e32 v0, 0x80000000, v0
	v_lshl_add_u32 v0, v2, 23, v0
	s_delay_alu instid0(VALU_DEP_1) | instskip(NEXT) | instid1(VALU_DEP_1)
	v_lshl_or_b32 v0, v1, 21, v0
                                        ; implicit-def: $vgpr1
	v_add_nc_u32_e32 v2, 0x38000000, v0
                                        ; implicit-def: $vgpr0
.LBB6_19907:                            ;   in Loop: Header=BB6_19757 Depth=3
	s_and_not1_saveexec_b32 s15, s15
; %bb.19908:                            ;   in Loop: Header=BB6_19757 Depth=3
	v_cmp_lt_i16_e32 vcc_lo, -1, v0
	v_mov_b32_e32 v0, 0x7f800000
	s_delay_alu instid0(VALU_DEP_1) | instskip(SKIP_1) | instid1(VALU_DEP_2)
	v_cndmask_b32_e32 v0, 0xff800000, v0, vcc_lo
	v_cmp_eq_u32_e32 vcc_lo, 0, v1
	v_cndmask_b32_e32 v2, 0x7f800001, v0, vcc_lo
; %bb.19909:                            ;   in Loop: Header=BB6_19757 Depth=3
	s_or_b32 exec_lo, exec_lo, s15
.LBB6_19910:                            ;   in Loop: Header=BB6_19757 Depth=3
	s_delay_alu instid0(SALU_CYCLE_1)
	s_or_b32 exec_lo, exec_lo, s14
.LBB6_19911:                            ;   in Loop: Header=BB6_19757 Depth=3
	s_delay_alu instid0(SALU_CYCLE_1) | instskip(NEXT) | instid1(VALU_DEP_1)
	s_or_b32 exec_lo, exec_lo, s13
	v_dual_mul_f32 v2, s74, v2 :: v_dual_mov_b32 v1, v113
                                        ; implicit-def: $vgpr56
	s_delay_alu instid0(VALU_DEP_1) | instskip(NEXT) | instid1(VALU_DEP_1)
	v_and_b32_e32 v0, 0x7f800000, v2
	v_cmp_ne_u64_e32 vcc_lo, 0x7f800000, v[0:1]
	v_and_b32_e32 v0, 0x7fffff, v2
	s_and_saveexec_b32 s13, vcc_lo
	s_delay_alu instid0(SALU_CYCLE_1)
	s_xor_b32 s14, exec_lo, s13
	s_cbranch_execz .LBB6_19929
; %bb.19912:                            ;   in Loop: Header=BB6_19757 Depth=3
	v_and_b32_e32 v4, 0x7fffffff, v2
	v_dual_mov_b32 v5, v113 :: v_dual_lshrrev_b32 v3, 24, v2
                                        ; implicit-def: $vgpr56
	s_delay_alu instid0(VALU_DEP_1) | instskip(NEXT) | instid1(VALU_DEP_2)
	v_cmp_gt_u64_e32 vcc_lo, 0x47600001, v[4:5]
	v_and_b32_e32 v4, 0x80, v3
	s_and_saveexec_b32 s13, vcc_lo
	s_delay_alu instid0(SALU_CYCLE_1)
	s_xor_b32 s15, exec_lo, s13
	s_cbranch_execz .LBB6_19926
; %bb.19913:                            ;   in Loop: Header=BB6_19757 Depth=3
	v_mov_b32_e32 v56, 0
	s_mov_b32 s75, exec_lo
	v_cmpx_ne_u32_e32 0, v2
	s_cbranch_execz .LBB6_19925
; %bb.19914:                            ;   in Loop: Header=BB6_19757 Depth=3
	v_bfe_u32 v5, v2, 23, 8
	v_or_b32_e32 v7, 0x800000, v0
	s_delay_alu instid0(VALU_DEP_2) | instskip(SKIP_1) | instid1(VALU_DEP_2)
	v_sub_nc_u32_e32 v2, 0x71, v5
	v_cmp_gt_u32_e32 vcc_lo, 0x72, v5
	v_cndmask_b32_e32 v2, 0, v2, vcc_lo
	v_cmp_eq_u32_e32 vcc_lo, 0, v5
	v_cndmask_b32_e32 v0, v7, v0, vcc_lo
	s_delay_alu instid0(VALU_DEP_3) | instskip(NEXT) | instid1(VALU_DEP_1)
	v_cndmask_b32_e64 v6, v2, 0x70, vcc_lo
	v_dual_add_nc_u32 v2, 21, v6 :: v_dual_add_nc_u32 v16, 20, v6
	s_delay_alu instid0(VALU_DEP_1) | instskip(NEXT) | instid1(VALU_DEP_2)
	v_lshlrev_b64_e64 v[2:3], v2, -1
	v_lshlrev_b64_e64 v[16:17], v16, 1
	s_delay_alu instid0(VALU_DEP_2) | instskip(SKIP_1) | instid1(VALU_DEP_4)
	v_bfi_b32 v2, v2, 0, v0
	v_lshrrev_b64 v[0:1], v6, v[0:1]
	v_bfi_b32 v3, v3, 0, 0
	s_delay_alu instid0(VALU_DEP_1) | instskip(NEXT) | instid1(VALU_DEP_3)
	v_cmp_eq_u64_e64 s13, v[2:3], v[16:17]
	v_mov_b64_e32 v[2:3], v[0:1]
	s_and_saveexec_b32 s76, s13
; %bb.19915:                            ;   in Loop: Header=BB6_19757 Depth=3
	v_bfe_u32 v2, v0, 21, 1
	v_mov_b32_e32 v3, v113
	s_delay_alu instid0(VALU_DEP_1) | instskip(NEXT) | instid1(VALU_DEP_1)
	v_add_nc_u64_e32 v[2:3], v[0:1], v[2:3]
	v_add_nc_u64_e32 v[2:3], -1, v[2:3]
; %bb.19916:                            ;   in Loop: Header=BB6_19757 Depth=3
	s_or_b32 exec_lo, exec_lo, s76
	v_add_nc_u32_e32 v1, 0xffffff81, v5
	v_lshrrev_b32_e32 v3, 23, v0
	s_mov_b32 s13, exec_lo
	s_delay_alu instid0(VALU_DEP_2) | instskip(NEXT) | instid1(VALU_DEP_1)
	v_cndmask_b32_e64 v1, v1, 0xffffff82, vcc_lo
	v_add3_u32 v3, v6, v1, v3
	v_and_b32_e32 v1, 0x1fffff, v2
                                        ; implicit-def: $vgpr2
	s_delay_alu instid0(VALU_DEP_1) | instskip(SKIP_1) | instid1(VALU_DEP_2)
	v_dual_add_nc_u32 v5, 14, v3 :: v_dual_add_nc_u32 v0, v1, v0
	v_mov_b32_e32 v1, v113
	v_cmpx_ne_u32_e32 0, v5
	s_xor_b32 s13, exec_lo, s13
; %bb.19917:                            ;   in Loop: Header=BB6_19757 Depth=3
	s_delay_alu instid0(VALU_DEP_2) | instskip(SKIP_2) | instid1(VALU_DEP_2)
	v_cmp_lt_u64_e32 vcc_lo, 0xffffff, v[0:1]
	v_add_nc_u32_e32 v2, 15, v3
	v_cndmask_b32_e64 v3, 0, 1, vcc_lo
	v_cndmask_b32_e32 v2, v5, v2, vcc_lo
	s_delay_alu instid0(VALU_DEP_2)
	v_lshrrev_b64 v[0:1], v3, v[0:1]
; %bb.19918:                            ;   in Loop: Header=BB6_19757 Depth=3
	s_and_not1_saveexec_b32 s13, s13
; %bb.19919:                            ;   in Loop: Header=BB6_19757 Depth=3
	s_delay_alu instid0(VALU_DEP_1)
	v_bfe_u32 v2, v0, 23, 1
; %bb.19920:                            ;   in Loop: Header=BB6_19757 Depth=3
	s_or_b32 exec_lo, exec_lo, s13
	s_delay_alu instid0(VALU_DEP_2) | instskip(NEXT) | instid1(VALU_DEP_2)
	v_lshrrev_b64 v[0:1], 21, v[0:1]
	v_cmp_gt_i32_e32 vcc_lo, 32, v2
	v_cmp_ne_u32_e64 s13, 0, v2
                                        ; implicit-def: $vgpr56
	s_delay_alu instid0(VALU_DEP_3) | instskip(NEXT) | instid1(VALU_DEP_1)
	v_dual_cndmask_b32 v1, 0, v1 :: v_dual_cndmask_b32 v0, 3, v0
	v_cmp_ne_u64_e32 vcc_lo, 0, v[0:1]
	s_or_b32 s13, s13, vcc_lo
	s_delay_alu instid0(SALU_CYCLE_1) | instskip(NEXT) | instid1(SALU_CYCLE_1)
	s_and_saveexec_b32 s76, s13
	s_xor_b32 s13, exec_lo, s76
; %bb.19921:                            ;   in Loop: Header=BB6_19757 Depth=3
	v_min_i32_e32 v1, 31, v2
	s_delay_alu instid0(VALU_DEP_1) | instskip(NEXT) | instid1(VALU_DEP_1)
	v_lshl_or_b32 v1, v1, 2, v4
                                        ; implicit-def: $vgpr4
	v_and_or_b32 v56, v0, 3, v1
; %bb.19922:                            ;   in Loop: Header=BB6_19757 Depth=3
	s_and_not1_saveexec_b32 s13, s13
; %bb.19923:                            ;   in Loop: Header=BB6_19757 Depth=3
	v_mov_b32_e32 v56, v4
; %bb.19924:                            ;   in Loop: Header=BB6_19757 Depth=3
	s_or_b32 exec_lo, exec_lo, s13
.LBB6_19925:                            ;   in Loop: Header=BB6_19757 Depth=3
	s_delay_alu instid0(SALU_CYCLE_1)
	s_or_b32 exec_lo, exec_lo, s75
                                        ; implicit-def: $vgpr4
.LBB6_19926:                            ;   in Loop: Header=BB6_19757 Depth=3
	s_and_not1_saveexec_b32 s13, s15
; %bb.19927:                            ;   in Loop: Header=BB6_19757 Depth=3
	v_or_b32_e32 v56, 0x7b, v4
; %bb.19928:                            ;   in Loop: Header=BB6_19757 Depth=3
	s_or_b32 exec_lo, exec_lo, s13
                                        ; implicit-def: $vgpr2
                                        ; implicit-def: $vgpr0_vgpr1
.LBB6_19929:                            ;   in Loop: Header=BB6_19757 Depth=3
	s_and_not1_saveexec_b32 s13, s14
	s_cbranch_execz .LBB6_19935
; %bb.19930:                            ;   in Loop: Header=BB6_19757 Depth=3
	s_mov_b32 s14, exec_lo
                                        ; implicit-def: $vgpr56
	v_cmpx_ne_u64_e32 0, v[0:1]
	s_xor_b32 s14, exec_lo, s14
; %bb.19931:                            ;   in Loop: Header=BB6_19757 Depth=3
	v_lshrrev_b32_e32 v0, 24, v2
                                        ; implicit-def: $vgpr2
	s_delay_alu instid0(VALU_DEP_1)
	v_or_b32_e32 v56, 0x7f, v0
; %bb.19932:                            ;   in Loop: Header=BB6_19757 Depth=3
	s_and_not1_saveexec_b32 s14, s14
; %bb.19933:                            ;   in Loop: Header=BB6_19757 Depth=3
	v_cmp_lt_i32_e32 vcc_lo, -1, v2
	v_cndmask_b32_e64 v56, -4, 0x7c, vcc_lo
; %bb.19934:                            ;   in Loop: Header=BB6_19757 Depth=3
	s_or_b32 exec_lo, exec_lo, s14
.LBB6_19935:                            ;   in Loop: Header=BB6_19757 Depth=3
	s_delay_alu instid0(SALU_CYCLE_1)
	s_or_b32 exec_lo, exec_lo, s13
	flat_load_i8 v0, v[8:9] offset:160 th:TH_LOAD_NT
	v_mov_b32_e32 v2, 0
	s_mov_b32 s13, exec_lo
	s_wait_loadcnt_dscnt 0x0
	s_wait_xcnt 0x0
	v_cmpx_ne_u16_e32 0, v0
	s_cbranch_execz .LBB6_19945
; %bb.19936:                            ;   in Loop: Header=BB6_19757 Depth=3
	v_bfrev_b32_e32 v2, 1
	s_mov_b32 s14, exec_lo
	v_cmpx_ne_u16_e32 0xff80, v0
	s_cbranch_execz .LBB6_19944
; %bb.19937:                            ;   in Loop: Header=BB6_19757 Depth=3
	v_and_b32_e32 v2, 0x7c, v0
	v_and_b32_e32 v1, 3, v0
	s_delay_alu instid0(VALU_DEP_2) | instskip(SKIP_1) | instid1(SALU_CYCLE_1)
	v_cmp_ne_u32_e32 vcc_lo, 0x7c, v2
                                        ; implicit-def: $vgpr2
	s_and_saveexec_b32 s15, vcc_lo
	s_xor_b32 s15, exec_lo, s15
	s_cbranch_execz .LBB6_19941
; %bb.19938:                            ;   in Loop: Header=BB6_19757 Depth=3
	v_and_b32_e32 v2, 0xff, v0
	s_mov_b32 s75, exec_lo
	s_delay_alu instid0(VALU_DEP_1) | instskip(NEXT) | instid1(VALU_DEP_1)
	v_bfe_u32 v2, v2, 2, 5
	v_cmpx_eq_u32_e32 0, v2
	s_cbranch_execz .LBB6_19940
; %bb.19939:                            ;   in Loop: Header=BB6_19757 Depth=3
	v_clz_i32_u32_e32 v1, v1
	s_delay_alu instid0(VALU_DEP_1) | instskip(SKIP_1) | instid1(VALU_DEP_2)
	v_min_u32_e32 v2, 32, v1
	v_mov_b32_e32 v1, v113
	v_subrev_nc_u32_e32 v3, 29, v2
	v_sub_nc_u32_e32 v2, 30, v2
	s_delay_alu instid0(VALU_DEP_2) | instskip(NEXT) | instid1(VALU_DEP_1)
	v_lshlrev_b64_e32 v[4:5], v3, v[0:1]
	v_and_b32_e32 v1, 3, v4
.LBB6_19940:                            ;   in Loop: Header=BB6_19757 Depth=3
	s_or_b32 exec_lo, exec_lo, s75
	v_bfe_i32 v0, v0, 0, 16
	s_delay_alu instid0(VALU_DEP_1) | instskip(NEXT) | instid1(VALU_DEP_1)
	v_and_b32_e32 v0, 0x80000000, v0
	v_lshl_add_u32 v0, v2, 23, v0
	s_delay_alu instid0(VALU_DEP_1) | instskip(NEXT) | instid1(VALU_DEP_1)
	v_lshl_or_b32 v0, v1, 21, v0
                                        ; implicit-def: $vgpr1
	v_add_nc_u32_e32 v2, 0x38000000, v0
                                        ; implicit-def: $vgpr0
.LBB6_19941:                            ;   in Loop: Header=BB6_19757 Depth=3
	s_and_not1_saveexec_b32 s15, s15
; %bb.19942:                            ;   in Loop: Header=BB6_19757 Depth=3
	v_cmp_lt_i16_e32 vcc_lo, -1, v0
	v_mov_b32_e32 v0, 0x7f800000
	s_delay_alu instid0(VALU_DEP_1) | instskip(SKIP_1) | instid1(VALU_DEP_2)
	v_cndmask_b32_e32 v0, 0xff800000, v0, vcc_lo
	v_cmp_eq_u32_e32 vcc_lo, 0, v1
	v_cndmask_b32_e32 v2, 0x7f800001, v0, vcc_lo
; %bb.19943:                            ;   in Loop: Header=BB6_19757 Depth=3
	s_or_b32 exec_lo, exec_lo, s15
.LBB6_19944:                            ;   in Loop: Header=BB6_19757 Depth=3
	s_delay_alu instid0(SALU_CYCLE_1)
	s_or_b32 exec_lo, exec_lo, s14
.LBB6_19945:                            ;   in Loop: Header=BB6_19757 Depth=3
	s_delay_alu instid0(SALU_CYCLE_1) | instskip(NEXT) | instid1(VALU_DEP_1)
	s_or_b32 exec_lo, exec_lo, s13
	v_dual_mul_f32 v2, s74, v2 :: v_dual_mov_b32 v1, v113
                                        ; implicit-def: $vgpr40
	s_delay_alu instid0(VALU_DEP_1) | instskip(NEXT) | instid1(VALU_DEP_1)
	v_and_b32_e32 v0, 0x7f800000, v2
	v_cmp_ne_u64_e32 vcc_lo, 0x7f800000, v[0:1]
	v_and_b32_e32 v0, 0x7fffff, v2
	s_and_saveexec_b32 s13, vcc_lo
	s_delay_alu instid0(SALU_CYCLE_1)
	s_xor_b32 s14, exec_lo, s13
	s_cbranch_execz .LBB6_19963
; %bb.19946:                            ;   in Loop: Header=BB6_19757 Depth=3
	v_and_b32_e32 v4, 0x7fffffff, v2
	v_dual_mov_b32 v5, v113 :: v_dual_lshrrev_b32 v3, 24, v2
                                        ; implicit-def: $vgpr40
	s_delay_alu instid0(VALU_DEP_1) | instskip(NEXT) | instid1(VALU_DEP_2)
	v_cmp_gt_u64_e32 vcc_lo, 0x47600001, v[4:5]
	v_and_b32_e32 v4, 0x80, v3
	s_and_saveexec_b32 s13, vcc_lo
	s_delay_alu instid0(SALU_CYCLE_1)
	s_xor_b32 s15, exec_lo, s13
	s_cbranch_execz .LBB6_19960
; %bb.19947:                            ;   in Loop: Header=BB6_19757 Depth=3
	v_mov_b32_e32 v40, 0
	s_mov_b32 s75, exec_lo
	v_cmpx_ne_u32_e32 0, v2
	s_cbranch_execz .LBB6_19959
; %bb.19948:                            ;   in Loop: Header=BB6_19757 Depth=3
	v_bfe_u32 v5, v2, 23, 8
	v_or_b32_e32 v7, 0x800000, v0
	s_delay_alu instid0(VALU_DEP_2) | instskip(SKIP_1) | instid1(VALU_DEP_2)
	v_sub_nc_u32_e32 v2, 0x71, v5
	v_cmp_gt_u32_e32 vcc_lo, 0x72, v5
	v_cndmask_b32_e32 v2, 0, v2, vcc_lo
	v_cmp_eq_u32_e32 vcc_lo, 0, v5
	v_cndmask_b32_e32 v0, v7, v0, vcc_lo
	s_delay_alu instid0(VALU_DEP_3) | instskip(NEXT) | instid1(VALU_DEP_1)
	v_cndmask_b32_e64 v6, v2, 0x70, vcc_lo
	v_dual_add_nc_u32 v2, 21, v6 :: v_dual_add_nc_u32 v16, 20, v6
	s_delay_alu instid0(VALU_DEP_1) | instskip(NEXT) | instid1(VALU_DEP_2)
	v_lshlrev_b64_e64 v[2:3], v2, -1
	v_lshlrev_b64_e64 v[16:17], v16, 1
	s_delay_alu instid0(VALU_DEP_2) | instskip(SKIP_1) | instid1(VALU_DEP_4)
	v_bfi_b32 v2, v2, 0, v0
	v_lshrrev_b64 v[0:1], v6, v[0:1]
	v_bfi_b32 v3, v3, 0, 0
	s_delay_alu instid0(VALU_DEP_1) | instskip(NEXT) | instid1(VALU_DEP_3)
	v_cmp_eq_u64_e64 s13, v[2:3], v[16:17]
	v_mov_b64_e32 v[2:3], v[0:1]
	s_and_saveexec_b32 s76, s13
; %bb.19949:                            ;   in Loop: Header=BB6_19757 Depth=3
	v_bfe_u32 v2, v0, 21, 1
	v_mov_b32_e32 v3, v113
	s_delay_alu instid0(VALU_DEP_1) | instskip(NEXT) | instid1(VALU_DEP_1)
	v_add_nc_u64_e32 v[2:3], v[0:1], v[2:3]
	v_add_nc_u64_e32 v[2:3], -1, v[2:3]
; %bb.19950:                            ;   in Loop: Header=BB6_19757 Depth=3
	s_or_b32 exec_lo, exec_lo, s76
	v_add_nc_u32_e32 v1, 0xffffff81, v5
	v_lshrrev_b32_e32 v3, 23, v0
	s_mov_b32 s13, exec_lo
	s_delay_alu instid0(VALU_DEP_2) | instskip(NEXT) | instid1(VALU_DEP_1)
	v_cndmask_b32_e64 v1, v1, 0xffffff82, vcc_lo
	v_add3_u32 v3, v6, v1, v3
	v_and_b32_e32 v1, 0x1fffff, v2
                                        ; implicit-def: $vgpr2
	s_delay_alu instid0(VALU_DEP_1) | instskip(SKIP_1) | instid1(VALU_DEP_2)
	v_dual_add_nc_u32 v5, 14, v3 :: v_dual_add_nc_u32 v0, v1, v0
	v_mov_b32_e32 v1, v113
	v_cmpx_ne_u32_e32 0, v5
	s_xor_b32 s13, exec_lo, s13
; %bb.19951:                            ;   in Loop: Header=BB6_19757 Depth=3
	s_delay_alu instid0(VALU_DEP_2) | instskip(SKIP_2) | instid1(VALU_DEP_2)
	v_cmp_lt_u64_e32 vcc_lo, 0xffffff, v[0:1]
	v_add_nc_u32_e32 v2, 15, v3
	v_cndmask_b32_e64 v3, 0, 1, vcc_lo
	v_cndmask_b32_e32 v2, v5, v2, vcc_lo
	s_delay_alu instid0(VALU_DEP_2)
	v_lshrrev_b64 v[0:1], v3, v[0:1]
; %bb.19952:                            ;   in Loop: Header=BB6_19757 Depth=3
	s_and_not1_saveexec_b32 s13, s13
; %bb.19953:                            ;   in Loop: Header=BB6_19757 Depth=3
	s_delay_alu instid0(VALU_DEP_1)
	v_bfe_u32 v2, v0, 23, 1
; %bb.19954:                            ;   in Loop: Header=BB6_19757 Depth=3
	s_or_b32 exec_lo, exec_lo, s13
	s_delay_alu instid0(VALU_DEP_2) | instskip(NEXT) | instid1(VALU_DEP_2)
	v_lshrrev_b64 v[0:1], 21, v[0:1]
	v_cmp_gt_i32_e32 vcc_lo, 32, v2
	v_cmp_ne_u32_e64 s13, 0, v2
                                        ; implicit-def: $vgpr40
	s_delay_alu instid0(VALU_DEP_3) | instskip(NEXT) | instid1(VALU_DEP_1)
	v_dual_cndmask_b32 v1, 0, v1 :: v_dual_cndmask_b32 v0, 3, v0
	v_cmp_ne_u64_e32 vcc_lo, 0, v[0:1]
	s_or_b32 s13, s13, vcc_lo
	s_delay_alu instid0(SALU_CYCLE_1) | instskip(NEXT) | instid1(SALU_CYCLE_1)
	s_and_saveexec_b32 s76, s13
	s_xor_b32 s13, exec_lo, s76
; %bb.19955:                            ;   in Loop: Header=BB6_19757 Depth=3
	v_min_i32_e32 v1, 31, v2
	s_delay_alu instid0(VALU_DEP_1) | instskip(NEXT) | instid1(VALU_DEP_1)
	v_lshl_or_b32 v1, v1, 2, v4
                                        ; implicit-def: $vgpr4
	v_and_or_b32 v40, v0, 3, v1
; %bb.19956:                            ;   in Loop: Header=BB6_19757 Depth=3
	s_and_not1_saveexec_b32 s13, s13
; %bb.19957:                            ;   in Loop: Header=BB6_19757 Depth=3
	v_mov_b32_e32 v40, v4
; %bb.19958:                            ;   in Loop: Header=BB6_19757 Depth=3
	s_or_b32 exec_lo, exec_lo, s13
.LBB6_19959:                            ;   in Loop: Header=BB6_19757 Depth=3
	s_delay_alu instid0(SALU_CYCLE_1)
	s_or_b32 exec_lo, exec_lo, s75
                                        ; implicit-def: $vgpr4
.LBB6_19960:                            ;   in Loop: Header=BB6_19757 Depth=3
	s_and_not1_saveexec_b32 s13, s15
; %bb.19961:                            ;   in Loop: Header=BB6_19757 Depth=3
	v_or_b32_e32 v40, 0x7b, v4
; %bb.19962:                            ;   in Loop: Header=BB6_19757 Depth=3
	s_or_b32 exec_lo, exec_lo, s13
                                        ; implicit-def: $vgpr2
                                        ; implicit-def: $vgpr0_vgpr1
.LBB6_19963:                            ;   in Loop: Header=BB6_19757 Depth=3
	s_and_not1_saveexec_b32 s13, s14
	s_cbranch_execz .LBB6_19969
; %bb.19964:                            ;   in Loop: Header=BB6_19757 Depth=3
	s_mov_b32 s14, exec_lo
                                        ; implicit-def: $vgpr40
	v_cmpx_ne_u64_e32 0, v[0:1]
	s_xor_b32 s14, exec_lo, s14
; %bb.19965:                            ;   in Loop: Header=BB6_19757 Depth=3
	v_lshrrev_b32_e32 v0, 24, v2
                                        ; implicit-def: $vgpr2
	s_delay_alu instid0(VALU_DEP_1)
	v_or_b32_e32 v40, 0x7f, v0
; %bb.19966:                            ;   in Loop: Header=BB6_19757 Depth=3
	s_and_not1_saveexec_b32 s14, s14
; %bb.19967:                            ;   in Loop: Header=BB6_19757 Depth=3
	v_cmp_lt_i32_e32 vcc_lo, -1, v2
	v_cndmask_b32_e64 v40, -4, 0x7c, vcc_lo
; %bb.19968:                            ;   in Loop: Header=BB6_19757 Depth=3
	s_or_b32 exec_lo, exec_lo, s14
.LBB6_19969:                            ;   in Loop: Header=BB6_19757 Depth=3
	s_delay_alu instid0(SALU_CYCLE_1)
	s_or_b32 exec_lo, exec_lo, s13
	flat_load_i8 v0, v[8:9] offset:192 th:TH_LOAD_NT
	v_mov_b32_e32 v2, 0
	s_mov_b32 s13, exec_lo
	s_wait_loadcnt_dscnt 0x0
	s_wait_xcnt 0x0
	v_cmpx_ne_u16_e32 0, v0
	s_cbranch_execz .LBB6_19979
; %bb.19970:                            ;   in Loop: Header=BB6_19757 Depth=3
	v_bfrev_b32_e32 v2, 1
	s_mov_b32 s14, exec_lo
	v_cmpx_ne_u16_e32 0xff80, v0
	s_cbranch_execz .LBB6_19978
; %bb.19971:                            ;   in Loop: Header=BB6_19757 Depth=3
	v_and_b32_e32 v2, 0x7c, v0
	v_and_b32_e32 v1, 3, v0
	s_delay_alu instid0(VALU_DEP_2) | instskip(SKIP_1) | instid1(SALU_CYCLE_1)
	v_cmp_ne_u32_e32 vcc_lo, 0x7c, v2
                                        ; implicit-def: $vgpr2
	s_and_saveexec_b32 s15, vcc_lo
	s_xor_b32 s15, exec_lo, s15
	s_cbranch_execz .LBB6_19975
; %bb.19972:                            ;   in Loop: Header=BB6_19757 Depth=3
	v_and_b32_e32 v2, 0xff, v0
	s_mov_b32 s75, exec_lo
	s_delay_alu instid0(VALU_DEP_1) | instskip(NEXT) | instid1(VALU_DEP_1)
	v_bfe_u32 v2, v2, 2, 5
	v_cmpx_eq_u32_e32 0, v2
	s_cbranch_execz .LBB6_19974
; %bb.19973:                            ;   in Loop: Header=BB6_19757 Depth=3
	v_clz_i32_u32_e32 v1, v1
	s_delay_alu instid0(VALU_DEP_1) | instskip(SKIP_1) | instid1(VALU_DEP_2)
	v_min_u32_e32 v2, 32, v1
	v_mov_b32_e32 v1, v113
	v_subrev_nc_u32_e32 v3, 29, v2
	v_sub_nc_u32_e32 v2, 30, v2
	s_delay_alu instid0(VALU_DEP_2) | instskip(NEXT) | instid1(VALU_DEP_1)
	v_lshlrev_b64_e32 v[4:5], v3, v[0:1]
	v_and_b32_e32 v1, 3, v4
.LBB6_19974:                            ;   in Loop: Header=BB6_19757 Depth=3
	s_or_b32 exec_lo, exec_lo, s75
	v_bfe_i32 v0, v0, 0, 16
	s_delay_alu instid0(VALU_DEP_1) | instskip(NEXT) | instid1(VALU_DEP_1)
	v_and_b32_e32 v0, 0x80000000, v0
	v_lshl_add_u32 v0, v2, 23, v0
	s_delay_alu instid0(VALU_DEP_1) | instskip(NEXT) | instid1(VALU_DEP_1)
	v_lshl_or_b32 v0, v1, 21, v0
                                        ; implicit-def: $vgpr1
	v_add_nc_u32_e32 v2, 0x38000000, v0
                                        ; implicit-def: $vgpr0
.LBB6_19975:                            ;   in Loop: Header=BB6_19757 Depth=3
	s_and_not1_saveexec_b32 s15, s15
; %bb.19976:                            ;   in Loop: Header=BB6_19757 Depth=3
	v_cmp_lt_i16_e32 vcc_lo, -1, v0
	v_mov_b32_e32 v0, 0x7f800000
	s_delay_alu instid0(VALU_DEP_1) | instskip(SKIP_1) | instid1(VALU_DEP_2)
	v_cndmask_b32_e32 v0, 0xff800000, v0, vcc_lo
	v_cmp_eq_u32_e32 vcc_lo, 0, v1
	v_cndmask_b32_e32 v2, 0x7f800001, v0, vcc_lo
; %bb.19977:                            ;   in Loop: Header=BB6_19757 Depth=3
	s_or_b32 exec_lo, exec_lo, s15
.LBB6_19978:                            ;   in Loop: Header=BB6_19757 Depth=3
	s_delay_alu instid0(SALU_CYCLE_1)
	s_or_b32 exec_lo, exec_lo, s14
.LBB6_19979:                            ;   in Loop: Header=BB6_19757 Depth=3
	s_delay_alu instid0(SALU_CYCLE_1) | instskip(NEXT) | instid1(VALU_DEP_1)
	s_or_b32 exec_lo, exec_lo, s13
	v_dual_mul_f32 v2, s74, v2 :: v_dual_mov_b32 v1, v113
                                        ; implicit-def: $vgpr114
	s_delay_alu instid0(VALU_DEP_1) | instskip(NEXT) | instid1(VALU_DEP_1)
	v_and_b32_e32 v0, 0x7f800000, v2
	v_cmp_ne_u64_e32 vcc_lo, 0x7f800000, v[0:1]
	v_and_b32_e32 v0, 0x7fffff, v2
	s_and_saveexec_b32 s13, vcc_lo
	s_delay_alu instid0(SALU_CYCLE_1)
	s_xor_b32 s14, exec_lo, s13
	s_cbranch_execz .LBB6_19997
; %bb.19980:                            ;   in Loop: Header=BB6_19757 Depth=3
	v_and_b32_e32 v4, 0x7fffffff, v2
	v_dual_mov_b32 v5, v113 :: v_dual_lshrrev_b32 v3, 24, v2
                                        ; implicit-def: $vgpr114
	s_delay_alu instid0(VALU_DEP_1) | instskip(NEXT) | instid1(VALU_DEP_2)
	v_cmp_gt_u64_e32 vcc_lo, 0x47600001, v[4:5]
	v_and_b32_e32 v4, 0x80, v3
	s_and_saveexec_b32 s13, vcc_lo
	s_delay_alu instid0(SALU_CYCLE_1)
	s_xor_b32 s15, exec_lo, s13
	s_cbranch_execz .LBB6_19994
; %bb.19981:                            ;   in Loop: Header=BB6_19757 Depth=3
	v_mov_b32_e32 v114, 0
	s_mov_b32 s75, exec_lo
	v_cmpx_ne_u32_e32 0, v2
	s_cbranch_execz .LBB6_19993
; %bb.19982:                            ;   in Loop: Header=BB6_19757 Depth=3
	v_bfe_u32 v5, v2, 23, 8
	v_or_b32_e32 v7, 0x800000, v0
	s_delay_alu instid0(VALU_DEP_2) | instskip(SKIP_1) | instid1(VALU_DEP_2)
	v_sub_nc_u32_e32 v2, 0x71, v5
	v_cmp_gt_u32_e32 vcc_lo, 0x72, v5
	v_cndmask_b32_e32 v2, 0, v2, vcc_lo
	v_cmp_eq_u32_e32 vcc_lo, 0, v5
	v_cndmask_b32_e32 v0, v7, v0, vcc_lo
	s_delay_alu instid0(VALU_DEP_3) | instskip(NEXT) | instid1(VALU_DEP_1)
	v_cndmask_b32_e64 v6, v2, 0x70, vcc_lo
	v_dual_add_nc_u32 v2, 21, v6 :: v_dual_add_nc_u32 v16, 20, v6
	s_delay_alu instid0(VALU_DEP_1) | instskip(NEXT) | instid1(VALU_DEP_2)
	v_lshlrev_b64_e64 v[2:3], v2, -1
	v_lshlrev_b64_e64 v[16:17], v16, 1
	s_delay_alu instid0(VALU_DEP_2) | instskip(SKIP_1) | instid1(VALU_DEP_4)
	v_bfi_b32 v2, v2, 0, v0
	v_lshrrev_b64 v[0:1], v6, v[0:1]
	v_bfi_b32 v3, v3, 0, 0
	s_delay_alu instid0(VALU_DEP_1) | instskip(NEXT) | instid1(VALU_DEP_3)
	v_cmp_eq_u64_e64 s13, v[2:3], v[16:17]
	v_mov_b64_e32 v[2:3], v[0:1]
	s_and_saveexec_b32 s76, s13
; %bb.19983:                            ;   in Loop: Header=BB6_19757 Depth=3
	v_bfe_u32 v2, v0, 21, 1
	v_mov_b32_e32 v3, v113
	s_delay_alu instid0(VALU_DEP_1) | instskip(NEXT) | instid1(VALU_DEP_1)
	v_add_nc_u64_e32 v[2:3], v[0:1], v[2:3]
	v_add_nc_u64_e32 v[2:3], -1, v[2:3]
; %bb.19984:                            ;   in Loop: Header=BB6_19757 Depth=3
	s_or_b32 exec_lo, exec_lo, s76
	v_add_nc_u32_e32 v1, 0xffffff81, v5
	v_lshrrev_b32_e32 v3, 23, v0
	s_mov_b32 s13, exec_lo
	s_delay_alu instid0(VALU_DEP_2) | instskip(NEXT) | instid1(VALU_DEP_1)
	v_cndmask_b32_e64 v1, v1, 0xffffff82, vcc_lo
	v_add3_u32 v3, v6, v1, v3
	v_and_b32_e32 v1, 0x1fffff, v2
                                        ; implicit-def: $vgpr2
	s_delay_alu instid0(VALU_DEP_1) | instskip(SKIP_1) | instid1(VALU_DEP_2)
	v_dual_add_nc_u32 v5, 14, v3 :: v_dual_add_nc_u32 v0, v1, v0
	v_mov_b32_e32 v1, v113
	v_cmpx_ne_u32_e32 0, v5
	s_xor_b32 s13, exec_lo, s13
; %bb.19985:                            ;   in Loop: Header=BB6_19757 Depth=3
	s_delay_alu instid0(VALU_DEP_2) | instskip(SKIP_2) | instid1(VALU_DEP_2)
	v_cmp_lt_u64_e32 vcc_lo, 0xffffff, v[0:1]
	v_add_nc_u32_e32 v2, 15, v3
	v_cndmask_b32_e64 v3, 0, 1, vcc_lo
	v_cndmask_b32_e32 v2, v5, v2, vcc_lo
	s_delay_alu instid0(VALU_DEP_2)
	v_lshrrev_b64 v[0:1], v3, v[0:1]
; %bb.19986:                            ;   in Loop: Header=BB6_19757 Depth=3
	s_and_not1_saveexec_b32 s13, s13
; %bb.19987:                            ;   in Loop: Header=BB6_19757 Depth=3
	s_delay_alu instid0(VALU_DEP_1)
	v_bfe_u32 v2, v0, 23, 1
; %bb.19988:                            ;   in Loop: Header=BB6_19757 Depth=3
	s_or_b32 exec_lo, exec_lo, s13
	s_delay_alu instid0(VALU_DEP_2) | instskip(NEXT) | instid1(VALU_DEP_2)
	v_lshrrev_b64 v[0:1], 21, v[0:1]
	v_cmp_gt_i32_e32 vcc_lo, 32, v2
	v_cmp_ne_u32_e64 s13, 0, v2
                                        ; implicit-def: $vgpr114
	s_delay_alu instid0(VALU_DEP_3) | instskip(NEXT) | instid1(VALU_DEP_1)
	v_dual_cndmask_b32 v1, 0, v1 :: v_dual_cndmask_b32 v0, 3, v0
	v_cmp_ne_u64_e32 vcc_lo, 0, v[0:1]
	s_or_b32 s13, s13, vcc_lo
	s_delay_alu instid0(SALU_CYCLE_1) | instskip(NEXT) | instid1(SALU_CYCLE_1)
	s_and_saveexec_b32 s76, s13
	s_xor_b32 s13, exec_lo, s76
; %bb.19989:                            ;   in Loop: Header=BB6_19757 Depth=3
	v_min_i32_e32 v1, 31, v2
	s_delay_alu instid0(VALU_DEP_1) | instskip(NEXT) | instid1(VALU_DEP_1)
	v_lshl_or_b32 v1, v1, 2, v4
                                        ; implicit-def: $vgpr4
	v_and_or_b32 v114, v0, 3, v1
; %bb.19990:                            ;   in Loop: Header=BB6_19757 Depth=3
	s_and_not1_saveexec_b32 s13, s13
; %bb.19991:                            ;   in Loop: Header=BB6_19757 Depth=3
	v_mov_b32_e32 v114, v4
; %bb.19992:                            ;   in Loop: Header=BB6_19757 Depth=3
	s_or_b32 exec_lo, exec_lo, s13
.LBB6_19993:                            ;   in Loop: Header=BB6_19757 Depth=3
	s_delay_alu instid0(SALU_CYCLE_1)
	s_or_b32 exec_lo, exec_lo, s75
                                        ; implicit-def: $vgpr4
.LBB6_19994:                            ;   in Loop: Header=BB6_19757 Depth=3
	s_and_not1_saveexec_b32 s13, s15
; %bb.19995:                            ;   in Loop: Header=BB6_19757 Depth=3
	v_or_b32_e32 v114, 0x7b, v4
; %bb.19996:                            ;   in Loop: Header=BB6_19757 Depth=3
	s_or_b32 exec_lo, exec_lo, s13
                                        ; implicit-def: $vgpr2
                                        ; implicit-def: $vgpr0_vgpr1
.LBB6_19997:                            ;   in Loop: Header=BB6_19757 Depth=3
	s_and_not1_saveexec_b32 s13, s14
	s_cbranch_execz .LBB6_20003
; %bb.19998:                            ;   in Loop: Header=BB6_19757 Depth=3
	s_mov_b32 s14, exec_lo
                                        ; implicit-def: $vgpr114
	v_cmpx_ne_u64_e32 0, v[0:1]
	s_xor_b32 s14, exec_lo, s14
; %bb.19999:                            ;   in Loop: Header=BB6_19757 Depth=3
	v_lshrrev_b32_e32 v0, 24, v2
                                        ; implicit-def: $vgpr2
	s_delay_alu instid0(VALU_DEP_1)
	v_or_b32_e32 v114, 0x7f, v0
; %bb.20000:                            ;   in Loop: Header=BB6_19757 Depth=3
	s_and_not1_saveexec_b32 s14, s14
; %bb.20001:                            ;   in Loop: Header=BB6_19757 Depth=3
	v_cmp_lt_i32_e32 vcc_lo, -1, v2
	v_cndmask_b32_e64 v114, -4, 0x7c, vcc_lo
; %bb.20002:                            ;   in Loop: Header=BB6_19757 Depth=3
	s_or_b32 exec_lo, exec_lo, s14
.LBB6_20003:                            ;   in Loop: Header=BB6_19757 Depth=3
	s_delay_alu instid0(SALU_CYCLE_1)
	s_or_b32 exec_lo, exec_lo, s13
	flat_load_i8 v0, v[8:9] offset:224 th:TH_LOAD_NT
	v_mov_b32_e32 v2, 0
	s_mov_b32 s13, exec_lo
	s_wait_loadcnt_dscnt 0x0
	s_wait_xcnt 0x0
	v_cmpx_ne_u16_e32 0, v0
	s_cbranch_execz .LBB6_20013
; %bb.20004:                            ;   in Loop: Header=BB6_19757 Depth=3
	v_bfrev_b32_e32 v2, 1
	s_mov_b32 s14, exec_lo
	v_cmpx_ne_u16_e32 0xff80, v0
	s_cbranch_execz .LBB6_20012
; %bb.20005:                            ;   in Loop: Header=BB6_19757 Depth=3
	v_and_b32_e32 v2, 0x7c, v0
	v_and_b32_e32 v1, 3, v0
	s_delay_alu instid0(VALU_DEP_2) | instskip(SKIP_1) | instid1(SALU_CYCLE_1)
	v_cmp_ne_u32_e32 vcc_lo, 0x7c, v2
                                        ; implicit-def: $vgpr2
	s_and_saveexec_b32 s15, vcc_lo
	s_xor_b32 s15, exec_lo, s15
	s_cbranch_execz .LBB6_20009
; %bb.20006:                            ;   in Loop: Header=BB6_19757 Depth=3
	v_and_b32_e32 v2, 0xff, v0
	s_mov_b32 s75, exec_lo
	s_delay_alu instid0(VALU_DEP_1) | instskip(NEXT) | instid1(VALU_DEP_1)
	v_bfe_u32 v2, v2, 2, 5
	v_cmpx_eq_u32_e32 0, v2
	s_cbranch_execz .LBB6_20008
; %bb.20007:                            ;   in Loop: Header=BB6_19757 Depth=3
	v_clz_i32_u32_e32 v1, v1
	s_delay_alu instid0(VALU_DEP_1) | instskip(SKIP_1) | instid1(VALU_DEP_2)
	v_min_u32_e32 v2, 32, v1
	v_mov_b32_e32 v1, v113
	v_subrev_nc_u32_e32 v3, 29, v2
	v_sub_nc_u32_e32 v2, 30, v2
	s_delay_alu instid0(VALU_DEP_2) | instskip(NEXT) | instid1(VALU_DEP_1)
	v_lshlrev_b64_e32 v[4:5], v3, v[0:1]
	v_and_b32_e32 v1, 3, v4
.LBB6_20008:                            ;   in Loop: Header=BB6_19757 Depth=3
	s_or_b32 exec_lo, exec_lo, s75
	v_bfe_i32 v0, v0, 0, 16
	s_delay_alu instid0(VALU_DEP_1) | instskip(NEXT) | instid1(VALU_DEP_1)
	v_and_b32_e32 v0, 0x80000000, v0
	v_lshl_add_u32 v0, v2, 23, v0
	s_delay_alu instid0(VALU_DEP_1) | instskip(NEXT) | instid1(VALU_DEP_1)
	v_lshl_or_b32 v0, v1, 21, v0
                                        ; implicit-def: $vgpr1
	v_add_nc_u32_e32 v2, 0x38000000, v0
                                        ; implicit-def: $vgpr0
.LBB6_20009:                            ;   in Loop: Header=BB6_19757 Depth=3
	s_and_not1_saveexec_b32 s15, s15
; %bb.20010:                            ;   in Loop: Header=BB6_19757 Depth=3
	v_cmp_lt_i16_e32 vcc_lo, -1, v0
	v_mov_b32_e32 v0, 0x7f800000
	s_delay_alu instid0(VALU_DEP_1) | instskip(SKIP_1) | instid1(VALU_DEP_2)
	v_cndmask_b32_e32 v0, 0xff800000, v0, vcc_lo
	v_cmp_eq_u32_e32 vcc_lo, 0, v1
	v_cndmask_b32_e32 v2, 0x7f800001, v0, vcc_lo
; %bb.20011:                            ;   in Loop: Header=BB6_19757 Depth=3
	s_or_b32 exec_lo, exec_lo, s15
.LBB6_20012:                            ;   in Loop: Header=BB6_19757 Depth=3
	s_delay_alu instid0(SALU_CYCLE_1)
	s_or_b32 exec_lo, exec_lo, s14
.LBB6_20013:                            ;   in Loop: Header=BB6_19757 Depth=3
	s_delay_alu instid0(SALU_CYCLE_1) | instskip(NEXT) | instid1(VALU_DEP_1)
	s_or_b32 exec_lo, exec_lo, s13
	v_dual_mul_f32 v2, s74, v2 :: v_dual_mov_b32 v1, v113
                                        ; implicit-def: $vgpr58
	s_delay_alu instid0(VALU_DEP_1) | instskip(NEXT) | instid1(VALU_DEP_1)
	v_and_b32_e32 v0, 0x7f800000, v2
	v_cmp_ne_u64_e32 vcc_lo, 0x7f800000, v[0:1]
	v_and_b32_e32 v0, 0x7fffff, v2
	s_and_saveexec_b32 s13, vcc_lo
	s_delay_alu instid0(SALU_CYCLE_1)
	s_xor_b32 s14, exec_lo, s13
	s_cbranch_execz .LBB6_20031
; %bb.20014:                            ;   in Loop: Header=BB6_19757 Depth=3
	v_and_b32_e32 v4, 0x7fffffff, v2
	v_dual_mov_b32 v5, v113 :: v_dual_lshrrev_b32 v3, 24, v2
                                        ; implicit-def: $vgpr58
	s_delay_alu instid0(VALU_DEP_1) | instskip(NEXT) | instid1(VALU_DEP_2)
	v_cmp_gt_u64_e32 vcc_lo, 0x47600001, v[4:5]
	v_and_b32_e32 v4, 0x80, v3
	s_and_saveexec_b32 s13, vcc_lo
	s_delay_alu instid0(SALU_CYCLE_1)
	s_xor_b32 s15, exec_lo, s13
	s_cbranch_execz .LBB6_20028
; %bb.20015:                            ;   in Loop: Header=BB6_19757 Depth=3
	v_mov_b32_e32 v58, 0
	s_mov_b32 s75, exec_lo
	v_cmpx_ne_u32_e32 0, v2
	s_cbranch_execz .LBB6_20027
; %bb.20016:                            ;   in Loop: Header=BB6_19757 Depth=3
	v_bfe_u32 v5, v2, 23, 8
	v_or_b32_e32 v7, 0x800000, v0
	s_delay_alu instid0(VALU_DEP_2) | instskip(SKIP_1) | instid1(VALU_DEP_2)
	v_sub_nc_u32_e32 v2, 0x71, v5
	v_cmp_gt_u32_e32 vcc_lo, 0x72, v5
	v_cndmask_b32_e32 v2, 0, v2, vcc_lo
	v_cmp_eq_u32_e32 vcc_lo, 0, v5
	v_cndmask_b32_e32 v0, v7, v0, vcc_lo
	s_delay_alu instid0(VALU_DEP_3) | instskip(NEXT) | instid1(VALU_DEP_1)
	v_cndmask_b32_e64 v6, v2, 0x70, vcc_lo
	v_dual_add_nc_u32 v2, 21, v6 :: v_dual_add_nc_u32 v16, 20, v6
	s_delay_alu instid0(VALU_DEP_1) | instskip(NEXT) | instid1(VALU_DEP_2)
	v_lshlrev_b64_e64 v[2:3], v2, -1
	v_lshlrev_b64_e64 v[16:17], v16, 1
	s_delay_alu instid0(VALU_DEP_2) | instskip(SKIP_1) | instid1(VALU_DEP_4)
	v_bfi_b32 v2, v2, 0, v0
	v_lshrrev_b64 v[0:1], v6, v[0:1]
	v_bfi_b32 v3, v3, 0, 0
	s_delay_alu instid0(VALU_DEP_1) | instskip(NEXT) | instid1(VALU_DEP_3)
	v_cmp_eq_u64_e64 s13, v[2:3], v[16:17]
	v_mov_b64_e32 v[2:3], v[0:1]
	s_and_saveexec_b32 s76, s13
; %bb.20017:                            ;   in Loop: Header=BB6_19757 Depth=3
	v_bfe_u32 v2, v0, 21, 1
	v_mov_b32_e32 v3, v113
	s_delay_alu instid0(VALU_DEP_1) | instskip(NEXT) | instid1(VALU_DEP_1)
	v_add_nc_u64_e32 v[2:3], v[0:1], v[2:3]
	v_add_nc_u64_e32 v[2:3], -1, v[2:3]
; %bb.20018:                            ;   in Loop: Header=BB6_19757 Depth=3
	s_or_b32 exec_lo, exec_lo, s76
	v_add_nc_u32_e32 v1, 0xffffff81, v5
	v_lshrrev_b32_e32 v3, 23, v0
	s_mov_b32 s13, exec_lo
	s_delay_alu instid0(VALU_DEP_2) | instskip(NEXT) | instid1(VALU_DEP_1)
	v_cndmask_b32_e64 v1, v1, 0xffffff82, vcc_lo
	v_add3_u32 v3, v6, v1, v3
	v_and_b32_e32 v1, 0x1fffff, v2
                                        ; implicit-def: $vgpr2
	s_delay_alu instid0(VALU_DEP_1) | instskip(SKIP_1) | instid1(VALU_DEP_2)
	v_dual_add_nc_u32 v5, 14, v3 :: v_dual_add_nc_u32 v0, v1, v0
	v_mov_b32_e32 v1, v113
	v_cmpx_ne_u32_e32 0, v5
	s_xor_b32 s13, exec_lo, s13
; %bb.20019:                            ;   in Loop: Header=BB6_19757 Depth=3
	s_delay_alu instid0(VALU_DEP_2) | instskip(SKIP_2) | instid1(VALU_DEP_2)
	v_cmp_lt_u64_e32 vcc_lo, 0xffffff, v[0:1]
	v_add_nc_u32_e32 v2, 15, v3
	v_cndmask_b32_e64 v3, 0, 1, vcc_lo
	v_cndmask_b32_e32 v2, v5, v2, vcc_lo
	s_delay_alu instid0(VALU_DEP_2)
	v_lshrrev_b64 v[0:1], v3, v[0:1]
; %bb.20020:                            ;   in Loop: Header=BB6_19757 Depth=3
	s_and_not1_saveexec_b32 s13, s13
; %bb.20021:                            ;   in Loop: Header=BB6_19757 Depth=3
	s_delay_alu instid0(VALU_DEP_1)
	v_bfe_u32 v2, v0, 23, 1
; %bb.20022:                            ;   in Loop: Header=BB6_19757 Depth=3
	s_or_b32 exec_lo, exec_lo, s13
	s_delay_alu instid0(VALU_DEP_2) | instskip(NEXT) | instid1(VALU_DEP_2)
	v_lshrrev_b64 v[0:1], 21, v[0:1]
	v_cmp_gt_i32_e32 vcc_lo, 32, v2
	v_cmp_ne_u32_e64 s13, 0, v2
                                        ; implicit-def: $vgpr58
	s_delay_alu instid0(VALU_DEP_3) | instskip(NEXT) | instid1(VALU_DEP_1)
	v_dual_cndmask_b32 v1, 0, v1 :: v_dual_cndmask_b32 v0, 3, v0
	v_cmp_ne_u64_e32 vcc_lo, 0, v[0:1]
	s_or_b32 s13, s13, vcc_lo
	s_delay_alu instid0(SALU_CYCLE_1) | instskip(NEXT) | instid1(SALU_CYCLE_1)
	s_and_saveexec_b32 s76, s13
	s_xor_b32 s13, exec_lo, s76
; %bb.20023:                            ;   in Loop: Header=BB6_19757 Depth=3
	v_min_i32_e32 v1, 31, v2
	s_delay_alu instid0(VALU_DEP_1) | instskip(NEXT) | instid1(VALU_DEP_1)
	v_lshl_or_b32 v1, v1, 2, v4
                                        ; implicit-def: $vgpr4
	v_and_or_b32 v58, v0, 3, v1
; %bb.20024:                            ;   in Loop: Header=BB6_19757 Depth=3
	s_and_not1_saveexec_b32 s13, s13
; %bb.20025:                            ;   in Loop: Header=BB6_19757 Depth=3
	v_mov_b32_e32 v58, v4
; %bb.20026:                            ;   in Loop: Header=BB6_19757 Depth=3
	s_or_b32 exec_lo, exec_lo, s13
.LBB6_20027:                            ;   in Loop: Header=BB6_19757 Depth=3
	s_delay_alu instid0(SALU_CYCLE_1)
	s_or_b32 exec_lo, exec_lo, s75
                                        ; implicit-def: $vgpr4
.LBB6_20028:                            ;   in Loop: Header=BB6_19757 Depth=3
	s_and_not1_saveexec_b32 s13, s15
; %bb.20029:                            ;   in Loop: Header=BB6_19757 Depth=3
	v_or_b32_e32 v58, 0x7b, v4
; %bb.20030:                            ;   in Loop: Header=BB6_19757 Depth=3
	s_or_b32 exec_lo, exec_lo, s13
                                        ; implicit-def: $vgpr2
                                        ; implicit-def: $vgpr0_vgpr1
.LBB6_20031:                            ;   in Loop: Header=BB6_19757 Depth=3
	s_and_not1_saveexec_b32 s13, s14
	s_cbranch_execz .LBB6_20037
; %bb.20032:                            ;   in Loop: Header=BB6_19757 Depth=3
	s_mov_b32 s14, exec_lo
                                        ; implicit-def: $vgpr58
	v_cmpx_ne_u64_e32 0, v[0:1]
	s_xor_b32 s14, exec_lo, s14
; %bb.20033:                            ;   in Loop: Header=BB6_19757 Depth=3
	v_lshrrev_b32_e32 v0, 24, v2
                                        ; implicit-def: $vgpr2
	s_delay_alu instid0(VALU_DEP_1)
	v_or_b32_e32 v58, 0x7f, v0
; %bb.20034:                            ;   in Loop: Header=BB6_19757 Depth=3
	s_and_not1_saveexec_b32 s14, s14
; %bb.20035:                            ;   in Loop: Header=BB6_19757 Depth=3
	v_cmp_lt_i32_e32 vcc_lo, -1, v2
	v_cndmask_b32_e64 v58, -4, 0x7c, vcc_lo
; %bb.20036:                            ;   in Loop: Header=BB6_19757 Depth=3
	s_or_b32 exec_lo, exec_lo, s14
.LBB6_20037:                            ;   in Loop: Header=BB6_19757 Depth=3
	s_delay_alu instid0(SALU_CYCLE_1)
	s_or_b32 exec_lo, exec_lo, s13
	flat_load_i8 v0, v[8:9] offset:256 th:TH_LOAD_NT
	v_mov_b32_e32 v2, 0
	s_mov_b32 s13, exec_lo
	s_wait_loadcnt_dscnt 0x0
	s_wait_xcnt 0x0
	v_cmpx_ne_u16_e32 0, v0
	s_cbranch_execz .LBB6_20047
; %bb.20038:                            ;   in Loop: Header=BB6_19757 Depth=3
	v_bfrev_b32_e32 v2, 1
	s_mov_b32 s14, exec_lo
	v_cmpx_ne_u16_e32 0xff80, v0
	s_cbranch_execz .LBB6_20046
; %bb.20039:                            ;   in Loop: Header=BB6_19757 Depth=3
	v_and_b32_e32 v2, 0x7c, v0
	v_and_b32_e32 v1, 3, v0
	s_delay_alu instid0(VALU_DEP_2) | instskip(SKIP_1) | instid1(SALU_CYCLE_1)
	v_cmp_ne_u32_e32 vcc_lo, 0x7c, v2
                                        ; implicit-def: $vgpr2
	s_and_saveexec_b32 s15, vcc_lo
	s_xor_b32 s15, exec_lo, s15
	s_cbranch_execz .LBB6_20043
; %bb.20040:                            ;   in Loop: Header=BB6_19757 Depth=3
	v_and_b32_e32 v2, 0xff, v0
	s_mov_b32 s75, exec_lo
	s_delay_alu instid0(VALU_DEP_1) | instskip(NEXT) | instid1(VALU_DEP_1)
	v_bfe_u32 v2, v2, 2, 5
	v_cmpx_eq_u32_e32 0, v2
	s_cbranch_execz .LBB6_20042
; %bb.20041:                            ;   in Loop: Header=BB6_19757 Depth=3
	v_clz_i32_u32_e32 v1, v1
	s_delay_alu instid0(VALU_DEP_1) | instskip(SKIP_1) | instid1(VALU_DEP_2)
	v_min_u32_e32 v2, 32, v1
	v_mov_b32_e32 v1, v113
	v_subrev_nc_u32_e32 v3, 29, v2
	v_sub_nc_u32_e32 v2, 30, v2
	s_delay_alu instid0(VALU_DEP_2) | instskip(NEXT) | instid1(VALU_DEP_1)
	v_lshlrev_b64_e32 v[4:5], v3, v[0:1]
	v_and_b32_e32 v1, 3, v4
.LBB6_20042:                            ;   in Loop: Header=BB6_19757 Depth=3
	s_or_b32 exec_lo, exec_lo, s75
	v_bfe_i32 v0, v0, 0, 16
	s_delay_alu instid0(VALU_DEP_1) | instskip(NEXT) | instid1(VALU_DEP_1)
	v_and_b32_e32 v0, 0x80000000, v0
	v_lshl_add_u32 v0, v2, 23, v0
	s_delay_alu instid0(VALU_DEP_1) | instskip(NEXT) | instid1(VALU_DEP_1)
	v_lshl_or_b32 v0, v1, 21, v0
                                        ; implicit-def: $vgpr1
	v_add_nc_u32_e32 v2, 0x38000000, v0
                                        ; implicit-def: $vgpr0
.LBB6_20043:                            ;   in Loop: Header=BB6_19757 Depth=3
	s_and_not1_saveexec_b32 s15, s15
; %bb.20044:                            ;   in Loop: Header=BB6_19757 Depth=3
	v_cmp_lt_i16_e32 vcc_lo, -1, v0
	v_mov_b32_e32 v0, 0x7f800000
	s_delay_alu instid0(VALU_DEP_1) | instskip(SKIP_1) | instid1(VALU_DEP_2)
	v_cndmask_b32_e32 v0, 0xff800000, v0, vcc_lo
	v_cmp_eq_u32_e32 vcc_lo, 0, v1
	v_cndmask_b32_e32 v2, 0x7f800001, v0, vcc_lo
; %bb.20045:                            ;   in Loop: Header=BB6_19757 Depth=3
	s_or_b32 exec_lo, exec_lo, s15
.LBB6_20046:                            ;   in Loop: Header=BB6_19757 Depth=3
	s_delay_alu instid0(SALU_CYCLE_1)
	s_or_b32 exec_lo, exec_lo, s14
.LBB6_20047:                            ;   in Loop: Header=BB6_19757 Depth=3
	s_delay_alu instid0(SALU_CYCLE_1) | instskip(NEXT) | instid1(VALU_DEP_1)
	s_or_b32 exec_lo, exec_lo, s13
	v_dual_mul_f32 v2, s74, v2 :: v_dual_mov_b32 v1, v113
                                        ; implicit-def: $vgpr46
	s_delay_alu instid0(VALU_DEP_1) | instskip(NEXT) | instid1(VALU_DEP_1)
	v_and_b32_e32 v0, 0x7f800000, v2
	v_cmp_ne_u64_e32 vcc_lo, 0x7f800000, v[0:1]
	v_and_b32_e32 v0, 0x7fffff, v2
	s_and_saveexec_b32 s13, vcc_lo
	s_delay_alu instid0(SALU_CYCLE_1)
	s_xor_b32 s14, exec_lo, s13
	s_cbranch_execz .LBB6_20065
; %bb.20048:                            ;   in Loop: Header=BB6_19757 Depth=3
	v_and_b32_e32 v4, 0x7fffffff, v2
	v_dual_mov_b32 v5, v113 :: v_dual_lshrrev_b32 v3, 24, v2
                                        ; implicit-def: $vgpr46
	s_delay_alu instid0(VALU_DEP_1) | instskip(NEXT) | instid1(VALU_DEP_2)
	v_cmp_gt_u64_e32 vcc_lo, 0x47600001, v[4:5]
	v_and_b32_e32 v4, 0x80, v3
	s_and_saveexec_b32 s13, vcc_lo
	s_delay_alu instid0(SALU_CYCLE_1)
	s_xor_b32 s15, exec_lo, s13
	s_cbranch_execz .LBB6_20062
; %bb.20049:                            ;   in Loop: Header=BB6_19757 Depth=3
	v_mov_b32_e32 v46, 0
	s_mov_b32 s75, exec_lo
	v_cmpx_ne_u32_e32 0, v2
	s_cbranch_execz .LBB6_20061
; %bb.20050:                            ;   in Loop: Header=BB6_19757 Depth=3
	v_bfe_u32 v5, v2, 23, 8
	v_or_b32_e32 v7, 0x800000, v0
	s_delay_alu instid0(VALU_DEP_2) | instskip(SKIP_1) | instid1(VALU_DEP_2)
	v_sub_nc_u32_e32 v2, 0x71, v5
	v_cmp_gt_u32_e32 vcc_lo, 0x72, v5
	v_cndmask_b32_e32 v2, 0, v2, vcc_lo
	v_cmp_eq_u32_e32 vcc_lo, 0, v5
	v_cndmask_b32_e32 v0, v7, v0, vcc_lo
	s_delay_alu instid0(VALU_DEP_3) | instskip(NEXT) | instid1(VALU_DEP_1)
	v_cndmask_b32_e64 v6, v2, 0x70, vcc_lo
	v_dual_add_nc_u32 v2, 21, v6 :: v_dual_add_nc_u32 v16, 20, v6
	s_delay_alu instid0(VALU_DEP_1) | instskip(NEXT) | instid1(VALU_DEP_2)
	v_lshlrev_b64_e64 v[2:3], v2, -1
	v_lshlrev_b64_e64 v[16:17], v16, 1
	s_delay_alu instid0(VALU_DEP_2) | instskip(SKIP_1) | instid1(VALU_DEP_4)
	v_bfi_b32 v2, v2, 0, v0
	v_lshrrev_b64 v[0:1], v6, v[0:1]
	v_bfi_b32 v3, v3, 0, 0
	s_delay_alu instid0(VALU_DEP_1) | instskip(NEXT) | instid1(VALU_DEP_3)
	v_cmp_eq_u64_e64 s13, v[2:3], v[16:17]
	v_mov_b64_e32 v[2:3], v[0:1]
	s_and_saveexec_b32 s76, s13
; %bb.20051:                            ;   in Loop: Header=BB6_19757 Depth=3
	v_bfe_u32 v2, v0, 21, 1
	v_mov_b32_e32 v3, v113
	s_delay_alu instid0(VALU_DEP_1) | instskip(NEXT) | instid1(VALU_DEP_1)
	v_add_nc_u64_e32 v[2:3], v[0:1], v[2:3]
	v_add_nc_u64_e32 v[2:3], -1, v[2:3]
; %bb.20052:                            ;   in Loop: Header=BB6_19757 Depth=3
	s_or_b32 exec_lo, exec_lo, s76
	v_add_nc_u32_e32 v1, 0xffffff81, v5
	v_lshrrev_b32_e32 v3, 23, v0
	s_mov_b32 s13, exec_lo
	s_delay_alu instid0(VALU_DEP_2) | instskip(NEXT) | instid1(VALU_DEP_1)
	v_cndmask_b32_e64 v1, v1, 0xffffff82, vcc_lo
	v_add3_u32 v3, v6, v1, v3
	v_and_b32_e32 v1, 0x1fffff, v2
                                        ; implicit-def: $vgpr2
	s_delay_alu instid0(VALU_DEP_1) | instskip(SKIP_1) | instid1(VALU_DEP_2)
	v_dual_add_nc_u32 v5, 14, v3 :: v_dual_add_nc_u32 v0, v1, v0
	v_mov_b32_e32 v1, v113
	v_cmpx_ne_u32_e32 0, v5
	s_xor_b32 s13, exec_lo, s13
; %bb.20053:                            ;   in Loop: Header=BB6_19757 Depth=3
	s_delay_alu instid0(VALU_DEP_2) | instskip(SKIP_2) | instid1(VALU_DEP_2)
	v_cmp_lt_u64_e32 vcc_lo, 0xffffff, v[0:1]
	v_add_nc_u32_e32 v2, 15, v3
	v_cndmask_b32_e64 v3, 0, 1, vcc_lo
	v_cndmask_b32_e32 v2, v5, v2, vcc_lo
	s_delay_alu instid0(VALU_DEP_2)
	v_lshrrev_b64 v[0:1], v3, v[0:1]
; %bb.20054:                            ;   in Loop: Header=BB6_19757 Depth=3
	s_and_not1_saveexec_b32 s13, s13
; %bb.20055:                            ;   in Loop: Header=BB6_19757 Depth=3
	s_delay_alu instid0(VALU_DEP_1)
	v_bfe_u32 v2, v0, 23, 1
; %bb.20056:                            ;   in Loop: Header=BB6_19757 Depth=3
	s_or_b32 exec_lo, exec_lo, s13
	s_delay_alu instid0(VALU_DEP_2) | instskip(NEXT) | instid1(VALU_DEP_2)
	v_lshrrev_b64 v[0:1], 21, v[0:1]
	v_cmp_gt_i32_e32 vcc_lo, 32, v2
	v_cmp_ne_u32_e64 s13, 0, v2
                                        ; implicit-def: $vgpr46
	s_delay_alu instid0(VALU_DEP_3) | instskip(NEXT) | instid1(VALU_DEP_1)
	v_dual_cndmask_b32 v1, 0, v1 :: v_dual_cndmask_b32 v0, 3, v0
	v_cmp_ne_u64_e32 vcc_lo, 0, v[0:1]
	s_or_b32 s13, s13, vcc_lo
	s_delay_alu instid0(SALU_CYCLE_1) | instskip(NEXT) | instid1(SALU_CYCLE_1)
	s_and_saveexec_b32 s76, s13
	s_xor_b32 s13, exec_lo, s76
; %bb.20057:                            ;   in Loop: Header=BB6_19757 Depth=3
	v_min_i32_e32 v1, 31, v2
	s_delay_alu instid0(VALU_DEP_1) | instskip(NEXT) | instid1(VALU_DEP_1)
	v_lshl_or_b32 v1, v1, 2, v4
                                        ; implicit-def: $vgpr4
	v_and_or_b32 v46, v0, 3, v1
; %bb.20058:                            ;   in Loop: Header=BB6_19757 Depth=3
	s_and_not1_saveexec_b32 s13, s13
; %bb.20059:                            ;   in Loop: Header=BB6_19757 Depth=3
	v_mov_b32_e32 v46, v4
; %bb.20060:                            ;   in Loop: Header=BB6_19757 Depth=3
	s_or_b32 exec_lo, exec_lo, s13
.LBB6_20061:                            ;   in Loop: Header=BB6_19757 Depth=3
	s_delay_alu instid0(SALU_CYCLE_1)
	s_or_b32 exec_lo, exec_lo, s75
                                        ; implicit-def: $vgpr4
.LBB6_20062:                            ;   in Loop: Header=BB6_19757 Depth=3
	s_and_not1_saveexec_b32 s13, s15
; %bb.20063:                            ;   in Loop: Header=BB6_19757 Depth=3
	v_or_b32_e32 v46, 0x7b, v4
; %bb.20064:                            ;   in Loop: Header=BB6_19757 Depth=3
	s_or_b32 exec_lo, exec_lo, s13
                                        ; implicit-def: $vgpr2
                                        ; implicit-def: $vgpr0_vgpr1
.LBB6_20065:                            ;   in Loop: Header=BB6_19757 Depth=3
	s_and_not1_saveexec_b32 s13, s14
	s_cbranch_execz .LBB6_20071
; %bb.20066:                            ;   in Loop: Header=BB6_19757 Depth=3
	s_mov_b32 s14, exec_lo
                                        ; implicit-def: $vgpr46
	v_cmpx_ne_u64_e32 0, v[0:1]
	s_xor_b32 s14, exec_lo, s14
; %bb.20067:                            ;   in Loop: Header=BB6_19757 Depth=3
	v_lshrrev_b32_e32 v0, 24, v2
                                        ; implicit-def: $vgpr2
	s_delay_alu instid0(VALU_DEP_1)
	v_or_b32_e32 v46, 0x7f, v0
; %bb.20068:                            ;   in Loop: Header=BB6_19757 Depth=3
	s_and_not1_saveexec_b32 s14, s14
; %bb.20069:                            ;   in Loop: Header=BB6_19757 Depth=3
	v_cmp_lt_i32_e32 vcc_lo, -1, v2
	v_cndmask_b32_e64 v46, -4, 0x7c, vcc_lo
; %bb.20070:                            ;   in Loop: Header=BB6_19757 Depth=3
	s_or_b32 exec_lo, exec_lo, s14
.LBB6_20071:                            ;   in Loop: Header=BB6_19757 Depth=3
	s_delay_alu instid0(SALU_CYCLE_1)
	s_or_b32 exec_lo, exec_lo, s13
	flat_load_i8 v0, v[8:9] offset:288 th:TH_LOAD_NT
	v_mov_b32_e32 v2, 0
	s_mov_b32 s13, exec_lo
	s_wait_loadcnt_dscnt 0x0
	s_wait_xcnt 0x0
	v_cmpx_ne_u16_e32 0, v0
	s_cbranch_execz .LBB6_20081
; %bb.20072:                            ;   in Loop: Header=BB6_19757 Depth=3
	v_bfrev_b32_e32 v2, 1
	s_mov_b32 s14, exec_lo
	v_cmpx_ne_u16_e32 0xff80, v0
	s_cbranch_execz .LBB6_20080
; %bb.20073:                            ;   in Loop: Header=BB6_19757 Depth=3
	v_and_b32_e32 v2, 0x7c, v0
	v_and_b32_e32 v1, 3, v0
	s_delay_alu instid0(VALU_DEP_2) | instskip(SKIP_1) | instid1(SALU_CYCLE_1)
	v_cmp_ne_u32_e32 vcc_lo, 0x7c, v2
                                        ; implicit-def: $vgpr2
	s_and_saveexec_b32 s15, vcc_lo
	s_xor_b32 s15, exec_lo, s15
	s_cbranch_execz .LBB6_20077
; %bb.20074:                            ;   in Loop: Header=BB6_19757 Depth=3
	v_and_b32_e32 v2, 0xff, v0
	s_mov_b32 s75, exec_lo
	s_delay_alu instid0(VALU_DEP_1) | instskip(NEXT) | instid1(VALU_DEP_1)
	v_bfe_u32 v2, v2, 2, 5
	v_cmpx_eq_u32_e32 0, v2
	s_cbranch_execz .LBB6_20076
; %bb.20075:                            ;   in Loop: Header=BB6_19757 Depth=3
	v_clz_i32_u32_e32 v1, v1
	s_delay_alu instid0(VALU_DEP_1) | instskip(SKIP_1) | instid1(VALU_DEP_2)
	v_min_u32_e32 v2, 32, v1
	v_mov_b32_e32 v1, v113
	v_subrev_nc_u32_e32 v3, 29, v2
	v_sub_nc_u32_e32 v2, 30, v2
	s_delay_alu instid0(VALU_DEP_2) | instskip(NEXT) | instid1(VALU_DEP_1)
	v_lshlrev_b64_e32 v[4:5], v3, v[0:1]
	v_and_b32_e32 v1, 3, v4
.LBB6_20076:                            ;   in Loop: Header=BB6_19757 Depth=3
	s_or_b32 exec_lo, exec_lo, s75
	v_bfe_i32 v0, v0, 0, 16
	s_delay_alu instid0(VALU_DEP_1) | instskip(NEXT) | instid1(VALU_DEP_1)
	v_and_b32_e32 v0, 0x80000000, v0
	v_lshl_add_u32 v0, v2, 23, v0
	s_delay_alu instid0(VALU_DEP_1) | instskip(NEXT) | instid1(VALU_DEP_1)
	v_lshl_or_b32 v0, v1, 21, v0
                                        ; implicit-def: $vgpr1
	v_add_nc_u32_e32 v2, 0x38000000, v0
                                        ; implicit-def: $vgpr0
.LBB6_20077:                            ;   in Loop: Header=BB6_19757 Depth=3
	s_and_not1_saveexec_b32 s15, s15
; %bb.20078:                            ;   in Loop: Header=BB6_19757 Depth=3
	v_cmp_lt_i16_e32 vcc_lo, -1, v0
	v_mov_b32_e32 v0, 0x7f800000
	s_delay_alu instid0(VALU_DEP_1) | instskip(SKIP_1) | instid1(VALU_DEP_2)
	v_cndmask_b32_e32 v0, 0xff800000, v0, vcc_lo
	v_cmp_eq_u32_e32 vcc_lo, 0, v1
	v_cndmask_b32_e32 v2, 0x7f800001, v0, vcc_lo
; %bb.20079:                            ;   in Loop: Header=BB6_19757 Depth=3
	s_or_b32 exec_lo, exec_lo, s15
.LBB6_20080:                            ;   in Loop: Header=BB6_19757 Depth=3
	s_delay_alu instid0(SALU_CYCLE_1)
	s_or_b32 exec_lo, exec_lo, s14
.LBB6_20081:                            ;   in Loop: Header=BB6_19757 Depth=3
	s_delay_alu instid0(SALU_CYCLE_1) | instskip(NEXT) | instid1(VALU_DEP_1)
	s_or_b32 exec_lo, exec_lo, s13
	v_dual_mul_f32 v2, s74, v2 :: v_dual_mov_b32 v1, v113
                                        ; implicit-def: $vgpr118
	s_delay_alu instid0(VALU_DEP_1) | instskip(NEXT) | instid1(VALU_DEP_1)
	v_and_b32_e32 v0, 0x7f800000, v2
	v_cmp_ne_u64_e32 vcc_lo, 0x7f800000, v[0:1]
	v_and_b32_e32 v0, 0x7fffff, v2
	s_and_saveexec_b32 s13, vcc_lo
	s_delay_alu instid0(SALU_CYCLE_1)
	s_xor_b32 s14, exec_lo, s13
	s_cbranch_execz .LBB6_20099
; %bb.20082:                            ;   in Loop: Header=BB6_19757 Depth=3
	v_and_b32_e32 v4, 0x7fffffff, v2
	v_dual_mov_b32 v5, v113 :: v_dual_lshrrev_b32 v3, 24, v2
                                        ; implicit-def: $vgpr118
	s_delay_alu instid0(VALU_DEP_1) | instskip(NEXT) | instid1(VALU_DEP_2)
	v_cmp_gt_u64_e32 vcc_lo, 0x47600001, v[4:5]
	v_and_b32_e32 v4, 0x80, v3
	s_and_saveexec_b32 s13, vcc_lo
	s_delay_alu instid0(SALU_CYCLE_1)
	s_xor_b32 s15, exec_lo, s13
	s_cbranch_execz .LBB6_20096
; %bb.20083:                            ;   in Loop: Header=BB6_19757 Depth=3
	v_mov_b32_e32 v118, 0
	s_mov_b32 s75, exec_lo
	v_cmpx_ne_u32_e32 0, v2
	s_cbranch_execz .LBB6_20095
; %bb.20084:                            ;   in Loop: Header=BB6_19757 Depth=3
	v_bfe_u32 v5, v2, 23, 8
	v_or_b32_e32 v7, 0x800000, v0
	s_delay_alu instid0(VALU_DEP_2) | instskip(SKIP_1) | instid1(VALU_DEP_2)
	v_sub_nc_u32_e32 v2, 0x71, v5
	v_cmp_gt_u32_e32 vcc_lo, 0x72, v5
	v_cndmask_b32_e32 v2, 0, v2, vcc_lo
	v_cmp_eq_u32_e32 vcc_lo, 0, v5
	v_cndmask_b32_e32 v0, v7, v0, vcc_lo
	s_delay_alu instid0(VALU_DEP_3) | instskip(NEXT) | instid1(VALU_DEP_1)
	v_cndmask_b32_e64 v6, v2, 0x70, vcc_lo
	v_dual_add_nc_u32 v2, 21, v6 :: v_dual_add_nc_u32 v16, 20, v6
	s_delay_alu instid0(VALU_DEP_1) | instskip(NEXT) | instid1(VALU_DEP_2)
	v_lshlrev_b64_e64 v[2:3], v2, -1
	v_lshlrev_b64_e64 v[16:17], v16, 1
	s_delay_alu instid0(VALU_DEP_2) | instskip(SKIP_1) | instid1(VALU_DEP_4)
	v_bfi_b32 v2, v2, 0, v0
	v_lshrrev_b64 v[0:1], v6, v[0:1]
	v_bfi_b32 v3, v3, 0, 0
	s_delay_alu instid0(VALU_DEP_1) | instskip(NEXT) | instid1(VALU_DEP_3)
	v_cmp_eq_u64_e64 s13, v[2:3], v[16:17]
	v_mov_b64_e32 v[2:3], v[0:1]
	s_and_saveexec_b32 s76, s13
; %bb.20085:                            ;   in Loop: Header=BB6_19757 Depth=3
	v_bfe_u32 v2, v0, 21, 1
	v_mov_b32_e32 v3, v113
	s_delay_alu instid0(VALU_DEP_1) | instskip(NEXT) | instid1(VALU_DEP_1)
	v_add_nc_u64_e32 v[2:3], v[0:1], v[2:3]
	v_add_nc_u64_e32 v[2:3], -1, v[2:3]
; %bb.20086:                            ;   in Loop: Header=BB6_19757 Depth=3
	s_or_b32 exec_lo, exec_lo, s76
	v_add_nc_u32_e32 v1, 0xffffff81, v5
	v_lshrrev_b32_e32 v3, 23, v0
	s_mov_b32 s13, exec_lo
	s_delay_alu instid0(VALU_DEP_2) | instskip(NEXT) | instid1(VALU_DEP_1)
	v_cndmask_b32_e64 v1, v1, 0xffffff82, vcc_lo
	v_add3_u32 v3, v6, v1, v3
	v_and_b32_e32 v1, 0x1fffff, v2
                                        ; implicit-def: $vgpr2
	s_delay_alu instid0(VALU_DEP_1) | instskip(SKIP_1) | instid1(VALU_DEP_2)
	v_dual_add_nc_u32 v5, 14, v3 :: v_dual_add_nc_u32 v0, v1, v0
	v_mov_b32_e32 v1, v113
	v_cmpx_ne_u32_e32 0, v5
	s_xor_b32 s13, exec_lo, s13
; %bb.20087:                            ;   in Loop: Header=BB6_19757 Depth=3
	s_delay_alu instid0(VALU_DEP_2) | instskip(SKIP_2) | instid1(VALU_DEP_2)
	v_cmp_lt_u64_e32 vcc_lo, 0xffffff, v[0:1]
	v_add_nc_u32_e32 v2, 15, v3
	v_cndmask_b32_e64 v3, 0, 1, vcc_lo
	v_cndmask_b32_e32 v2, v5, v2, vcc_lo
	s_delay_alu instid0(VALU_DEP_2)
	v_lshrrev_b64 v[0:1], v3, v[0:1]
; %bb.20088:                            ;   in Loop: Header=BB6_19757 Depth=3
	s_and_not1_saveexec_b32 s13, s13
; %bb.20089:                            ;   in Loop: Header=BB6_19757 Depth=3
	s_delay_alu instid0(VALU_DEP_1)
	v_bfe_u32 v2, v0, 23, 1
; %bb.20090:                            ;   in Loop: Header=BB6_19757 Depth=3
	s_or_b32 exec_lo, exec_lo, s13
	s_delay_alu instid0(VALU_DEP_2) | instskip(NEXT) | instid1(VALU_DEP_2)
	v_lshrrev_b64 v[0:1], 21, v[0:1]
	v_cmp_gt_i32_e32 vcc_lo, 32, v2
	v_cmp_ne_u32_e64 s13, 0, v2
                                        ; implicit-def: $vgpr118
	s_delay_alu instid0(VALU_DEP_3) | instskip(NEXT) | instid1(VALU_DEP_1)
	v_dual_cndmask_b32 v1, 0, v1 :: v_dual_cndmask_b32 v0, 3, v0
	v_cmp_ne_u64_e32 vcc_lo, 0, v[0:1]
	s_or_b32 s13, s13, vcc_lo
	s_delay_alu instid0(SALU_CYCLE_1) | instskip(NEXT) | instid1(SALU_CYCLE_1)
	s_and_saveexec_b32 s76, s13
	s_xor_b32 s13, exec_lo, s76
; %bb.20091:                            ;   in Loop: Header=BB6_19757 Depth=3
	v_min_i32_e32 v1, 31, v2
	s_delay_alu instid0(VALU_DEP_1) | instskip(NEXT) | instid1(VALU_DEP_1)
	v_lshl_or_b32 v1, v1, 2, v4
                                        ; implicit-def: $vgpr4
	v_and_or_b32 v118, v0, 3, v1
; %bb.20092:                            ;   in Loop: Header=BB6_19757 Depth=3
	s_and_not1_saveexec_b32 s13, s13
; %bb.20093:                            ;   in Loop: Header=BB6_19757 Depth=3
	v_mov_b32_e32 v118, v4
; %bb.20094:                            ;   in Loop: Header=BB6_19757 Depth=3
	s_or_b32 exec_lo, exec_lo, s13
.LBB6_20095:                            ;   in Loop: Header=BB6_19757 Depth=3
	s_delay_alu instid0(SALU_CYCLE_1)
	s_or_b32 exec_lo, exec_lo, s75
                                        ; implicit-def: $vgpr4
.LBB6_20096:                            ;   in Loop: Header=BB6_19757 Depth=3
	s_and_not1_saveexec_b32 s13, s15
; %bb.20097:                            ;   in Loop: Header=BB6_19757 Depth=3
	v_or_b32_e32 v118, 0x7b, v4
; %bb.20098:                            ;   in Loop: Header=BB6_19757 Depth=3
	s_or_b32 exec_lo, exec_lo, s13
                                        ; implicit-def: $vgpr2
                                        ; implicit-def: $vgpr0_vgpr1
.LBB6_20099:                            ;   in Loop: Header=BB6_19757 Depth=3
	s_and_not1_saveexec_b32 s13, s14
	s_cbranch_execz .LBB6_20105
; %bb.20100:                            ;   in Loop: Header=BB6_19757 Depth=3
	s_mov_b32 s14, exec_lo
                                        ; implicit-def: $vgpr118
	v_cmpx_ne_u64_e32 0, v[0:1]
	s_xor_b32 s14, exec_lo, s14
; %bb.20101:                            ;   in Loop: Header=BB6_19757 Depth=3
	v_lshrrev_b32_e32 v0, 24, v2
                                        ; implicit-def: $vgpr2
	s_delay_alu instid0(VALU_DEP_1)
	v_or_b32_e32 v118, 0x7f, v0
; %bb.20102:                            ;   in Loop: Header=BB6_19757 Depth=3
	s_and_not1_saveexec_b32 s14, s14
; %bb.20103:                            ;   in Loop: Header=BB6_19757 Depth=3
	v_cmp_lt_i32_e32 vcc_lo, -1, v2
	v_cndmask_b32_e64 v118, -4, 0x7c, vcc_lo
; %bb.20104:                            ;   in Loop: Header=BB6_19757 Depth=3
	s_or_b32 exec_lo, exec_lo, s14
.LBB6_20105:                            ;   in Loop: Header=BB6_19757 Depth=3
	s_delay_alu instid0(SALU_CYCLE_1)
	s_or_b32 exec_lo, exec_lo, s13
	flat_load_i8 v0, v[8:9] offset:320 th:TH_LOAD_NT
	v_mov_b32_e32 v2, 0
	s_mov_b32 s13, exec_lo
	s_wait_loadcnt_dscnt 0x0
	s_wait_xcnt 0x0
	v_cmpx_ne_u16_e32 0, v0
	s_cbranch_execz .LBB6_20115
; %bb.20106:                            ;   in Loop: Header=BB6_19757 Depth=3
	v_bfrev_b32_e32 v2, 1
	s_mov_b32 s14, exec_lo
	v_cmpx_ne_u16_e32 0xff80, v0
	s_cbranch_execz .LBB6_20114
; %bb.20107:                            ;   in Loop: Header=BB6_19757 Depth=3
	v_and_b32_e32 v2, 0x7c, v0
	v_and_b32_e32 v1, 3, v0
	s_delay_alu instid0(VALU_DEP_2) | instskip(SKIP_1) | instid1(SALU_CYCLE_1)
	v_cmp_ne_u32_e32 vcc_lo, 0x7c, v2
                                        ; implicit-def: $vgpr2
	s_and_saveexec_b32 s15, vcc_lo
	s_xor_b32 s15, exec_lo, s15
	s_cbranch_execz .LBB6_20111
; %bb.20108:                            ;   in Loop: Header=BB6_19757 Depth=3
	v_and_b32_e32 v2, 0xff, v0
	s_mov_b32 s75, exec_lo
	s_delay_alu instid0(VALU_DEP_1) | instskip(NEXT) | instid1(VALU_DEP_1)
	v_bfe_u32 v2, v2, 2, 5
	v_cmpx_eq_u32_e32 0, v2
	s_cbranch_execz .LBB6_20110
; %bb.20109:                            ;   in Loop: Header=BB6_19757 Depth=3
	v_clz_i32_u32_e32 v1, v1
	s_delay_alu instid0(VALU_DEP_1) | instskip(SKIP_1) | instid1(VALU_DEP_2)
	v_min_u32_e32 v2, 32, v1
	v_mov_b32_e32 v1, v113
	v_subrev_nc_u32_e32 v3, 29, v2
	v_sub_nc_u32_e32 v2, 30, v2
	s_delay_alu instid0(VALU_DEP_2) | instskip(NEXT) | instid1(VALU_DEP_1)
	v_lshlrev_b64_e32 v[4:5], v3, v[0:1]
	v_and_b32_e32 v1, 3, v4
.LBB6_20110:                            ;   in Loop: Header=BB6_19757 Depth=3
	s_or_b32 exec_lo, exec_lo, s75
	v_bfe_i32 v0, v0, 0, 16
	s_delay_alu instid0(VALU_DEP_1) | instskip(NEXT) | instid1(VALU_DEP_1)
	v_and_b32_e32 v0, 0x80000000, v0
	v_lshl_add_u32 v0, v2, 23, v0
	s_delay_alu instid0(VALU_DEP_1) | instskip(NEXT) | instid1(VALU_DEP_1)
	v_lshl_or_b32 v0, v1, 21, v0
                                        ; implicit-def: $vgpr1
	v_add_nc_u32_e32 v2, 0x38000000, v0
                                        ; implicit-def: $vgpr0
.LBB6_20111:                            ;   in Loop: Header=BB6_19757 Depth=3
	s_and_not1_saveexec_b32 s15, s15
; %bb.20112:                            ;   in Loop: Header=BB6_19757 Depth=3
	v_cmp_lt_i16_e32 vcc_lo, -1, v0
	v_mov_b32_e32 v0, 0x7f800000
	s_delay_alu instid0(VALU_DEP_1) | instskip(SKIP_1) | instid1(VALU_DEP_2)
	v_cndmask_b32_e32 v0, 0xff800000, v0, vcc_lo
	v_cmp_eq_u32_e32 vcc_lo, 0, v1
	v_cndmask_b32_e32 v2, 0x7f800001, v0, vcc_lo
; %bb.20113:                            ;   in Loop: Header=BB6_19757 Depth=3
	s_or_b32 exec_lo, exec_lo, s15
.LBB6_20114:                            ;   in Loop: Header=BB6_19757 Depth=3
	s_delay_alu instid0(SALU_CYCLE_1)
	s_or_b32 exec_lo, exec_lo, s14
.LBB6_20115:                            ;   in Loop: Header=BB6_19757 Depth=3
	s_delay_alu instid0(SALU_CYCLE_1) | instskip(NEXT) | instid1(VALU_DEP_1)
	s_or_b32 exec_lo, exec_lo, s13
	v_dual_mul_f32 v2, s74, v2 :: v_dual_mov_b32 v1, v113
                                        ; implicit-def: $vgpr66
	s_delay_alu instid0(VALU_DEP_1) | instskip(NEXT) | instid1(VALU_DEP_1)
	v_and_b32_e32 v0, 0x7f800000, v2
	v_cmp_ne_u64_e32 vcc_lo, 0x7f800000, v[0:1]
	v_and_b32_e32 v0, 0x7fffff, v2
	s_and_saveexec_b32 s13, vcc_lo
	s_delay_alu instid0(SALU_CYCLE_1)
	s_xor_b32 s14, exec_lo, s13
	s_cbranch_execz .LBB6_20133
; %bb.20116:                            ;   in Loop: Header=BB6_19757 Depth=3
	v_and_b32_e32 v4, 0x7fffffff, v2
	v_dual_mov_b32 v5, v113 :: v_dual_lshrrev_b32 v3, 24, v2
                                        ; implicit-def: $vgpr66
	s_delay_alu instid0(VALU_DEP_1) | instskip(NEXT) | instid1(VALU_DEP_2)
	v_cmp_gt_u64_e32 vcc_lo, 0x47600001, v[4:5]
	v_and_b32_e32 v4, 0x80, v3
	s_and_saveexec_b32 s13, vcc_lo
	s_delay_alu instid0(SALU_CYCLE_1)
	s_xor_b32 s15, exec_lo, s13
	s_cbranch_execz .LBB6_20130
; %bb.20117:                            ;   in Loop: Header=BB6_19757 Depth=3
	v_mov_b32_e32 v66, 0
	s_mov_b32 s75, exec_lo
	v_cmpx_ne_u32_e32 0, v2
	s_cbranch_execz .LBB6_20129
; %bb.20118:                            ;   in Loop: Header=BB6_19757 Depth=3
	v_bfe_u32 v5, v2, 23, 8
	v_or_b32_e32 v7, 0x800000, v0
	s_delay_alu instid0(VALU_DEP_2) | instskip(SKIP_1) | instid1(VALU_DEP_2)
	v_sub_nc_u32_e32 v2, 0x71, v5
	v_cmp_gt_u32_e32 vcc_lo, 0x72, v5
	v_cndmask_b32_e32 v2, 0, v2, vcc_lo
	v_cmp_eq_u32_e32 vcc_lo, 0, v5
	v_cndmask_b32_e32 v0, v7, v0, vcc_lo
	s_delay_alu instid0(VALU_DEP_3) | instskip(NEXT) | instid1(VALU_DEP_1)
	v_cndmask_b32_e64 v6, v2, 0x70, vcc_lo
	v_dual_add_nc_u32 v2, 21, v6 :: v_dual_add_nc_u32 v16, 20, v6
	s_delay_alu instid0(VALU_DEP_1) | instskip(NEXT) | instid1(VALU_DEP_2)
	v_lshlrev_b64_e64 v[2:3], v2, -1
	v_lshlrev_b64_e64 v[16:17], v16, 1
	s_delay_alu instid0(VALU_DEP_2) | instskip(SKIP_1) | instid1(VALU_DEP_4)
	v_bfi_b32 v2, v2, 0, v0
	v_lshrrev_b64 v[0:1], v6, v[0:1]
	v_bfi_b32 v3, v3, 0, 0
	s_delay_alu instid0(VALU_DEP_1) | instskip(NEXT) | instid1(VALU_DEP_3)
	v_cmp_eq_u64_e64 s13, v[2:3], v[16:17]
	v_mov_b64_e32 v[2:3], v[0:1]
	s_and_saveexec_b32 s76, s13
; %bb.20119:                            ;   in Loop: Header=BB6_19757 Depth=3
	v_bfe_u32 v2, v0, 21, 1
	v_mov_b32_e32 v3, v113
	s_delay_alu instid0(VALU_DEP_1) | instskip(NEXT) | instid1(VALU_DEP_1)
	v_add_nc_u64_e32 v[2:3], v[0:1], v[2:3]
	v_add_nc_u64_e32 v[2:3], -1, v[2:3]
; %bb.20120:                            ;   in Loop: Header=BB6_19757 Depth=3
	s_or_b32 exec_lo, exec_lo, s76
	v_add_nc_u32_e32 v1, 0xffffff81, v5
	v_lshrrev_b32_e32 v3, 23, v0
	s_mov_b32 s13, exec_lo
	s_delay_alu instid0(VALU_DEP_2) | instskip(NEXT) | instid1(VALU_DEP_1)
	v_cndmask_b32_e64 v1, v1, 0xffffff82, vcc_lo
	v_add3_u32 v3, v6, v1, v3
	v_and_b32_e32 v1, 0x1fffff, v2
                                        ; implicit-def: $vgpr2
	s_delay_alu instid0(VALU_DEP_1) | instskip(SKIP_1) | instid1(VALU_DEP_2)
	v_dual_add_nc_u32 v5, 14, v3 :: v_dual_add_nc_u32 v0, v1, v0
	v_mov_b32_e32 v1, v113
	v_cmpx_ne_u32_e32 0, v5
	s_xor_b32 s13, exec_lo, s13
; %bb.20121:                            ;   in Loop: Header=BB6_19757 Depth=3
	s_delay_alu instid0(VALU_DEP_2) | instskip(SKIP_2) | instid1(VALU_DEP_2)
	v_cmp_lt_u64_e32 vcc_lo, 0xffffff, v[0:1]
	v_add_nc_u32_e32 v2, 15, v3
	v_cndmask_b32_e64 v3, 0, 1, vcc_lo
	v_cndmask_b32_e32 v2, v5, v2, vcc_lo
	s_delay_alu instid0(VALU_DEP_2)
	v_lshrrev_b64 v[0:1], v3, v[0:1]
; %bb.20122:                            ;   in Loop: Header=BB6_19757 Depth=3
	s_and_not1_saveexec_b32 s13, s13
; %bb.20123:                            ;   in Loop: Header=BB6_19757 Depth=3
	s_delay_alu instid0(VALU_DEP_1)
	v_bfe_u32 v2, v0, 23, 1
; %bb.20124:                            ;   in Loop: Header=BB6_19757 Depth=3
	s_or_b32 exec_lo, exec_lo, s13
	s_delay_alu instid0(VALU_DEP_2) | instskip(NEXT) | instid1(VALU_DEP_2)
	v_lshrrev_b64 v[0:1], 21, v[0:1]
	v_cmp_gt_i32_e32 vcc_lo, 32, v2
	v_cmp_ne_u32_e64 s13, 0, v2
                                        ; implicit-def: $vgpr66
	s_delay_alu instid0(VALU_DEP_3) | instskip(NEXT) | instid1(VALU_DEP_1)
	v_dual_cndmask_b32 v1, 0, v1 :: v_dual_cndmask_b32 v0, 3, v0
	v_cmp_ne_u64_e32 vcc_lo, 0, v[0:1]
	s_or_b32 s13, s13, vcc_lo
	s_delay_alu instid0(SALU_CYCLE_1) | instskip(NEXT) | instid1(SALU_CYCLE_1)
	s_and_saveexec_b32 s76, s13
	s_xor_b32 s13, exec_lo, s76
; %bb.20125:                            ;   in Loop: Header=BB6_19757 Depth=3
	v_min_i32_e32 v1, 31, v2
	s_delay_alu instid0(VALU_DEP_1) | instskip(NEXT) | instid1(VALU_DEP_1)
	v_lshl_or_b32 v1, v1, 2, v4
                                        ; implicit-def: $vgpr4
	v_and_or_b32 v66, v0, 3, v1
; %bb.20126:                            ;   in Loop: Header=BB6_19757 Depth=3
	s_and_not1_saveexec_b32 s13, s13
; %bb.20127:                            ;   in Loop: Header=BB6_19757 Depth=3
	v_mov_b32_e32 v66, v4
; %bb.20128:                            ;   in Loop: Header=BB6_19757 Depth=3
	s_or_b32 exec_lo, exec_lo, s13
.LBB6_20129:                            ;   in Loop: Header=BB6_19757 Depth=3
	s_delay_alu instid0(SALU_CYCLE_1)
	s_or_b32 exec_lo, exec_lo, s75
                                        ; implicit-def: $vgpr4
.LBB6_20130:                            ;   in Loop: Header=BB6_19757 Depth=3
	s_and_not1_saveexec_b32 s13, s15
; %bb.20131:                            ;   in Loop: Header=BB6_19757 Depth=3
	v_or_b32_e32 v66, 0x7b, v4
; %bb.20132:                            ;   in Loop: Header=BB6_19757 Depth=3
	s_or_b32 exec_lo, exec_lo, s13
                                        ; implicit-def: $vgpr2
                                        ; implicit-def: $vgpr0_vgpr1
.LBB6_20133:                            ;   in Loop: Header=BB6_19757 Depth=3
	s_and_not1_saveexec_b32 s13, s14
	s_cbranch_execz .LBB6_20139
; %bb.20134:                            ;   in Loop: Header=BB6_19757 Depth=3
	s_mov_b32 s14, exec_lo
                                        ; implicit-def: $vgpr66
	v_cmpx_ne_u64_e32 0, v[0:1]
	s_xor_b32 s14, exec_lo, s14
; %bb.20135:                            ;   in Loop: Header=BB6_19757 Depth=3
	v_lshrrev_b32_e32 v0, 24, v2
                                        ; implicit-def: $vgpr2
	s_delay_alu instid0(VALU_DEP_1)
	v_or_b32_e32 v66, 0x7f, v0
; %bb.20136:                            ;   in Loop: Header=BB6_19757 Depth=3
	s_and_not1_saveexec_b32 s14, s14
; %bb.20137:                            ;   in Loop: Header=BB6_19757 Depth=3
	v_cmp_lt_i32_e32 vcc_lo, -1, v2
	v_cndmask_b32_e64 v66, -4, 0x7c, vcc_lo
; %bb.20138:                            ;   in Loop: Header=BB6_19757 Depth=3
	s_or_b32 exec_lo, exec_lo, s14
.LBB6_20139:                            ;   in Loop: Header=BB6_19757 Depth=3
	s_delay_alu instid0(SALU_CYCLE_1)
	s_or_b32 exec_lo, exec_lo, s13
	flat_load_i8 v0, v[8:9] offset:352 th:TH_LOAD_NT
	v_mov_b32_e32 v2, 0
	s_mov_b32 s13, exec_lo
	s_wait_loadcnt_dscnt 0x0
	s_wait_xcnt 0x0
	v_cmpx_ne_u16_e32 0, v0
	s_cbranch_execz .LBB6_20149
; %bb.20140:                            ;   in Loop: Header=BB6_19757 Depth=3
	v_bfrev_b32_e32 v2, 1
	s_mov_b32 s14, exec_lo
	v_cmpx_ne_u16_e32 0xff80, v0
	s_cbranch_execz .LBB6_20148
; %bb.20141:                            ;   in Loop: Header=BB6_19757 Depth=3
	v_and_b32_e32 v2, 0x7c, v0
	v_and_b32_e32 v1, 3, v0
	s_delay_alu instid0(VALU_DEP_2) | instskip(SKIP_1) | instid1(SALU_CYCLE_1)
	v_cmp_ne_u32_e32 vcc_lo, 0x7c, v2
                                        ; implicit-def: $vgpr2
	s_and_saveexec_b32 s15, vcc_lo
	s_xor_b32 s15, exec_lo, s15
	s_cbranch_execz .LBB6_20145
; %bb.20142:                            ;   in Loop: Header=BB6_19757 Depth=3
	v_and_b32_e32 v2, 0xff, v0
	s_mov_b32 s75, exec_lo
	s_delay_alu instid0(VALU_DEP_1) | instskip(NEXT) | instid1(VALU_DEP_1)
	v_bfe_u32 v2, v2, 2, 5
	v_cmpx_eq_u32_e32 0, v2
	s_cbranch_execz .LBB6_20144
; %bb.20143:                            ;   in Loop: Header=BB6_19757 Depth=3
	v_clz_i32_u32_e32 v1, v1
	s_delay_alu instid0(VALU_DEP_1) | instskip(SKIP_1) | instid1(VALU_DEP_2)
	v_min_u32_e32 v2, 32, v1
	v_mov_b32_e32 v1, v113
	v_subrev_nc_u32_e32 v3, 29, v2
	v_sub_nc_u32_e32 v2, 30, v2
	s_delay_alu instid0(VALU_DEP_2) | instskip(NEXT) | instid1(VALU_DEP_1)
	v_lshlrev_b64_e32 v[4:5], v3, v[0:1]
	v_and_b32_e32 v1, 3, v4
.LBB6_20144:                            ;   in Loop: Header=BB6_19757 Depth=3
	s_or_b32 exec_lo, exec_lo, s75
	v_bfe_i32 v0, v0, 0, 16
	s_delay_alu instid0(VALU_DEP_1) | instskip(NEXT) | instid1(VALU_DEP_1)
	v_and_b32_e32 v0, 0x80000000, v0
	v_lshl_add_u32 v0, v2, 23, v0
	s_delay_alu instid0(VALU_DEP_1) | instskip(NEXT) | instid1(VALU_DEP_1)
	v_lshl_or_b32 v0, v1, 21, v0
                                        ; implicit-def: $vgpr1
	v_add_nc_u32_e32 v2, 0x38000000, v0
                                        ; implicit-def: $vgpr0
.LBB6_20145:                            ;   in Loop: Header=BB6_19757 Depth=3
	s_and_not1_saveexec_b32 s15, s15
; %bb.20146:                            ;   in Loop: Header=BB6_19757 Depth=3
	v_cmp_lt_i16_e32 vcc_lo, -1, v0
	v_mov_b32_e32 v0, 0x7f800000
	s_delay_alu instid0(VALU_DEP_1) | instskip(SKIP_1) | instid1(VALU_DEP_2)
	v_cndmask_b32_e32 v0, 0xff800000, v0, vcc_lo
	v_cmp_eq_u32_e32 vcc_lo, 0, v1
	v_cndmask_b32_e32 v2, 0x7f800001, v0, vcc_lo
; %bb.20147:                            ;   in Loop: Header=BB6_19757 Depth=3
	s_or_b32 exec_lo, exec_lo, s15
.LBB6_20148:                            ;   in Loop: Header=BB6_19757 Depth=3
	s_delay_alu instid0(SALU_CYCLE_1)
	s_or_b32 exec_lo, exec_lo, s14
.LBB6_20149:                            ;   in Loop: Header=BB6_19757 Depth=3
	s_delay_alu instid0(SALU_CYCLE_1) | instskip(NEXT) | instid1(VALU_DEP_1)
	s_or_b32 exec_lo, exec_lo, s13
	v_dual_mul_f32 v2, s74, v2 :: v_dual_mov_b32 v1, v113
                                        ; implicit-def: $vgpr82
	s_delay_alu instid0(VALU_DEP_1) | instskip(NEXT) | instid1(VALU_DEP_1)
	v_and_b32_e32 v0, 0x7f800000, v2
	v_cmp_ne_u64_e32 vcc_lo, 0x7f800000, v[0:1]
	v_and_b32_e32 v0, 0x7fffff, v2
	s_and_saveexec_b32 s13, vcc_lo
	s_delay_alu instid0(SALU_CYCLE_1)
	s_xor_b32 s14, exec_lo, s13
	s_cbranch_execz .LBB6_20167
; %bb.20150:                            ;   in Loop: Header=BB6_19757 Depth=3
	v_and_b32_e32 v4, 0x7fffffff, v2
	v_dual_mov_b32 v5, v113 :: v_dual_lshrrev_b32 v3, 24, v2
                                        ; implicit-def: $vgpr82
	s_delay_alu instid0(VALU_DEP_1) | instskip(NEXT) | instid1(VALU_DEP_2)
	v_cmp_gt_u64_e32 vcc_lo, 0x47600001, v[4:5]
	v_and_b32_e32 v4, 0x80, v3
	s_and_saveexec_b32 s13, vcc_lo
	s_delay_alu instid0(SALU_CYCLE_1)
	s_xor_b32 s15, exec_lo, s13
	s_cbranch_execz .LBB6_20164
; %bb.20151:                            ;   in Loop: Header=BB6_19757 Depth=3
	v_mov_b32_e32 v82, 0
	s_mov_b32 s75, exec_lo
	v_cmpx_ne_u32_e32 0, v2
	s_cbranch_execz .LBB6_20163
; %bb.20152:                            ;   in Loop: Header=BB6_19757 Depth=3
	v_bfe_u32 v5, v2, 23, 8
	v_or_b32_e32 v7, 0x800000, v0
	s_delay_alu instid0(VALU_DEP_2) | instskip(SKIP_1) | instid1(VALU_DEP_2)
	v_sub_nc_u32_e32 v2, 0x71, v5
	v_cmp_gt_u32_e32 vcc_lo, 0x72, v5
	v_cndmask_b32_e32 v2, 0, v2, vcc_lo
	v_cmp_eq_u32_e32 vcc_lo, 0, v5
	v_cndmask_b32_e32 v0, v7, v0, vcc_lo
	s_delay_alu instid0(VALU_DEP_3) | instskip(NEXT) | instid1(VALU_DEP_1)
	v_cndmask_b32_e64 v6, v2, 0x70, vcc_lo
	v_dual_add_nc_u32 v2, 21, v6 :: v_dual_add_nc_u32 v16, 20, v6
	s_delay_alu instid0(VALU_DEP_1) | instskip(NEXT) | instid1(VALU_DEP_2)
	v_lshlrev_b64_e64 v[2:3], v2, -1
	v_lshlrev_b64_e64 v[16:17], v16, 1
	s_delay_alu instid0(VALU_DEP_2) | instskip(SKIP_1) | instid1(VALU_DEP_4)
	v_bfi_b32 v2, v2, 0, v0
	v_lshrrev_b64 v[0:1], v6, v[0:1]
	v_bfi_b32 v3, v3, 0, 0
	s_delay_alu instid0(VALU_DEP_1) | instskip(NEXT) | instid1(VALU_DEP_3)
	v_cmp_eq_u64_e64 s13, v[2:3], v[16:17]
	v_mov_b64_e32 v[2:3], v[0:1]
	s_and_saveexec_b32 s76, s13
; %bb.20153:                            ;   in Loop: Header=BB6_19757 Depth=3
	v_bfe_u32 v2, v0, 21, 1
	v_mov_b32_e32 v3, v113
	s_delay_alu instid0(VALU_DEP_1) | instskip(NEXT) | instid1(VALU_DEP_1)
	v_add_nc_u64_e32 v[2:3], v[0:1], v[2:3]
	v_add_nc_u64_e32 v[2:3], -1, v[2:3]
; %bb.20154:                            ;   in Loop: Header=BB6_19757 Depth=3
	s_or_b32 exec_lo, exec_lo, s76
	v_add_nc_u32_e32 v1, 0xffffff81, v5
	v_lshrrev_b32_e32 v3, 23, v0
	s_mov_b32 s13, exec_lo
	s_delay_alu instid0(VALU_DEP_2) | instskip(NEXT) | instid1(VALU_DEP_1)
	v_cndmask_b32_e64 v1, v1, 0xffffff82, vcc_lo
	v_add3_u32 v3, v6, v1, v3
	v_and_b32_e32 v1, 0x1fffff, v2
                                        ; implicit-def: $vgpr2
	s_delay_alu instid0(VALU_DEP_1) | instskip(SKIP_1) | instid1(VALU_DEP_2)
	v_dual_add_nc_u32 v5, 14, v3 :: v_dual_add_nc_u32 v0, v1, v0
	v_mov_b32_e32 v1, v113
	v_cmpx_ne_u32_e32 0, v5
	s_xor_b32 s13, exec_lo, s13
; %bb.20155:                            ;   in Loop: Header=BB6_19757 Depth=3
	s_delay_alu instid0(VALU_DEP_2) | instskip(SKIP_2) | instid1(VALU_DEP_2)
	v_cmp_lt_u64_e32 vcc_lo, 0xffffff, v[0:1]
	v_add_nc_u32_e32 v2, 15, v3
	v_cndmask_b32_e64 v3, 0, 1, vcc_lo
	v_cndmask_b32_e32 v2, v5, v2, vcc_lo
	s_delay_alu instid0(VALU_DEP_2)
	v_lshrrev_b64 v[0:1], v3, v[0:1]
; %bb.20156:                            ;   in Loop: Header=BB6_19757 Depth=3
	s_and_not1_saveexec_b32 s13, s13
; %bb.20157:                            ;   in Loop: Header=BB6_19757 Depth=3
	s_delay_alu instid0(VALU_DEP_1)
	v_bfe_u32 v2, v0, 23, 1
; %bb.20158:                            ;   in Loop: Header=BB6_19757 Depth=3
	s_or_b32 exec_lo, exec_lo, s13
	s_delay_alu instid0(VALU_DEP_2) | instskip(NEXT) | instid1(VALU_DEP_2)
	v_lshrrev_b64 v[0:1], 21, v[0:1]
	v_cmp_gt_i32_e32 vcc_lo, 32, v2
	v_cmp_ne_u32_e64 s13, 0, v2
                                        ; implicit-def: $vgpr82
	s_delay_alu instid0(VALU_DEP_3) | instskip(NEXT) | instid1(VALU_DEP_1)
	v_dual_cndmask_b32 v1, 0, v1 :: v_dual_cndmask_b32 v0, 3, v0
	v_cmp_ne_u64_e32 vcc_lo, 0, v[0:1]
	s_or_b32 s13, s13, vcc_lo
	s_delay_alu instid0(SALU_CYCLE_1) | instskip(NEXT) | instid1(SALU_CYCLE_1)
	s_and_saveexec_b32 s76, s13
	s_xor_b32 s13, exec_lo, s76
; %bb.20159:                            ;   in Loop: Header=BB6_19757 Depth=3
	v_min_i32_e32 v1, 31, v2
	s_delay_alu instid0(VALU_DEP_1) | instskip(NEXT) | instid1(VALU_DEP_1)
	v_lshl_or_b32 v1, v1, 2, v4
                                        ; implicit-def: $vgpr4
	v_and_or_b32 v82, v0, 3, v1
; %bb.20160:                            ;   in Loop: Header=BB6_19757 Depth=3
	s_and_not1_saveexec_b32 s13, s13
; %bb.20161:                            ;   in Loop: Header=BB6_19757 Depth=3
	v_mov_b32_e32 v82, v4
; %bb.20162:                            ;   in Loop: Header=BB6_19757 Depth=3
	s_or_b32 exec_lo, exec_lo, s13
.LBB6_20163:                            ;   in Loop: Header=BB6_19757 Depth=3
	s_delay_alu instid0(SALU_CYCLE_1)
	s_or_b32 exec_lo, exec_lo, s75
                                        ; implicit-def: $vgpr4
.LBB6_20164:                            ;   in Loop: Header=BB6_19757 Depth=3
	s_and_not1_saveexec_b32 s13, s15
; %bb.20165:                            ;   in Loop: Header=BB6_19757 Depth=3
	v_or_b32_e32 v82, 0x7b, v4
; %bb.20166:                            ;   in Loop: Header=BB6_19757 Depth=3
	s_or_b32 exec_lo, exec_lo, s13
                                        ; implicit-def: $vgpr2
                                        ; implicit-def: $vgpr0_vgpr1
.LBB6_20167:                            ;   in Loop: Header=BB6_19757 Depth=3
	s_and_not1_saveexec_b32 s13, s14
	s_cbranch_execz .LBB6_20173
; %bb.20168:                            ;   in Loop: Header=BB6_19757 Depth=3
	s_mov_b32 s14, exec_lo
                                        ; implicit-def: $vgpr82
	v_cmpx_ne_u64_e32 0, v[0:1]
	s_xor_b32 s14, exec_lo, s14
; %bb.20169:                            ;   in Loop: Header=BB6_19757 Depth=3
	v_lshrrev_b32_e32 v0, 24, v2
                                        ; implicit-def: $vgpr2
	s_delay_alu instid0(VALU_DEP_1)
	v_or_b32_e32 v82, 0x7f, v0
; %bb.20170:                            ;   in Loop: Header=BB6_19757 Depth=3
	s_and_not1_saveexec_b32 s14, s14
; %bb.20171:                            ;   in Loop: Header=BB6_19757 Depth=3
	v_cmp_lt_i32_e32 vcc_lo, -1, v2
	v_cndmask_b32_e64 v82, -4, 0x7c, vcc_lo
; %bb.20172:                            ;   in Loop: Header=BB6_19757 Depth=3
	s_or_b32 exec_lo, exec_lo, s14
.LBB6_20173:                            ;   in Loop: Header=BB6_19757 Depth=3
	s_delay_alu instid0(SALU_CYCLE_1)
	s_or_b32 exec_lo, exec_lo, s13
	flat_load_i8 v0, v[8:9] offset:384 th:TH_LOAD_NT
	v_mov_b32_e32 v2, 0
	s_mov_b32 s13, exec_lo
	s_wait_loadcnt_dscnt 0x0
	s_wait_xcnt 0x0
	v_cmpx_ne_u16_e32 0, v0
	s_cbranch_execz .LBB6_20183
; %bb.20174:                            ;   in Loop: Header=BB6_19757 Depth=3
	v_bfrev_b32_e32 v2, 1
	s_mov_b32 s14, exec_lo
	v_cmpx_ne_u16_e32 0xff80, v0
	s_cbranch_execz .LBB6_20182
; %bb.20175:                            ;   in Loop: Header=BB6_19757 Depth=3
	v_and_b32_e32 v2, 0x7c, v0
	v_and_b32_e32 v1, 3, v0
	s_delay_alu instid0(VALU_DEP_2) | instskip(SKIP_1) | instid1(SALU_CYCLE_1)
	v_cmp_ne_u32_e32 vcc_lo, 0x7c, v2
                                        ; implicit-def: $vgpr2
	s_and_saveexec_b32 s15, vcc_lo
	s_xor_b32 s15, exec_lo, s15
	s_cbranch_execz .LBB6_20179
; %bb.20176:                            ;   in Loop: Header=BB6_19757 Depth=3
	v_and_b32_e32 v2, 0xff, v0
	s_mov_b32 s75, exec_lo
	s_delay_alu instid0(VALU_DEP_1) | instskip(NEXT) | instid1(VALU_DEP_1)
	v_bfe_u32 v2, v2, 2, 5
	v_cmpx_eq_u32_e32 0, v2
	s_cbranch_execz .LBB6_20178
; %bb.20177:                            ;   in Loop: Header=BB6_19757 Depth=3
	v_clz_i32_u32_e32 v1, v1
	s_delay_alu instid0(VALU_DEP_1) | instskip(SKIP_1) | instid1(VALU_DEP_2)
	v_min_u32_e32 v2, 32, v1
	v_mov_b32_e32 v1, v113
	v_subrev_nc_u32_e32 v3, 29, v2
	v_sub_nc_u32_e32 v2, 30, v2
	s_delay_alu instid0(VALU_DEP_2) | instskip(NEXT) | instid1(VALU_DEP_1)
	v_lshlrev_b64_e32 v[4:5], v3, v[0:1]
	v_and_b32_e32 v1, 3, v4
.LBB6_20178:                            ;   in Loop: Header=BB6_19757 Depth=3
	s_or_b32 exec_lo, exec_lo, s75
	v_bfe_i32 v0, v0, 0, 16
	s_delay_alu instid0(VALU_DEP_1) | instskip(NEXT) | instid1(VALU_DEP_1)
	v_and_b32_e32 v0, 0x80000000, v0
	v_lshl_add_u32 v0, v2, 23, v0
	s_delay_alu instid0(VALU_DEP_1) | instskip(NEXT) | instid1(VALU_DEP_1)
	v_lshl_or_b32 v0, v1, 21, v0
                                        ; implicit-def: $vgpr1
	v_add_nc_u32_e32 v2, 0x38000000, v0
                                        ; implicit-def: $vgpr0
.LBB6_20179:                            ;   in Loop: Header=BB6_19757 Depth=3
	s_and_not1_saveexec_b32 s15, s15
; %bb.20180:                            ;   in Loop: Header=BB6_19757 Depth=3
	v_cmp_lt_i16_e32 vcc_lo, -1, v0
	v_mov_b32_e32 v0, 0x7f800000
	s_delay_alu instid0(VALU_DEP_1) | instskip(SKIP_1) | instid1(VALU_DEP_2)
	v_cndmask_b32_e32 v0, 0xff800000, v0, vcc_lo
	v_cmp_eq_u32_e32 vcc_lo, 0, v1
	v_cndmask_b32_e32 v2, 0x7f800001, v0, vcc_lo
; %bb.20181:                            ;   in Loop: Header=BB6_19757 Depth=3
	s_or_b32 exec_lo, exec_lo, s15
.LBB6_20182:                            ;   in Loop: Header=BB6_19757 Depth=3
	s_delay_alu instid0(SALU_CYCLE_1)
	s_or_b32 exec_lo, exec_lo, s14
.LBB6_20183:                            ;   in Loop: Header=BB6_19757 Depth=3
	s_delay_alu instid0(SALU_CYCLE_1) | instskip(NEXT) | instid1(VALU_DEP_1)
	s_or_b32 exec_lo, exec_lo, s13
	v_dual_mul_f32 v2, s74, v2 :: v_dual_mov_b32 v1, v113
                                        ; implicit-def: $vgpr24
	s_delay_alu instid0(VALU_DEP_1) | instskip(NEXT) | instid1(VALU_DEP_1)
	v_and_b32_e32 v0, 0x7f800000, v2
	v_cmp_ne_u64_e32 vcc_lo, 0x7f800000, v[0:1]
	v_and_b32_e32 v0, 0x7fffff, v2
	s_and_saveexec_b32 s13, vcc_lo
	s_delay_alu instid0(SALU_CYCLE_1)
	s_xor_b32 s14, exec_lo, s13
	s_cbranch_execz .LBB6_20201
; %bb.20184:                            ;   in Loop: Header=BB6_19757 Depth=3
	v_and_b32_e32 v4, 0x7fffffff, v2
	v_dual_mov_b32 v5, v113 :: v_dual_lshrrev_b32 v3, 24, v2
                                        ; implicit-def: $vgpr24
	s_delay_alu instid0(VALU_DEP_1) | instskip(NEXT) | instid1(VALU_DEP_2)
	v_cmp_gt_u64_e32 vcc_lo, 0x47600001, v[4:5]
	v_and_b32_e32 v4, 0x80, v3
	s_and_saveexec_b32 s13, vcc_lo
	s_delay_alu instid0(SALU_CYCLE_1)
	s_xor_b32 s15, exec_lo, s13
	s_cbranch_execz .LBB6_20198
; %bb.20185:                            ;   in Loop: Header=BB6_19757 Depth=3
	v_mov_b32_e32 v24, 0
	s_mov_b32 s75, exec_lo
	v_cmpx_ne_u32_e32 0, v2
	s_cbranch_execz .LBB6_20197
; %bb.20186:                            ;   in Loop: Header=BB6_19757 Depth=3
	v_bfe_u32 v5, v2, 23, 8
	v_or_b32_e32 v7, 0x800000, v0
	s_delay_alu instid0(VALU_DEP_2) | instskip(SKIP_1) | instid1(VALU_DEP_2)
	v_sub_nc_u32_e32 v2, 0x71, v5
	v_cmp_gt_u32_e32 vcc_lo, 0x72, v5
	v_cndmask_b32_e32 v2, 0, v2, vcc_lo
	v_cmp_eq_u32_e32 vcc_lo, 0, v5
	v_cndmask_b32_e32 v0, v7, v0, vcc_lo
	s_delay_alu instid0(VALU_DEP_3) | instskip(NEXT) | instid1(VALU_DEP_1)
	v_cndmask_b32_e64 v6, v2, 0x70, vcc_lo
	v_dual_add_nc_u32 v2, 21, v6 :: v_dual_add_nc_u32 v16, 20, v6
	s_delay_alu instid0(VALU_DEP_1) | instskip(NEXT) | instid1(VALU_DEP_2)
	v_lshlrev_b64_e64 v[2:3], v2, -1
	v_lshlrev_b64_e64 v[16:17], v16, 1
	s_delay_alu instid0(VALU_DEP_2) | instskip(SKIP_1) | instid1(VALU_DEP_4)
	v_bfi_b32 v2, v2, 0, v0
	v_lshrrev_b64 v[0:1], v6, v[0:1]
	v_bfi_b32 v3, v3, 0, 0
	s_delay_alu instid0(VALU_DEP_1) | instskip(NEXT) | instid1(VALU_DEP_3)
	v_cmp_eq_u64_e64 s13, v[2:3], v[16:17]
	v_mov_b64_e32 v[2:3], v[0:1]
	s_and_saveexec_b32 s76, s13
; %bb.20187:                            ;   in Loop: Header=BB6_19757 Depth=3
	v_bfe_u32 v2, v0, 21, 1
	v_mov_b32_e32 v3, v113
	s_delay_alu instid0(VALU_DEP_1) | instskip(NEXT) | instid1(VALU_DEP_1)
	v_add_nc_u64_e32 v[2:3], v[0:1], v[2:3]
	v_add_nc_u64_e32 v[2:3], -1, v[2:3]
; %bb.20188:                            ;   in Loop: Header=BB6_19757 Depth=3
	s_or_b32 exec_lo, exec_lo, s76
	v_add_nc_u32_e32 v1, 0xffffff81, v5
	v_lshrrev_b32_e32 v3, 23, v0
	s_mov_b32 s13, exec_lo
	s_delay_alu instid0(VALU_DEP_2) | instskip(NEXT) | instid1(VALU_DEP_1)
	v_cndmask_b32_e64 v1, v1, 0xffffff82, vcc_lo
	v_add3_u32 v3, v6, v1, v3
	v_and_b32_e32 v1, 0x1fffff, v2
                                        ; implicit-def: $vgpr2
	s_delay_alu instid0(VALU_DEP_1) | instskip(SKIP_1) | instid1(VALU_DEP_2)
	v_dual_add_nc_u32 v5, 14, v3 :: v_dual_add_nc_u32 v0, v1, v0
	v_mov_b32_e32 v1, v113
	v_cmpx_ne_u32_e32 0, v5
	s_xor_b32 s13, exec_lo, s13
; %bb.20189:                            ;   in Loop: Header=BB6_19757 Depth=3
	s_delay_alu instid0(VALU_DEP_2) | instskip(SKIP_2) | instid1(VALU_DEP_2)
	v_cmp_lt_u64_e32 vcc_lo, 0xffffff, v[0:1]
	v_add_nc_u32_e32 v2, 15, v3
	v_cndmask_b32_e64 v3, 0, 1, vcc_lo
	v_cndmask_b32_e32 v2, v5, v2, vcc_lo
	s_delay_alu instid0(VALU_DEP_2)
	v_lshrrev_b64 v[0:1], v3, v[0:1]
; %bb.20190:                            ;   in Loop: Header=BB6_19757 Depth=3
	s_and_not1_saveexec_b32 s13, s13
; %bb.20191:                            ;   in Loop: Header=BB6_19757 Depth=3
	s_delay_alu instid0(VALU_DEP_1)
	v_bfe_u32 v2, v0, 23, 1
; %bb.20192:                            ;   in Loop: Header=BB6_19757 Depth=3
	s_or_b32 exec_lo, exec_lo, s13
	s_delay_alu instid0(VALU_DEP_2) | instskip(NEXT) | instid1(VALU_DEP_2)
	v_lshrrev_b64 v[0:1], 21, v[0:1]
	v_cmp_gt_i32_e32 vcc_lo, 32, v2
	v_cmp_ne_u32_e64 s13, 0, v2
                                        ; implicit-def: $vgpr24
	s_delay_alu instid0(VALU_DEP_3) | instskip(NEXT) | instid1(VALU_DEP_1)
	v_dual_cndmask_b32 v1, 0, v1 :: v_dual_cndmask_b32 v0, 3, v0
	v_cmp_ne_u64_e32 vcc_lo, 0, v[0:1]
	s_or_b32 s13, s13, vcc_lo
	s_delay_alu instid0(SALU_CYCLE_1) | instskip(NEXT) | instid1(SALU_CYCLE_1)
	s_and_saveexec_b32 s76, s13
	s_xor_b32 s13, exec_lo, s76
; %bb.20193:                            ;   in Loop: Header=BB6_19757 Depth=3
	v_min_i32_e32 v1, 31, v2
	s_delay_alu instid0(VALU_DEP_1) | instskip(NEXT) | instid1(VALU_DEP_1)
	v_lshl_or_b32 v1, v1, 2, v4
                                        ; implicit-def: $vgpr4
	v_and_or_b32 v24, v0, 3, v1
; %bb.20194:                            ;   in Loop: Header=BB6_19757 Depth=3
	s_and_not1_saveexec_b32 s13, s13
; %bb.20195:                            ;   in Loop: Header=BB6_19757 Depth=3
	v_mov_b32_e32 v24, v4
; %bb.20196:                            ;   in Loop: Header=BB6_19757 Depth=3
	s_or_b32 exec_lo, exec_lo, s13
.LBB6_20197:                            ;   in Loop: Header=BB6_19757 Depth=3
	s_delay_alu instid0(SALU_CYCLE_1)
	s_or_b32 exec_lo, exec_lo, s75
                                        ; implicit-def: $vgpr4
.LBB6_20198:                            ;   in Loop: Header=BB6_19757 Depth=3
	s_and_not1_saveexec_b32 s13, s15
; %bb.20199:                            ;   in Loop: Header=BB6_19757 Depth=3
	v_or_b32_e32 v24, 0x7b, v4
; %bb.20200:                            ;   in Loop: Header=BB6_19757 Depth=3
	s_or_b32 exec_lo, exec_lo, s13
                                        ; implicit-def: $vgpr2
                                        ; implicit-def: $vgpr0_vgpr1
.LBB6_20201:                            ;   in Loop: Header=BB6_19757 Depth=3
	s_and_not1_saveexec_b32 s13, s14
	s_cbranch_execz .LBB6_20207
; %bb.20202:                            ;   in Loop: Header=BB6_19757 Depth=3
	s_mov_b32 s14, exec_lo
                                        ; implicit-def: $vgpr24
	v_cmpx_ne_u64_e32 0, v[0:1]
	s_xor_b32 s14, exec_lo, s14
; %bb.20203:                            ;   in Loop: Header=BB6_19757 Depth=3
	v_lshrrev_b32_e32 v0, 24, v2
                                        ; implicit-def: $vgpr2
	s_delay_alu instid0(VALU_DEP_1)
	v_or_b32_e32 v24, 0x7f, v0
; %bb.20204:                            ;   in Loop: Header=BB6_19757 Depth=3
	s_and_not1_saveexec_b32 s14, s14
; %bb.20205:                            ;   in Loop: Header=BB6_19757 Depth=3
	v_cmp_lt_i32_e32 vcc_lo, -1, v2
	v_cndmask_b32_e64 v24, -4, 0x7c, vcc_lo
; %bb.20206:                            ;   in Loop: Header=BB6_19757 Depth=3
	s_or_b32 exec_lo, exec_lo, s14
.LBB6_20207:                            ;   in Loop: Header=BB6_19757 Depth=3
	s_delay_alu instid0(SALU_CYCLE_1)
	s_or_b32 exec_lo, exec_lo, s13
	flat_load_i8 v0, v[8:9] offset:416 th:TH_LOAD_NT
	v_mov_b32_e32 v2, 0
	s_mov_b32 s13, exec_lo
	s_wait_loadcnt_dscnt 0x0
	s_wait_xcnt 0x0
	v_cmpx_ne_u16_e32 0, v0
	s_cbranch_execz .LBB6_20217
; %bb.20208:                            ;   in Loop: Header=BB6_19757 Depth=3
	v_bfrev_b32_e32 v2, 1
	s_mov_b32 s14, exec_lo
	v_cmpx_ne_u16_e32 0xff80, v0
	s_cbranch_execz .LBB6_20216
; %bb.20209:                            ;   in Loop: Header=BB6_19757 Depth=3
	v_and_b32_e32 v2, 0x7c, v0
	v_and_b32_e32 v1, 3, v0
	s_delay_alu instid0(VALU_DEP_2) | instskip(SKIP_1) | instid1(SALU_CYCLE_1)
	v_cmp_ne_u32_e32 vcc_lo, 0x7c, v2
                                        ; implicit-def: $vgpr2
	s_and_saveexec_b32 s15, vcc_lo
	s_xor_b32 s15, exec_lo, s15
	s_cbranch_execz .LBB6_20213
; %bb.20210:                            ;   in Loop: Header=BB6_19757 Depth=3
	v_and_b32_e32 v2, 0xff, v0
	s_mov_b32 s75, exec_lo
	s_delay_alu instid0(VALU_DEP_1) | instskip(NEXT) | instid1(VALU_DEP_1)
	v_bfe_u32 v2, v2, 2, 5
	v_cmpx_eq_u32_e32 0, v2
	s_cbranch_execz .LBB6_20212
; %bb.20211:                            ;   in Loop: Header=BB6_19757 Depth=3
	v_clz_i32_u32_e32 v1, v1
	s_delay_alu instid0(VALU_DEP_1) | instskip(SKIP_1) | instid1(VALU_DEP_2)
	v_min_u32_e32 v2, 32, v1
	v_mov_b32_e32 v1, v113
	v_subrev_nc_u32_e32 v3, 29, v2
	v_sub_nc_u32_e32 v2, 30, v2
	s_delay_alu instid0(VALU_DEP_2) | instskip(NEXT) | instid1(VALU_DEP_1)
	v_lshlrev_b64_e32 v[4:5], v3, v[0:1]
	v_and_b32_e32 v1, 3, v4
.LBB6_20212:                            ;   in Loop: Header=BB6_19757 Depth=3
	s_or_b32 exec_lo, exec_lo, s75
	v_bfe_i32 v0, v0, 0, 16
	s_delay_alu instid0(VALU_DEP_1) | instskip(NEXT) | instid1(VALU_DEP_1)
	v_and_b32_e32 v0, 0x80000000, v0
	v_lshl_add_u32 v0, v2, 23, v0
	s_delay_alu instid0(VALU_DEP_1) | instskip(NEXT) | instid1(VALU_DEP_1)
	v_lshl_or_b32 v0, v1, 21, v0
                                        ; implicit-def: $vgpr1
	v_add_nc_u32_e32 v2, 0x38000000, v0
                                        ; implicit-def: $vgpr0
.LBB6_20213:                            ;   in Loop: Header=BB6_19757 Depth=3
	s_and_not1_saveexec_b32 s15, s15
; %bb.20214:                            ;   in Loop: Header=BB6_19757 Depth=3
	v_cmp_lt_i16_e32 vcc_lo, -1, v0
	v_mov_b32_e32 v0, 0x7f800000
	s_delay_alu instid0(VALU_DEP_1) | instskip(SKIP_1) | instid1(VALU_DEP_2)
	v_cndmask_b32_e32 v0, 0xff800000, v0, vcc_lo
	v_cmp_eq_u32_e32 vcc_lo, 0, v1
	v_cndmask_b32_e32 v2, 0x7f800001, v0, vcc_lo
; %bb.20215:                            ;   in Loop: Header=BB6_19757 Depth=3
	s_or_b32 exec_lo, exec_lo, s15
.LBB6_20216:                            ;   in Loop: Header=BB6_19757 Depth=3
	s_delay_alu instid0(SALU_CYCLE_1)
	s_or_b32 exec_lo, exec_lo, s14
.LBB6_20217:                            ;   in Loop: Header=BB6_19757 Depth=3
	s_delay_alu instid0(SALU_CYCLE_1) | instskip(NEXT) | instid1(VALU_DEP_1)
	s_or_b32 exec_lo, exec_lo, s13
	v_dual_mul_f32 v2, s74, v2 :: v_dual_mov_b32 v1, v113
                                        ; implicit-def: $vgpr30
	s_delay_alu instid0(VALU_DEP_1) | instskip(NEXT) | instid1(VALU_DEP_1)
	v_and_b32_e32 v0, 0x7f800000, v2
	v_cmp_ne_u64_e32 vcc_lo, 0x7f800000, v[0:1]
	v_and_b32_e32 v0, 0x7fffff, v2
	s_and_saveexec_b32 s13, vcc_lo
	s_delay_alu instid0(SALU_CYCLE_1)
	s_xor_b32 s14, exec_lo, s13
	s_cbranch_execz .LBB6_20235
; %bb.20218:                            ;   in Loop: Header=BB6_19757 Depth=3
	v_and_b32_e32 v4, 0x7fffffff, v2
	v_dual_mov_b32 v5, v113 :: v_dual_lshrrev_b32 v3, 24, v2
                                        ; implicit-def: $vgpr30
	s_delay_alu instid0(VALU_DEP_1) | instskip(NEXT) | instid1(VALU_DEP_2)
	v_cmp_gt_u64_e32 vcc_lo, 0x47600001, v[4:5]
	v_and_b32_e32 v4, 0x80, v3
	s_and_saveexec_b32 s13, vcc_lo
	s_delay_alu instid0(SALU_CYCLE_1)
	s_xor_b32 s15, exec_lo, s13
	s_cbranch_execz .LBB6_20232
; %bb.20219:                            ;   in Loop: Header=BB6_19757 Depth=3
	v_mov_b32_e32 v30, 0
	s_mov_b32 s75, exec_lo
	v_cmpx_ne_u32_e32 0, v2
	s_cbranch_execz .LBB6_20231
; %bb.20220:                            ;   in Loop: Header=BB6_19757 Depth=3
	v_bfe_u32 v5, v2, 23, 8
	v_or_b32_e32 v7, 0x800000, v0
	s_delay_alu instid0(VALU_DEP_2) | instskip(SKIP_1) | instid1(VALU_DEP_2)
	v_sub_nc_u32_e32 v2, 0x71, v5
	v_cmp_gt_u32_e32 vcc_lo, 0x72, v5
	v_cndmask_b32_e32 v2, 0, v2, vcc_lo
	v_cmp_eq_u32_e32 vcc_lo, 0, v5
	v_cndmask_b32_e32 v0, v7, v0, vcc_lo
	s_delay_alu instid0(VALU_DEP_3) | instskip(NEXT) | instid1(VALU_DEP_1)
	v_cndmask_b32_e64 v6, v2, 0x70, vcc_lo
	v_dual_add_nc_u32 v2, 21, v6 :: v_dual_add_nc_u32 v16, 20, v6
	s_delay_alu instid0(VALU_DEP_1) | instskip(NEXT) | instid1(VALU_DEP_2)
	v_lshlrev_b64_e64 v[2:3], v2, -1
	v_lshlrev_b64_e64 v[16:17], v16, 1
	s_delay_alu instid0(VALU_DEP_2) | instskip(SKIP_1) | instid1(VALU_DEP_4)
	v_bfi_b32 v2, v2, 0, v0
	v_lshrrev_b64 v[0:1], v6, v[0:1]
	v_bfi_b32 v3, v3, 0, 0
	s_delay_alu instid0(VALU_DEP_1) | instskip(NEXT) | instid1(VALU_DEP_3)
	v_cmp_eq_u64_e64 s13, v[2:3], v[16:17]
	v_mov_b64_e32 v[2:3], v[0:1]
	s_and_saveexec_b32 s76, s13
; %bb.20221:                            ;   in Loop: Header=BB6_19757 Depth=3
	v_bfe_u32 v2, v0, 21, 1
	v_mov_b32_e32 v3, v113
	s_delay_alu instid0(VALU_DEP_1) | instskip(NEXT) | instid1(VALU_DEP_1)
	v_add_nc_u64_e32 v[2:3], v[0:1], v[2:3]
	v_add_nc_u64_e32 v[2:3], -1, v[2:3]
; %bb.20222:                            ;   in Loop: Header=BB6_19757 Depth=3
	s_or_b32 exec_lo, exec_lo, s76
	v_add_nc_u32_e32 v1, 0xffffff81, v5
	v_lshrrev_b32_e32 v3, 23, v0
	s_mov_b32 s13, exec_lo
	s_delay_alu instid0(VALU_DEP_2) | instskip(NEXT) | instid1(VALU_DEP_1)
	v_cndmask_b32_e64 v1, v1, 0xffffff82, vcc_lo
	v_add3_u32 v3, v6, v1, v3
	v_and_b32_e32 v1, 0x1fffff, v2
                                        ; implicit-def: $vgpr2
	s_delay_alu instid0(VALU_DEP_1) | instskip(SKIP_1) | instid1(VALU_DEP_2)
	v_dual_add_nc_u32 v5, 14, v3 :: v_dual_add_nc_u32 v0, v1, v0
	v_mov_b32_e32 v1, v113
	v_cmpx_ne_u32_e32 0, v5
	s_xor_b32 s13, exec_lo, s13
; %bb.20223:                            ;   in Loop: Header=BB6_19757 Depth=3
	s_delay_alu instid0(VALU_DEP_2) | instskip(SKIP_2) | instid1(VALU_DEP_2)
	v_cmp_lt_u64_e32 vcc_lo, 0xffffff, v[0:1]
	v_add_nc_u32_e32 v2, 15, v3
	v_cndmask_b32_e64 v3, 0, 1, vcc_lo
	v_cndmask_b32_e32 v2, v5, v2, vcc_lo
	s_delay_alu instid0(VALU_DEP_2)
	v_lshrrev_b64 v[0:1], v3, v[0:1]
; %bb.20224:                            ;   in Loop: Header=BB6_19757 Depth=3
	s_and_not1_saveexec_b32 s13, s13
; %bb.20225:                            ;   in Loop: Header=BB6_19757 Depth=3
	s_delay_alu instid0(VALU_DEP_1)
	v_bfe_u32 v2, v0, 23, 1
; %bb.20226:                            ;   in Loop: Header=BB6_19757 Depth=3
	s_or_b32 exec_lo, exec_lo, s13
	s_delay_alu instid0(VALU_DEP_2) | instskip(NEXT) | instid1(VALU_DEP_2)
	v_lshrrev_b64 v[0:1], 21, v[0:1]
	v_cmp_gt_i32_e32 vcc_lo, 32, v2
	v_cmp_ne_u32_e64 s13, 0, v2
                                        ; implicit-def: $vgpr30
	s_delay_alu instid0(VALU_DEP_3) | instskip(NEXT) | instid1(VALU_DEP_1)
	v_dual_cndmask_b32 v1, 0, v1 :: v_dual_cndmask_b32 v0, 3, v0
	v_cmp_ne_u64_e32 vcc_lo, 0, v[0:1]
	s_or_b32 s13, s13, vcc_lo
	s_delay_alu instid0(SALU_CYCLE_1) | instskip(NEXT) | instid1(SALU_CYCLE_1)
	s_and_saveexec_b32 s76, s13
	s_xor_b32 s13, exec_lo, s76
; %bb.20227:                            ;   in Loop: Header=BB6_19757 Depth=3
	v_min_i32_e32 v1, 31, v2
	s_delay_alu instid0(VALU_DEP_1) | instskip(NEXT) | instid1(VALU_DEP_1)
	v_lshl_or_b32 v1, v1, 2, v4
                                        ; implicit-def: $vgpr4
	v_and_or_b32 v30, v0, 3, v1
; %bb.20228:                            ;   in Loop: Header=BB6_19757 Depth=3
	s_and_not1_saveexec_b32 s13, s13
; %bb.20229:                            ;   in Loop: Header=BB6_19757 Depth=3
	v_mov_b32_e32 v30, v4
; %bb.20230:                            ;   in Loop: Header=BB6_19757 Depth=3
	s_or_b32 exec_lo, exec_lo, s13
.LBB6_20231:                            ;   in Loop: Header=BB6_19757 Depth=3
	s_delay_alu instid0(SALU_CYCLE_1)
	s_or_b32 exec_lo, exec_lo, s75
                                        ; implicit-def: $vgpr4
.LBB6_20232:                            ;   in Loop: Header=BB6_19757 Depth=3
	s_and_not1_saveexec_b32 s13, s15
; %bb.20233:                            ;   in Loop: Header=BB6_19757 Depth=3
	v_or_b32_e32 v30, 0x7b, v4
; %bb.20234:                            ;   in Loop: Header=BB6_19757 Depth=3
	s_or_b32 exec_lo, exec_lo, s13
                                        ; implicit-def: $vgpr2
                                        ; implicit-def: $vgpr0_vgpr1
.LBB6_20235:                            ;   in Loop: Header=BB6_19757 Depth=3
	s_and_not1_saveexec_b32 s13, s14
	s_cbranch_execz .LBB6_20241
; %bb.20236:                            ;   in Loop: Header=BB6_19757 Depth=3
	s_mov_b32 s14, exec_lo
                                        ; implicit-def: $vgpr30
	v_cmpx_ne_u64_e32 0, v[0:1]
	s_xor_b32 s14, exec_lo, s14
; %bb.20237:                            ;   in Loop: Header=BB6_19757 Depth=3
	v_lshrrev_b32_e32 v0, 24, v2
                                        ; implicit-def: $vgpr2
	s_delay_alu instid0(VALU_DEP_1)
	v_or_b32_e32 v30, 0x7f, v0
; %bb.20238:                            ;   in Loop: Header=BB6_19757 Depth=3
	s_and_not1_saveexec_b32 s14, s14
; %bb.20239:                            ;   in Loop: Header=BB6_19757 Depth=3
	v_cmp_lt_i32_e32 vcc_lo, -1, v2
	v_cndmask_b32_e64 v30, -4, 0x7c, vcc_lo
; %bb.20240:                            ;   in Loop: Header=BB6_19757 Depth=3
	s_or_b32 exec_lo, exec_lo, s14
.LBB6_20241:                            ;   in Loop: Header=BB6_19757 Depth=3
	s_delay_alu instid0(SALU_CYCLE_1)
	s_or_b32 exec_lo, exec_lo, s13
	flat_load_i8 v0, v[8:9] offset:448 th:TH_LOAD_NT
	v_mov_b32_e32 v2, 0
	s_mov_b32 s13, exec_lo
	s_wait_loadcnt_dscnt 0x0
	s_wait_xcnt 0x0
	v_cmpx_ne_u16_e32 0, v0
	s_cbranch_execz .LBB6_20251
; %bb.20242:                            ;   in Loop: Header=BB6_19757 Depth=3
	v_bfrev_b32_e32 v2, 1
	s_mov_b32 s14, exec_lo
	v_cmpx_ne_u16_e32 0xff80, v0
	s_cbranch_execz .LBB6_20250
; %bb.20243:                            ;   in Loop: Header=BB6_19757 Depth=3
	v_and_b32_e32 v2, 0x7c, v0
	v_and_b32_e32 v1, 3, v0
	s_delay_alu instid0(VALU_DEP_2) | instskip(SKIP_1) | instid1(SALU_CYCLE_1)
	v_cmp_ne_u32_e32 vcc_lo, 0x7c, v2
                                        ; implicit-def: $vgpr2
	s_and_saveexec_b32 s15, vcc_lo
	s_xor_b32 s15, exec_lo, s15
	s_cbranch_execz .LBB6_20247
; %bb.20244:                            ;   in Loop: Header=BB6_19757 Depth=3
	v_and_b32_e32 v2, 0xff, v0
	s_mov_b32 s75, exec_lo
	s_delay_alu instid0(VALU_DEP_1) | instskip(NEXT) | instid1(VALU_DEP_1)
	v_bfe_u32 v2, v2, 2, 5
	v_cmpx_eq_u32_e32 0, v2
	s_cbranch_execz .LBB6_20246
; %bb.20245:                            ;   in Loop: Header=BB6_19757 Depth=3
	v_clz_i32_u32_e32 v1, v1
	s_delay_alu instid0(VALU_DEP_1) | instskip(SKIP_1) | instid1(VALU_DEP_2)
	v_min_u32_e32 v2, 32, v1
	v_mov_b32_e32 v1, v113
	v_subrev_nc_u32_e32 v3, 29, v2
	v_sub_nc_u32_e32 v2, 30, v2
	s_delay_alu instid0(VALU_DEP_2) | instskip(NEXT) | instid1(VALU_DEP_1)
	v_lshlrev_b64_e32 v[4:5], v3, v[0:1]
	v_and_b32_e32 v1, 3, v4
.LBB6_20246:                            ;   in Loop: Header=BB6_19757 Depth=3
	s_or_b32 exec_lo, exec_lo, s75
	v_bfe_i32 v0, v0, 0, 16
	s_delay_alu instid0(VALU_DEP_1) | instskip(NEXT) | instid1(VALU_DEP_1)
	v_and_b32_e32 v0, 0x80000000, v0
	v_lshl_add_u32 v0, v2, 23, v0
	s_delay_alu instid0(VALU_DEP_1) | instskip(NEXT) | instid1(VALU_DEP_1)
	v_lshl_or_b32 v0, v1, 21, v0
                                        ; implicit-def: $vgpr1
	v_add_nc_u32_e32 v2, 0x38000000, v0
                                        ; implicit-def: $vgpr0
.LBB6_20247:                            ;   in Loop: Header=BB6_19757 Depth=3
	s_and_not1_saveexec_b32 s15, s15
; %bb.20248:                            ;   in Loop: Header=BB6_19757 Depth=3
	v_cmp_lt_i16_e32 vcc_lo, -1, v0
	v_mov_b32_e32 v0, 0x7f800000
	s_delay_alu instid0(VALU_DEP_1) | instskip(SKIP_1) | instid1(VALU_DEP_2)
	v_cndmask_b32_e32 v0, 0xff800000, v0, vcc_lo
	v_cmp_eq_u32_e32 vcc_lo, 0, v1
	v_cndmask_b32_e32 v2, 0x7f800001, v0, vcc_lo
; %bb.20249:                            ;   in Loop: Header=BB6_19757 Depth=3
	s_or_b32 exec_lo, exec_lo, s15
.LBB6_20250:                            ;   in Loop: Header=BB6_19757 Depth=3
	s_delay_alu instid0(SALU_CYCLE_1)
	s_or_b32 exec_lo, exec_lo, s14
.LBB6_20251:                            ;   in Loop: Header=BB6_19757 Depth=3
	s_delay_alu instid0(SALU_CYCLE_1) | instskip(NEXT) | instid1(VALU_DEP_1)
	s_or_b32 exec_lo, exec_lo, s13
	v_dual_mul_f32 v2, s74, v2 :: v_dual_mov_b32 v1, v113
                                        ; implicit-def: $vgpr26
	s_delay_alu instid0(VALU_DEP_1) | instskip(NEXT) | instid1(VALU_DEP_1)
	v_and_b32_e32 v0, 0x7f800000, v2
	v_cmp_ne_u64_e32 vcc_lo, 0x7f800000, v[0:1]
	v_and_b32_e32 v0, 0x7fffff, v2
	s_and_saveexec_b32 s13, vcc_lo
	s_delay_alu instid0(SALU_CYCLE_1)
	s_xor_b32 s14, exec_lo, s13
	s_cbranch_execz .LBB6_20269
; %bb.20252:                            ;   in Loop: Header=BB6_19757 Depth=3
	v_and_b32_e32 v4, 0x7fffffff, v2
	v_dual_mov_b32 v5, v113 :: v_dual_lshrrev_b32 v3, 24, v2
                                        ; implicit-def: $vgpr26
	s_delay_alu instid0(VALU_DEP_1) | instskip(NEXT) | instid1(VALU_DEP_2)
	v_cmp_gt_u64_e32 vcc_lo, 0x47600001, v[4:5]
	v_and_b32_e32 v4, 0x80, v3
	s_and_saveexec_b32 s13, vcc_lo
	s_delay_alu instid0(SALU_CYCLE_1)
	s_xor_b32 s15, exec_lo, s13
	s_cbranch_execz .LBB6_20266
; %bb.20253:                            ;   in Loop: Header=BB6_19757 Depth=3
	v_mov_b32_e32 v26, 0
	s_mov_b32 s75, exec_lo
	v_cmpx_ne_u32_e32 0, v2
	s_cbranch_execz .LBB6_20265
; %bb.20254:                            ;   in Loop: Header=BB6_19757 Depth=3
	v_bfe_u32 v5, v2, 23, 8
	v_or_b32_e32 v7, 0x800000, v0
	s_delay_alu instid0(VALU_DEP_2) | instskip(SKIP_1) | instid1(VALU_DEP_2)
	v_sub_nc_u32_e32 v2, 0x71, v5
	v_cmp_gt_u32_e32 vcc_lo, 0x72, v5
	v_cndmask_b32_e32 v2, 0, v2, vcc_lo
	v_cmp_eq_u32_e32 vcc_lo, 0, v5
	v_cndmask_b32_e32 v0, v7, v0, vcc_lo
	s_delay_alu instid0(VALU_DEP_3) | instskip(NEXT) | instid1(VALU_DEP_1)
	v_cndmask_b32_e64 v6, v2, 0x70, vcc_lo
	v_dual_add_nc_u32 v2, 21, v6 :: v_dual_add_nc_u32 v16, 20, v6
	s_delay_alu instid0(VALU_DEP_1) | instskip(NEXT) | instid1(VALU_DEP_2)
	v_lshlrev_b64_e64 v[2:3], v2, -1
	v_lshlrev_b64_e64 v[16:17], v16, 1
	s_delay_alu instid0(VALU_DEP_2) | instskip(SKIP_1) | instid1(VALU_DEP_4)
	v_bfi_b32 v2, v2, 0, v0
	v_lshrrev_b64 v[0:1], v6, v[0:1]
	v_bfi_b32 v3, v3, 0, 0
	s_delay_alu instid0(VALU_DEP_1) | instskip(NEXT) | instid1(VALU_DEP_3)
	v_cmp_eq_u64_e64 s13, v[2:3], v[16:17]
	v_mov_b64_e32 v[2:3], v[0:1]
	s_and_saveexec_b32 s76, s13
; %bb.20255:                            ;   in Loop: Header=BB6_19757 Depth=3
	v_bfe_u32 v2, v0, 21, 1
	v_mov_b32_e32 v3, v113
	s_delay_alu instid0(VALU_DEP_1) | instskip(NEXT) | instid1(VALU_DEP_1)
	v_add_nc_u64_e32 v[2:3], v[0:1], v[2:3]
	v_add_nc_u64_e32 v[2:3], -1, v[2:3]
; %bb.20256:                            ;   in Loop: Header=BB6_19757 Depth=3
	s_or_b32 exec_lo, exec_lo, s76
	v_add_nc_u32_e32 v1, 0xffffff81, v5
	v_lshrrev_b32_e32 v3, 23, v0
	s_mov_b32 s13, exec_lo
	s_delay_alu instid0(VALU_DEP_2) | instskip(NEXT) | instid1(VALU_DEP_1)
	v_cndmask_b32_e64 v1, v1, 0xffffff82, vcc_lo
	v_add3_u32 v3, v6, v1, v3
	v_and_b32_e32 v1, 0x1fffff, v2
                                        ; implicit-def: $vgpr2
	s_delay_alu instid0(VALU_DEP_1) | instskip(SKIP_1) | instid1(VALU_DEP_2)
	v_dual_add_nc_u32 v5, 14, v3 :: v_dual_add_nc_u32 v0, v1, v0
	v_mov_b32_e32 v1, v113
	v_cmpx_ne_u32_e32 0, v5
	s_xor_b32 s13, exec_lo, s13
; %bb.20257:                            ;   in Loop: Header=BB6_19757 Depth=3
	s_delay_alu instid0(VALU_DEP_2) | instskip(SKIP_2) | instid1(VALU_DEP_2)
	v_cmp_lt_u64_e32 vcc_lo, 0xffffff, v[0:1]
	v_add_nc_u32_e32 v2, 15, v3
	v_cndmask_b32_e64 v3, 0, 1, vcc_lo
	v_cndmask_b32_e32 v2, v5, v2, vcc_lo
	s_delay_alu instid0(VALU_DEP_2)
	v_lshrrev_b64 v[0:1], v3, v[0:1]
; %bb.20258:                            ;   in Loop: Header=BB6_19757 Depth=3
	s_and_not1_saveexec_b32 s13, s13
; %bb.20259:                            ;   in Loop: Header=BB6_19757 Depth=3
	s_delay_alu instid0(VALU_DEP_1)
	v_bfe_u32 v2, v0, 23, 1
; %bb.20260:                            ;   in Loop: Header=BB6_19757 Depth=3
	s_or_b32 exec_lo, exec_lo, s13
	s_delay_alu instid0(VALU_DEP_2) | instskip(NEXT) | instid1(VALU_DEP_2)
	v_lshrrev_b64 v[0:1], 21, v[0:1]
	v_cmp_gt_i32_e32 vcc_lo, 32, v2
	v_cmp_ne_u32_e64 s13, 0, v2
                                        ; implicit-def: $vgpr26
	s_delay_alu instid0(VALU_DEP_3) | instskip(NEXT) | instid1(VALU_DEP_1)
	v_dual_cndmask_b32 v1, 0, v1 :: v_dual_cndmask_b32 v0, 3, v0
	v_cmp_ne_u64_e32 vcc_lo, 0, v[0:1]
	s_or_b32 s13, s13, vcc_lo
	s_delay_alu instid0(SALU_CYCLE_1) | instskip(NEXT) | instid1(SALU_CYCLE_1)
	s_and_saveexec_b32 s76, s13
	s_xor_b32 s13, exec_lo, s76
; %bb.20261:                            ;   in Loop: Header=BB6_19757 Depth=3
	v_min_i32_e32 v1, 31, v2
	s_delay_alu instid0(VALU_DEP_1) | instskip(NEXT) | instid1(VALU_DEP_1)
	v_lshl_or_b32 v1, v1, 2, v4
                                        ; implicit-def: $vgpr4
	v_and_or_b32 v26, v0, 3, v1
; %bb.20262:                            ;   in Loop: Header=BB6_19757 Depth=3
	s_and_not1_saveexec_b32 s13, s13
; %bb.20263:                            ;   in Loop: Header=BB6_19757 Depth=3
	v_mov_b32_e32 v26, v4
; %bb.20264:                            ;   in Loop: Header=BB6_19757 Depth=3
	s_or_b32 exec_lo, exec_lo, s13
.LBB6_20265:                            ;   in Loop: Header=BB6_19757 Depth=3
	s_delay_alu instid0(SALU_CYCLE_1)
	s_or_b32 exec_lo, exec_lo, s75
                                        ; implicit-def: $vgpr4
.LBB6_20266:                            ;   in Loop: Header=BB6_19757 Depth=3
	s_and_not1_saveexec_b32 s13, s15
; %bb.20267:                            ;   in Loop: Header=BB6_19757 Depth=3
	v_or_b32_e32 v26, 0x7b, v4
; %bb.20268:                            ;   in Loop: Header=BB6_19757 Depth=3
	s_or_b32 exec_lo, exec_lo, s13
                                        ; implicit-def: $vgpr2
                                        ; implicit-def: $vgpr0_vgpr1
.LBB6_20269:                            ;   in Loop: Header=BB6_19757 Depth=3
	s_and_not1_saveexec_b32 s13, s14
	s_cbranch_execz .LBB6_20275
; %bb.20270:                            ;   in Loop: Header=BB6_19757 Depth=3
	s_mov_b32 s14, exec_lo
                                        ; implicit-def: $vgpr26
	v_cmpx_ne_u64_e32 0, v[0:1]
	s_xor_b32 s14, exec_lo, s14
; %bb.20271:                            ;   in Loop: Header=BB6_19757 Depth=3
	v_lshrrev_b32_e32 v0, 24, v2
                                        ; implicit-def: $vgpr2
	s_delay_alu instid0(VALU_DEP_1)
	v_or_b32_e32 v26, 0x7f, v0
; %bb.20272:                            ;   in Loop: Header=BB6_19757 Depth=3
	s_and_not1_saveexec_b32 s14, s14
; %bb.20273:                            ;   in Loop: Header=BB6_19757 Depth=3
	v_cmp_lt_i32_e32 vcc_lo, -1, v2
	v_cndmask_b32_e64 v26, -4, 0x7c, vcc_lo
; %bb.20274:                            ;   in Loop: Header=BB6_19757 Depth=3
	s_or_b32 exec_lo, exec_lo, s14
.LBB6_20275:                            ;   in Loop: Header=BB6_19757 Depth=3
	s_delay_alu instid0(SALU_CYCLE_1)
	s_or_b32 exec_lo, exec_lo, s13
	flat_load_i8 v0, v[8:9] offset:480 th:TH_LOAD_NT
	v_mov_b32_e32 v2, 0
	s_mov_b32 s13, exec_lo
	s_wait_loadcnt_dscnt 0x0
	s_wait_xcnt 0x0
	v_cmpx_ne_u16_e32 0, v0
	s_cbranch_execz .LBB6_20285
; %bb.20276:                            ;   in Loop: Header=BB6_19757 Depth=3
	v_bfrev_b32_e32 v2, 1
	s_mov_b32 s14, exec_lo
	v_cmpx_ne_u16_e32 0xff80, v0
	s_cbranch_execz .LBB6_20284
; %bb.20277:                            ;   in Loop: Header=BB6_19757 Depth=3
	v_and_b32_e32 v2, 0x7c, v0
	v_and_b32_e32 v1, 3, v0
	s_delay_alu instid0(VALU_DEP_2) | instskip(SKIP_1) | instid1(SALU_CYCLE_1)
	v_cmp_ne_u32_e32 vcc_lo, 0x7c, v2
                                        ; implicit-def: $vgpr2
	s_and_saveexec_b32 s15, vcc_lo
	s_xor_b32 s15, exec_lo, s15
	s_cbranch_execz .LBB6_20281
; %bb.20278:                            ;   in Loop: Header=BB6_19757 Depth=3
	v_and_b32_e32 v2, 0xff, v0
	s_mov_b32 s75, exec_lo
	s_delay_alu instid0(VALU_DEP_1) | instskip(NEXT) | instid1(VALU_DEP_1)
	v_bfe_u32 v2, v2, 2, 5
	v_cmpx_eq_u32_e32 0, v2
	s_cbranch_execz .LBB6_20280
; %bb.20279:                            ;   in Loop: Header=BB6_19757 Depth=3
	v_clz_i32_u32_e32 v1, v1
	s_delay_alu instid0(VALU_DEP_1) | instskip(SKIP_1) | instid1(VALU_DEP_2)
	v_min_u32_e32 v2, 32, v1
	v_mov_b32_e32 v1, v113
	v_subrev_nc_u32_e32 v3, 29, v2
	v_sub_nc_u32_e32 v2, 30, v2
	s_delay_alu instid0(VALU_DEP_2) | instskip(NEXT) | instid1(VALU_DEP_1)
	v_lshlrev_b64_e32 v[4:5], v3, v[0:1]
	v_and_b32_e32 v1, 3, v4
.LBB6_20280:                            ;   in Loop: Header=BB6_19757 Depth=3
	s_or_b32 exec_lo, exec_lo, s75
	v_bfe_i32 v0, v0, 0, 16
	s_delay_alu instid0(VALU_DEP_1) | instskip(NEXT) | instid1(VALU_DEP_1)
	v_and_b32_e32 v0, 0x80000000, v0
	v_lshl_add_u32 v0, v2, 23, v0
	s_delay_alu instid0(VALU_DEP_1) | instskip(NEXT) | instid1(VALU_DEP_1)
	v_lshl_or_b32 v0, v1, 21, v0
                                        ; implicit-def: $vgpr1
	v_add_nc_u32_e32 v2, 0x38000000, v0
                                        ; implicit-def: $vgpr0
.LBB6_20281:                            ;   in Loop: Header=BB6_19757 Depth=3
	s_and_not1_saveexec_b32 s15, s15
; %bb.20282:                            ;   in Loop: Header=BB6_19757 Depth=3
	v_cmp_lt_i16_e32 vcc_lo, -1, v0
	v_mov_b32_e32 v0, 0x7f800000
	s_delay_alu instid0(VALU_DEP_1) | instskip(SKIP_1) | instid1(VALU_DEP_2)
	v_cndmask_b32_e32 v0, 0xff800000, v0, vcc_lo
	v_cmp_eq_u32_e32 vcc_lo, 0, v1
	v_cndmask_b32_e32 v2, 0x7f800001, v0, vcc_lo
; %bb.20283:                            ;   in Loop: Header=BB6_19757 Depth=3
	s_or_b32 exec_lo, exec_lo, s15
.LBB6_20284:                            ;   in Loop: Header=BB6_19757 Depth=3
	s_delay_alu instid0(SALU_CYCLE_1)
	s_or_b32 exec_lo, exec_lo, s14
.LBB6_20285:                            ;   in Loop: Header=BB6_19757 Depth=3
	s_delay_alu instid0(SALU_CYCLE_1) | instskip(NEXT) | instid1(VALU_DEP_1)
	s_or_b32 exec_lo, exec_lo, s13
	v_dual_mul_f32 v2, s74, v2 :: v_dual_mov_b32 v1, v113
                                        ; implicit-def: $vgpr124
	s_delay_alu instid0(VALU_DEP_1) | instskip(NEXT) | instid1(VALU_DEP_1)
	v_and_b32_e32 v0, 0x7f800000, v2
	v_cmp_ne_u64_e32 vcc_lo, 0x7f800000, v[0:1]
	v_and_b32_e32 v0, 0x7fffff, v2
	s_and_saveexec_b32 s13, vcc_lo
	s_delay_alu instid0(SALU_CYCLE_1)
	s_xor_b32 s14, exec_lo, s13
	s_cbranch_execz .LBB6_20303
; %bb.20286:                            ;   in Loop: Header=BB6_19757 Depth=3
	v_and_b32_e32 v4, 0x7fffffff, v2
	v_dual_mov_b32 v5, v113 :: v_dual_lshrrev_b32 v3, 24, v2
                                        ; implicit-def: $vgpr124
	s_delay_alu instid0(VALU_DEP_1) | instskip(NEXT) | instid1(VALU_DEP_2)
	v_cmp_gt_u64_e32 vcc_lo, 0x47600001, v[4:5]
	v_and_b32_e32 v4, 0x80, v3
	s_and_saveexec_b32 s13, vcc_lo
	s_delay_alu instid0(SALU_CYCLE_1)
	s_xor_b32 s15, exec_lo, s13
	s_cbranch_execz .LBB6_20300
; %bb.20287:                            ;   in Loop: Header=BB6_19757 Depth=3
	v_mov_b32_e32 v124, 0
	s_mov_b32 s75, exec_lo
	v_cmpx_ne_u32_e32 0, v2
	s_cbranch_execz .LBB6_20299
; %bb.20288:                            ;   in Loop: Header=BB6_19757 Depth=3
	v_bfe_u32 v5, v2, 23, 8
	v_or_b32_e32 v7, 0x800000, v0
	s_delay_alu instid0(VALU_DEP_2) | instskip(SKIP_1) | instid1(VALU_DEP_2)
	v_sub_nc_u32_e32 v2, 0x71, v5
	v_cmp_gt_u32_e32 vcc_lo, 0x72, v5
	v_cndmask_b32_e32 v2, 0, v2, vcc_lo
	v_cmp_eq_u32_e32 vcc_lo, 0, v5
	v_cndmask_b32_e32 v0, v7, v0, vcc_lo
	s_delay_alu instid0(VALU_DEP_3) | instskip(NEXT) | instid1(VALU_DEP_1)
	v_cndmask_b32_e64 v6, v2, 0x70, vcc_lo
	v_dual_add_nc_u32 v2, 21, v6 :: v_dual_add_nc_u32 v16, 20, v6
	s_delay_alu instid0(VALU_DEP_1) | instskip(NEXT) | instid1(VALU_DEP_2)
	v_lshlrev_b64_e64 v[2:3], v2, -1
	v_lshlrev_b64_e64 v[16:17], v16, 1
	s_delay_alu instid0(VALU_DEP_2) | instskip(SKIP_1) | instid1(VALU_DEP_4)
	v_bfi_b32 v2, v2, 0, v0
	v_lshrrev_b64 v[0:1], v6, v[0:1]
	v_bfi_b32 v3, v3, 0, 0
	s_delay_alu instid0(VALU_DEP_1) | instskip(NEXT) | instid1(VALU_DEP_3)
	v_cmp_eq_u64_e64 s13, v[2:3], v[16:17]
	v_mov_b64_e32 v[2:3], v[0:1]
	s_and_saveexec_b32 s76, s13
; %bb.20289:                            ;   in Loop: Header=BB6_19757 Depth=3
	v_bfe_u32 v2, v0, 21, 1
	v_mov_b32_e32 v3, v113
	s_delay_alu instid0(VALU_DEP_1) | instskip(NEXT) | instid1(VALU_DEP_1)
	v_add_nc_u64_e32 v[2:3], v[0:1], v[2:3]
	v_add_nc_u64_e32 v[2:3], -1, v[2:3]
; %bb.20290:                            ;   in Loop: Header=BB6_19757 Depth=3
	s_or_b32 exec_lo, exec_lo, s76
	v_add_nc_u32_e32 v1, 0xffffff81, v5
	v_lshrrev_b32_e32 v3, 23, v0
	s_mov_b32 s13, exec_lo
	s_delay_alu instid0(VALU_DEP_2) | instskip(NEXT) | instid1(VALU_DEP_1)
	v_cndmask_b32_e64 v1, v1, 0xffffff82, vcc_lo
	v_add3_u32 v3, v6, v1, v3
	v_and_b32_e32 v1, 0x1fffff, v2
                                        ; implicit-def: $vgpr2
	s_delay_alu instid0(VALU_DEP_1) | instskip(SKIP_1) | instid1(VALU_DEP_2)
	v_dual_add_nc_u32 v5, 14, v3 :: v_dual_add_nc_u32 v0, v1, v0
	v_mov_b32_e32 v1, v113
	v_cmpx_ne_u32_e32 0, v5
	s_xor_b32 s13, exec_lo, s13
; %bb.20291:                            ;   in Loop: Header=BB6_19757 Depth=3
	s_delay_alu instid0(VALU_DEP_2) | instskip(SKIP_2) | instid1(VALU_DEP_2)
	v_cmp_lt_u64_e32 vcc_lo, 0xffffff, v[0:1]
	v_add_nc_u32_e32 v2, 15, v3
	v_cndmask_b32_e64 v3, 0, 1, vcc_lo
	v_cndmask_b32_e32 v2, v5, v2, vcc_lo
	s_delay_alu instid0(VALU_DEP_2)
	v_lshrrev_b64 v[0:1], v3, v[0:1]
; %bb.20292:                            ;   in Loop: Header=BB6_19757 Depth=3
	s_and_not1_saveexec_b32 s13, s13
; %bb.20293:                            ;   in Loop: Header=BB6_19757 Depth=3
	s_delay_alu instid0(VALU_DEP_1)
	v_bfe_u32 v2, v0, 23, 1
; %bb.20294:                            ;   in Loop: Header=BB6_19757 Depth=3
	s_or_b32 exec_lo, exec_lo, s13
	s_delay_alu instid0(VALU_DEP_2) | instskip(NEXT) | instid1(VALU_DEP_2)
	v_lshrrev_b64 v[0:1], 21, v[0:1]
	v_cmp_gt_i32_e32 vcc_lo, 32, v2
	v_cmp_ne_u32_e64 s13, 0, v2
                                        ; implicit-def: $vgpr124
	s_delay_alu instid0(VALU_DEP_3) | instskip(NEXT) | instid1(VALU_DEP_1)
	v_dual_cndmask_b32 v1, 0, v1 :: v_dual_cndmask_b32 v0, 3, v0
	v_cmp_ne_u64_e32 vcc_lo, 0, v[0:1]
	s_or_b32 s13, s13, vcc_lo
	s_delay_alu instid0(SALU_CYCLE_1) | instskip(NEXT) | instid1(SALU_CYCLE_1)
	s_and_saveexec_b32 s76, s13
	s_xor_b32 s13, exec_lo, s76
; %bb.20295:                            ;   in Loop: Header=BB6_19757 Depth=3
	v_min_i32_e32 v1, 31, v2
	s_delay_alu instid0(VALU_DEP_1) | instskip(NEXT) | instid1(VALU_DEP_1)
	v_lshl_or_b32 v1, v1, 2, v4
                                        ; implicit-def: $vgpr4
	v_and_or_b32 v124, v0, 3, v1
; %bb.20296:                            ;   in Loop: Header=BB6_19757 Depth=3
	s_and_not1_saveexec_b32 s13, s13
; %bb.20297:                            ;   in Loop: Header=BB6_19757 Depth=3
	v_mov_b32_e32 v124, v4
; %bb.20298:                            ;   in Loop: Header=BB6_19757 Depth=3
	s_or_b32 exec_lo, exec_lo, s13
.LBB6_20299:                            ;   in Loop: Header=BB6_19757 Depth=3
	s_delay_alu instid0(SALU_CYCLE_1)
	s_or_b32 exec_lo, exec_lo, s75
                                        ; implicit-def: $vgpr4
.LBB6_20300:                            ;   in Loop: Header=BB6_19757 Depth=3
	s_and_not1_saveexec_b32 s13, s15
; %bb.20301:                            ;   in Loop: Header=BB6_19757 Depth=3
	v_or_b32_e32 v124, 0x7b, v4
; %bb.20302:                            ;   in Loop: Header=BB6_19757 Depth=3
	s_or_b32 exec_lo, exec_lo, s13
                                        ; implicit-def: $vgpr2
                                        ; implicit-def: $vgpr0_vgpr1
.LBB6_20303:                            ;   in Loop: Header=BB6_19757 Depth=3
	s_and_not1_saveexec_b32 s13, s14
	s_cbranch_execz .LBB6_20309
; %bb.20304:                            ;   in Loop: Header=BB6_19757 Depth=3
	s_mov_b32 s14, exec_lo
                                        ; implicit-def: $vgpr124
	v_cmpx_ne_u64_e32 0, v[0:1]
	s_xor_b32 s14, exec_lo, s14
; %bb.20305:                            ;   in Loop: Header=BB6_19757 Depth=3
	v_lshrrev_b32_e32 v0, 24, v2
                                        ; implicit-def: $vgpr2
	s_delay_alu instid0(VALU_DEP_1)
	v_or_b32_e32 v124, 0x7f, v0
; %bb.20306:                            ;   in Loop: Header=BB6_19757 Depth=3
	s_and_not1_saveexec_b32 s14, s14
; %bb.20307:                            ;   in Loop: Header=BB6_19757 Depth=3
	v_cmp_lt_i32_e32 vcc_lo, -1, v2
	v_cndmask_b32_e64 v124, -4, 0x7c, vcc_lo
; %bb.20308:                            ;   in Loop: Header=BB6_19757 Depth=3
	s_or_b32 exec_lo, exec_lo, s14
.LBB6_20309:                            ;   in Loop: Header=BB6_19757 Depth=3
	s_delay_alu instid0(SALU_CYCLE_1)
	s_or_b32 exec_lo, exec_lo, s13
	flat_load_i8 v0, v[8:9] offset:512 th:TH_LOAD_NT
	v_mov_b32_e32 v2, 0
	s_mov_b32 s13, exec_lo
	s_wait_loadcnt_dscnt 0x0
	s_wait_xcnt 0x0
	v_cmpx_ne_u16_e32 0, v0
	s_cbranch_execz .LBB6_20319
; %bb.20310:                            ;   in Loop: Header=BB6_19757 Depth=3
	v_bfrev_b32_e32 v2, 1
	s_mov_b32 s14, exec_lo
	v_cmpx_ne_u16_e32 0xff80, v0
	s_cbranch_execz .LBB6_20318
; %bb.20311:                            ;   in Loop: Header=BB6_19757 Depth=3
	v_and_b32_e32 v2, 0x7c, v0
	v_and_b32_e32 v1, 3, v0
	s_delay_alu instid0(VALU_DEP_2) | instskip(SKIP_1) | instid1(SALU_CYCLE_1)
	v_cmp_ne_u32_e32 vcc_lo, 0x7c, v2
                                        ; implicit-def: $vgpr2
	s_and_saveexec_b32 s15, vcc_lo
	s_xor_b32 s15, exec_lo, s15
	s_cbranch_execz .LBB6_20315
; %bb.20312:                            ;   in Loop: Header=BB6_19757 Depth=3
	v_and_b32_e32 v2, 0xff, v0
	s_mov_b32 s75, exec_lo
	s_delay_alu instid0(VALU_DEP_1) | instskip(NEXT) | instid1(VALU_DEP_1)
	v_bfe_u32 v2, v2, 2, 5
	v_cmpx_eq_u32_e32 0, v2
	s_cbranch_execz .LBB6_20314
; %bb.20313:                            ;   in Loop: Header=BB6_19757 Depth=3
	v_clz_i32_u32_e32 v1, v1
	s_delay_alu instid0(VALU_DEP_1) | instskip(SKIP_1) | instid1(VALU_DEP_2)
	v_min_u32_e32 v2, 32, v1
	v_mov_b32_e32 v1, v113
	v_subrev_nc_u32_e32 v3, 29, v2
	v_sub_nc_u32_e32 v2, 30, v2
	s_delay_alu instid0(VALU_DEP_2) | instskip(NEXT) | instid1(VALU_DEP_1)
	v_lshlrev_b64_e32 v[4:5], v3, v[0:1]
	v_and_b32_e32 v1, 3, v4
.LBB6_20314:                            ;   in Loop: Header=BB6_19757 Depth=3
	s_or_b32 exec_lo, exec_lo, s75
	v_bfe_i32 v0, v0, 0, 16
	s_delay_alu instid0(VALU_DEP_1) | instskip(NEXT) | instid1(VALU_DEP_1)
	v_and_b32_e32 v0, 0x80000000, v0
	v_lshl_add_u32 v0, v2, 23, v0
	s_delay_alu instid0(VALU_DEP_1) | instskip(NEXT) | instid1(VALU_DEP_1)
	v_lshl_or_b32 v0, v1, 21, v0
                                        ; implicit-def: $vgpr1
	v_add_nc_u32_e32 v2, 0x38000000, v0
                                        ; implicit-def: $vgpr0
.LBB6_20315:                            ;   in Loop: Header=BB6_19757 Depth=3
	s_and_not1_saveexec_b32 s15, s15
; %bb.20316:                            ;   in Loop: Header=BB6_19757 Depth=3
	v_cmp_lt_i16_e32 vcc_lo, -1, v0
	v_mov_b32_e32 v0, 0x7f800000
	s_delay_alu instid0(VALU_DEP_1) | instskip(SKIP_1) | instid1(VALU_DEP_2)
	v_cndmask_b32_e32 v0, 0xff800000, v0, vcc_lo
	v_cmp_eq_u32_e32 vcc_lo, 0, v1
	v_cndmask_b32_e32 v2, 0x7f800001, v0, vcc_lo
; %bb.20317:                            ;   in Loop: Header=BB6_19757 Depth=3
	s_or_b32 exec_lo, exec_lo, s15
.LBB6_20318:                            ;   in Loop: Header=BB6_19757 Depth=3
	s_delay_alu instid0(SALU_CYCLE_1)
	s_or_b32 exec_lo, exec_lo, s14
.LBB6_20319:                            ;   in Loop: Header=BB6_19757 Depth=3
	s_delay_alu instid0(SALU_CYCLE_1) | instskip(NEXT) | instid1(VALU_DEP_1)
	s_or_b32 exec_lo, exec_lo, s13
	v_dual_mul_f32 v2, s74, v2 :: v_dual_mov_b32 v1, v113
                                        ; implicit-def: $vgpr122
	s_delay_alu instid0(VALU_DEP_1) | instskip(NEXT) | instid1(VALU_DEP_1)
	v_and_b32_e32 v0, 0x7f800000, v2
	v_cmp_ne_u64_e32 vcc_lo, 0x7f800000, v[0:1]
	v_and_b32_e32 v0, 0x7fffff, v2
	s_and_saveexec_b32 s13, vcc_lo
	s_delay_alu instid0(SALU_CYCLE_1)
	s_xor_b32 s14, exec_lo, s13
	s_cbranch_execz .LBB6_20337
; %bb.20320:                            ;   in Loop: Header=BB6_19757 Depth=3
	v_and_b32_e32 v4, 0x7fffffff, v2
	v_dual_mov_b32 v5, v113 :: v_dual_lshrrev_b32 v3, 24, v2
                                        ; implicit-def: $vgpr122
	s_delay_alu instid0(VALU_DEP_1) | instskip(NEXT) | instid1(VALU_DEP_2)
	v_cmp_gt_u64_e32 vcc_lo, 0x47600001, v[4:5]
	v_and_b32_e32 v4, 0x80, v3
	s_and_saveexec_b32 s13, vcc_lo
	s_delay_alu instid0(SALU_CYCLE_1)
	s_xor_b32 s15, exec_lo, s13
	s_cbranch_execz .LBB6_20334
; %bb.20321:                            ;   in Loop: Header=BB6_19757 Depth=3
	v_mov_b32_e32 v122, 0
	s_mov_b32 s75, exec_lo
	v_cmpx_ne_u32_e32 0, v2
	s_cbranch_execz .LBB6_20333
; %bb.20322:                            ;   in Loop: Header=BB6_19757 Depth=3
	v_bfe_u32 v5, v2, 23, 8
	v_or_b32_e32 v7, 0x800000, v0
	s_delay_alu instid0(VALU_DEP_2) | instskip(SKIP_1) | instid1(VALU_DEP_2)
	v_sub_nc_u32_e32 v2, 0x71, v5
	v_cmp_gt_u32_e32 vcc_lo, 0x72, v5
	v_cndmask_b32_e32 v2, 0, v2, vcc_lo
	v_cmp_eq_u32_e32 vcc_lo, 0, v5
	v_cndmask_b32_e32 v0, v7, v0, vcc_lo
	s_delay_alu instid0(VALU_DEP_3) | instskip(NEXT) | instid1(VALU_DEP_1)
	v_cndmask_b32_e64 v6, v2, 0x70, vcc_lo
	v_dual_add_nc_u32 v2, 21, v6 :: v_dual_add_nc_u32 v16, 20, v6
	s_delay_alu instid0(VALU_DEP_1) | instskip(NEXT) | instid1(VALU_DEP_2)
	v_lshlrev_b64_e64 v[2:3], v2, -1
	v_lshlrev_b64_e64 v[16:17], v16, 1
	s_delay_alu instid0(VALU_DEP_2) | instskip(SKIP_1) | instid1(VALU_DEP_4)
	v_bfi_b32 v2, v2, 0, v0
	v_lshrrev_b64 v[0:1], v6, v[0:1]
	v_bfi_b32 v3, v3, 0, 0
	s_delay_alu instid0(VALU_DEP_1) | instskip(NEXT) | instid1(VALU_DEP_3)
	v_cmp_eq_u64_e64 s13, v[2:3], v[16:17]
	v_mov_b64_e32 v[2:3], v[0:1]
	s_and_saveexec_b32 s76, s13
; %bb.20323:                            ;   in Loop: Header=BB6_19757 Depth=3
	v_bfe_u32 v2, v0, 21, 1
	v_mov_b32_e32 v3, v113
	s_delay_alu instid0(VALU_DEP_1) | instskip(NEXT) | instid1(VALU_DEP_1)
	v_add_nc_u64_e32 v[2:3], v[0:1], v[2:3]
	v_add_nc_u64_e32 v[2:3], -1, v[2:3]
; %bb.20324:                            ;   in Loop: Header=BB6_19757 Depth=3
	s_or_b32 exec_lo, exec_lo, s76
	v_add_nc_u32_e32 v1, 0xffffff81, v5
	v_lshrrev_b32_e32 v3, 23, v0
	s_mov_b32 s13, exec_lo
	s_delay_alu instid0(VALU_DEP_2) | instskip(NEXT) | instid1(VALU_DEP_1)
	v_cndmask_b32_e64 v1, v1, 0xffffff82, vcc_lo
	v_add3_u32 v3, v6, v1, v3
	v_and_b32_e32 v1, 0x1fffff, v2
                                        ; implicit-def: $vgpr2
	s_delay_alu instid0(VALU_DEP_1) | instskip(SKIP_1) | instid1(VALU_DEP_2)
	v_dual_add_nc_u32 v5, 14, v3 :: v_dual_add_nc_u32 v0, v1, v0
	v_mov_b32_e32 v1, v113
	v_cmpx_ne_u32_e32 0, v5
	s_xor_b32 s13, exec_lo, s13
; %bb.20325:                            ;   in Loop: Header=BB6_19757 Depth=3
	s_delay_alu instid0(VALU_DEP_2) | instskip(SKIP_2) | instid1(VALU_DEP_2)
	v_cmp_lt_u64_e32 vcc_lo, 0xffffff, v[0:1]
	v_add_nc_u32_e32 v2, 15, v3
	v_cndmask_b32_e64 v3, 0, 1, vcc_lo
	v_cndmask_b32_e32 v2, v5, v2, vcc_lo
	s_delay_alu instid0(VALU_DEP_2)
	v_lshrrev_b64 v[0:1], v3, v[0:1]
; %bb.20326:                            ;   in Loop: Header=BB6_19757 Depth=3
	s_and_not1_saveexec_b32 s13, s13
; %bb.20327:                            ;   in Loop: Header=BB6_19757 Depth=3
	s_delay_alu instid0(VALU_DEP_1)
	v_bfe_u32 v2, v0, 23, 1
; %bb.20328:                            ;   in Loop: Header=BB6_19757 Depth=3
	s_or_b32 exec_lo, exec_lo, s13
	s_delay_alu instid0(VALU_DEP_2) | instskip(NEXT) | instid1(VALU_DEP_2)
	v_lshrrev_b64 v[0:1], 21, v[0:1]
	v_cmp_gt_i32_e32 vcc_lo, 32, v2
	v_cmp_ne_u32_e64 s13, 0, v2
                                        ; implicit-def: $vgpr122
	s_delay_alu instid0(VALU_DEP_3) | instskip(NEXT) | instid1(VALU_DEP_1)
	v_dual_cndmask_b32 v1, 0, v1 :: v_dual_cndmask_b32 v0, 3, v0
	v_cmp_ne_u64_e32 vcc_lo, 0, v[0:1]
	s_or_b32 s13, s13, vcc_lo
	s_delay_alu instid0(SALU_CYCLE_1) | instskip(NEXT) | instid1(SALU_CYCLE_1)
	s_and_saveexec_b32 s76, s13
	s_xor_b32 s13, exec_lo, s76
; %bb.20329:                            ;   in Loop: Header=BB6_19757 Depth=3
	v_min_i32_e32 v1, 31, v2
	s_delay_alu instid0(VALU_DEP_1) | instskip(NEXT) | instid1(VALU_DEP_1)
	v_lshl_or_b32 v1, v1, 2, v4
                                        ; implicit-def: $vgpr4
	v_and_or_b32 v122, v0, 3, v1
; %bb.20330:                            ;   in Loop: Header=BB6_19757 Depth=3
	s_and_not1_saveexec_b32 s13, s13
; %bb.20331:                            ;   in Loop: Header=BB6_19757 Depth=3
	v_mov_b32_e32 v122, v4
; %bb.20332:                            ;   in Loop: Header=BB6_19757 Depth=3
	s_or_b32 exec_lo, exec_lo, s13
.LBB6_20333:                            ;   in Loop: Header=BB6_19757 Depth=3
	s_delay_alu instid0(SALU_CYCLE_1)
	s_or_b32 exec_lo, exec_lo, s75
                                        ; implicit-def: $vgpr4
.LBB6_20334:                            ;   in Loop: Header=BB6_19757 Depth=3
	s_and_not1_saveexec_b32 s13, s15
; %bb.20335:                            ;   in Loop: Header=BB6_19757 Depth=3
	v_or_b32_e32 v122, 0x7b, v4
; %bb.20336:                            ;   in Loop: Header=BB6_19757 Depth=3
	s_or_b32 exec_lo, exec_lo, s13
                                        ; implicit-def: $vgpr2
                                        ; implicit-def: $vgpr0_vgpr1
.LBB6_20337:                            ;   in Loop: Header=BB6_19757 Depth=3
	s_and_not1_saveexec_b32 s13, s14
	s_cbranch_execz .LBB6_20343
; %bb.20338:                            ;   in Loop: Header=BB6_19757 Depth=3
	s_mov_b32 s14, exec_lo
                                        ; implicit-def: $vgpr122
	v_cmpx_ne_u64_e32 0, v[0:1]
	s_xor_b32 s14, exec_lo, s14
; %bb.20339:                            ;   in Loop: Header=BB6_19757 Depth=3
	v_lshrrev_b32_e32 v0, 24, v2
                                        ; implicit-def: $vgpr2
	s_delay_alu instid0(VALU_DEP_1)
	v_or_b32_e32 v122, 0x7f, v0
; %bb.20340:                            ;   in Loop: Header=BB6_19757 Depth=3
	s_and_not1_saveexec_b32 s14, s14
; %bb.20341:                            ;   in Loop: Header=BB6_19757 Depth=3
	v_cmp_lt_i32_e32 vcc_lo, -1, v2
	v_cndmask_b32_e64 v122, -4, 0x7c, vcc_lo
; %bb.20342:                            ;   in Loop: Header=BB6_19757 Depth=3
	s_or_b32 exec_lo, exec_lo, s14
.LBB6_20343:                            ;   in Loop: Header=BB6_19757 Depth=3
	s_delay_alu instid0(SALU_CYCLE_1)
	s_or_b32 exec_lo, exec_lo, s13
	flat_load_i8 v0, v[8:9] offset:544 th:TH_LOAD_NT
	v_mov_b32_e32 v2, 0
	s_mov_b32 s13, exec_lo
	s_wait_loadcnt_dscnt 0x0
	s_wait_xcnt 0x0
	v_cmpx_ne_u16_e32 0, v0
	s_cbranch_execz .LBB6_20353
; %bb.20344:                            ;   in Loop: Header=BB6_19757 Depth=3
	v_bfrev_b32_e32 v2, 1
	s_mov_b32 s14, exec_lo
	v_cmpx_ne_u16_e32 0xff80, v0
	s_cbranch_execz .LBB6_20352
; %bb.20345:                            ;   in Loop: Header=BB6_19757 Depth=3
	v_and_b32_e32 v2, 0x7c, v0
	v_and_b32_e32 v1, 3, v0
	s_delay_alu instid0(VALU_DEP_2) | instskip(SKIP_1) | instid1(SALU_CYCLE_1)
	v_cmp_ne_u32_e32 vcc_lo, 0x7c, v2
                                        ; implicit-def: $vgpr2
	s_and_saveexec_b32 s15, vcc_lo
	s_xor_b32 s15, exec_lo, s15
	s_cbranch_execz .LBB6_20349
; %bb.20346:                            ;   in Loop: Header=BB6_19757 Depth=3
	v_and_b32_e32 v2, 0xff, v0
	s_mov_b32 s75, exec_lo
	s_delay_alu instid0(VALU_DEP_1) | instskip(NEXT) | instid1(VALU_DEP_1)
	v_bfe_u32 v2, v2, 2, 5
	v_cmpx_eq_u32_e32 0, v2
	s_cbranch_execz .LBB6_20348
; %bb.20347:                            ;   in Loop: Header=BB6_19757 Depth=3
	v_clz_i32_u32_e32 v1, v1
	s_delay_alu instid0(VALU_DEP_1) | instskip(SKIP_1) | instid1(VALU_DEP_2)
	v_min_u32_e32 v2, 32, v1
	v_mov_b32_e32 v1, v113
	v_subrev_nc_u32_e32 v3, 29, v2
	v_sub_nc_u32_e32 v2, 30, v2
	s_delay_alu instid0(VALU_DEP_2) | instskip(NEXT) | instid1(VALU_DEP_1)
	v_lshlrev_b64_e32 v[4:5], v3, v[0:1]
	v_and_b32_e32 v1, 3, v4
.LBB6_20348:                            ;   in Loop: Header=BB6_19757 Depth=3
	s_or_b32 exec_lo, exec_lo, s75
	v_bfe_i32 v0, v0, 0, 16
	s_delay_alu instid0(VALU_DEP_1) | instskip(NEXT) | instid1(VALU_DEP_1)
	v_and_b32_e32 v0, 0x80000000, v0
	v_lshl_add_u32 v0, v2, 23, v0
	s_delay_alu instid0(VALU_DEP_1) | instskip(NEXT) | instid1(VALU_DEP_1)
	v_lshl_or_b32 v0, v1, 21, v0
                                        ; implicit-def: $vgpr1
	v_add_nc_u32_e32 v2, 0x38000000, v0
                                        ; implicit-def: $vgpr0
.LBB6_20349:                            ;   in Loop: Header=BB6_19757 Depth=3
	s_and_not1_saveexec_b32 s15, s15
; %bb.20350:                            ;   in Loop: Header=BB6_19757 Depth=3
	v_cmp_lt_i16_e32 vcc_lo, -1, v0
	v_mov_b32_e32 v0, 0x7f800000
	s_delay_alu instid0(VALU_DEP_1) | instskip(SKIP_1) | instid1(VALU_DEP_2)
	v_cndmask_b32_e32 v0, 0xff800000, v0, vcc_lo
	v_cmp_eq_u32_e32 vcc_lo, 0, v1
	v_cndmask_b32_e32 v2, 0x7f800001, v0, vcc_lo
; %bb.20351:                            ;   in Loop: Header=BB6_19757 Depth=3
	s_or_b32 exec_lo, exec_lo, s15
.LBB6_20352:                            ;   in Loop: Header=BB6_19757 Depth=3
	s_delay_alu instid0(SALU_CYCLE_1)
	s_or_b32 exec_lo, exec_lo, s14
.LBB6_20353:                            ;   in Loop: Header=BB6_19757 Depth=3
	s_delay_alu instid0(SALU_CYCLE_1) | instskip(NEXT) | instid1(VALU_DEP_1)
	s_or_b32 exec_lo, exec_lo, s13
	v_dual_mul_f32 v2, s74, v2 :: v_dual_mov_b32 v1, v113
                                        ; implicit-def: $vgpr120
	s_delay_alu instid0(VALU_DEP_1) | instskip(NEXT) | instid1(VALU_DEP_1)
	v_and_b32_e32 v0, 0x7f800000, v2
	v_cmp_ne_u64_e32 vcc_lo, 0x7f800000, v[0:1]
	v_and_b32_e32 v0, 0x7fffff, v2
	s_and_saveexec_b32 s13, vcc_lo
	s_delay_alu instid0(SALU_CYCLE_1)
	s_xor_b32 s14, exec_lo, s13
	s_cbranch_execz .LBB6_20371
; %bb.20354:                            ;   in Loop: Header=BB6_19757 Depth=3
	v_and_b32_e32 v4, 0x7fffffff, v2
	v_dual_mov_b32 v5, v113 :: v_dual_lshrrev_b32 v3, 24, v2
                                        ; implicit-def: $vgpr120
	s_delay_alu instid0(VALU_DEP_1) | instskip(NEXT) | instid1(VALU_DEP_2)
	v_cmp_gt_u64_e32 vcc_lo, 0x47600001, v[4:5]
	v_and_b32_e32 v4, 0x80, v3
	s_and_saveexec_b32 s13, vcc_lo
	s_delay_alu instid0(SALU_CYCLE_1)
	s_xor_b32 s15, exec_lo, s13
	s_cbranch_execz .LBB6_20368
; %bb.20355:                            ;   in Loop: Header=BB6_19757 Depth=3
	v_mov_b32_e32 v120, 0
	s_mov_b32 s75, exec_lo
	v_cmpx_ne_u32_e32 0, v2
	s_cbranch_execz .LBB6_20367
; %bb.20356:                            ;   in Loop: Header=BB6_19757 Depth=3
	v_bfe_u32 v5, v2, 23, 8
	v_or_b32_e32 v7, 0x800000, v0
	s_delay_alu instid0(VALU_DEP_2) | instskip(SKIP_1) | instid1(VALU_DEP_2)
	v_sub_nc_u32_e32 v2, 0x71, v5
	v_cmp_gt_u32_e32 vcc_lo, 0x72, v5
	v_cndmask_b32_e32 v2, 0, v2, vcc_lo
	v_cmp_eq_u32_e32 vcc_lo, 0, v5
	v_cndmask_b32_e32 v0, v7, v0, vcc_lo
	s_delay_alu instid0(VALU_DEP_3) | instskip(NEXT) | instid1(VALU_DEP_1)
	v_cndmask_b32_e64 v6, v2, 0x70, vcc_lo
	v_dual_add_nc_u32 v2, 21, v6 :: v_dual_add_nc_u32 v16, 20, v6
	s_delay_alu instid0(VALU_DEP_1) | instskip(NEXT) | instid1(VALU_DEP_2)
	v_lshlrev_b64_e64 v[2:3], v2, -1
	v_lshlrev_b64_e64 v[16:17], v16, 1
	s_delay_alu instid0(VALU_DEP_2) | instskip(SKIP_1) | instid1(VALU_DEP_4)
	v_bfi_b32 v2, v2, 0, v0
	v_lshrrev_b64 v[0:1], v6, v[0:1]
	v_bfi_b32 v3, v3, 0, 0
	s_delay_alu instid0(VALU_DEP_1) | instskip(NEXT) | instid1(VALU_DEP_3)
	v_cmp_eq_u64_e64 s13, v[2:3], v[16:17]
	v_mov_b64_e32 v[2:3], v[0:1]
	s_and_saveexec_b32 s76, s13
; %bb.20357:                            ;   in Loop: Header=BB6_19757 Depth=3
	v_bfe_u32 v2, v0, 21, 1
	v_mov_b32_e32 v3, v113
	s_delay_alu instid0(VALU_DEP_1) | instskip(NEXT) | instid1(VALU_DEP_1)
	v_add_nc_u64_e32 v[2:3], v[0:1], v[2:3]
	v_add_nc_u64_e32 v[2:3], -1, v[2:3]
; %bb.20358:                            ;   in Loop: Header=BB6_19757 Depth=3
	s_or_b32 exec_lo, exec_lo, s76
	v_add_nc_u32_e32 v1, 0xffffff81, v5
	v_lshrrev_b32_e32 v3, 23, v0
	s_mov_b32 s13, exec_lo
	s_delay_alu instid0(VALU_DEP_2) | instskip(NEXT) | instid1(VALU_DEP_1)
	v_cndmask_b32_e64 v1, v1, 0xffffff82, vcc_lo
	v_add3_u32 v3, v6, v1, v3
	v_and_b32_e32 v1, 0x1fffff, v2
                                        ; implicit-def: $vgpr2
	s_delay_alu instid0(VALU_DEP_1) | instskip(SKIP_1) | instid1(VALU_DEP_2)
	v_dual_add_nc_u32 v5, 14, v3 :: v_dual_add_nc_u32 v0, v1, v0
	v_mov_b32_e32 v1, v113
	v_cmpx_ne_u32_e32 0, v5
	s_xor_b32 s13, exec_lo, s13
; %bb.20359:                            ;   in Loop: Header=BB6_19757 Depth=3
	s_delay_alu instid0(VALU_DEP_2) | instskip(SKIP_2) | instid1(VALU_DEP_2)
	v_cmp_lt_u64_e32 vcc_lo, 0xffffff, v[0:1]
	v_add_nc_u32_e32 v2, 15, v3
	v_cndmask_b32_e64 v3, 0, 1, vcc_lo
	v_cndmask_b32_e32 v2, v5, v2, vcc_lo
	s_delay_alu instid0(VALU_DEP_2)
	v_lshrrev_b64 v[0:1], v3, v[0:1]
; %bb.20360:                            ;   in Loop: Header=BB6_19757 Depth=3
	s_and_not1_saveexec_b32 s13, s13
; %bb.20361:                            ;   in Loop: Header=BB6_19757 Depth=3
	s_delay_alu instid0(VALU_DEP_1)
	v_bfe_u32 v2, v0, 23, 1
; %bb.20362:                            ;   in Loop: Header=BB6_19757 Depth=3
	s_or_b32 exec_lo, exec_lo, s13
	s_delay_alu instid0(VALU_DEP_2) | instskip(NEXT) | instid1(VALU_DEP_2)
	v_lshrrev_b64 v[0:1], 21, v[0:1]
	v_cmp_gt_i32_e32 vcc_lo, 32, v2
	v_cmp_ne_u32_e64 s13, 0, v2
                                        ; implicit-def: $vgpr120
	s_delay_alu instid0(VALU_DEP_3) | instskip(NEXT) | instid1(VALU_DEP_1)
	v_dual_cndmask_b32 v1, 0, v1 :: v_dual_cndmask_b32 v0, 3, v0
	v_cmp_ne_u64_e32 vcc_lo, 0, v[0:1]
	s_or_b32 s13, s13, vcc_lo
	s_delay_alu instid0(SALU_CYCLE_1) | instskip(NEXT) | instid1(SALU_CYCLE_1)
	s_and_saveexec_b32 s76, s13
	s_xor_b32 s13, exec_lo, s76
; %bb.20363:                            ;   in Loop: Header=BB6_19757 Depth=3
	v_min_i32_e32 v1, 31, v2
	s_delay_alu instid0(VALU_DEP_1) | instskip(NEXT) | instid1(VALU_DEP_1)
	v_lshl_or_b32 v1, v1, 2, v4
                                        ; implicit-def: $vgpr4
	v_and_or_b32 v120, v0, 3, v1
; %bb.20364:                            ;   in Loop: Header=BB6_19757 Depth=3
	s_and_not1_saveexec_b32 s13, s13
; %bb.20365:                            ;   in Loop: Header=BB6_19757 Depth=3
	v_mov_b32_e32 v120, v4
; %bb.20366:                            ;   in Loop: Header=BB6_19757 Depth=3
	s_or_b32 exec_lo, exec_lo, s13
.LBB6_20367:                            ;   in Loop: Header=BB6_19757 Depth=3
	s_delay_alu instid0(SALU_CYCLE_1)
	s_or_b32 exec_lo, exec_lo, s75
                                        ; implicit-def: $vgpr4
.LBB6_20368:                            ;   in Loop: Header=BB6_19757 Depth=3
	s_and_not1_saveexec_b32 s13, s15
; %bb.20369:                            ;   in Loop: Header=BB6_19757 Depth=3
	v_or_b32_e32 v120, 0x7b, v4
; %bb.20370:                            ;   in Loop: Header=BB6_19757 Depth=3
	s_or_b32 exec_lo, exec_lo, s13
                                        ; implicit-def: $vgpr2
                                        ; implicit-def: $vgpr0_vgpr1
.LBB6_20371:                            ;   in Loop: Header=BB6_19757 Depth=3
	s_and_not1_saveexec_b32 s13, s14
	s_cbranch_execz .LBB6_20377
; %bb.20372:                            ;   in Loop: Header=BB6_19757 Depth=3
	s_mov_b32 s14, exec_lo
                                        ; implicit-def: $vgpr120
	v_cmpx_ne_u64_e32 0, v[0:1]
	s_xor_b32 s14, exec_lo, s14
; %bb.20373:                            ;   in Loop: Header=BB6_19757 Depth=3
	v_lshrrev_b32_e32 v0, 24, v2
                                        ; implicit-def: $vgpr2
	s_delay_alu instid0(VALU_DEP_1)
	v_or_b32_e32 v120, 0x7f, v0
; %bb.20374:                            ;   in Loop: Header=BB6_19757 Depth=3
	s_and_not1_saveexec_b32 s14, s14
; %bb.20375:                            ;   in Loop: Header=BB6_19757 Depth=3
	v_cmp_lt_i32_e32 vcc_lo, -1, v2
	v_cndmask_b32_e64 v120, -4, 0x7c, vcc_lo
; %bb.20376:                            ;   in Loop: Header=BB6_19757 Depth=3
	s_or_b32 exec_lo, exec_lo, s14
.LBB6_20377:                            ;   in Loop: Header=BB6_19757 Depth=3
	s_delay_alu instid0(SALU_CYCLE_1)
	s_or_b32 exec_lo, exec_lo, s13
	flat_load_i8 v0, v[8:9] offset:576 th:TH_LOAD_NT
	v_mov_b32_e32 v2, 0
	s_mov_b32 s13, exec_lo
	s_wait_loadcnt_dscnt 0x0
	s_wait_xcnt 0x0
	v_cmpx_ne_u16_e32 0, v0
	s_cbranch_execz .LBB6_20387
; %bb.20378:                            ;   in Loop: Header=BB6_19757 Depth=3
	v_bfrev_b32_e32 v2, 1
	s_mov_b32 s14, exec_lo
	v_cmpx_ne_u16_e32 0xff80, v0
	s_cbranch_execz .LBB6_20386
; %bb.20379:                            ;   in Loop: Header=BB6_19757 Depth=3
	v_and_b32_e32 v2, 0x7c, v0
	v_and_b32_e32 v1, 3, v0
	s_delay_alu instid0(VALU_DEP_2) | instskip(SKIP_1) | instid1(SALU_CYCLE_1)
	v_cmp_ne_u32_e32 vcc_lo, 0x7c, v2
                                        ; implicit-def: $vgpr2
	s_and_saveexec_b32 s15, vcc_lo
	s_xor_b32 s15, exec_lo, s15
	s_cbranch_execz .LBB6_20383
; %bb.20380:                            ;   in Loop: Header=BB6_19757 Depth=3
	v_and_b32_e32 v2, 0xff, v0
	s_mov_b32 s75, exec_lo
	s_delay_alu instid0(VALU_DEP_1) | instskip(NEXT) | instid1(VALU_DEP_1)
	v_bfe_u32 v2, v2, 2, 5
	v_cmpx_eq_u32_e32 0, v2
	s_cbranch_execz .LBB6_20382
; %bb.20381:                            ;   in Loop: Header=BB6_19757 Depth=3
	v_clz_i32_u32_e32 v1, v1
	s_delay_alu instid0(VALU_DEP_1) | instskip(SKIP_1) | instid1(VALU_DEP_2)
	v_min_u32_e32 v2, 32, v1
	v_mov_b32_e32 v1, v113
	v_subrev_nc_u32_e32 v3, 29, v2
	v_sub_nc_u32_e32 v2, 30, v2
	s_delay_alu instid0(VALU_DEP_2) | instskip(NEXT) | instid1(VALU_DEP_1)
	v_lshlrev_b64_e32 v[4:5], v3, v[0:1]
	v_and_b32_e32 v1, 3, v4
.LBB6_20382:                            ;   in Loop: Header=BB6_19757 Depth=3
	s_or_b32 exec_lo, exec_lo, s75
	v_bfe_i32 v0, v0, 0, 16
	s_delay_alu instid0(VALU_DEP_1) | instskip(NEXT) | instid1(VALU_DEP_1)
	v_and_b32_e32 v0, 0x80000000, v0
	v_lshl_add_u32 v0, v2, 23, v0
	s_delay_alu instid0(VALU_DEP_1) | instskip(NEXT) | instid1(VALU_DEP_1)
	v_lshl_or_b32 v0, v1, 21, v0
                                        ; implicit-def: $vgpr1
	v_add_nc_u32_e32 v2, 0x38000000, v0
                                        ; implicit-def: $vgpr0
.LBB6_20383:                            ;   in Loop: Header=BB6_19757 Depth=3
	s_and_not1_saveexec_b32 s15, s15
; %bb.20384:                            ;   in Loop: Header=BB6_19757 Depth=3
	v_cmp_lt_i16_e32 vcc_lo, -1, v0
	v_mov_b32_e32 v0, 0x7f800000
	s_delay_alu instid0(VALU_DEP_1) | instskip(SKIP_1) | instid1(VALU_DEP_2)
	v_cndmask_b32_e32 v0, 0xff800000, v0, vcc_lo
	v_cmp_eq_u32_e32 vcc_lo, 0, v1
	v_cndmask_b32_e32 v2, 0x7f800001, v0, vcc_lo
; %bb.20385:                            ;   in Loop: Header=BB6_19757 Depth=3
	s_or_b32 exec_lo, exec_lo, s15
.LBB6_20386:                            ;   in Loop: Header=BB6_19757 Depth=3
	s_delay_alu instid0(SALU_CYCLE_1)
	s_or_b32 exec_lo, exec_lo, s14
.LBB6_20387:                            ;   in Loop: Header=BB6_19757 Depth=3
	s_delay_alu instid0(SALU_CYCLE_1) | instskip(NEXT) | instid1(VALU_DEP_1)
	s_or_b32 exec_lo, exec_lo, s13
	v_dual_mul_f32 v2, s74, v2 :: v_dual_mov_b32 v1, v113
                                        ; implicit-def: $vgpr108
	s_delay_alu instid0(VALU_DEP_1) | instskip(NEXT) | instid1(VALU_DEP_1)
	v_and_b32_e32 v0, 0x7f800000, v2
	v_cmp_ne_u64_e32 vcc_lo, 0x7f800000, v[0:1]
	v_and_b32_e32 v0, 0x7fffff, v2
	s_and_saveexec_b32 s13, vcc_lo
	s_delay_alu instid0(SALU_CYCLE_1)
	s_xor_b32 s14, exec_lo, s13
	s_cbranch_execz .LBB6_20405
; %bb.20388:                            ;   in Loop: Header=BB6_19757 Depth=3
	v_and_b32_e32 v4, 0x7fffffff, v2
	v_dual_mov_b32 v5, v113 :: v_dual_lshrrev_b32 v3, 24, v2
                                        ; implicit-def: $vgpr108
	s_delay_alu instid0(VALU_DEP_1) | instskip(NEXT) | instid1(VALU_DEP_2)
	v_cmp_gt_u64_e32 vcc_lo, 0x47600001, v[4:5]
	v_and_b32_e32 v4, 0x80, v3
	s_and_saveexec_b32 s13, vcc_lo
	s_delay_alu instid0(SALU_CYCLE_1)
	s_xor_b32 s15, exec_lo, s13
	s_cbranch_execz .LBB6_20402
; %bb.20389:                            ;   in Loop: Header=BB6_19757 Depth=3
	v_mov_b32_e32 v108, 0
	s_mov_b32 s75, exec_lo
	v_cmpx_ne_u32_e32 0, v2
	s_cbranch_execz .LBB6_20401
; %bb.20390:                            ;   in Loop: Header=BB6_19757 Depth=3
	v_bfe_u32 v5, v2, 23, 8
	v_or_b32_e32 v7, 0x800000, v0
	s_delay_alu instid0(VALU_DEP_2) | instskip(SKIP_1) | instid1(VALU_DEP_2)
	v_sub_nc_u32_e32 v2, 0x71, v5
	v_cmp_gt_u32_e32 vcc_lo, 0x72, v5
	v_cndmask_b32_e32 v2, 0, v2, vcc_lo
	v_cmp_eq_u32_e32 vcc_lo, 0, v5
	v_cndmask_b32_e32 v0, v7, v0, vcc_lo
	s_delay_alu instid0(VALU_DEP_3) | instskip(NEXT) | instid1(VALU_DEP_1)
	v_cndmask_b32_e64 v6, v2, 0x70, vcc_lo
	v_dual_add_nc_u32 v2, 21, v6 :: v_dual_add_nc_u32 v16, 20, v6
	s_delay_alu instid0(VALU_DEP_1) | instskip(NEXT) | instid1(VALU_DEP_2)
	v_lshlrev_b64_e64 v[2:3], v2, -1
	v_lshlrev_b64_e64 v[16:17], v16, 1
	s_delay_alu instid0(VALU_DEP_2) | instskip(SKIP_1) | instid1(VALU_DEP_4)
	v_bfi_b32 v2, v2, 0, v0
	v_lshrrev_b64 v[0:1], v6, v[0:1]
	v_bfi_b32 v3, v3, 0, 0
	s_delay_alu instid0(VALU_DEP_1) | instskip(NEXT) | instid1(VALU_DEP_3)
	v_cmp_eq_u64_e64 s13, v[2:3], v[16:17]
	v_mov_b64_e32 v[2:3], v[0:1]
	s_and_saveexec_b32 s76, s13
; %bb.20391:                            ;   in Loop: Header=BB6_19757 Depth=3
	v_bfe_u32 v2, v0, 21, 1
	v_mov_b32_e32 v3, v113
	s_delay_alu instid0(VALU_DEP_1) | instskip(NEXT) | instid1(VALU_DEP_1)
	v_add_nc_u64_e32 v[2:3], v[0:1], v[2:3]
	v_add_nc_u64_e32 v[2:3], -1, v[2:3]
; %bb.20392:                            ;   in Loop: Header=BB6_19757 Depth=3
	s_or_b32 exec_lo, exec_lo, s76
	v_add_nc_u32_e32 v1, 0xffffff81, v5
	v_lshrrev_b32_e32 v3, 23, v0
	s_mov_b32 s13, exec_lo
	s_delay_alu instid0(VALU_DEP_2) | instskip(NEXT) | instid1(VALU_DEP_1)
	v_cndmask_b32_e64 v1, v1, 0xffffff82, vcc_lo
	v_add3_u32 v3, v6, v1, v3
	v_and_b32_e32 v1, 0x1fffff, v2
                                        ; implicit-def: $vgpr2
	s_delay_alu instid0(VALU_DEP_1) | instskip(SKIP_1) | instid1(VALU_DEP_2)
	v_dual_add_nc_u32 v5, 14, v3 :: v_dual_add_nc_u32 v0, v1, v0
	v_mov_b32_e32 v1, v113
	v_cmpx_ne_u32_e32 0, v5
	s_xor_b32 s13, exec_lo, s13
; %bb.20393:                            ;   in Loop: Header=BB6_19757 Depth=3
	s_delay_alu instid0(VALU_DEP_2) | instskip(SKIP_2) | instid1(VALU_DEP_2)
	v_cmp_lt_u64_e32 vcc_lo, 0xffffff, v[0:1]
	v_add_nc_u32_e32 v2, 15, v3
	v_cndmask_b32_e64 v3, 0, 1, vcc_lo
	v_cndmask_b32_e32 v2, v5, v2, vcc_lo
	s_delay_alu instid0(VALU_DEP_2)
	v_lshrrev_b64 v[0:1], v3, v[0:1]
; %bb.20394:                            ;   in Loop: Header=BB6_19757 Depth=3
	s_and_not1_saveexec_b32 s13, s13
; %bb.20395:                            ;   in Loop: Header=BB6_19757 Depth=3
	s_delay_alu instid0(VALU_DEP_1)
	v_bfe_u32 v2, v0, 23, 1
; %bb.20396:                            ;   in Loop: Header=BB6_19757 Depth=3
	s_or_b32 exec_lo, exec_lo, s13
	s_delay_alu instid0(VALU_DEP_2) | instskip(NEXT) | instid1(VALU_DEP_2)
	v_lshrrev_b64 v[0:1], 21, v[0:1]
	v_cmp_gt_i32_e32 vcc_lo, 32, v2
	v_cmp_ne_u32_e64 s13, 0, v2
                                        ; implicit-def: $vgpr108
	s_delay_alu instid0(VALU_DEP_3) | instskip(NEXT) | instid1(VALU_DEP_1)
	v_dual_cndmask_b32 v1, 0, v1 :: v_dual_cndmask_b32 v0, 3, v0
	v_cmp_ne_u64_e32 vcc_lo, 0, v[0:1]
	s_or_b32 s13, s13, vcc_lo
	s_delay_alu instid0(SALU_CYCLE_1) | instskip(NEXT) | instid1(SALU_CYCLE_1)
	s_and_saveexec_b32 s76, s13
	s_xor_b32 s13, exec_lo, s76
; %bb.20397:                            ;   in Loop: Header=BB6_19757 Depth=3
	v_min_i32_e32 v1, 31, v2
	s_delay_alu instid0(VALU_DEP_1) | instskip(NEXT) | instid1(VALU_DEP_1)
	v_lshl_or_b32 v1, v1, 2, v4
                                        ; implicit-def: $vgpr4
	v_and_or_b32 v108, v0, 3, v1
; %bb.20398:                            ;   in Loop: Header=BB6_19757 Depth=3
	s_and_not1_saveexec_b32 s13, s13
; %bb.20399:                            ;   in Loop: Header=BB6_19757 Depth=3
	v_mov_b32_e32 v108, v4
; %bb.20400:                            ;   in Loop: Header=BB6_19757 Depth=3
	s_or_b32 exec_lo, exec_lo, s13
.LBB6_20401:                            ;   in Loop: Header=BB6_19757 Depth=3
	s_delay_alu instid0(SALU_CYCLE_1)
	s_or_b32 exec_lo, exec_lo, s75
                                        ; implicit-def: $vgpr4
.LBB6_20402:                            ;   in Loop: Header=BB6_19757 Depth=3
	s_and_not1_saveexec_b32 s13, s15
; %bb.20403:                            ;   in Loop: Header=BB6_19757 Depth=3
	v_or_b32_e32 v108, 0x7b, v4
; %bb.20404:                            ;   in Loop: Header=BB6_19757 Depth=3
	s_or_b32 exec_lo, exec_lo, s13
                                        ; implicit-def: $vgpr2
                                        ; implicit-def: $vgpr0_vgpr1
.LBB6_20405:                            ;   in Loop: Header=BB6_19757 Depth=3
	s_and_not1_saveexec_b32 s13, s14
	s_cbranch_execz .LBB6_20411
; %bb.20406:                            ;   in Loop: Header=BB6_19757 Depth=3
	s_mov_b32 s14, exec_lo
                                        ; implicit-def: $vgpr108
	v_cmpx_ne_u64_e32 0, v[0:1]
	s_xor_b32 s14, exec_lo, s14
; %bb.20407:                            ;   in Loop: Header=BB6_19757 Depth=3
	v_lshrrev_b32_e32 v0, 24, v2
                                        ; implicit-def: $vgpr2
	s_delay_alu instid0(VALU_DEP_1)
	v_or_b32_e32 v108, 0x7f, v0
; %bb.20408:                            ;   in Loop: Header=BB6_19757 Depth=3
	s_and_not1_saveexec_b32 s14, s14
; %bb.20409:                            ;   in Loop: Header=BB6_19757 Depth=3
	v_cmp_lt_i32_e32 vcc_lo, -1, v2
	v_cndmask_b32_e64 v108, -4, 0x7c, vcc_lo
; %bb.20410:                            ;   in Loop: Header=BB6_19757 Depth=3
	s_or_b32 exec_lo, exec_lo, s14
.LBB6_20411:                            ;   in Loop: Header=BB6_19757 Depth=3
	s_delay_alu instid0(SALU_CYCLE_1)
	s_or_b32 exec_lo, exec_lo, s13
	flat_load_i8 v0, v[8:9] offset:608 th:TH_LOAD_NT
	v_mov_b32_e32 v2, 0
	s_mov_b32 s13, exec_lo
	s_wait_loadcnt_dscnt 0x0
	s_wait_xcnt 0x0
	v_cmpx_ne_u16_e32 0, v0
	s_cbranch_execz .LBB6_20421
; %bb.20412:                            ;   in Loop: Header=BB6_19757 Depth=3
	v_bfrev_b32_e32 v2, 1
	s_mov_b32 s14, exec_lo
	v_cmpx_ne_u16_e32 0xff80, v0
	s_cbranch_execz .LBB6_20420
; %bb.20413:                            ;   in Loop: Header=BB6_19757 Depth=3
	v_and_b32_e32 v2, 0x7c, v0
	v_and_b32_e32 v1, 3, v0
	s_delay_alu instid0(VALU_DEP_2) | instskip(SKIP_1) | instid1(SALU_CYCLE_1)
	v_cmp_ne_u32_e32 vcc_lo, 0x7c, v2
                                        ; implicit-def: $vgpr2
	s_and_saveexec_b32 s15, vcc_lo
	s_xor_b32 s15, exec_lo, s15
	s_cbranch_execz .LBB6_20417
; %bb.20414:                            ;   in Loop: Header=BB6_19757 Depth=3
	v_and_b32_e32 v2, 0xff, v0
	s_mov_b32 s75, exec_lo
	s_delay_alu instid0(VALU_DEP_1) | instskip(NEXT) | instid1(VALU_DEP_1)
	v_bfe_u32 v2, v2, 2, 5
	v_cmpx_eq_u32_e32 0, v2
	s_cbranch_execz .LBB6_20416
; %bb.20415:                            ;   in Loop: Header=BB6_19757 Depth=3
	v_clz_i32_u32_e32 v1, v1
	s_delay_alu instid0(VALU_DEP_1) | instskip(SKIP_1) | instid1(VALU_DEP_2)
	v_min_u32_e32 v2, 32, v1
	v_mov_b32_e32 v1, v113
	v_subrev_nc_u32_e32 v3, 29, v2
	v_sub_nc_u32_e32 v2, 30, v2
	s_delay_alu instid0(VALU_DEP_2) | instskip(NEXT) | instid1(VALU_DEP_1)
	v_lshlrev_b64_e32 v[4:5], v3, v[0:1]
	v_and_b32_e32 v1, 3, v4
.LBB6_20416:                            ;   in Loop: Header=BB6_19757 Depth=3
	s_or_b32 exec_lo, exec_lo, s75
	v_bfe_i32 v0, v0, 0, 16
	s_delay_alu instid0(VALU_DEP_1) | instskip(NEXT) | instid1(VALU_DEP_1)
	v_and_b32_e32 v0, 0x80000000, v0
	v_lshl_add_u32 v0, v2, 23, v0
	s_delay_alu instid0(VALU_DEP_1) | instskip(NEXT) | instid1(VALU_DEP_1)
	v_lshl_or_b32 v0, v1, 21, v0
                                        ; implicit-def: $vgpr1
	v_add_nc_u32_e32 v2, 0x38000000, v0
                                        ; implicit-def: $vgpr0
.LBB6_20417:                            ;   in Loop: Header=BB6_19757 Depth=3
	s_and_not1_saveexec_b32 s15, s15
; %bb.20418:                            ;   in Loop: Header=BB6_19757 Depth=3
	v_cmp_lt_i16_e32 vcc_lo, -1, v0
	v_mov_b32_e32 v0, 0x7f800000
	s_delay_alu instid0(VALU_DEP_1) | instskip(SKIP_1) | instid1(VALU_DEP_2)
	v_cndmask_b32_e32 v0, 0xff800000, v0, vcc_lo
	v_cmp_eq_u32_e32 vcc_lo, 0, v1
	v_cndmask_b32_e32 v2, 0x7f800001, v0, vcc_lo
; %bb.20419:                            ;   in Loop: Header=BB6_19757 Depth=3
	s_or_b32 exec_lo, exec_lo, s15
.LBB6_20420:                            ;   in Loop: Header=BB6_19757 Depth=3
	s_delay_alu instid0(SALU_CYCLE_1)
	s_or_b32 exec_lo, exec_lo, s14
.LBB6_20421:                            ;   in Loop: Header=BB6_19757 Depth=3
	s_delay_alu instid0(SALU_CYCLE_1) | instskip(NEXT) | instid1(VALU_DEP_1)
	s_or_b32 exec_lo, exec_lo, s13
	v_dual_mul_f32 v2, s74, v2 :: v_dual_mov_b32 v1, v113
                                        ; implicit-def: $vgpr106
	s_delay_alu instid0(VALU_DEP_1) | instskip(NEXT) | instid1(VALU_DEP_1)
	v_and_b32_e32 v0, 0x7f800000, v2
	v_cmp_ne_u64_e32 vcc_lo, 0x7f800000, v[0:1]
	v_and_b32_e32 v0, 0x7fffff, v2
	s_and_saveexec_b32 s13, vcc_lo
	s_delay_alu instid0(SALU_CYCLE_1)
	s_xor_b32 s14, exec_lo, s13
	s_cbranch_execz .LBB6_20439
; %bb.20422:                            ;   in Loop: Header=BB6_19757 Depth=3
	v_and_b32_e32 v4, 0x7fffffff, v2
	v_dual_mov_b32 v5, v113 :: v_dual_lshrrev_b32 v3, 24, v2
                                        ; implicit-def: $vgpr106
	s_delay_alu instid0(VALU_DEP_1) | instskip(NEXT) | instid1(VALU_DEP_2)
	v_cmp_gt_u64_e32 vcc_lo, 0x47600001, v[4:5]
	v_and_b32_e32 v4, 0x80, v3
	s_and_saveexec_b32 s13, vcc_lo
	s_delay_alu instid0(SALU_CYCLE_1)
	s_xor_b32 s15, exec_lo, s13
	s_cbranch_execz .LBB6_20436
; %bb.20423:                            ;   in Loop: Header=BB6_19757 Depth=3
	v_mov_b32_e32 v106, 0
	s_mov_b32 s75, exec_lo
	v_cmpx_ne_u32_e32 0, v2
	s_cbranch_execz .LBB6_20435
; %bb.20424:                            ;   in Loop: Header=BB6_19757 Depth=3
	v_bfe_u32 v5, v2, 23, 8
	v_or_b32_e32 v7, 0x800000, v0
	s_delay_alu instid0(VALU_DEP_2) | instskip(SKIP_1) | instid1(VALU_DEP_2)
	v_sub_nc_u32_e32 v2, 0x71, v5
	v_cmp_gt_u32_e32 vcc_lo, 0x72, v5
	v_cndmask_b32_e32 v2, 0, v2, vcc_lo
	v_cmp_eq_u32_e32 vcc_lo, 0, v5
	v_cndmask_b32_e32 v0, v7, v0, vcc_lo
	s_delay_alu instid0(VALU_DEP_3) | instskip(NEXT) | instid1(VALU_DEP_1)
	v_cndmask_b32_e64 v6, v2, 0x70, vcc_lo
	v_dual_add_nc_u32 v2, 21, v6 :: v_dual_add_nc_u32 v16, 20, v6
	s_delay_alu instid0(VALU_DEP_1) | instskip(NEXT) | instid1(VALU_DEP_2)
	v_lshlrev_b64_e64 v[2:3], v2, -1
	v_lshlrev_b64_e64 v[16:17], v16, 1
	s_delay_alu instid0(VALU_DEP_2) | instskip(SKIP_1) | instid1(VALU_DEP_4)
	v_bfi_b32 v2, v2, 0, v0
	v_lshrrev_b64 v[0:1], v6, v[0:1]
	v_bfi_b32 v3, v3, 0, 0
	s_delay_alu instid0(VALU_DEP_1) | instskip(NEXT) | instid1(VALU_DEP_3)
	v_cmp_eq_u64_e64 s13, v[2:3], v[16:17]
	v_mov_b64_e32 v[2:3], v[0:1]
	s_and_saveexec_b32 s76, s13
; %bb.20425:                            ;   in Loop: Header=BB6_19757 Depth=3
	v_bfe_u32 v2, v0, 21, 1
	v_mov_b32_e32 v3, v113
	s_delay_alu instid0(VALU_DEP_1) | instskip(NEXT) | instid1(VALU_DEP_1)
	v_add_nc_u64_e32 v[2:3], v[0:1], v[2:3]
	v_add_nc_u64_e32 v[2:3], -1, v[2:3]
; %bb.20426:                            ;   in Loop: Header=BB6_19757 Depth=3
	s_or_b32 exec_lo, exec_lo, s76
	v_add_nc_u32_e32 v1, 0xffffff81, v5
	v_lshrrev_b32_e32 v3, 23, v0
	s_mov_b32 s13, exec_lo
	s_delay_alu instid0(VALU_DEP_2) | instskip(NEXT) | instid1(VALU_DEP_1)
	v_cndmask_b32_e64 v1, v1, 0xffffff82, vcc_lo
	v_add3_u32 v3, v6, v1, v3
	v_and_b32_e32 v1, 0x1fffff, v2
                                        ; implicit-def: $vgpr2
	s_delay_alu instid0(VALU_DEP_1) | instskip(SKIP_1) | instid1(VALU_DEP_2)
	v_dual_add_nc_u32 v5, 14, v3 :: v_dual_add_nc_u32 v0, v1, v0
	v_mov_b32_e32 v1, v113
	v_cmpx_ne_u32_e32 0, v5
	s_xor_b32 s13, exec_lo, s13
; %bb.20427:                            ;   in Loop: Header=BB6_19757 Depth=3
	s_delay_alu instid0(VALU_DEP_2) | instskip(SKIP_2) | instid1(VALU_DEP_2)
	v_cmp_lt_u64_e32 vcc_lo, 0xffffff, v[0:1]
	v_add_nc_u32_e32 v2, 15, v3
	v_cndmask_b32_e64 v3, 0, 1, vcc_lo
	v_cndmask_b32_e32 v2, v5, v2, vcc_lo
	s_delay_alu instid0(VALU_DEP_2)
	v_lshrrev_b64 v[0:1], v3, v[0:1]
; %bb.20428:                            ;   in Loop: Header=BB6_19757 Depth=3
	s_and_not1_saveexec_b32 s13, s13
; %bb.20429:                            ;   in Loop: Header=BB6_19757 Depth=3
	s_delay_alu instid0(VALU_DEP_1)
	v_bfe_u32 v2, v0, 23, 1
; %bb.20430:                            ;   in Loop: Header=BB6_19757 Depth=3
	s_or_b32 exec_lo, exec_lo, s13
	s_delay_alu instid0(VALU_DEP_2) | instskip(NEXT) | instid1(VALU_DEP_2)
	v_lshrrev_b64 v[0:1], 21, v[0:1]
	v_cmp_gt_i32_e32 vcc_lo, 32, v2
	v_cmp_ne_u32_e64 s13, 0, v2
                                        ; implicit-def: $vgpr106
	s_delay_alu instid0(VALU_DEP_3) | instskip(NEXT) | instid1(VALU_DEP_1)
	v_dual_cndmask_b32 v1, 0, v1 :: v_dual_cndmask_b32 v0, 3, v0
	v_cmp_ne_u64_e32 vcc_lo, 0, v[0:1]
	s_or_b32 s13, s13, vcc_lo
	s_delay_alu instid0(SALU_CYCLE_1) | instskip(NEXT) | instid1(SALU_CYCLE_1)
	s_and_saveexec_b32 s76, s13
	s_xor_b32 s13, exec_lo, s76
; %bb.20431:                            ;   in Loop: Header=BB6_19757 Depth=3
	v_min_i32_e32 v1, 31, v2
	s_delay_alu instid0(VALU_DEP_1) | instskip(NEXT) | instid1(VALU_DEP_1)
	v_lshl_or_b32 v1, v1, 2, v4
                                        ; implicit-def: $vgpr4
	v_and_or_b32 v106, v0, 3, v1
; %bb.20432:                            ;   in Loop: Header=BB6_19757 Depth=3
	s_and_not1_saveexec_b32 s13, s13
; %bb.20433:                            ;   in Loop: Header=BB6_19757 Depth=3
	v_mov_b32_e32 v106, v4
; %bb.20434:                            ;   in Loop: Header=BB6_19757 Depth=3
	s_or_b32 exec_lo, exec_lo, s13
.LBB6_20435:                            ;   in Loop: Header=BB6_19757 Depth=3
	s_delay_alu instid0(SALU_CYCLE_1)
	s_or_b32 exec_lo, exec_lo, s75
                                        ; implicit-def: $vgpr4
.LBB6_20436:                            ;   in Loop: Header=BB6_19757 Depth=3
	s_and_not1_saveexec_b32 s13, s15
; %bb.20437:                            ;   in Loop: Header=BB6_19757 Depth=3
	v_or_b32_e32 v106, 0x7b, v4
; %bb.20438:                            ;   in Loop: Header=BB6_19757 Depth=3
	s_or_b32 exec_lo, exec_lo, s13
                                        ; implicit-def: $vgpr2
                                        ; implicit-def: $vgpr0_vgpr1
.LBB6_20439:                            ;   in Loop: Header=BB6_19757 Depth=3
	s_and_not1_saveexec_b32 s13, s14
	s_cbranch_execz .LBB6_20445
; %bb.20440:                            ;   in Loop: Header=BB6_19757 Depth=3
	s_mov_b32 s14, exec_lo
                                        ; implicit-def: $vgpr106
	v_cmpx_ne_u64_e32 0, v[0:1]
	s_xor_b32 s14, exec_lo, s14
; %bb.20441:                            ;   in Loop: Header=BB6_19757 Depth=3
	v_lshrrev_b32_e32 v0, 24, v2
                                        ; implicit-def: $vgpr2
	s_delay_alu instid0(VALU_DEP_1)
	v_or_b32_e32 v106, 0x7f, v0
; %bb.20442:                            ;   in Loop: Header=BB6_19757 Depth=3
	s_and_not1_saveexec_b32 s14, s14
; %bb.20443:                            ;   in Loop: Header=BB6_19757 Depth=3
	v_cmp_lt_i32_e32 vcc_lo, -1, v2
	v_cndmask_b32_e64 v106, -4, 0x7c, vcc_lo
; %bb.20444:                            ;   in Loop: Header=BB6_19757 Depth=3
	s_or_b32 exec_lo, exec_lo, s14
.LBB6_20445:                            ;   in Loop: Header=BB6_19757 Depth=3
	s_delay_alu instid0(SALU_CYCLE_1)
	s_or_b32 exec_lo, exec_lo, s13
	flat_load_i8 v0, v[8:9] offset:640 th:TH_LOAD_NT
	v_mov_b32_e32 v2, 0
	s_mov_b32 s13, exec_lo
	s_wait_loadcnt_dscnt 0x0
	s_wait_xcnt 0x0
	v_cmpx_ne_u16_e32 0, v0
	s_cbranch_execz .LBB6_20455
; %bb.20446:                            ;   in Loop: Header=BB6_19757 Depth=3
	v_bfrev_b32_e32 v2, 1
	s_mov_b32 s14, exec_lo
	v_cmpx_ne_u16_e32 0xff80, v0
	s_cbranch_execz .LBB6_20454
; %bb.20447:                            ;   in Loop: Header=BB6_19757 Depth=3
	v_and_b32_e32 v2, 0x7c, v0
	v_and_b32_e32 v1, 3, v0
	s_delay_alu instid0(VALU_DEP_2) | instskip(SKIP_1) | instid1(SALU_CYCLE_1)
	v_cmp_ne_u32_e32 vcc_lo, 0x7c, v2
                                        ; implicit-def: $vgpr2
	s_and_saveexec_b32 s15, vcc_lo
	s_xor_b32 s15, exec_lo, s15
	s_cbranch_execz .LBB6_20451
; %bb.20448:                            ;   in Loop: Header=BB6_19757 Depth=3
	v_and_b32_e32 v2, 0xff, v0
	s_mov_b32 s75, exec_lo
	s_delay_alu instid0(VALU_DEP_1) | instskip(NEXT) | instid1(VALU_DEP_1)
	v_bfe_u32 v2, v2, 2, 5
	v_cmpx_eq_u32_e32 0, v2
	s_cbranch_execz .LBB6_20450
; %bb.20449:                            ;   in Loop: Header=BB6_19757 Depth=3
	v_clz_i32_u32_e32 v1, v1
	s_delay_alu instid0(VALU_DEP_1) | instskip(SKIP_1) | instid1(VALU_DEP_2)
	v_min_u32_e32 v2, 32, v1
	v_mov_b32_e32 v1, v113
	v_subrev_nc_u32_e32 v3, 29, v2
	v_sub_nc_u32_e32 v2, 30, v2
	s_delay_alu instid0(VALU_DEP_2) | instskip(NEXT) | instid1(VALU_DEP_1)
	v_lshlrev_b64_e32 v[4:5], v3, v[0:1]
	v_and_b32_e32 v1, 3, v4
.LBB6_20450:                            ;   in Loop: Header=BB6_19757 Depth=3
	s_or_b32 exec_lo, exec_lo, s75
	v_bfe_i32 v0, v0, 0, 16
	s_delay_alu instid0(VALU_DEP_1) | instskip(NEXT) | instid1(VALU_DEP_1)
	v_and_b32_e32 v0, 0x80000000, v0
	v_lshl_add_u32 v0, v2, 23, v0
	s_delay_alu instid0(VALU_DEP_1) | instskip(NEXT) | instid1(VALU_DEP_1)
	v_lshl_or_b32 v0, v1, 21, v0
                                        ; implicit-def: $vgpr1
	v_add_nc_u32_e32 v2, 0x38000000, v0
                                        ; implicit-def: $vgpr0
.LBB6_20451:                            ;   in Loop: Header=BB6_19757 Depth=3
	s_and_not1_saveexec_b32 s15, s15
; %bb.20452:                            ;   in Loop: Header=BB6_19757 Depth=3
	v_cmp_lt_i16_e32 vcc_lo, -1, v0
	v_mov_b32_e32 v0, 0x7f800000
	s_delay_alu instid0(VALU_DEP_1) | instskip(SKIP_1) | instid1(VALU_DEP_2)
	v_cndmask_b32_e32 v0, 0xff800000, v0, vcc_lo
	v_cmp_eq_u32_e32 vcc_lo, 0, v1
	v_cndmask_b32_e32 v2, 0x7f800001, v0, vcc_lo
; %bb.20453:                            ;   in Loop: Header=BB6_19757 Depth=3
	s_or_b32 exec_lo, exec_lo, s15
.LBB6_20454:                            ;   in Loop: Header=BB6_19757 Depth=3
	s_delay_alu instid0(SALU_CYCLE_1)
	s_or_b32 exec_lo, exec_lo, s14
.LBB6_20455:                            ;   in Loop: Header=BB6_19757 Depth=3
	s_delay_alu instid0(SALU_CYCLE_1) | instskip(NEXT) | instid1(VALU_DEP_1)
	s_or_b32 exec_lo, exec_lo, s13
	v_dual_mul_f32 v2, s74, v2 :: v_dual_mov_b32 v1, v113
                                        ; implicit-def: $vgpr104
	s_delay_alu instid0(VALU_DEP_1) | instskip(NEXT) | instid1(VALU_DEP_1)
	v_and_b32_e32 v0, 0x7f800000, v2
	v_cmp_ne_u64_e32 vcc_lo, 0x7f800000, v[0:1]
	v_and_b32_e32 v0, 0x7fffff, v2
	s_and_saveexec_b32 s13, vcc_lo
	s_delay_alu instid0(SALU_CYCLE_1)
	s_xor_b32 s14, exec_lo, s13
	s_cbranch_execz .LBB6_20473
; %bb.20456:                            ;   in Loop: Header=BB6_19757 Depth=3
	v_and_b32_e32 v4, 0x7fffffff, v2
	v_dual_mov_b32 v5, v113 :: v_dual_lshrrev_b32 v3, 24, v2
                                        ; implicit-def: $vgpr104
	s_delay_alu instid0(VALU_DEP_1) | instskip(NEXT) | instid1(VALU_DEP_2)
	v_cmp_gt_u64_e32 vcc_lo, 0x47600001, v[4:5]
	v_and_b32_e32 v4, 0x80, v3
	s_and_saveexec_b32 s13, vcc_lo
	s_delay_alu instid0(SALU_CYCLE_1)
	s_xor_b32 s15, exec_lo, s13
	s_cbranch_execz .LBB6_20470
; %bb.20457:                            ;   in Loop: Header=BB6_19757 Depth=3
	v_mov_b32_e32 v104, 0
	s_mov_b32 s75, exec_lo
	v_cmpx_ne_u32_e32 0, v2
	s_cbranch_execz .LBB6_20469
; %bb.20458:                            ;   in Loop: Header=BB6_19757 Depth=3
	v_bfe_u32 v5, v2, 23, 8
	v_or_b32_e32 v3, 0x800000, v0
	s_delay_alu instid0(VALU_DEP_2) | instskip(SKIP_2) | instid1(VALU_DEP_2)
	v_cmp_gt_u32_e64 s13, 0x72, v5
	v_sub_nc_u32_e32 v2, 0x71, v5
	v_cmp_eq_u32_e32 vcc_lo, 0, v5
	v_dual_cndmask_b32 v2, 0, v2, s13 :: v_dual_cndmask_b32 v0, v3, v0, vcc_lo
	s_delay_alu instid0(VALU_DEP_1) | instskip(NEXT) | instid1(VALU_DEP_1)
	v_cndmask_b32_e64 v6, v2, 0x70, vcc_lo
	v_dual_add_nc_u32 v2, 21, v6 :: v_dual_add_nc_u32 v7, 20, v6
	s_delay_alu instid0(VALU_DEP_1) | instskip(NEXT) | instid1(VALU_DEP_2)
	v_lshlrev_b64_e64 v[2:3], v2, -1
	v_lshlrev_b64_e64 v[16:17], v7, 1
	s_delay_alu instid0(VALU_DEP_2) | instskip(SKIP_1) | instid1(VALU_DEP_4)
	v_bfi_b32 v2, v2, 0, v0
	v_lshrrev_b64 v[0:1], v6, v[0:1]
	v_bfi_b32 v3, v3, 0, 0
	s_delay_alu instid0(VALU_DEP_1) | instskip(NEXT) | instid1(VALU_DEP_3)
	v_cmp_eq_u64_e64 s13, v[2:3], v[16:17]
	v_mov_b64_e32 v[2:3], v[0:1]
	s_and_saveexec_b32 s76, s13
; %bb.20459:                            ;   in Loop: Header=BB6_19757 Depth=3
	v_bfe_u32 v2, v0, 21, 1
	v_mov_b32_e32 v3, v113
	s_delay_alu instid0(VALU_DEP_1) | instskip(NEXT) | instid1(VALU_DEP_1)
	v_add_nc_u64_e32 v[2:3], v[0:1], v[2:3]
	v_add_nc_u64_e32 v[2:3], -1, v[2:3]
; %bb.20460:                            ;   in Loop: Header=BB6_19757 Depth=3
	s_or_b32 exec_lo, exec_lo, s76
	v_add_nc_u32_e32 v1, 0xffffff81, v5
	v_lshrrev_b32_e32 v3, 23, v0
	s_mov_b32 s13, exec_lo
	s_delay_alu instid0(VALU_DEP_2) | instskip(NEXT) | instid1(VALU_DEP_1)
	v_cndmask_b32_e64 v1, v1, 0xffffff82, vcc_lo
	v_add3_u32 v3, v6, v1, v3
	v_and_b32_e32 v1, 0x1fffff, v2
                                        ; implicit-def: $vgpr2
	s_delay_alu instid0(VALU_DEP_1) | instskip(SKIP_1) | instid1(VALU_DEP_2)
	v_dual_add_nc_u32 v5, 14, v3 :: v_dual_add_nc_u32 v0, v1, v0
	v_mov_b32_e32 v1, v113
	v_cmpx_ne_u32_e32 0, v5
	s_xor_b32 s13, exec_lo, s13
; %bb.20461:                            ;   in Loop: Header=BB6_19757 Depth=3
	s_delay_alu instid0(VALU_DEP_2) | instskip(SKIP_2) | instid1(VALU_DEP_2)
	v_cmp_lt_u64_e32 vcc_lo, 0xffffff, v[0:1]
	v_add_nc_u32_e32 v2, 15, v3
	v_cndmask_b32_e64 v3, 0, 1, vcc_lo
	v_cndmask_b32_e32 v2, v5, v2, vcc_lo
	s_delay_alu instid0(VALU_DEP_2)
	v_lshrrev_b64 v[0:1], v3, v[0:1]
; %bb.20462:                            ;   in Loop: Header=BB6_19757 Depth=3
	s_and_not1_saveexec_b32 s13, s13
; %bb.20463:                            ;   in Loop: Header=BB6_19757 Depth=3
	s_delay_alu instid0(VALU_DEP_1)
	v_bfe_u32 v2, v0, 23, 1
; %bb.20464:                            ;   in Loop: Header=BB6_19757 Depth=3
	s_or_b32 exec_lo, exec_lo, s13
	s_delay_alu instid0(VALU_DEP_2) | instskip(NEXT) | instid1(VALU_DEP_2)
	v_lshrrev_b64 v[0:1], 21, v[0:1]
	v_cmp_gt_i32_e32 vcc_lo, 32, v2
	v_cmp_ne_u32_e64 s13, 0, v2
                                        ; implicit-def: $vgpr104
	s_delay_alu instid0(VALU_DEP_3) | instskip(NEXT) | instid1(VALU_DEP_1)
	v_dual_cndmask_b32 v1, 0, v1 :: v_dual_cndmask_b32 v0, 3, v0
	v_cmp_ne_u64_e32 vcc_lo, 0, v[0:1]
	s_or_b32 s13, s13, vcc_lo
	s_delay_alu instid0(SALU_CYCLE_1) | instskip(NEXT) | instid1(SALU_CYCLE_1)
	s_and_saveexec_b32 s76, s13
	s_xor_b32 s13, exec_lo, s76
; %bb.20465:                            ;   in Loop: Header=BB6_19757 Depth=3
	v_min_i32_e32 v1, 31, v2
	s_delay_alu instid0(VALU_DEP_1) | instskip(NEXT) | instid1(VALU_DEP_1)
	v_lshl_or_b32 v1, v1, 2, v4
                                        ; implicit-def: $vgpr4
	v_and_or_b32 v104, v0, 3, v1
; %bb.20466:                            ;   in Loop: Header=BB6_19757 Depth=3
	s_and_not1_saveexec_b32 s13, s13
; %bb.20467:                            ;   in Loop: Header=BB6_19757 Depth=3
	v_mov_b32_e32 v104, v4
; %bb.20468:                            ;   in Loop: Header=BB6_19757 Depth=3
	s_or_b32 exec_lo, exec_lo, s13
.LBB6_20469:                            ;   in Loop: Header=BB6_19757 Depth=3
	s_delay_alu instid0(SALU_CYCLE_1)
	s_or_b32 exec_lo, exec_lo, s75
                                        ; implicit-def: $vgpr4
.LBB6_20470:                            ;   in Loop: Header=BB6_19757 Depth=3
	s_and_not1_saveexec_b32 s13, s15
; %bb.20471:                            ;   in Loop: Header=BB6_19757 Depth=3
	v_or_b32_e32 v104, 0x7b, v4
; %bb.20472:                            ;   in Loop: Header=BB6_19757 Depth=3
	s_or_b32 exec_lo, exec_lo, s13
                                        ; implicit-def: $vgpr2
                                        ; implicit-def: $vgpr0_vgpr1
.LBB6_20473:                            ;   in Loop: Header=BB6_19757 Depth=3
	s_and_not1_saveexec_b32 s13, s14
	s_cbranch_execz .LBB6_20479
; %bb.20474:                            ;   in Loop: Header=BB6_19757 Depth=3
	s_mov_b32 s14, exec_lo
                                        ; implicit-def: $vgpr104
	v_cmpx_ne_u64_e32 0, v[0:1]
	s_xor_b32 s14, exec_lo, s14
; %bb.20475:                            ;   in Loop: Header=BB6_19757 Depth=3
	v_lshrrev_b32_e32 v0, 24, v2
                                        ; implicit-def: $vgpr2
	s_delay_alu instid0(VALU_DEP_1)
	v_or_b32_e32 v104, 0x7f, v0
; %bb.20476:                            ;   in Loop: Header=BB6_19757 Depth=3
	s_and_not1_saveexec_b32 s14, s14
; %bb.20477:                            ;   in Loop: Header=BB6_19757 Depth=3
	v_cmp_lt_i32_e32 vcc_lo, -1, v2
	v_cndmask_b32_e64 v104, -4, 0x7c, vcc_lo
; %bb.20478:                            ;   in Loop: Header=BB6_19757 Depth=3
	s_or_b32 exec_lo, exec_lo, s14
.LBB6_20479:                            ;   in Loop: Header=BB6_19757 Depth=3
	s_delay_alu instid0(SALU_CYCLE_1)
	s_or_b32 exec_lo, exec_lo, s13
	flat_load_i8 v0, v[8:9] offset:672 th:TH_LOAD_NT
	v_mov_b32_e32 v2, 0
	s_mov_b32 s13, exec_lo
	s_wait_loadcnt_dscnt 0x0
	s_wait_xcnt 0x0
	v_cmpx_ne_u16_e32 0, v0
	s_cbranch_execz .LBB6_20489
; %bb.20480:                            ;   in Loop: Header=BB6_19757 Depth=3
	v_bfrev_b32_e32 v2, 1
	s_mov_b32 s14, exec_lo
	v_cmpx_ne_u16_e32 0xff80, v0
	s_cbranch_execz .LBB6_20488
; %bb.20481:                            ;   in Loop: Header=BB6_19757 Depth=3
	v_and_b32_e32 v2, 0x7c, v0
	v_and_b32_e32 v1, 3, v0
	s_delay_alu instid0(VALU_DEP_2) | instskip(SKIP_1) | instid1(SALU_CYCLE_1)
	v_cmp_ne_u32_e32 vcc_lo, 0x7c, v2
                                        ; implicit-def: $vgpr2
	s_and_saveexec_b32 s15, vcc_lo
	s_xor_b32 s15, exec_lo, s15
	s_cbranch_execz .LBB6_20485
; %bb.20482:                            ;   in Loop: Header=BB6_19757 Depth=3
	v_and_b32_e32 v2, 0xff, v0
	s_mov_b32 s75, exec_lo
	s_delay_alu instid0(VALU_DEP_1) | instskip(NEXT) | instid1(VALU_DEP_1)
	v_bfe_u32 v2, v2, 2, 5
	v_cmpx_eq_u32_e32 0, v2
	s_cbranch_execz .LBB6_20484
; %bb.20483:                            ;   in Loop: Header=BB6_19757 Depth=3
	v_clz_i32_u32_e32 v1, v1
	s_delay_alu instid0(VALU_DEP_1) | instskip(SKIP_1) | instid1(VALU_DEP_2)
	v_min_u32_e32 v2, 32, v1
	v_mov_b32_e32 v1, v113
	v_subrev_nc_u32_e32 v3, 29, v2
	v_sub_nc_u32_e32 v2, 30, v2
	s_delay_alu instid0(VALU_DEP_2) | instskip(NEXT) | instid1(VALU_DEP_1)
	v_lshlrev_b64_e32 v[4:5], v3, v[0:1]
	v_and_b32_e32 v1, 3, v4
.LBB6_20484:                            ;   in Loop: Header=BB6_19757 Depth=3
	s_or_b32 exec_lo, exec_lo, s75
	v_bfe_i32 v0, v0, 0, 16
	s_delay_alu instid0(VALU_DEP_1) | instskip(NEXT) | instid1(VALU_DEP_1)
	v_and_b32_e32 v0, 0x80000000, v0
	v_lshl_add_u32 v0, v2, 23, v0
	s_delay_alu instid0(VALU_DEP_1) | instskip(NEXT) | instid1(VALU_DEP_1)
	v_lshl_or_b32 v0, v1, 21, v0
                                        ; implicit-def: $vgpr1
	v_add_nc_u32_e32 v2, 0x38000000, v0
                                        ; implicit-def: $vgpr0
.LBB6_20485:                            ;   in Loop: Header=BB6_19757 Depth=3
	s_and_not1_saveexec_b32 s15, s15
; %bb.20486:                            ;   in Loop: Header=BB6_19757 Depth=3
	v_cmp_lt_i16_e32 vcc_lo, -1, v0
	v_mov_b32_e32 v0, 0x7f800000
	s_delay_alu instid0(VALU_DEP_1) | instskip(SKIP_1) | instid1(VALU_DEP_2)
	v_cndmask_b32_e32 v0, 0xff800000, v0, vcc_lo
	v_cmp_eq_u32_e32 vcc_lo, 0, v1
	v_cndmask_b32_e32 v2, 0x7f800001, v0, vcc_lo
; %bb.20487:                            ;   in Loop: Header=BB6_19757 Depth=3
	s_or_b32 exec_lo, exec_lo, s15
.LBB6_20488:                            ;   in Loop: Header=BB6_19757 Depth=3
	s_delay_alu instid0(SALU_CYCLE_1)
	s_or_b32 exec_lo, exec_lo, s14
.LBB6_20489:                            ;   in Loop: Header=BB6_19757 Depth=3
	s_delay_alu instid0(SALU_CYCLE_1) | instskip(NEXT) | instid1(VALU_DEP_1)
	s_or_b32 exec_lo, exec_lo, s13
	v_dual_mul_f32 v2, s74, v2 :: v_dual_mov_b32 v1, v113
                                        ; implicit-def: $vgpr94
	s_delay_alu instid0(VALU_DEP_1) | instskip(NEXT) | instid1(VALU_DEP_1)
	v_and_b32_e32 v0, 0x7f800000, v2
	v_cmp_ne_u64_e32 vcc_lo, 0x7f800000, v[0:1]
	v_and_b32_e32 v0, 0x7fffff, v2
	s_and_saveexec_b32 s13, vcc_lo
	s_delay_alu instid0(SALU_CYCLE_1)
	s_xor_b32 s14, exec_lo, s13
	s_cbranch_execz .LBB6_20507
; %bb.20490:                            ;   in Loop: Header=BB6_19757 Depth=3
	v_and_b32_e32 v4, 0x7fffffff, v2
	v_dual_mov_b32 v5, v113 :: v_dual_lshrrev_b32 v3, 24, v2
                                        ; implicit-def: $vgpr94
	s_delay_alu instid0(VALU_DEP_1) | instskip(NEXT) | instid1(VALU_DEP_2)
	v_cmp_gt_u64_e32 vcc_lo, 0x47600001, v[4:5]
	v_and_b32_e32 v4, 0x80, v3
	s_and_saveexec_b32 s13, vcc_lo
	s_delay_alu instid0(SALU_CYCLE_1)
	s_xor_b32 s15, exec_lo, s13
	s_cbranch_execz .LBB6_20504
; %bb.20491:                            ;   in Loop: Header=BB6_19757 Depth=3
	v_mov_b32_e32 v94, 0
	s_mov_b32 s75, exec_lo
	v_cmpx_ne_u32_e32 0, v2
	s_cbranch_execz .LBB6_20503
; %bb.20492:                            ;   in Loop: Header=BB6_19757 Depth=3
	v_bfe_u32 v5, v2, 23, 8
	v_or_b32_e32 v3, 0x800000, v0
	s_delay_alu instid0(VALU_DEP_2) | instskip(SKIP_2) | instid1(VALU_DEP_2)
	v_cmp_gt_u32_e64 s13, 0x72, v5
	v_sub_nc_u32_e32 v2, 0x71, v5
	v_cmp_eq_u32_e32 vcc_lo, 0, v5
	v_dual_cndmask_b32 v2, 0, v2, s13 :: v_dual_cndmask_b32 v0, v3, v0, vcc_lo
	s_delay_alu instid0(VALU_DEP_1) | instskip(NEXT) | instid1(VALU_DEP_1)
	v_cndmask_b32_e64 v6, v2, 0x70, vcc_lo
	v_dual_add_nc_u32 v2, 21, v6 :: v_dual_add_nc_u32 v7, 20, v6
	s_delay_alu instid0(VALU_DEP_1) | instskip(NEXT) | instid1(VALU_DEP_2)
	v_lshlrev_b64_e64 v[2:3], v2, -1
	v_lshlrev_b64_e64 v[16:17], v7, 1
	s_delay_alu instid0(VALU_DEP_2) | instskip(SKIP_1) | instid1(VALU_DEP_4)
	v_bfi_b32 v2, v2, 0, v0
	v_lshrrev_b64 v[0:1], v6, v[0:1]
	v_bfi_b32 v3, v3, 0, 0
	s_delay_alu instid0(VALU_DEP_1) | instskip(NEXT) | instid1(VALU_DEP_3)
	v_cmp_eq_u64_e64 s13, v[2:3], v[16:17]
	v_mov_b64_e32 v[2:3], v[0:1]
	s_and_saveexec_b32 s76, s13
; %bb.20493:                            ;   in Loop: Header=BB6_19757 Depth=3
	v_bfe_u32 v2, v0, 21, 1
	v_mov_b32_e32 v3, v113
	s_delay_alu instid0(VALU_DEP_1) | instskip(NEXT) | instid1(VALU_DEP_1)
	v_add_nc_u64_e32 v[2:3], v[0:1], v[2:3]
	v_add_nc_u64_e32 v[2:3], -1, v[2:3]
; %bb.20494:                            ;   in Loop: Header=BB6_19757 Depth=3
	s_or_b32 exec_lo, exec_lo, s76
	v_add_nc_u32_e32 v1, 0xffffff81, v5
	v_lshrrev_b32_e32 v3, 23, v0
	s_mov_b32 s13, exec_lo
	s_delay_alu instid0(VALU_DEP_2) | instskip(NEXT) | instid1(VALU_DEP_1)
	v_cndmask_b32_e64 v1, v1, 0xffffff82, vcc_lo
	v_add3_u32 v3, v6, v1, v3
	v_and_b32_e32 v1, 0x1fffff, v2
                                        ; implicit-def: $vgpr2
	s_delay_alu instid0(VALU_DEP_1) | instskip(SKIP_1) | instid1(VALU_DEP_2)
	v_dual_add_nc_u32 v5, 14, v3 :: v_dual_add_nc_u32 v0, v1, v0
	v_mov_b32_e32 v1, v113
	v_cmpx_ne_u32_e32 0, v5
	s_xor_b32 s13, exec_lo, s13
; %bb.20495:                            ;   in Loop: Header=BB6_19757 Depth=3
	s_delay_alu instid0(VALU_DEP_2) | instskip(SKIP_2) | instid1(VALU_DEP_2)
	v_cmp_lt_u64_e32 vcc_lo, 0xffffff, v[0:1]
	v_add_nc_u32_e32 v2, 15, v3
	v_cndmask_b32_e64 v3, 0, 1, vcc_lo
	v_cndmask_b32_e32 v2, v5, v2, vcc_lo
	s_delay_alu instid0(VALU_DEP_2)
	v_lshrrev_b64 v[0:1], v3, v[0:1]
; %bb.20496:                            ;   in Loop: Header=BB6_19757 Depth=3
	s_and_not1_saveexec_b32 s13, s13
; %bb.20497:                            ;   in Loop: Header=BB6_19757 Depth=3
	s_delay_alu instid0(VALU_DEP_1)
	v_bfe_u32 v2, v0, 23, 1
; %bb.20498:                            ;   in Loop: Header=BB6_19757 Depth=3
	s_or_b32 exec_lo, exec_lo, s13
	s_delay_alu instid0(VALU_DEP_2) | instskip(NEXT) | instid1(VALU_DEP_2)
	v_lshrrev_b64 v[0:1], 21, v[0:1]
	v_cmp_gt_i32_e32 vcc_lo, 32, v2
	v_cmp_ne_u32_e64 s13, 0, v2
                                        ; implicit-def: $vgpr94
	s_delay_alu instid0(VALU_DEP_3) | instskip(NEXT) | instid1(VALU_DEP_1)
	v_dual_cndmask_b32 v1, 0, v1 :: v_dual_cndmask_b32 v0, 3, v0
	v_cmp_ne_u64_e32 vcc_lo, 0, v[0:1]
	s_or_b32 s13, s13, vcc_lo
	s_delay_alu instid0(SALU_CYCLE_1) | instskip(NEXT) | instid1(SALU_CYCLE_1)
	s_and_saveexec_b32 s76, s13
	s_xor_b32 s13, exec_lo, s76
; %bb.20499:                            ;   in Loop: Header=BB6_19757 Depth=3
	v_min_i32_e32 v1, 31, v2
	s_delay_alu instid0(VALU_DEP_1) | instskip(NEXT) | instid1(VALU_DEP_1)
	v_lshl_or_b32 v1, v1, 2, v4
                                        ; implicit-def: $vgpr4
	v_and_or_b32 v94, v0, 3, v1
; %bb.20500:                            ;   in Loop: Header=BB6_19757 Depth=3
	s_and_not1_saveexec_b32 s13, s13
; %bb.20501:                            ;   in Loop: Header=BB6_19757 Depth=3
	v_mov_b32_e32 v94, v4
; %bb.20502:                            ;   in Loop: Header=BB6_19757 Depth=3
	s_or_b32 exec_lo, exec_lo, s13
.LBB6_20503:                            ;   in Loop: Header=BB6_19757 Depth=3
	s_delay_alu instid0(SALU_CYCLE_1)
	s_or_b32 exec_lo, exec_lo, s75
                                        ; implicit-def: $vgpr4
.LBB6_20504:                            ;   in Loop: Header=BB6_19757 Depth=3
	s_and_not1_saveexec_b32 s13, s15
; %bb.20505:                            ;   in Loop: Header=BB6_19757 Depth=3
	v_or_b32_e32 v94, 0x7b, v4
; %bb.20506:                            ;   in Loop: Header=BB6_19757 Depth=3
	s_or_b32 exec_lo, exec_lo, s13
                                        ; implicit-def: $vgpr2
                                        ; implicit-def: $vgpr0_vgpr1
.LBB6_20507:                            ;   in Loop: Header=BB6_19757 Depth=3
	s_and_not1_saveexec_b32 s13, s14
	s_cbranch_execz .LBB6_20513
; %bb.20508:                            ;   in Loop: Header=BB6_19757 Depth=3
	s_mov_b32 s14, exec_lo
                                        ; implicit-def: $vgpr94
	v_cmpx_ne_u64_e32 0, v[0:1]
	s_xor_b32 s14, exec_lo, s14
; %bb.20509:                            ;   in Loop: Header=BB6_19757 Depth=3
	v_lshrrev_b32_e32 v0, 24, v2
                                        ; implicit-def: $vgpr2
	s_delay_alu instid0(VALU_DEP_1)
	v_or_b32_e32 v94, 0x7f, v0
; %bb.20510:                            ;   in Loop: Header=BB6_19757 Depth=3
	s_and_not1_saveexec_b32 s14, s14
; %bb.20511:                            ;   in Loop: Header=BB6_19757 Depth=3
	v_cmp_lt_i32_e32 vcc_lo, -1, v2
	v_cndmask_b32_e64 v94, -4, 0x7c, vcc_lo
; %bb.20512:                            ;   in Loop: Header=BB6_19757 Depth=3
	s_or_b32 exec_lo, exec_lo, s14
.LBB6_20513:                            ;   in Loop: Header=BB6_19757 Depth=3
	s_delay_alu instid0(SALU_CYCLE_1)
	s_or_b32 exec_lo, exec_lo, s13
	flat_load_i8 v0, v[8:9] offset:704 th:TH_LOAD_NT
	v_mov_b32_e32 v2, 0
	s_mov_b32 s13, exec_lo
	s_wait_loadcnt_dscnt 0x0
	s_wait_xcnt 0x0
	v_cmpx_ne_u16_e32 0, v0
	s_cbranch_execz .LBB6_20523
; %bb.20514:                            ;   in Loop: Header=BB6_19757 Depth=3
	v_bfrev_b32_e32 v2, 1
	s_mov_b32 s14, exec_lo
	v_cmpx_ne_u16_e32 0xff80, v0
	s_cbranch_execz .LBB6_20522
; %bb.20515:                            ;   in Loop: Header=BB6_19757 Depth=3
	v_and_b32_e32 v2, 0x7c, v0
	v_and_b32_e32 v1, 3, v0
	s_delay_alu instid0(VALU_DEP_2) | instskip(SKIP_1) | instid1(SALU_CYCLE_1)
	v_cmp_ne_u32_e32 vcc_lo, 0x7c, v2
                                        ; implicit-def: $vgpr2
	s_and_saveexec_b32 s15, vcc_lo
	s_xor_b32 s15, exec_lo, s15
	s_cbranch_execz .LBB6_20519
; %bb.20516:                            ;   in Loop: Header=BB6_19757 Depth=3
	v_and_b32_e32 v2, 0xff, v0
	s_mov_b32 s75, exec_lo
	s_delay_alu instid0(VALU_DEP_1) | instskip(NEXT) | instid1(VALU_DEP_1)
	v_bfe_u32 v2, v2, 2, 5
	v_cmpx_eq_u32_e32 0, v2
	s_cbranch_execz .LBB6_20518
; %bb.20517:                            ;   in Loop: Header=BB6_19757 Depth=3
	v_clz_i32_u32_e32 v1, v1
	s_delay_alu instid0(VALU_DEP_1) | instskip(SKIP_1) | instid1(VALU_DEP_2)
	v_min_u32_e32 v2, 32, v1
	v_mov_b32_e32 v1, v113
	v_subrev_nc_u32_e32 v3, 29, v2
	v_sub_nc_u32_e32 v2, 30, v2
	s_delay_alu instid0(VALU_DEP_2) | instskip(NEXT) | instid1(VALU_DEP_1)
	v_lshlrev_b64_e32 v[4:5], v3, v[0:1]
	v_and_b32_e32 v1, 3, v4
.LBB6_20518:                            ;   in Loop: Header=BB6_19757 Depth=3
	s_or_b32 exec_lo, exec_lo, s75
	v_bfe_i32 v0, v0, 0, 16
	s_delay_alu instid0(VALU_DEP_1) | instskip(NEXT) | instid1(VALU_DEP_1)
	v_and_b32_e32 v0, 0x80000000, v0
	v_lshl_add_u32 v0, v2, 23, v0
	s_delay_alu instid0(VALU_DEP_1) | instskip(NEXT) | instid1(VALU_DEP_1)
	v_lshl_or_b32 v0, v1, 21, v0
                                        ; implicit-def: $vgpr1
	v_add_nc_u32_e32 v2, 0x38000000, v0
                                        ; implicit-def: $vgpr0
.LBB6_20519:                            ;   in Loop: Header=BB6_19757 Depth=3
	s_and_not1_saveexec_b32 s15, s15
; %bb.20520:                            ;   in Loop: Header=BB6_19757 Depth=3
	v_cmp_lt_i16_e32 vcc_lo, -1, v0
	v_mov_b32_e32 v0, 0x7f800000
	s_delay_alu instid0(VALU_DEP_1) | instskip(SKIP_1) | instid1(VALU_DEP_2)
	v_cndmask_b32_e32 v0, 0xff800000, v0, vcc_lo
	v_cmp_eq_u32_e32 vcc_lo, 0, v1
	v_cndmask_b32_e32 v2, 0x7f800001, v0, vcc_lo
; %bb.20521:                            ;   in Loop: Header=BB6_19757 Depth=3
	s_or_b32 exec_lo, exec_lo, s15
.LBB6_20522:                            ;   in Loop: Header=BB6_19757 Depth=3
	s_delay_alu instid0(SALU_CYCLE_1)
	s_or_b32 exec_lo, exec_lo, s14
.LBB6_20523:                            ;   in Loop: Header=BB6_19757 Depth=3
	s_delay_alu instid0(SALU_CYCLE_1) | instskip(NEXT) | instid1(VALU_DEP_1)
	s_or_b32 exec_lo, exec_lo, s13
	v_dual_mul_f32 v2, s74, v2 :: v_dual_mov_b32 v1, v113
                                        ; implicit-def: $vgpr90
	s_delay_alu instid0(VALU_DEP_1) | instskip(NEXT) | instid1(VALU_DEP_1)
	v_and_b32_e32 v0, 0x7f800000, v2
	v_cmp_ne_u64_e32 vcc_lo, 0x7f800000, v[0:1]
	v_and_b32_e32 v0, 0x7fffff, v2
	s_and_saveexec_b32 s13, vcc_lo
	s_delay_alu instid0(SALU_CYCLE_1)
	s_xor_b32 s14, exec_lo, s13
	s_cbranch_execz .LBB6_20541
; %bb.20524:                            ;   in Loop: Header=BB6_19757 Depth=3
	v_and_b32_e32 v4, 0x7fffffff, v2
	v_dual_mov_b32 v5, v113 :: v_dual_lshrrev_b32 v3, 24, v2
                                        ; implicit-def: $vgpr90
	s_delay_alu instid0(VALU_DEP_1) | instskip(NEXT) | instid1(VALU_DEP_2)
	v_cmp_gt_u64_e32 vcc_lo, 0x47600001, v[4:5]
	v_and_b32_e32 v4, 0x80, v3
	s_and_saveexec_b32 s13, vcc_lo
	s_delay_alu instid0(SALU_CYCLE_1)
	s_xor_b32 s15, exec_lo, s13
	s_cbranch_execz .LBB6_20538
; %bb.20525:                            ;   in Loop: Header=BB6_19757 Depth=3
	v_mov_b32_e32 v90, 0
	s_mov_b32 s75, exec_lo
	v_cmpx_ne_u32_e32 0, v2
	s_cbranch_execz .LBB6_20537
; %bb.20526:                            ;   in Loop: Header=BB6_19757 Depth=3
	v_bfe_u32 v5, v2, 23, 8
	v_or_b32_e32 v3, 0x800000, v0
	s_delay_alu instid0(VALU_DEP_2) | instskip(SKIP_2) | instid1(VALU_DEP_2)
	v_cmp_gt_u32_e64 s13, 0x72, v5
	v_sub_nc_u32_e32 v2, 0x71, v5
	v_cmp_eq_u32_e32 vcc_lo, 0, v5
	v_dual_cndmask_b32 v2, 0, v2, s13 :: v_dual_cndmask_b32 v0, v3, v0, vcc_lo
	s_delay_alu instid0(VALU_DEP_1) | instskip(NEXT) | instid1(VALU_DEP_1)
	v_cndmask_b32_e64 v6, v2, 0x70, vcc_lo
	v_dual_add_nc_u32 v2, 21, v6 :: v_dual_add_nc_u32 v7, 20, v6
	s_delay_alu instid0(VALU_DEP_1) | instskip(NEXT) | instid1(VALU_DEP_2)
	v_lshlrev_b64_e64 v[2:3], v2, -1
	v_lshlrev_b64_e64 v[16:17], v7, 1
	s_delay_alu instid0(VALU_DEP_2) | instskip(SKIP_1) | instid1(VALU_DEP_4)
	v_bfi_b32 v2, v2, 0, v0
	v_lshrrev_b64 v[0:1], v6, v[0:1]
	v_bfi_b32 v3, v3, 0, 0
	s_delay_alu instid0(VALU_DEP_1) | instskip(NEXT) | instid1(VALU_DEP_3)
	v_cmp_eq_u64_e64 s13, v[2:3], v[16:17]
	v_mov_b64_e32 v[2:3], v[0:1]
	s_and_saveexec_b32 s76, s13
; %bb.20527:                            ;   in Loop: Header=BB6_19757 Depth=3
	v_bfe_u32 v2, v0, 21, 1
	v_mov_b32_e32 v3, v113
	s_delay_alu instid0(VALU_DEP_1) | instskip(NEXT) | instid1(VALU_DEP_1)
	v_add_nc_u64_e32 v[2:3], v[0:1], v[2:3]
	v_add_nc_u64_e32 v[2:3], -1, v[2:3]
; %bb.20528:                            ;   in Loop: Header=BB6_19757 Depth=3
	s_or_b32 exec_lo, exec_lo, s76
	v_add_nc_u32_e32 v1, 0xffffff81, v5
	v_lshrrev_b32_e32 v3, 23, v0
	s_mov_b32 s13, exec_lo
	s_delay_alu instid0(VALU_DEP_2) | instskip(NEXT) | instid1(VALU_DEP_1)
	v_cndmask_b32_e64 v1, v1, 0xffffff82, vcc_lo
	v_add3_u32 v3, v6, v1, v3
	v_and_b32_e32 v1, 0x1fffff, v2
                                        ; implicit-def: $vgpr2
	s_delay_alu instid0(VALU_DEP_1) | instskip(SKIP_1) | instid1(VALU_DEP_2)
	v_dual_add_nc_u32 v5, 14, v3 :: v_dual_add_nc_u32 v0, v1, v0
	v_mov_b32_e32 v1, v113
	v_cmpx_ne_u32_e32 0, v5
	s_xor_b32 s13, exec_lo, s13
; %bb.20529:                            ;   in Loop: Header=BB6_19757 Depth=3
	s_delay_alu instid0(VALU_DEP_2) | instskip(SKIP_2) | instid1(VALU_DEP_2)
	v_cmp_lt_u64_e32 vcc_lo, 0xffffff, v[0:1]
	v_add_nc_u32_e32 v2, 15, v3
	v_cndmask_b32_e64 v3, 0, 1, vcc_lo
	v_cndmask_b32_e32 v2, v5, v2, vcc_lo
	s_delay_alu instid0(VALU_DEP_2)
	v_lshrrev_b64 v[0:1], v3, v[0:1]
; %bb.20530:                            ;   in Loop: Header=BB6_19757 Depth=3
	s_and_not1_saveexec_b32 s13, s13
; %bb.20531:                            ;   in Loop: Header=BB6_19757 Depth=3
	s_delay_alu instid0(VALU_DEP_1)
	v_bfe_u32 v2, v0, 23, 1
; %bb.20532:                            ;   in Loop: Header=BB6_19757 Depth=3
	s_or_b32 exec_lo, exec_lo, s13
	s_delay_alu instid0(VALU_DEP_2) | instskip(NEXT) | instid1(VALU_DEP_2)
	v_lshrrev_b64 v[0:1], 21, v[0:1]
	v_cmp_gt_i32_e32 vcc_lo, 32, v2
	v_cmp_ne_u32_e64 s13, 0, v2
                                        ; implicit-def: $vgpr90
	s_delay_alu instid0(VALU_DEP_3) | instskip(NEXT) | instid1(VALU_DEP_1)
	v_dual_cndmask_b32 v1, 0, v1 :: v_dual_cndmask_b32 v0, 3, v0
	v_cmp_ne_u64_e32 vcc_lo, 0, v[0:1]
	s_or_b32 s13, s13, vcc_lo
	s_delay_alu instid0(SALU_CYCLE_1) | instskip(NEXT) | instid1(SALU_CYCLE_1)
	s_and_saveexec_b32 s76, s13
	s_xor_b32 s13, exec_lo, s76
; %bb.20533:                            ;   in Loop: Header=BB6_19757 Depth=3
	v_min_i32_e32 v1, 31, v2
	s_delay_alu instid0(VALU_DEP_1) | instskip(NEXT) | instid1(VALU_DEP_1)
	v_lshl_or_b32 v1, v1, 2, v4
                                        ; implicit-def: $vgpr4
	v_and_or_b32 v90, v0, 3, v1
; %bb.20534:                            ;   in Loop: Header=BB6_19757 Depth=3
	s_and_not1_saveexec_b32 s13, s13
; %bb.20535:                            ;   in Loop: Header=BB6_19757 Depth=3
	v_mov_b32_e32 v90, v4
; %bb.20536:                            ;   in Loop: Header=BB6_19757 Depth=3
	s_or_b32 exec_lo, exec_lo, s13
.LBB6_20537:                            ;   in Loop: Header=BB6_19757 Depth=3
	s_delay_alu instid0(SALU_CYCLE_1)
	s_or_b32 exec_lo, exec_lo, s75
                                        ; implicit-def: $vgpr4
.LBB6_20538:                            ;   in Loop: Header=BB6_19757 Depth=3
	s_and_not1_saveexec_b32 s13, s15
; %bb.20539:                            ;   in Loop: Header=BB6_19757 Depth=3
	v_or_b32_e32 v90, 0x7b, v4
; %bb.20540:                            ;   in Loop: Header=BB6_19757 Depth=3
	s_or_b32 exec_lo, exec_lo, s13
                                        ; implicit-def: $vgpr2
                                        ; implicit-def: $vgpr0_vgpr1
.LBB6_20541:                            ;   in Loop: Header=BB6_19757 Depth=3
	s_and_not1_saveexec_b32 s13, s14
	s_cbranch_execz .LBB6_20547
; %bb.20542:                            ;   in Loop: Header=BB6_19757 Depth=3
	s_mov_b32 s14, exec_lo
                                        ; implicit-def: $vgpr90
	v_cmpx_ne_u64_e32 0, v[0:1]
	s_xor_b32 s14, exec_lo, s14
; %bb.20543:                            ;   in Loop: Header=BB6_19757 Depth=3
	v_lshrrev_b32_e32 v0, 24, v2
                                        ; implicit-def: $vgpr2
	s_delay_alu instid0(VALU_DEP_1)
	v_or_b32_e32 v90, 0x7f, v0
; %bb.20544:                            ;   in Loop: Header=BB6_19757 Depth=3
	s_and_not1_saveexec_b32 s14, s14
; %bb.20545:                            ;   in Loop: Header=BB6_19757 Depth=3
	v_cmp_lt_i32_e32 vcc_lo, -1, v2
	v_cndmask_b32_e64 v90, -4, 0x7c, vcc_lo
; %bb.20546:                            ;   in Loop: Header=BB6_19757 Depth=3
	s_or_b32 exec_lo, exec_lo, s14
.LBB6_20547:                            ;   in Loop: Header=BB6_19757 Depth=3
	s_delay_alu instid0(SALU_CYCLE_1)
	s_or_b32 exec_lo, exec_lo, s13
	flat_load_i8 v0, v[8:9] offset:736 th:TH_LOAD_NT
	v_mov_b32_e32 v2, 0
	s_mov_b32 s13, exec_lo
	s_wait_loadcnt_dscnt 0x0
	s_wait_xcnt 0x0
	v_cmpx_ne_u16_e32 0, v0
	s_cbranch_execz .LBB6_20557
; %bb.20548:                            ;   in Loop: Header=BB6_19757 Depth=3
	v_bfrev_b32_e32 v2, 1
	s_mov_b32 s14, exec_lo
	v_cmpx_ne_u16_e32 0xff80, v0
	s_cbranch_execz .LBB6_20556
; %bb.20549:                            ;   in Loop: Header=BB6_19757 Depth=3
	v_and_b32_e32 v2, 0x7c, v0
	v_and_b32_e32 v1, 3, v0
	s_delay_alu instid0(VALU_DEP_2) | instskip(SKIP_1) | instid1(SALU_CYCLE_1)
	v_cmp_ne_u32_e32 vcc_lo, 0x7c, v2
                                        ; implicit-def: $vgpr2
	s_and_saveexec_b32 s15, vcc_lo
	s_xor_b32 s15, exec_lo, s15
	s_cbranch_execz .LBB6_20553
; %bb.20550:                            ;   in Loop: Header=BB6_19757 Depth=3
	v_and_b32_e32 v2, 0xff, v0
	s_mov_b32 s75, exec_lo
	s_delay_alu instid0(VALU_DEP_1) | instskip(NEXT) | instid1(VALU_DEP_1)
	v_bfe_u32 v2, v2, 2, 5
	v_cmpx_eq_u32_e32 0, v2
	s_cbranch_execz .LBB6_20552
; %bb.20551:                            ;   in Loop: Header=BB6_19757 Depth=3
	v_clz_i32_u32_e32 v1, v1
	s_delay_alu instid0(VALU_DEP_1) | instskip(SKIP_1) | instid1(VALU_DEP_2)
	v_min_u32_e32 v2, 32, v1
	v_mov_b32_e32 v1, v113
	v_subrev_nc_u32_e32 v3, 29, v2
	v_sub_nc_u32_e32 v2, 30, v2
	s_delay_alu instid0(VALU_DEP_2) | instskip(NEXT) | instid1(VALU_DEP_1)
	v_lshlrev_b64_e32 v[4:5], v3, v[0:1]
	v_and_b32_e32 v1, 3, v4
.LBB6_20552:                            ;   in Loop: Header=BB6_19757 Depth=3
	s_or_b32 exec_lo, exec_lo, s75
	v_bfe_i32 v0, v0, 0, 16
	s_delay_alu instid0(VALU_DEP_1) | instskip(NEXT) | instid1(VALU_DEP_1)
	v_and_b32_e32 v0, 0x80000000, v0
	v_lshl_add_u32 v0, v2, 23, v0
	s_delay_alu instid0(VALU_DEP_1) | instskip(NEXT) | instid1(VALU_DEP_1)
	v_lshl_or_b32 v0, v1, 21, v0
                                        ; implicit-def: $vgpr1
	v_add_nc_u32_e32 v2, 0x38000000, v0
                                        ; implicit-def: $vgpr0
.LBB6_20553:                            ;   in Loop: Header=BB6_19757 Depth=3
	s_and_not1_saveexec_b32 s15, s15
; %bb.20554:                            ;   in Loop: Header=BB6_19757 Depth=3
	v_cmp_lt_i16_e32 vcc_lo, -1, v0
	v_mov_b32_e32 v0, 0x7f800000
	s_delay_alu instid0(VALU_DEP_1) | instskip(SKIP_1) | instid1(VALU_DEP_2)
	v_cndmask_b32_e32 v0, 0xff800000, v0, vcc_lo
	v_cmp_eq_u32_e32 vcc_lo, 0, v1
	v_cndmask_b32_e32 v2, 0x7f800001, v0, vcc_lo
; %bb.20555:                            ;   in Loop: Header=BB6_19757 Depth=3
	s_or_b32 exec_lo, exec_lo, s15
.LBB6_20556:                            ;   in Loop: Header=BB6_19757 Depth=3
	s_delay_alu instid0(SALU_CYCLE_1)
	s_or_b32 exec_lo, exec_lo, s14
.LBB6_20557:                            ;   in Loop: Header=BB6_19757 Depth=3
	s_delay_alu instid0(SALU_CYCLE_1) | instskip(NEXT) | instid1(VALU_DEP_1)
	s_or_b32 exec_lo, exec_lo, s13
	v_dual_mul_f32 v2, s74, v2 :: v_dual_mov_b32 v1, v113
                                        ; implicit-def: $vgpr88
	s_delay_alu instid0(VALU_DEP_1) | instskip(NEXT) | instid1(VALU_DEP_1)
	v_and_b32_e32 v0, 0x7f800000, v2
	v_cmp_ne_u64_e32 vcc_lo, 0x7f800000, v[0:1]
	v_and_b32_e32 v0, 0x7fffff, v2
	s_and_saveexec_b32 s13, vcc_lo
	s_delay_alu instid0(SALU_CYCLE_1)
	s_xor_b32 s14, exec_lo, s13
	s_cbranch_execz .LBB6_20575
; %bb.20558:                            ;   in Loop: Header=BB6_19757 Depth=3
	v_and_b32_e32 v4, 0x7fffffff, v2
	v_dual_mov_b32 v5, v113 :: v_dual_lshrrev_b32 v3, 24, v2
                                        ; implicit-def: $vgpr88
	s_delay_alu instid0(VALU_DEP_1) | instskip(NEXT) | instid1(VALU_DEP_2)
	v_cmp_gt_u64_e32 vcc_lo, 0x47600001, v[4:5]
	v_and_b32_e32 v4, 0x80, v3
	s_and_saveexec_b32 s13, vcc_lo
	s_delay_alu instid0(SALU_CYCLE_1)
	s_xor_b32 s15, exec_lo, s13
	s_cbranch_execz .LBB6_20572
; %bb.20559:                            ;   in Loop: Header=BB6_19757 Depth=3
	v_mov_b32_e32 v88, 0
	s_mov_b32 s75, exec_lo
	v_cmpx_ne_u32_e32 0, v2
	s_cbranch_execz .LBB6_20571
; %bb.20560:                            ;   in Loop: Header=BB6_19757 Depth=3
	v_bfe_u32 v5, v2, 23, 8
	v_or_b32_e32 v3, 0x800000, v0
	s_delay_alu instid0(VALU_DEP_2) | instskip(SKIP_2) | instid1(VALU_DEP_2)
	v_cmp_gt_u32_e64 s13, 0x72, v5
	v_sub_nc_u32_e32 v2, 0x71, v5
	v_cmp_eq_u32_e32 vcc_lo, 0, v5
	v_dual_cndmask_b32 v2, 0, v2, s13 :: v_dual_cndmask_b32 v0, v3, v0, vcc_lo
	s_delay_alu instid0(VALU_DEP_1) | instskip(NEXT) | instid1(VALU_DEP_1)
	v_cndmask_b32_e64 v6, v2, 0x70, vcc_lo
	v_dual_add_nc_u32 v2, 21, v6 :: v_dual_add_nc_u32 v7, 20, v6
	s_delay_alu instid0(VALU_DEP_1) | instskip(NEXT) | instid1(VALU_DEP_2)
	v_lshlrev_b64_e64 v[2:3], v2, -1
	v_lshlrev_b64_e64 v[16:17], v7, 1
	s_delay_alu instid0(VALU_DEP_2) | instskip(SKIP_1) | instid1(VALU_DEP_4)
	v_bfi_b32 v2, v2, 0, v0
	v_lshrrev_b64 v[0:1], v6, v[0:1]
	v_bfi_b32 v3, v3, 0, 0
	s_delay_alu instid0(VALU_DEP_1) | instskip(NEXT) | instid1(VALU_DEP_3)
	v_cmp_eq_u64_e64 s13, v[2:3], v[16:17]
	v_mov_b64_e32 v[2:3], v[0:1]
	s_and_saveexec_b32 s76, s13
; %bb.20561:                            ;   in Loop: Header=BB6_19757 Depth=3
	v_bfe_u32 v2, v0, 21, 1
	v_mov_b32_e32 v3, v113
	s_delay_alu instid0(VALU_DEP_1) | instskip(NEXT) | instid1(VALU_DEP_1)
	v_add_nc_u64_e32 v[2:3], v[0:1], v[2:3]
	v_add_nc_u64_e32 v[2:3], -1, v[2:3]
; %bb.20562:                            ;   in Loop: Header=BB6_19757 Depth=3
	s_or_b32 exec_lo, exec_lo, s76
	v_add_nc_u32_e32 v1, 0xffffff81, v5
	v_lshrrev_b32_e32 v3, 23, v0
	s_mov_b32 s13, exec_lo
	s_delay_alu instid0(VALU_DEP_2) | instskip(NEXT) | instid1(VALU_DEP_1)
	v_cndmask_b32_e64 v1, v1, 0xffffff82, vcc_lo
	v_add3_u32 v3, v6, v1, v3
	v_and_b32_e32 v1, 0x1fffff, v2
                                        ; implicit-def: $vgpr2
	s_delay_alu instid0(VALU_DEP_1) | instskip(SKIP_1) | instid1(VALU_DEP_2)
	v_dual_add_nc_u32 v5, 14, v3 :: v_dual_add_nc_u32 v0, v1, v0
	v_mov_b32_e32 v1, v113
	v_cmpx_ne_u32_e32 0, v5
	s_xor_b32 s13, exec_lo, s13
; %bb.20563:                            ;   in Loop: Header=BB6_19757 Depth=3
	s_delay_alu instid0(VALU_DEP_2) | instskip(SKIP_2) | instid1(VALU_DEP_2)
	v_cmp_lt_u64_e32 vcc_lo, 0xffffff, v[0:1]
	v_add_nc_u32_e32 v2, 15, v3
	v_cndmask_b32_e64 v3, 0, 1, vcc_lo
	v_cndmask_b32_e32 v2, v5, v2, vcc_lo
	s_delay_alu instid0(VALU_DEP_2)
	v_lshrrev_b64 v[0:1], v3, v[0:1]
; %bb.20564:                            ;   in Loop: Header=BB6_19757 Depth=3
	s_and_not1_saveexec_b32 s13, s13
; %bb.20565:                            ;   in Loop: Header=BB6_19757 Depth=3
	s_delay_alu instid0(VALU_DEP_1)
	v_bfe_u32 v2, v0, 23, 1
; %bb.20566:                            ;   in Loop: Header=BB6_19757 Depth=3
	s_or_b32 exec_lo, exec_lo, s13
	s_delay_alu instid0(VALU_DEP_2) | instskip(NEXT) | instid1(VALU_DEP_2)
	v_lshrrev_b64 v[0:1], 21, v[0:1]
	v_cmp_gt_i32_e32 vcc_lo, 32, v2
	v_cmp_ne_u32_e64 s13, 0, v2
                                        ; implicit-def: $vgpr88
	s_delay_alu instid0(VALU_DEP_3) | instskip(NEXT) | instid1(VALU_DEP_1)
	v_dual_cndmask_b32 v1, 0, v1 :: v_dual_cndmask_b32 v0, 3, v0
	v_cmp_ne_u64_e32 vcc_lo, 0, v[0:1]
	s_or_b32 s13, s13, vcc_lo
	s_delay_alu instid0(SALU_CYCLE_1) | instskip(NEXT) | instid1(SALU_CYCLE_1)
	s_and_saveexec_b32 s76, s13
	s_xor_b32 s13, exec_lo, s76
; %bb.20567:                            ;   in Loop: Header=BB6_19757 Depth=3
	v_min_i32_e32 v1, 31, v2
	s_delay_alu instid0(VALU_DEP_1) | instskip(NEXT) | instid1(VALU_DEP_1)
	v_lshl_or_b32 v1, v1, 2, v4
                                        ; implicit-def: $vgpr4
	v_and_or_b32 v88, v0, 3, v1
; %bb.20568:                            ;   in Loop: Header=BB6_19757 Depth=3
	s_and_not1_saveexec_b32 s13, s13
; %bb.20569:                            ;   in Loop: Header=BB6_19757 Depth=3
	v_mov_b32_e32 v88, v4
; %bb.20570:                            ;   in Loop: Header=BB6_19757 Depth=3
	s_or_b32 exec_lo, exec_lo, s13
.LBB6_20571:                            ;   in Loop: Header=BB6_19757 Depth=3
	s_delay_alu instid0(SALU_CYCLE_1)
	s_or_b32 exec_lo, exec_lo, s75
                                        ; implicit-def: $vgpr4
.LBB6_20572:                            ;   in Loop: Header=BB6_19757 Depth=3
	s_and_not1_saveexec_b32 s13, s15
; %bb.20573:                            ;   in Loop: Header=BB6_19757 Depth=3
	v_or_b32_e32 v88, 0x7b, v4
; %bb.20574:                            ;   in Loop: Header=BB6_19757 Depth=3
	s_or_b32 exec_lo, exec_lo, s13
                                        ; implicit-def: $vgpr2
                                        ; implicit-def: $vgpr0_vgpr1
.LBB6_20575:                            ;   in Loop: Header=BB6_19757 Depth=3
	s_and_not1_saveexec_b32 s13, s14
	s_cbranch_execz .LBB6_20581
; %bb.20576:                            ;   in Loop: Header=BB6_19757 Depth=3
	s_mov_b32 s14, exec_lo
                                        ; implicit-def: $vgpr88
	v_cmpx_ne_u64_e32 0, v[0:1]
	s_xor_b32 s14, exec_lo, s14
; %bb.20577:                            ;   in Loop: Header=BB6_19757 Depth=3
	v_lshrrev_b32_e32 v0, 24, v2
                                        ; implicit-def: $vgpr2
	s_delay_alu instid0(VALU_DEP_1)
	v_or_b32_e32 v88, 0x7f, v0
; %bb.20578:                            ;   in Loop: Header=BB6_19757 Depth=3
	s_and_not1_saveexec_b32 s14, s14
; %bb.20579:                            ;   in Loop: Header=BB6_19757 Depth=3
	v_cmp_lt_i32_e32 vcc_lo, -1, v2
	v_cndmask_b32_e64 v88, -4, 0x7c, vcc_lo
; %bb.20580:                            ;   in Loop: Header=BB6_19757 Depth=3
	s_or_b32 exec_lo, exec_lo, s14
.LBB6_20581:                            ;   in Loop: Header=BB6_19757 Depth=3
	s_delay_alu instid0(SALU_CYCLE_1)
	s_or_b32 exec_lo, exec_lo, s13
	flat_load_i8 v0, v[8:9] offset:768 th:TH_LOAD_NT
	v_mov_b32_e32 v2, 0
	s_mov_b32 s13, exec_lo
	s_wait_loadcnt_dscnt 0x0
	s_wait_xcnt 0x0
	v_cmpx_ne_u16_e32 0, v0
	s_cbranch_execz .LBB6_20591
; %bb.20582:                            ;   in Loop: Header=BB6_19757 Depth=3
	v_bfrev_b32_e32 v2, 1
	s_mov_b32 s14, exec_lo
	v_cmpx_ne_u16_e32 0xff80, v0
	s_cbranch_execz .LBB6_20590
; %bb.20583:                            ;   in Loop: Header=BB6_19757 Depth=3
	v_and_b32_e32 v2, 0x7c, v0
	v_and_b32_e32 v1, 3, v0
	s_delay_alu instid0(VALU_DEP_2) | instskip(SKIP_1) | instid1(SALU_CYCLE_1)
	v_cmp_ne_u32_e32 vcc_lo, 0x7c, v2
                                        ; implicit-def: $vgpr2
	s_and_saveexec_b32 s15, vcc_lo
	s_xor_b32 s15, exec_lo, s15
	s_cbranch_execz .LBB6_20587
; %bb.20584:                            ;   in Loop: Header=BB6_19757 Depth=3
	v_and_b32_e32 v2, 0xff, v0
	s_mov_b32 s75, exec_lo
	s_delay_alu instid0(VALU_DEP_1) | instskip(NEXT) | instid1(VALU_DEP_1)
	v_bfe_u32 v2, v2, 2, 5
	v_cmpx_eq_u32_e32 0, v2
	s_cbranch_execz .LBB6_20586
; %bb.20585:                            ;   in Loop: Header=BB6_19757 Depth=3
	v_clz_i32_u32_e32 v1, v1
	s_delay_alu instid0(VALU_DEP_1) | instskip(SKIP_1) | instid1(VALU_DEP_2)
	v_min_u32_e32 v2, 32, v1
	v_mov_b32_e32 v1, v113
	v_subrev_nc_u32_e32 v3, 29, v2
	v_sub_nc_u32_e32 v2, 30, v2
	s_delay_alu instid0(VALU_DEP_2) | instskip(NEXT) | instid1(VALU_DEP_1)
	v_lshlrev_b64_e32 v[4:5], v3, v[0:1]
	v_and_b32_e32 v1, 3, v4
.LBB6_20586:                            ;   in Loop: Header=BB6_19757 Depth=3
	s_or_b32 exec_lo, exec_lo, s75
	v_bfe_i32 v0, v0, 0, 16
	s_delay_alu instid0(VALU_DEP_1) | instskip(NEXT) | instid1(VALU_DEP_1)
	v_and_b32_e32 v0, 0x80000000, v0
	v_lshl_add_u32 v0, v2, 23, v0
	s_delay_alu instid0(VALU_DEP_1) | instskip(NEXT) | instid1(VALU_DEP_1)
	v_lshl_or_b32 v0, v1, 21, v0
                                        ; implicit-def: $vgpr1
	v_add_nc_u32_e32 v2, 0x38000000, v0
                                        ; implicit-def: $vgpr0
.LBB6_20587:                            ;   in Loop: Header=BB6_19757 Depth=3
	s_and_not1_saveexec_b32 s15, s15
; %bb.20588:                            ;   in Loop: Header=BB6_19757 Depth=3
	v_cmp_lt_i16_e32 vcc_lo, -1, v0
	v_mov_b32_e32 v0, 0x7f800000
	s_delay_alu instid0(VALU_DEP_1) | instskip(SKIP_1) | instid1(VALU_DEP_2)
	v_cndmask_b32_e32 v0, 0xff800000, v0, vcc_lo
	v_cmp_eq_u32_e32 vcc_lo, 0, v1
	v_cndmask_b32_e32 v2, 0x7f800001, v0, vcc_lo
; %bb.20589:                            ;   in Loop: Header=BB6_19757 Depth=3
	s_or_b32 exec_lo, exec_lo, s15
.LBB6_20590:                            ;   in Loop: Header=BB6_19757 Depth=3
	s_delay_alu instid0(SALU_CYCLE_1)
	s_or_b32 exec_lo, exec_lo, s14
.LBB6_20591:                            ;   in Loop: Header=BB6_19757 Depth=3
	s_delay_alu instid0(SALU_CYCLE_1) | instskip(NEXT) | instid1(VALU_DEP_1)
	s_or_b32 exec_lo, exec_lo, s13
	v_dual_mul_f32 v2, s74, v2 :: v_dual_mov_b32 v1, v113
                                        ; implicit-def: $vgpr4
	scratch_store_b64 off, v[4:5], s33 offset:344 ; 8-byte Folded Spill
	v_and_b32_e32 v0, 0x7f800000, v2
	s_delay_alu instid0(VALU_DEP_1) | instskip(SKIP_3) | instid1(SALU_CYCLE_1)
	v_cmp_ne_u64_e32 vcc_lo, 0x7f800000, v[0:1]
	v_and_b32_e32 v0, 0x7fffff, v2
	s_wait_xcnt 0x0
	s_and_saveexec_b32 s13, vcc_lo
	s_xor_b32 s14, exec_lo, s13
	s_cbranch_execz .LBB6_20609
; %bb.20592:                            ;   in Loop: Header=BB6_19757 Depth=3
	v_and_b32_e32 v4, 0x7fffffff, v2
	v_dual_mov_b32 v5, v113 :: v_dual_lshrrev_b32 v3, 24, v2
                                        ; implicit-def: $vgpr6
	scratch_store_b64 off, v[6:7], s33 offset:344 ; 8-byte Folded Spill
	v_cmp_gt_u64_e32 vcc_lo, 0x47600001, v[4:5]
	v_and_b32_e32 v4, 0x80, v3
	s_wait_xcnt 0x0
	s_and_saveexec_b32 s13, vcc_lo
	s_delay_alu instid0(SALU_CYCLE_1)
	s_xor_b32 s15, exec_lo, s13
	s_cbranch_execz .LBB6_20606
; %bb.20593:                            ;   in Loop: Header=BB6_19757 Depth=3
	v_mov_b32_e32 v6, 0
	s_mov_b32 s75, exec_lo
	scratch_store_b64 off, v[6:7], s33 offset:344 ; 8-byte Folded Spill
	s_wait_xcnt 0x0
	v_cmpx_ne_u32_e32 0, v2
	s_cbranch_execz .LBB6_20605
; %bb.20594:                            ;   in Loop: Header=BB6_19757 Depth=3
	v_bfe_u32 v5, v2, 23, 8
	v_or_b32_e32 v3, 0x800000, v0
	s_delay_alu instid0(VALU_DEP_2) | instskip(SKIP_2) | instid1(VALU_DEP_2)
	v_cmp_gt_u32_e64 s13, 0x72, v5
	v_sub_nc_u32_e32 v2, 0x71, v5
	v_cmp_eq_u32_e32 vcc_lo, 0, v5
	v_dual_cndmask_b32 v2, 0, v2, s13 :: v_dual_cndmask_b32 v0, v3, v0, vcc_lo
	s_delay_alu instid0(VALU_DEP_1) | instskip(NEXT) | instid1(VALU_DEP_1)
	v_cndmask_b32_e64 v6, v2, 0x70, vcc_lo
	v_dual_add_nc_u32 v2, 21, v6 :: v_dual_add_nc_u32 v7, 20, v6
	s_delay_alu instid0(VALU_DEP_1) | instskip(NEXT) | instid1(VALU_DEP_2)
	v_lshlrev_b64_e64 v[2:3], v2, -1
	v_lshlrev_b64_e64 v[16:17], v7, 1
	s_delay_alu instid0(VALU_DEP_2) | instskip(SKIP_1) | instid1(VALU_DEP_4)
	v_bfi_b32 v2, v2, 0, v0
	v_lshrrev_b64 v[0:1], v6, v[0:1]
	v_bfi_b32 v3, v3, 0, 0
	s_delay_alu instid0(VALU_DEP_1) | instskip(NEXT) | instid1(VALU_DEP_3)
	v_cmp_eq_u64_e64 s13, v[2:3], v[16:17]
	v_mov_b64_e32 v[2:3], v[0:1]
	s_and_saveexec_b32 s76, s13
; %bb.20595:                            ;   in Loop: Header=BB6_19757 Depth=3
	v_bfe_u32 v2, v0, 21, 1
	v_mov_b32_e32 v3, v113
	s_delay_alu instid0(VALU_DEP_1) | instskip(NEXT) | instid1(VALU_DEP_1)
	v_add_nc_u64_e32 v[2:3], v[0:1], v[2:3]
	v_add_nc_u64_e32 v[2:3], -1, v[2:3]
; %bb.20596:                            ;   in Loop: Header=BB6_19757 Depth=3
	s_or_b32 exec_lo, exec_lo, s76
	v_add_nc_u32_e32 v1, 0xffffff81, v5
	v_lshrrev_b32_e32 v3, 23, v0
	s_mov_b32 s13, exec_lo
	s_delay_alu instid0(VALU_DEP_2) | instskip(NEXT) | instid1(VALU_DEP_1)
	v_cndmask_b32_e64 v1, v1, 0xffffff82, vcc_lo
	v_add3_u32 v3, v6, v1, v3
	v_and_b32_e32 v1, 0x1fffff, v2
                                        ; implicit-def: $vgpr2
	s_delay_alu instid0(VALU_DEP_1) | instskip(SKIP_1) | instid1(VALU_DEP_2)
	v_dual_add_nc_u32 v5, 14, v3 :: v_dual_add_nc_u32 v0, v1, v0
	v_mov_b32_e32 v1, v113
	v_cmpx_ne_u32_e32 0, v5
	s_xor_b32 s13, exec_lo, s13
; %bb.20597:                            ;   in Loop: Header=BB6_19757 Depth=3
	s_delay_alu instid0(VALU_DEP_2) | instskip(SKIP_2) | instid1(VALU_DEP_2)
	v_cmp_lt_u64_e32 vcc_lo, 0xffffff, v[0:1]
	v_add_nc_u32_e32 v2, 15, v3
	v_cndmask_b32_e64 v3, 0, 1, vcc_lo
	v_cndmask_b32_e32 v2, v5, v2, vcc_lo
	s_delay_alu instid0(VALU_DEP_2)
	v_lshrrev_b64 v[0:1], v3, v[0:1]
; %bb.20598:                            ;   in Loop: Header=BB6_19757 Depth=3
	s_and_not1_saveexec_b32 s13, s13
; %bb.20599:                            ;   in Loop: Header=BB6_19757 Depth=3
	s_delay_alu instid0(VALU_DEP_1)
	v_bfe_u32 v2, v0, 23, 1
; %bb.20600:                            ;   in Loop: Header=BB6_19757 Depth=3
	s_or_b32 exec_lo, exec_lo, s13
	s_delay_alu instid0(VALU_DEP_2) | instskip(NEXT) | instid1(VALU_DEP_2)
	v_lshrrev_b64 v[0:1], 21, v[0:1]
	v_cmp_gt_i32_e32 vcc_lo, 32, v2
	v_cmp_ne_u32_e64 s13, 0, v2
                                        ; implicit-def: $vgpr6
	scratch_store_b64 off, v[6:7], s33 offset:344 ; 8-byte Folded Spill
	v_dual_cndmask_b32 v1, 0, v1 :: v_dual_cndmask_b32 v0, 3, v0
	s_delay_alu instid0(VALU_DEP_1) | instskip(SKIP_3) | instid1(SALU_CYCLE_1)
	v_cmp_ne_u64_e32 vcc_lo, 0, v[0:1]
	s_or_b32 s13, s13, vcc_lo
	s_wait_xcnt 0x0
	s_and_saveexec_b32 s76, s13
	s_xor_b32 s13, exec_lo, s76
	s_cbranch_execz .LBB6_20602
; %bb.20601:                            ;   in Loop: Header=BB6_19757 Depth=3
	v_min_i32_e32 v1, 31, v2
	s_delay_alu instid0(VALU_DEP_1) | instskip(NEXT) | instid1(VALU_DEP_1)
	v_lshl_or_b32 v1, v1, 2, v4
                                        ; implicit-def: $vgpr4
	v_and_or_b32 v0, v0, 3, v1
	scratch_store_b64 off, v[0:1], s33 offset:344 ; 8-byte Folded Spill
.LBB6_20602:                            ;   in Loop: Header=BB6_19757 Depth=3
	s_wait_xcnt 0x0
	s_and_not1_saveexec_b32 s13, s13
	s_cbranch_execz .LBB6_20604
; %bb.20603:                            ;   in Loop: Header=BB6_19757 Depth=3
	v_mov_b32_e32 v0, v4
	scratch_store_b64 off, v[0:1], s33 offset:344 ; 8-byte Folded Spill
.LBB6_20604:                            ;   in Loop: Header=BB6_19757 Depth=3
	s_wait_xcnt 0x0
	s_or_b32 exec_lo, exec_lo, s13
.LBB6_20605:                            ;   in Loop: Header=BB6_19757 Depth=3
	s_delay_alu instid0(SALU_CYCLE_1)
	s_or_b32 exec_lo, exec_lo, s75
                                        ; implicit-def: $vgpr4
.LBB6_20606:                            ;   in Loop: Header=BB6_19757 Depth=3
	s_and_not1_saveexec_b32 s13, s15
	s_cbranch_execz .LBB6_20608
; %bb.20607:                            ;   in Loop: Header=BB6_19757 Depth=3
	v_or_b32_e32 v0, 0x7b, v4
	scratch_store_b64 off, v[0:1], s33 offset:344 ; 8-byte Folded Spill
.LBB6_20608:                            ;   in Loop: Header=BB6_19757 Depth=3
	s_wait_xcnt 0x0
	s_or_b32 exec_lo, exec_lo, s13
                                        ; implicit-def: $vgpr2
                                        ; implicit-def: $vgpr0_vgpr1
.LBB6_20609:                            ;   in Loop: Header=BB6_19757 Depth=3
	s_and_not1_saveexec_b32 s13, s14
	s_cbranch_execz .LBB6_20615
; %bb.20610:                            ;   in Loop: Header=BB6_19757 Depth=3
	v_cmp_ne_u64_e32 vcc_lo, 0, v[0:1]
                                        ; implicit-def: $vgpr0
	scratch_store_b64 off, v[0:1], s33 offset:344 ; 8-byte Folded Spill
	s_wait_xcnt 0x0
	s_and_saveexec_b32 s14, vcc_lo
	s_delay_alu instid0(SALU_CYCLE_1)
	s_xor_b32 s14, exec_lo, s14
	s_cbranch_execz .LBB6_20612
; %bb.20611:                            ;   in Loop: Header=BB6_19757 Depth=3
	v_lshrrev_b32_e32 v0, 24, v2
                                        ; implicit-def: $vgpr2
	s_delay_alu instid0(VALU_DEP_1)
	v_or_b32_e32 v0, 0x7f, v0
	scratch_store_b64 off, v[0:1], s33 offset:344 ; 8-byte Folded Spill
.LBB6_20612:                            ;   in Loop: Header=BB6_19757 Depth=3
	s_wait_xcnt 0x0
	s_and_not1_saveexec_b32 s14, s14
	s_cbranch_execz .LBB6_20614
; %bb.20613:                            ;   in Loop: Header=BB6_19757 Depth=3
	v_cmp_lt_i32_e32 vcc_lo, -1, v2
	v_cndmask_b32_e64 v0, -4, 0x7c, vcc_lo
	scratch_store_b64 off, v[0:1], s33 offset:344 ; 8-byte Folded Spill
.LBB6_20614:                            ;   in Loop: Header=BB6_19757 Depth=3
	s_wait_xcnt 0x0
	s_or_b32 exec_lo, exec_lo, s14
.LBB6_20615:                            ;   in Loop: Header=BB6_19757 Depth=3
	s_delay_alu instid0(SALU_CYCLE_1)
	s_or_b32 exec_lo, exec_lo, s13
	flat_load_i8 v0, v[8:9] offset:800 th:TH_LOAD_NT
	v_mov_b32_e32 v2, 0
	s_mov_b32 s13, exec_lo
	s_wait_loadcnt_dscnt 0x0
	s_wait_xcnt 0x0
	v_cmpx_ne_u16_e32 0, v0
	s_cbranch_execz .LBB6_20625
; %bb.20616:                            ;   in Loop: Header=BB6_19757 Depth=3
	v_bfrev_b32_e32 v2, 1
	s_mov_b32 s14, exec_lo
	v_cmpx_ne_u16_e32 0xff80, v0
	s_cbranch_execz .LBB6_20624
; %bb.20617:                            ;   in Loop: Header=BB6_19757 Depth=3
	v_and_b32_e32 v2, 0x7c, v0
	v_and_b32_e32 v1, 3, v0
	s_delay_alu instid0(VALU_DEP_2) | instskip(SKIP_1) | instid1(SALU_CYCLE_1)
	v_cmp_ne_u32_e32 vcc_lo, 0x7c, v2
                                        ; implicit-def: $vgpr2
	s_and_saveexec_b32 s15, vcc_lo
	s_xor_b32 s15, exec_lo, s15
	s_cbranch_execz .LBB6_20621
; %bb.20618:                            ;   in Loop: Header=BB6_19757 Depth=3
	v_and_b32_e32 v2, 0xff, v0
	s_mov_b32 s75, exec_lo
	s_delay_alu instid0(VALU_DEP_1) | instskip(NEXT) | instid1(VALU_DEP_1)
	v_bfe_u32 v2, v2, 2, 5
	v_cmpx_eq_u32_e32 0, v2
	s_cbranch_execz .LBB6_20620
; %bb.20619:                            ;   in Loop: Header=BB6_19757 Depth=3
	v_clz_i32_u32_e32 v1, v1
	s_delay_alu instid0(VALU_DEP_1) | instskip(SKIP_1) | instid1(VALU_DEP_2)
	v_min_u32_e32 v2, 32, v1
	v_mov_b32_e32 v1, v113
	v_subrev_nc_u32_e32 v3, 29, v2
	v_sub_nc_u32_e32 v2, 30, v2
	s_delay_alu instid0(VALU_DEP_2) | instskip(NEXT) | instid1(VALU_DEP_1)
	v_lshlrev_b64_e32 v[4:5], v3, v[0:1]
	v_and_b32_e32 v1, 3, v4
.LBB6_20620:                            ;   in Loop: Header=BB6_19757 Depth=3
	s_or_b32 exec_lo, exec_lo, s75
	v_bfe_i32 v0, v0, 0, 16
	s_delay_alu instid0(VALU_DEP_1) | instskip(NEXT) | instid1(VALU_DEP_1)
	v_and_b32_e32 v0, 0x80000000, v0
	v_lshl_add_u32 v0, v2, 23, v0
	s_delay_alu instid0(VALU_DEP_1) | instskip(NEXT) | instid1(VALU_DEP_1)
	v_lshl_or_b32 v0, v1, 21, v0
                                        ; implicit-def: $vgpr1
	v_add_nc_u32_e32 v2, 0x38000000, v0
                                        ; implicit-def: $vgpr0
.LBB6_20621:                            ;   in Loop: Header=BB6_19757 Depth=3
	s_and_not1_saveexec_b32 s15, s15
; %bb.20622:                            ;   in Loop: Header=BB6_19757 Depth=3
	v_cmp_lt_i16_e32 vcc_lo, -1, v0
	v_mov_b32_e32 v0, 0x7f800000
	s_delay_alu instid0(VALU_DEP_1) | instskip(SKIP_1) | instid1(VALU_DEP_2)
	v_cndmask_b32_e32 v0, 0xff800000, v0, vcc_lo
	v_cmp_eq_u32_e32 vcc_lo, 0, v1
	v_cndmask_b32_e32 v2, 0x7f800001, v0, vcc_lo
; %bb.20623:                            ;   in Loop: Header=BB6_19757 Depth=3
	s_or_b32 exec_lo, exec_lo, s15
.LBB6_20624:                            ;   in Loop: Header=BB6_19757 Depth=3
	s_delay_alu instid0(SALU_CYCLE_1)
	s_or_b32 exec_lo, exec_lo, s14
.LBB6_20625:                            ;   in Loop: Header=BB6_19757 Depth=3
	s_delay_alu instid0(SALU_CYCLE_1) | instskip(NEXT) | instid1(VALU_DEP_1)
	s_or_b32 exec_lo, exec_lo, s13
	v_dual_mul_f32 v2, s74, v2 :: v_dual_mov_b32 v1, v113
                                        ; implicit-def: $vgpr4
	scratch_store_b64 off, v[4:5], s33 offset:256 ; 8-byte Folded Spill
	v_and_b32_e32 v0, 0x7f800000, v2
	s_delay_alu instid0(VALU_DEP_1) | instskip(SKIP_3) | instid1(SALU_CYCLE_1)
	v_cmp_ne_u64_e32 vcc_lo, 0x7f800000, v[0:1]
	v_and_b32_e32 v0, 0x7fffff, v2
	s_wait_xcnt 0x0
	s_and_saveexec_b32 s13, vcc_lo
	s_xor_b32 s14, exec_lo, s13
	s_cbranch_execz .LBB6_20643
; %bb.20626:                            ;   in Loop: Header=BB6_19757 Depth=3
	v_and_b32_e32 v4, 0x7fffffff, v2
	v_dual_mov_b32 v5, v113 :: v_dual_lshrrev_b32 v3, 24, v2
                                        ; implicit-def: $vgpr6
	scratch_store_b64 off, v[6:7], s33 offset:256 ; 8-byte Folded Spill
	v_cmp_gt_u64_e32 vcc_lo, 0x47600001, v[4:5]
	v_and_b32_e32 v4, 0x80, v3
	s_wait_xcnt 0x0
	s_and_saveexec_b32 s13, vcc_lo
	s_delay_alu instid0(SALU_CYCLE_1)
	s_xor_b32 s15, exec_lo, s13
	s_cbranch_execz .LBB6_20640
; %bb.20627:                            ;   in Loop: Header=BB6_19757 Depth=3
	v_mov_b32_e32 v6, 0
	s_mov_b32 s75, exec_lo
	scratch_store_b64 off, v[6:7], s33 offset:256 ; 8-byte Folded Spill
	s_wait_xcnt 0x0
	v_cmpx_ne_u32_e32 0, v2
	s_cbranch_execz .LBB6_20639
; %bb.20628:                            ;   in Loop: Header=BB6_19757 Depth=3
	v_bfe_u32 v5, v2, 23, 8
	v_or_b32_e32 v3, 0x800000, v0
	s_delay_alu instid0(VALU_DEP_2) | instskip(SKIP_2) | instid1(VALU_DEP_2)
	v_cmp_gt_u32_e64 s13, 0x72, v5
	v_sub_nc_u32_e32 v2, 0x71, v5
	v_cmp_eq_u32_e32 vcc_lo, 0, v5
	v_dual_cndmask_b32 v2, 0, v2, s13 :: v_dual_cndmask_b32 v0, v3, v0, vcc_lo
	s_delay_alu instid0(VALU_DEP_1) | instskip(NEXT) | instid1(VALU_DEP_1)
	v_cndmask_b32_e64 v6, v2, 0x70, vcc_lo
	v_dual_add_nc_u32 v2, 21, v6 :: v_dual_add_nc_u32 v7, 20, v6
	s_delay_alu instid0(VALU_DEP_1) | instskip(NEXT) | instid1(VALU_DEP_2)
	v_lshlrev_b64_e64 v[2:3], v2, -1
	v_lshlrev_b64_e64 v[16:17], v7, 1
	s_delay_alu instid0(VALU_DEP_2) | instskip(SKIP_1) | instid1(VALU_DEP_4)
	v_bfi_b32 v2, v2, 0, v0
	v_lshrrev_b64 v[0:1], v6, v[0:1]
	v_bfi_b32 v3, v3, 0, 0
	s_delay_alu instid0(VALU_DEP_1) | instskip(NEXT) | instid1(VALU_DEP_3)
	v_cmp_eq_u64_e64 s13, v[2:3], v[16:17]
	v_mov_b64_e32 v[2:3], v[0:1]
	s_and_saveexec_b32 s76, s13
; %bb.20629:                            ;   in Loop: Header=BB6_19757 Depth=3
	v_bfe_u32 v2, v0, 21, 1
	v_mov_b32_e32 v3, v113
	s_delay_alu instid0(VALU_DEP_1) | instskip(NEXT) | instid1(VALU_DEP_1)
	v_add_nc_u64_e32 v[2:3], v[0:1], v[2:3]
	v_add_nc_u64_e32 v[2:3], -1, v[2:3]
; %bb.20630:                            ;   in Loop: Header=BB6_19757 Depth=3
	s_or_b32 exec_lo, exec_lo, s76
	v_add_nc_u32_e32 v1, 0xffffff81, v5
	v_lshrrev_b32_e32 v3, 23, v0
	s_mov_b32 s13, exec_lo
	s_delay_alu instid0(VALU_DEP_2) | instskip(NEXT) | instid1(VALU_DEP_1)
	v_cndmask_b32_e64 v1, v1, 0xffffff82, vcc_lo
	v_add3_u32 v5, v6, v1, v3
	v_and_b32_e32 v1, 0x1fffff, v2
                                        ; implicit-def: $vgpr2
	s_delay_alu instid0(VALU_DEP_1) | instskip(SKIP_1) | instid1(VALU_DEP_2)
	v_dual_add_nc_u32 v3, 14, v5 :: v_dual_add_nc_u32 v0, v1, v0
	v_mov_b32_e32 v1, v113
	v_cmpx_ne_u32_e32 0, v3
	s_xor_b32 s13, exec_lo, s13
; %bb.20631:                            ;   in Loop: Header=BB6_19757 Depth=3
	s_delay_alu instid0(VALU_DEP_2) | instskip(SKIP_1) | instid1(VALU_DEP_1)
	v_cmp_lt_u64_e32 vcc_lo, 0xffffff, v[0:1]
	v_add_nc_u32_e32 v2, 15, v5
	v_cndmask_b32_e32 v2, v3, v2, vcc_lo
	v_cndmask_b32_e64 v3, 0, 1, vcc_lo
	s_delay_alu instid0(VALU_DEP_1)
	v_lshrrev_b64 v[0:1], v3, v[0:1]
; %bb.20632:                            ;   in Loop: Header=BB6_19757 Depth=3
	s_and_not1_saveexec_b32 s13, s13
; %bb.20633:                            ;   in Loop: Header=BB6_19757 Depth=3
	s_delay_alu instid0(VALU_DEP_1)
	v_bfe_u32 v2, v0, 23, 1
; %bb.20634:                            ;   in Loop: Header=BB6_19757 Depth=3
	s_or_b32 exec_lo, exec_lo, s13
	s_delay_alu instid0(VALU_DEP_2) | instskip(NEXT) | instid1(VALU_DEP_2)
	v_lshrrev_b64 v[0:1], 21, v[0:1]
	v_cmp_gt_i32_e32 vcc_lo, 32, v2
	v_cmp_ne_u32_e64 s13, 0, v2
                                        ; implicit-def: $vgpr6
	scratch_store_b64 off, v[6:7], s33 offset:256 ; 8-byte Folded Spill
	v_dual_cndmask_b32 v1, 0, v1 :: v_dual_cndmask_b32 v0, 3, v0
	s_delay_alu instid0(VALU_DEP_1) | instskip(SKIP_3) | instid1(SALU_CYCLE_1)
	v_cmp_ne_u64_e32 vcc_lo, 0, v[0:1]
	s_or_b32 s13, s13, vcc_lo
	s_wait_xcnt 0x0
	s_and_saveexec_b32 s76, s13
	s_xor_b32 s13, exec_lo, s76
	s_cbranch_execz .LBB6_20636
; %bb.20635:                            ;   in Loop: Header=BB6_19757 Depth=3
	v_min_i32_e32 v1, 31, v2
	s_delay_alu instid0(VALU_DEP_1) | instskip(NEXT) | instid1(VALU_DEP_1)
	v_lshl_or_b32 v1, v1, 2, v4
                                        ; implicit-def: $vgpr4
	v_and_or_b32 v0, v0, 3, v1
	scratch_store_b64 off, v[0:1], s33 offset:256 ; 8-byte Folded Spill
.LBB6_20636:                            ;   in Loop: Header=BB6_19757 Depth=3
	s_wait_xcnt 0x0
	s_and_not1_saveexec_b32 s13, s13
	s_cbranch_execz .LBB6_20638
; %bb.20637:                            ;   in Loop: Header=BB6_19757 Depth=3
	v_mov_b32_e32 v0, v4
	scratch_store_b64 off, v[0:1], s33 offset:256 ; 8-byte Folded Spill
.LBB6_20638:                            ;   in Loop: Header=BB6_19757 Depth=3
	s_wait_xcnt 0x0
	s_or_b32 exec_lo, exec_lo, s13
.LBB6_20639:                            ;   in Loop: Header=BB6_19757 Depth=3
	s_delay_alu instid0(SALU_CYCLE_1)
	s_or_b32 exec_lo, exec_lo, s75
                                        ; implicit-def: $vgpr4
.LBB6_20640:                            ;   in Loop: Header=BB6_19757 Depth=3
	s_and_not1_saveexec_b32 s13, s15
	s_cbranch_execz .LBB6_20642
; %bb.20641:                            ;   in Loop: Header=BB6_19757 Depth=3
	v_or_b32_e32 v0, 0x7b, v4
	scratch_store_b64 off, v[0:1], s33 offset:256 ; 8-byte Folded Spill
.LBB6_20642:                            ;   in Loop: Header=BB6_19757 Depth=3
	s_wait_xcnt 0x0
	s_or_b32 exec_lo, exec_lo, s13
                                        ; implicit-def: $vgpr2
                                        ; implicit-def: $vgpr0_vgpr1
.LBB6_20643:                            ;   in Loop: Header=BB6_19757 Depth=3
	s_and_not1_saveexec_b32 s13, s14
	s_cbranch_execz .LBB6_20649
; %bb.20644:                            ;   in Loop: Header=BB6_19757 Depth=3
	v_cmp_ne_u64_e32 vcc_lo, 0, v[0:1]
                                        ; implicit-def: $vgpr0
	scratch_store_b64 off, v[0:1], s33 offset:256 ; 8-byte Folded Spill
	s_wait_xcnt 0x0
	s_and_saveexec_b32 s14, vcc_lo
	s_delay_alu instid0(SALU_CYCLE_1)
	s_xor_b32 s14, exec_lo, s14
	s_cbranch_execz .LBB6_20646
; %bb.20645:                            ;   in Loop: Header=BB6_19757 Depth=3
	v_lshrrev_b32_e32 v0, 24, v2
                                        ; implicit-def: $vgpr2
	s_delay_alu instid0(VALU_DEP_1)
	v_or_b32_e32 v0, 0x7f, v0
	scratch_store_b64 off, v[0:1], s33 offset:256 ; 8-byte Folded Spill
.LBB6_20646:                            ;   in Loop: Header=BB6_19757 Depth=3
	s_wait_xcnt 0x0
	s_and_not1_saveexec_b32 s14, s14
	s_cbranch_execz .LBB6_20648
; %bb.20647:                            ;   in Loop: Header=BB6_19757 Depth=3
	v_cmp_lt_i32_e32 vcc_lo, -1, v2
	v_cndmask_b32_e64 v0, -4, 0x7c, vcc_lo
	scratch_store_b64 off, v[0:1], s33 offset:256 ; 8-byte Folded Spill
.LBB6_20648:                            ;   in Loop: Header=BB6_19757 Depth=3
	s_wait_xcnt 0x0
	s_or_b32 exec_lo, exec_lo, s14
.LBB6_20649:                            ;   in Loop: Header=BB6_19757 Depth=3
	s_delay_alu instid0(SALU_CYCLE_1)
	s_or_b32 exec_lo, exec_lo, s13
	flat_load_i8 v0, v[8:9] offset:832 th:TH_LOAD_NT
	v_mov_b32_e32 v2, 0
	s_mov_b32 s13, exec_lo
	s_wait_loadcnt_dscnt 0x0
	s_wait_xcnt 0x0
	v_cmpx_ne_u16_e32 0, v0
	s_cbranch_execz .LBB6_20659
; %bb.20650:                            ;   in Loop: Header=BB6_19757 Depth=3
	v_bfrev_b32_e32 v2, 1
	s_mov_b32 s14, exec_lo
	v_cmpx_ne_u16_e32 0xff80, v0
	s_cbranch_execz .LBB6_20658
; %bb.20651:                            ;   in Loop: Header=BB6_19757 Depth=3
	v_and_b32_e32 v2, 0x7c, v0
	v_and_b32_e32 v1, 3, v0
	s_delay_alu instid0(VALU_DEP_2) | instskip(SKIP_1) | instid1(SALU_CYCLE_1)
	v_cmp_ne_u32_e32 vcc_lo, 0x7c, v2
                                        ; implicit-def: $vgpr2
	s_and_saveexec_b32 s15, vcc_lo
	s_xor_b32 s15, exec_lo, s15
	s_cbranch_execz .LBB6_20655
; %bb.20652:                            ;   in Loop: Header=BB6_19757 Depth=3
	v_and_b32_e32 v2, 0xff, v0
	s_mov_b32 s75, exec_lo
	s_delay_alu instid0(VALU_DEP_1) | instskip(NEXT) | instid1(VALU_DEP_1)
	v_bfe_u32 v2, v2, 2, 5
	v_cmpx_eq_u32_e32 0, v2
	s_cbranch_execz .LBB6_20654
; %bb.20653:                            ;   in Loop: Header=BB6_19757 Depth=3
	v_clz_i32_u32_e32 v1, v1
	s_delay_alu instid0(VALU_DEP_1) | instskip(SKIP_1) | instid1(VALU_DEP_2)
	v_min_u32_e32 v2, 32, v1
	v_mov_b32_e32 v1, v113
	v_subrev_nc_u32_e32 v3, 29, v2
	v_sub_nc_u32_e32 v2, 30, v2
	s_delay_alu instid0(VALU_DEP_2) | instskip(NEXT) | instid1(VALU_DEP_1)
	v_lshlrev_b64_e32 v[4:5], v3, v[0:1]
	v_and_b32_e32 v1, 3, v4
.LBB6_20654:                            ;   in Loop: Header=BB6_19757 Depth=3
	s_or_b32 exec_lo, exec_lo, s75
	v_bfe_i32 v0, v0, 0, 16
	s_delay_alu instid0(VALU_DEP_1) | instskip(NEXT) | instid1(VALU_DEP_1)
	v_and_b32_e32 v0, 0x80000000, v0
	v_lshl_add_u32 v0, v2, 23, v0
	s_delay_alu instid0(VALU_DEP_1) | instskip(NEXT) | instid1(VALU_DEP_1)
	v_lshl_or_b32 v0, v1, 21, v0
                                        ; implicit-def: $vgpr1
	v_add_nc_u32_e32 v2, 0x38000000, v0
                                        ; implicit-def: $vgpr0
.LBB6_20655:                            ;   in Loop: Header=BB6_19757 Depth=3
	s_and_not1_saveexec_b32 s15, s15
; %bb.20656:                            ;   in Loop: Header=BB6_19757 Depth=3
	v_cmp_lt_i16_e32 vcc_lo, -1, v0
	v_mov_b32_e32 v0, 0x7f800000
	s_delay_alu instid0(VALU_DEP_1) | instskip(SKIP_1) | instid1(VALU_DEP_2)
	v_cndmask_b32_e32 v0, 0xff800000, v0, vcc_lo
	v_cmp_eq_u32_e32 vcc_lo, 0, v1
	v_cndmask_b32_e32 v2, 0x7f800001, v0, vcc_lo
; %bb.20657:                            ;   in Loop: Header=BB6_19757 Depth=3
	s_or_b32 exec_lo, exec_lo, s15
.LBB6_20658:                            ;   in Loop: Header=BB6_19757 Depth=3
	s_delay_alu instid0(SALU_CYCLE_1)
	s_or_b32 exec_lo, exec_lo, s14
.LBB6_20659:                            ;   in Loop: Header=BB6_19757 Depth=3
	s_delay_alu instid0(SALU_CYCLE_1) | instskip(NEXT) | instid1(VALU_DEP_1)
	s_or_b32 exec_lo, exec_lo, s13
	v_dual_mul_f32 v2, s74, v2 :: v_dual_mov_b32 v1, v113
                                        ; implicit-def: $vgpr4
	scratch_store_b64 off, v[4:5], s33 offset:248 ; 8-byte Folded Spill
	v_and_b32_e32 v0, 0x7f800000, v2
	s_delay_alu instid0(VALU_DEP_1) | instskip(SKIP_3) | instid1(SALU_CYCLE_1)
	v_cmp_ne_u64_e32 vcc_lo, 0x7f800000, v[0:1]
	v_and_b32_e32 v0, 0x7fffff, v2
	s_wait_xcnt 0x0
	s_and_saveexec_b32 s13, vcc_lo
	s_xor_b32 s14, exec_lo, s13
	s_cbranch_execz .LBB6_20677
; %bb.20660:                            ;   in Loop: Header=BB6_19757 Depth=3
	v_and_b32_e32 v4, 0x7fffffff, v2
	v_dual_mov_b32 v5, v113 :: v_dual_lshrrev_b32 v3, 24, v2
                                        ; implicit-def: $vgpr6
	scratch_store_b64 off, v[6:7], s33 offset:248 ; 8-byte Folded Spill
	v_cmp_gt_u64_e32 vcc_lo, 0x47600001, v[4:5]
	v_and_b32_e32 v4, 0x80, v3
	s_wait_xcnt 0x0
	s_and_saveexec_b32 s13, vcc_lo
	s_delay_alu instid0(SALU_CYCLE_1)
	s_xor_b32 s15, exec_lo, s13
	s_cbranch_execz .LBB6_20674
; %bb.20661:                            ;   in Loop: Header=BB6_19757 Depth=3
	v_mov_b32_e32 v6, 0
	s_mov_b32 s75, exec_lo
	scratch_store_b64 off, v[6:7], s33 offset:248 ; 8-byte Folded Spill
	s_wait_xcnt 0x0
	v_cmpx_ne_u32_e32 0, v2
	s_cbranch_execz .LBB6_20673
; %bb.20662:                            ;   in Loop: Header=BB6_19757 Depth=3
	v_bfe_u32 v5, v2, 23, 8
	v_or_b32_e32 v3, 0x800000, v0
	s_delay_alu instid0(VALU_DEP_2) | instskip(SKIP_2) | instid1(VALU_DEP_2)
	v_cmp_gt_u32_e64 s13, 0x72, v5
	v_sub_nc_u32_e32 v2, 0x71, v5
	v_cmp_eq_u32_e32 vcc_lo, 0, v5
	v_dual_cndmask_b32 v2, 0, v2, s13 :: v_dual_cndmask_b32 v0, v3, v0, vcc_lo
	s_delay_alu instid0(VALU_DEP_1) | instskip(NEXT) | instid1(VALU_DEP_1)
	v_cndmask_b32_e64 v6, v2, 0x70, vcc_lo
	v_dual_add_nc_u32 v2, 21, v6 :: v_dual_add_nc_u32 v7, 20, v6
	s_delay_alu instid0(VALU_DEP_1) | instskip(NEXT) | instid1(VALU_DEP_2)
	v_lshlrev_b64_e64 v[2:3], v2, -1
	v_lshlrev_b64_e64 v[16:17], v7, 1
	s_delay_alu instid0(VALU_DEP_2) | instskip(SKIP_1) | instid1(VALU_DEP_4)
	v_bfi_b32 v2, v2, 0, v0
	v_lshrrev_b64 v[0:1], v6, v[0:1]
	v_bfi_b32 v3, v3, 0, 0
	s_delay_alu instid0(VALU_DEP_1) | instskip(NEXT) | instid1(VALU_DEP_3)
	v_cmp_eq_u64_e64 s13, v[2:3], v[16:17]
	v_mov_b64_e32 v[2:3], v[0:1]
	s_and_saveexec_b32 s76, s13
; %bb.20663:                            ;   in Loop: Header=BB6_19757 Depth=3
	v_bfe_u32 v2, v0, 21, 1
	v_mov_b32_e32 v3, v113
	s_delay_alu instid0(VALU_DEP_1) | instskip(NEXT) | instid1(VALU_DEP_1)
	v_add_nc_u64_e32 v[2:3], v[0:1], v[2:3]
	v_add_nc_u64_e32 v[2:3], -1, v[2:3]
; %bb.20664:                            ;   in Loop: Header=BB6_19757 Depth=3
	s_or_b32 exec_lo, exec_lo, s76
	v_add_nc_u32_e32 v1, 0xffffff81, v5
	v_lshrrev_b32_e32 v3, 23, v0
	s_mov_b32 s13, exec_lo
	s_delay_alu instid0(VALU_DEP_2) | instskip(NEXT) | instid1(VALU_DEP_1)
	v_cndmask_b32_e64 v1, v1, 0xffffff82, vcc_lo
	v_add3_u32 v5, v6, v1, v3
	v_and_b32_e32 v1, 0x1fffff, v2
                                        ; implicit-def: $vgpr2
	s_delay_alu instid0(VALU_DEP_1) | instskip(SKIP_1) | instid1(VALU_DEP_2)
	v_dual_add_nc_u32 v3, 14, v5 :: v_dual_add_nc_u32 v0, v1, v0
	v_mov_b32_e32 v1, v113
	v_cmpx_ne_u32_e32 0, v3
	s_xor_b32 s13, exec_lo, s13
; %bb.20665:                            ;   in Loop: Header=BB6_19757 Depth=3
	s_delay_alu instid0(VALU_DEP_2) | instskip(SKIP_1) | instid1(VALU_DEP_1)
	v_cmp_lt_u64_e32 vcc_lo, 0xffffff, v[0:1]
	v_add_nc_u32_e32 v2, 15, v5
	v_cndmask_b32_e32 v2, v3, v2, vcc_lo
	v_cndmask_b32_e64 v3, 0, 1, vcc_lo
	s_delay_alu instid0(VALU_DEP_1)
	v_lshrrev_b64 v[0:1], v3, v[0:1]
; %bb.20666:                            ;   in Loop: Header=BB6_19757 Depth=3
	s_and_not1_saveexec_b32 s13, s13
; %bb.20667:                            ;   in Loop: Header=BB6_19757 Depth=3
	s_delay_alu instid0(VALU_DEP_1)
	v_bfe_u32 v2, v0, 23, 1
; %bb.20668:                            ;   in Loop: Header=BB6_19757 Depth=3
	s_or_b32 exec_lo, exec_lo, s13
	s_delay_alu instid0(VALU_DEP_2) | instskip(NEXT) | instid1(VALU_DEP_2)
	v_lshrrev_b64 v[0:1], 21, v[0:1]
	v_cmp_gt_i32_e32 vcc_lo, 32, v2
	v_cmp_ne_u32_e64 s13, 0, v2
                                        ; implicit-def: $vgpr6
	scratch_store_b64 off, v[6:7], s33 offset:248 ; 8-byte Folded Spill
	v_dual_cndmask_b32 v1, 0, v1 :: v_dual_cndmask_b32 v0, 3, v0
	s_delay_alu instid0(VALU_DEP_1) | instskip(SKIP_3) | instid1(SALU_CYCLE_1)
	v_cmp_ne_u64_e32 vcc_lo, 0, v[0:1]
	s_or_b32 s13, s13, vcc_lo
	s_wait_xcnt 0x0
	s_and_saveexec_b32 s76, s13
	s_xor_b32 s13, exec_lo, s76
	s_cbranch_execz .LBB6_20670
; %bb.20669:                            ;   in Loop: Header=BB6_19757 Depth=3
	v_min_i32_e32 v1, 31, v2
	s_delay_alu instid0(VALU_DEP_1) | instskip(NEXT) | instid1(VALU_DEP_1)
	v_lshl_or_b32 v1, v1, 2, v4
                                        ; implicit-def: $vgpr4
	v_and_or_b32 v0, v0, 3, v1
	scratch_store_b64 off, v[0:1], s33 offset:248 ; 8-byte Folded Spill
.LBB6_20670:                            ;   in Loop: Header=BB6_19757 Depth=3
	s_wait_xcnt 0x0
	s_and_not1_saveexec_b32 s13, s13
	s_cbranch_execz .LBB6_20672
; %bb.20671:                            ;   in Loop: Header=BB6_19757 Depth=3
	v_mov_b32_e32 v0, v4
	scratch_store_b64 off, v[0:1], s33 offset:248 ; 8-byte Folded Spill
.LBB6_20672:                            ;   in Loop: Header=BB6_19757 Depth=3
	s_wait_xcnt 0x0
	s_or_b32 exec_lo, exec_lo, s13
.LBB6_20673:                            ;   in Loop: Header=BB6_19757 Depth=3
	s_delay_alu instid0(SALU_CYCLE_1)
	s_or_b32 exec_lo, exec_lo, s75
                                        ; implicit-def: $vgpr4
.LBB6_20674:                            ;   in Loop: Header=BB6_19757 Depth=3
	s_and_not1_saveexec_b32 s13, s15
	s_cbranch_execz .LBB6_20676
; %bb.20675:                            ;   in Loop: Header=BB6_19757 Depth=3
	v_or_b32_e32 v0, 0x7b, v4
	scratch_store_b64 off, v[0:1], s33 offset:248 ; 8-byte Folded Spill
.LBB6_20676:                            ;   in Loop: Header=BB6_19757 Depth=3
	s_wait_xcnt 0x0
	s_or_b32 exec_lo, exec_lo, s13
                                        ; implicit-def: $vgpr2
                                        ; implicit-def: $vgpr0_vgpr1
.LBB6_20677:                            ;   in Loop: Header=BB6_19757 Depth=3
	s_and_not1_saveexec_b32 s13, s14
	s_cbranch_execz .LBB6_20683
; %bb.20678:                            ;   in Loop: Header=BB6_19757 Depth=3
	v_cmp_ne_u64_e32 vcc_lo, 0, v[0:1]
                                        ; implicit-def: $vgpr0
	scratch_store_b64 off, v[0:1], s33 offset:248 ; 8-byte Folded Spill
	s_wait_xcnt 0x0
	s_and_saveexec_b32 s14, vcc_lo
	s_delay_alu instid0(SALU_CYCLE_1)
	s_xor_b32 s14, exec_lo, s14
	s_cbranch_execz .LBB6_20680
; %bb.20679:                            ;   in Loop: Header=BB6_19757 Depth=3
	v_lshrrev_b32_e32 v0, 24, v2
                                        ; implicit-def: $vgpr2
	s_delay_alu instid0(VALU_DEP_1)
	v_or_b32_e32 v0, 0x7f, v0
	scratch_store_b64 off, v[0:1], s33 offset:248 ; 8-byte Folded Spill
.LBB6_20680:                            ;   in Loop: Header=BB6_19757 Depth=3
	s_wait_xcnt 0x0
	s_and_not1_saveexec_b32 s14, s14
	s_cbranch_execz .LBB6_20682
; %bb.20681:                            ;   in Loop: Header=BB6_19757 Depth=3
	v_cmp_lt_i32_e32 vcc_lo, -1, v2
	v_cndmask_b32_e64 v0, -4, 0x7c, vcc_lo
	scratch_store_b64 off, v[0:1], s33 offset:248 ; 8-byte Folded Spill
.LBB6_20682:                            ;   in Loop: Header=BB6_19757 Depth=3
	s_wait_xcnt 0x0
	s_or_b32 exec_lo, exec_lo, s14
.LBB6_20683:                            ;   in Loop: Header=BB6_19757 Depth=3
	s_delay_alu instid0(SALU_CYCLE_1)
	s_or_b32 exec_lo, exec_lo, s13
	flat_load_i8 v0, v[8:9] offset:864 th:TH_LOAD_NT
	v_mov_b32_e32 v2, 0
	s_mov_b32 s13, exec_lo
	s_wait_loadcnt_dscnt 0x0
	s_wait_xcnt 0x0
	v_cmpx_ne_u16_e32 0, v0
	s_cbranch_execz .LBB6_20693
; %bb.20684:                            ;   in Loop: Header=BB6_19757 Depth=3
	v_bfrev_b32_e32 v2, 1
	s_mov_b32 s14, exec_lo
	v_cmpx_ne_u16_e32 0xff80, v0
	s_cbranch_execz .LBB6_20692
; %bb.20685:                            ;   in Loop: Header=BB6_19757 Depth=3
	v_and_b32_e32 v2, 0x7c, v0
	v_and_b32_e32 v1, 3, v0
	s_delay_alu instid0(VALU_DEP_2) | instskip(SKIP_1) | instid1(SALU_CYCLE_1)
	v_cmp_ne_u32_e32 vcc_lo, 0x7c, v2
                                        ; implicit-def: $vgpr2
	s_and_saveexec_b32 s15, vcc_lo
	s_xor_b32 s15, exec_lo, s15
	s_cbranch_execz .LBB6_20689
; %bb.20686:                            ;   in Loop: Header=BB6_19757 Depth=3
	v_and_b32_e32 v2, 0xff, v0
	s_mov_b32 s75, exec_lo
	s_delay_alu instid0(VALU_DEP_1) | instskip(NEXT) | instid1(VALU_DEP_1)
	v_bfe_u32 v2, v2, 2, 5
	v_cmpx_eq_u32_e32 0, v2
	s_cbranch_execz .LBB6_20688
; %bb.20687:                            ;   in Loop: Header=BB6_19757 Depth=3
	v_clz_i32_u32_e32 v1, v1
	s_delay_alu instid0(VALU_DEP_1) | instskip(SKIP_1) | instid1(VALU_DEP_2)
	v_min_u32_e32 v2, 32, v1
	v_mov_b32_e32 v1, v113
	v_subrev_nc_u32_e32 v3, 29, v2
	v_sub_nc_u32_e32 v2, 30, v2
	s_delay_alu instid0(VALU_DEP_2) | instskip(NEXT) | instid1(VALU_DEP_1)
	v_lshlrev_b64_e32 v[4:5], v3, v[0:1]
	v_and_b32_e32 v1, 3, v4
.LBB6_20688:                            ;   in Loop: Header=BB6_19757 Depth=3
	s_or_b32 exec_lo, exec_lo, s75
	v_bfe_i32 v0, v0, 0, 16
	s_delay_alu instid0(VALU_DEP_1) | instskip(NEXT) | instid1(VALU_DEP_1)
	v_and_b32_e32 v0, 0x80000000, v0
	v_lshl_add_u32 v0, v2, 23, v0
	s_delay_alu instid0(VALU_DEP_1) | instskip(NEXT) | instid1(VALU_DEP_1)
	v_lshl_or_b32 v0, v1, 21, v0
                                        ; implicit-def: $vgpr1
	v_add_nc_u32_e32 v2, 0x38000000, v0
                                        ; implicit-def: $vgpr0
.LBB6_20689:                            ;   in Loop: Header=BB6_19757 Depth=3
	s_and_not1_saveexec_b32 s15, s15
; %bb.20690:                            ;   in Loop: Header=BB6_19757 Depth=3
	v_cmp_lt_i16_e32 vcc_lo, -1, v0
	v_mov_b32_e32 v0, 0x7f800000
	s_delay_alu instid0(VALU_DEP_1) | instskip(SKIP_1) | instid1(VALU_DEP_2)
	v_cndmask_b32_e32 v0, 0xff800000, v0, vcc_lo
	v_cmp_eq_u32_e32 vcc_lo, 0, v1
	v_cndmask_b32_e32 v2, 0x7f800001, v0, vcc_lo
; %bb.20691:                            ;   in Loop: Header=BB6_19757 Depth=3
	s_or_b32 exec_lo, exec_lo, s15
.LBB6_20692:                            ;   in Loop: Header=BB6_19757 Depth=3
	s_delay_alu instid0(SALU_CYCLE_1)
	s_or_b32 exec_lo, exec_lo, s14
.LBB6_20693:                            ;   in Loop: Header=BB6_19757 Depth=3
	s_delay_alu instid0(SALU_CYCLE_1) | instskip(NEXT) | instid1(VALU_DEP_1)
	s_or_b32 exec_lo, exec_lo, s13
	v_dual_mul_f32 v2, s74, v2 :: v_dual_mov_b32 v1, v113
                                        ; implicit-def: $vgpr4
	scratch_store_b64 off, v[4:5], s33 offset:240 ; 8-byte Folded Spill
	v_and_b32_e32 v0, 0x7f800000, v2
	s_delay_alu instid0(VALU_DEP_1) | instskip(SKIP_3) | instid1(SALU_CYCLE_1)
	v_cmp_ne_u64_e32 vcc_lo, 0x7f800000, v[0:1]
	v_and_b32_e32 v0, 0x7fffff, v2
	s_wait_xcnt 0x0
	s_and_saveexec_b32 s13, vcc_lo
	s_xor_b32 s14, exec_lo, s13
	s_cbranch_execz .LBB6_20711
; %bb.20694:                            ;   in Loop: Header=BB6_19757 Depth=3
	v_and_b32_e32 v4, 0x7fffffff, v2
	v_dual_mov_b32 v5, v113 :: v_dual_lshrrev_b32 v3, 24, v2
                                        ; implicit-def: $vgpr6
	scratch_store_b64 off, v[6:7], s33 offset:240 ; 8-byte Folded Spill
	v_cmp_gt_u64_e32 vcc_lo, 0x47600001, v[4:5]
	v_and_b32_e32 v4, 0x80, v3
	s_wait_xcnt 0x0
	s_and_saveexec_b32 s13, vcc_lo
	s_delay_alu instid0(SALU_CYCLE_1)
	s_xor_b32 s15, exec_lo, s13
	s_cbranch_execz .LBB6_20708
; %bb.20695:                            ;   in Loop: Header=BB6_19757 Depth=3
	v_mov_b32_e32 v6, 0
	s_mov_b32 s75, exec_lo
	scratch_store_b64 off, v[6:7], s33 offset:240 ; 8-byte Folded Spill
	s_wait_xcnt 0x0
	v_cmpx_ne_u32_e32 0, v2
	s_cbranch_execz .LBB6_20707
; %bb.20696:                            ;   in Loop: Header=BB6_19757 Depth=3
	v_bfe_u32 v5, v2, 23, 8
	v_or_b32_e32 v3, 0x800000, v0
	s_delay_alu instid0(VALU_DEP_2) | instskip(SKIP_2) | instid1(VALU_DEP_2)
	v_cmp_gt_u32_e64 s13, 0x72, v5
	v_sub_nc_u32_e32 v2, 0x71, v5
	v_cmp_eq_u32_e32 vcc_lo, 0, v5
	v_dual_cndmask_b32 v2, 0, v2, s13 :: v_dual_cndmask_b32 v0, v3, v0, vcc_lo
	s_delay_alu instid0(VALU_DEP_1) | instskip(NEXT) | instid1(VALU_DEP_1)
	v_cndmask_b32_e64 v6, v2, 0x70, vcc_lo
	v_dual_add_nc_u32 v2, 21, v6 :: v_dual_add_nc_u32 v7, 20, v6
	s_delay_alu instid0(VALU_DEP_1) | instskip(NEXT) | instid1(VALU_DEP_2)
	v_lshlrev_b64_e64 v[2:3], v2, -1
	v_lshlrev_b64_e64 v[16:17], v7, 1
	s_delay_alu instid0(VALU_DEP_2) | instskip(SKIP_1) | instid1(VALU_DEP_4)
	v_bfi_b32 v2, v2, 0, v0
	v_lshrrev_b64 v[0:1], v6, v[0:1]
	v_bfi_b32 v3, v3, 0, 0
	s_delay_alu instid0(VALU_DEP_1) | instskip(NEXT) | instid1(VALU_DEP_3)
	v_cmp_eq_u64_e64 s13, v[2:3], v[16:17]
	v_mov_b64_e32 v[2:3], v[0:1]
	s_and_saveexec_b32 s76, s13
; %bb.20697:                            ;   in Loop: Header=BB6_19757 Depth=3
	v_bfe_u32 v2, v0, 21, 1
	v_mov_b32_e32 v3, v113
	s_delay_alu instid0(VALU_DEP_1) | instskip(NEXT) | instid1(VALU_DEP_1)
	v_add_nc_u64_e32 v[2:3], v[0:1], v[2:3]
	v_add_nc_u64_e32 v[2:3], -1, v[2:3]
; %bb.20698:                            ;   in Loop: Header=BB6_19757 Depth=3
	s_or_b32 exec_lo, exec_lo, s76
	v_add_nc_u32_e32 v1, 0xffffff81, v5
	v_lshrrev_b32_e32 v3, 23, v0
	s_mov_b32 s13, exec_lo
	s_delay_alu instid0(VALU_DEP_2) | instskip(NEXT) | instid1(VALU_DEP_1)
	v_cndmask_b32_e64 v1, v1, 0xffffff82, vcc_lo
	v_add3_u32 v5, v6, v1, v3
	v_and_b32_e32 v1, 0x1fffff, v2
                                        ; implicit-def: $vgpr2
	s_delay_alu instid0(VALU_DEP_1) | instskip(SKIP_1) | instid1(VALU_DEP_2)
	v_dual_add_nc_u32 v3, 14, v5 :: v_dual_add_nc_u32 v0, v1, v0
	v_mov_b32_e32 v1, v113
	v_cmpx_ne_u32_e32 0, v3
	s_xor_b32 s13, exec_lo, s13
; %bb.20699:                            ;   in Loop: Header=BB6_19757 Depth=3
	s_delay_alu instid0(VALU_DEP_2) | instskip(SKIP_1) | instid1(VALU_DEP_1)
	v_cmp_lt_u64_e32 vcc_lo, 0xffffff, v[0:1]
	v_add_nc_u32_e32 v2, 15, v5
	v_cndmask_b32_e32 v2, v3, v2, vcc_lo
	v_cndmask_b32_e64 v3, 0, 1, vcc_lo
	s_delay_alu instid0(VALU_DEP_1)
	v_lshrrev_b64 v[0:1], v3, v[0:1]
; %bb.20700:                            ;   in Loop: Header=BB6_19757 Depth=3
	s_and_not1_saveexec_b32 s13, s13
; %bb.20701:                            ;   in Loop: Header=BB6_19757 Depth=3
	s_delay_alu instid0(VALU_DEP_1)
	v_bfe_u32 v2, v0, 23, 1
; %bb.20702:                            ;   in Loop: Header=BB6_19757 Depth=3
	s_or_b32 exec_lo, exec_lo, s13
	s_delay_alu instid0(VALU_DEP_2) | instskip(NEXT) | instid1(VALU_DEP_2)
	v_lshrrev_b64 v[0:1], 21, v[0:1]
	v_cmp_gt_i32_e32 vcc_lo, 32, v2
	v_cmp_ne_u32_e64 s13, 0, v2
                                        ; implicit-def: $vgpr6
	scratch_store_b64 off, v[6:7], s33 offset:240 ; 8-byte Folded Spill
	v_dual_cndmask_b32 v1, 0, v1 :: v_dual_cndmask_b32 v0, 3, v0
	s_delay_alu instid0(VALU_DEP_1) | instskip(SKIP_3) | instid1(SALU_CYCLE_1)
	v_cmp_ne_u64_e32 vcc_lo, 0, v[0:1]
	s_or_b32 s13, s13, vcc_lo
	s_wait_xcnt 0x0
	s_and_saveexec_b32 s76, s13
	s_xor_b32 s13, exec_lo, s76
	s_cbranch_execz .LBB6_20704
; %bb.20703:                            ;   in Loop: Header=BB6_19757 Depth=3
	v_min_i32_e32 v1, 31, v2
	s_delay_alu instid0(VALU_DEP_1) | instskip(NEXT) | instid1(VALU_DEP_1)
	v_lshl_or_b32 v1, v1, 2, v4
                                        ; implicit-def: $vgpr4
	v_and_or_b32 v0, v0, 3, v1
	scratch_store_b64 off, v[0:1], s33 offset:240 ; 8-byte Folded Spill
.LBB6_20704:                            ;   in Loop: Header=BB6_19757 Depth=3
	s_wait_xcnt 0x0
	s_and_not1_saveexec_b32 s13, s13
	s_cbranch_execz .LBB6_20706
; %bb.20705:                            ;   in Loop: Header=BB6_19757 Depth=3
	v_mov_b32_e32 v0, v4
	scratch_store_b64 off, v[0:1], s33 offset:240 ; 8-byte Folded Spill
.LBB6_20706:                            ;   in Loop: Header=BB6_19757 Depth=3
	s_wait_xcnt 0x0
	s_or_b32 exec_lo, exec_lo, s13
.LBB6_20707:                            ;   in Loop: Header=BB6_19757 Depth=3
	s_delay_alu instid0(SALU_CYCLE_1)
	s_or_b32 exec_lo, exec_lo, s75
                                        ; implicit-def: $vgpr4
.LBB6_20708:                            ;   in Loop: Header=BB6_19757 Depth=3
	s_and_not1_saveexec_b32 s13, s15
	s_cbranch_execz .LBB6_20710
; %bb.20709:                            ;   in Loop: Header=BB6_19757 Depth=3
	v_or_b32_e32 v0, 0x7b, v4
	scratch_store_b64 off, v[0:1], s33 offset:240 ; 8-byte Folded Spill
.LBB6_20710:                            ;   in Loop: Header=BB6_19757 Depth=3
	s_wait_xcnt 0x0
	s_or_b32 exec_lo, exec_lo, s13
                                        ; implicit-def: $vgpr2
                                        ; implicit-def: $vgpr0_vgpr1
.LBB6_20711:                            ;   in Loop: Header=BB6_19757 Depth=3
	s_and_not1_saveexec_b32 s13, s14
	s_cbranch_execz .LBB6_20717
; %bb.20712:                            ;   in Loop: Header=BB6_19757 Depth=3
	v_cmp_ne_u64_e32 vcc_lo, 0, v[0:1]
                                        ; implicit-def: $vgpr0
	scratch_store_b64 off, v[0:1], s33 offset:240 ; 8-byte Folded Spill
	s_wait_xcnt 0x0
	s_and_saveexec_b32 s14, vcc_lo
	s_delay_alu instid0(SALU_CYCLE_1)
	s_xor_b32 s14, exec_lo, s14
	s_cbranch_execz .LBB6_20714
; %bb.20713:                            ;   in Loop: Header=BB6_19757 Depth=3
	v_lshrrev_b32_e32 v0, 24, v2
                                        ; implicit-def: $vgpr2
	s_delay_alu instid0(VALU_DEP_1)
	v_or_b32_e32 v0, 0x7f, v0
	scratch_store_b64 off, v[0:1], s33 offset:240 ; 8-byte Folded Spill
.LBB6_20714:                            ;   in Loop: Header=BB6_19757 Depth=3
	s_wait_xcnt 0x0
	s_and_not1_saveexec_b32 s14, s14
	s_cbranch_execz .LBB6_20716
; %bb.20715:                            ;   in Loop: Header=BB6_19757 Depth=3
	v_cmp_lt_i32_e32 vcc_lo, -1, v2
	v_cndmask_b32_e64 v0, -4, 0x7c, vcc_lo
	scratch_store_b64 off, v[0:1], s33 offset:240 ; 8-byte Folded Spill
.LBB6_20716:                            ;   in Loop: Header=BB6_19757 Depth=3
	s_wait_xcnt 0x0
	s_or_b32 exec_lo, exec_lo, s14
.LBB6_20717:                            ;   in Loop: Header=BB6_19757 Depth=3
	s_delay_alu instid0(SALU_CYCLE_1)
	s_or_b32 exec_lo, exec_lo, s13
	flat_load_i8 v0, v[8:9] offset:896 th:TH_LOAD_NT
	v_mov_b32_e32 v2, 0
	s_mov_b32 s13, exec_lo
	s_wait_loadcnt_dscnt 0x0
	s_wait_xcnt 0x0
	v_cmpx_ne_u16_e32 0, v0
	s_cbranch_execz .LBB6_20727
; %bb.20718:                            ;   in Loop: Header=BB6_19757 Depth=3
	v_bfrev_b32_e32 v2, 1
	s_mov_b32 s14, exec_lo
	v_cmpx_ne_u16_e32 0xff80, v0
	s_cbranch_execz .LBB6_20726
; %bb.20719:                            ;   in Loop: Header=BB6_19757 Depth=3
	v_and_b32_e32 v2, 0x7c, v0
	v_and_b32_e32 v1, 3, v0
	s_delay_alu instid0(VALU_DEP_2) | instskip(SKIP_1) | instid1(SALU_CYCLE_1)
	v_cmp_ne_u32_e32 vcc_lo, 0x7c, v2
                                        ; implicit-def: $vgpr2
	s_and_saveexec_b32 s15, vcc_lo
	s_xor_b32 s15, exec_lo, s15
	s_cbranch_execz .LBB6_20723
; %bb.20720:                            ;   in Loop: Header=BB6_19757 Depth=3
	v_and_b32_e32 v2, 0xff, v0
	s_mov_b32 s75, exec_lo
	s_delay_alu instid0(VALU_DEP_1) | instskip(NEXT) | instid1(VALU_DEP_1)
	v_bfe_u32 v2, v2, 2, 5
	v_cmpx_eq_u32_e32 0, v2
	s_cbranch_execz .LBB6_20722
; %bb.20721:                            ;   in Loop: Header=BB6_19757 Depth=3
	v_clz_i32_u32_e32 v1, v1
	s_delay_alu instid0(VALU_DEP_1) | instskip(SKIP_1) | instid1(VALU_DEP_2)
	v_min_u32_e32 v2, 32, v1
	v_mov_b32_e32 v1, v113
	v_subrev_nc_u32_e32 v3, 29, v2
	v_sub_nc_u32_e32 v2, 30, v2
	s_delay_alu instid0(VALU_DEP_2) | instskip(NEXT) | instid1(VALU_DEP_1)
	v_lshlrev_b64_e32 v[4:5], v3, v[0:1]
	v_and_b32_e32 v1, 3, v4
.LBB6_20722:                            ;   in Loop: Header=BB6_19757 Depth=3
	s_or_b32 exec_lo, exec_lo, s75
	v_bfe_i32 v0, v0, 0, 16
	s_delay_alu instid0(VALU_DEP_1) | instskip(NEXT) | instid1(VALU_DEP_1)
	v_and_b32_e32 v0, 0x80000000, v0
	v_lshl_add_u32 v0, v2, 23, v0
	s_delay_alu instid0(VALU_DEP_1) | instskip(NEXT) | instid1(VALU_DEP_1)
	v_lshl_or_b32 v0, v1, 21, v0
                                        ; implicit-def: $vgpr1
	v_add_nc_u32_e32 v2, 0x38000000, v0
                                        ; implicit-def: $vgpr0
.LBB6_20723:                            ;   in Loop: Header=BB6_19757 Depth=3
	s_and_not1_saveexec_b32 s15, s15
; %bb.20724:                            ;   in Loop: Header=BB6_19757 Depth=3
	v_cmp_lt_i16_e32 vcc_lo, -1, v0
	v_mov_b32_e32 v0, 0x7f800000
	s_delay_alu instid0(VALU_DEP_1) | instskip(SKIP_1) | instid1(VALU_DEP_2)
	v_cndmask_b32_e32 v0, 0xff800000, v0, vcc_lo
	v_cmp_eq_u32_e32 vcc_lo, 0, v1
	v_cndmask_b32_e32 v2, 0x7f800001, v0, vcc_lo
; %bb.20725:                            ;   in Loop: Header=BB6_19757 Depth=3
	s_or_b32 exec_lo, exec_lo, s15
.LBB6_20726:                            ;   in Loop: Header=BB6_19757 Depth=3
	s_delay_alu instid0(SALU_CYCLE_1)
	s_or_b32 exec_lo, exec_lo, s14
.LBB6_20727:                            ;   in Loop: Header=BB6_19757 Depth=3
	s_delay_alu instid0(SALU_CYCLE_1) | instskip(NEXT) | instid1(VALU_DEP_1)
	s_or_b32 exec_lo, exec_lo, s13
	v_dual_mul_f32 v2, s74, v2 :: v_dual_mov_b32 v1, v113
                                        ; implicit-def: $vgpr4
	scratch_store_b64 off, v[4:5], s33 offset:232 ; 8-byte Folded Spill
	v_and_b32_e32 v0, 0x7f800000, v2
	s_delay_alu instid0(VALU_DEP_1) | instskip(SKIP_3) | instid1(SALU_CYCLE_1)
	v_cmp_ne_u64_e32 vcc_lo, 0x7f800000, v[0:1]
	v_and_b32_e32 v0, 0x7fffff, v2
	s_wait_xcnt 0x0
	s_and_saveexec_b32 s13, vcc_lo
	s_xor_b32 s14, exec_lo, s13
	s_cbranch_execz .LBB6_20745
; %bb.20728:                            ;   in Loop: Header=BB6_19757 Depth=3
	v_and_b32_e32 v4, 0x7fffffff, v2
	v_dual_mov_b32 v5, v113 :: v_dual_lshrrev_b32 v3, 24, v2
                                        ; implicit-def: $vgpr6
	scratch_store_b64 off, v[6:7], s33 offset:232 ; 8-byte Folded Spill
	v_cmp_gt_u64_e32 vcc_lo, 0x47600001, v[4:5]
	v_and_b32_e32 v4, 0x80, v3
	s_wait_xcnt 0x0
	s_and_saveexec_b32 s13, vcc_lo
	s_delay_alu instid0(SALU_CYCLE_1)
	s_xor_b32 s15, exec_lo, s13
	s_cbranch_execz .LBB6_20742
; %bb.20729:                            ;   in Loop: Header=BB6_19757 Depth=3
	v_mov_b32_e32 v6, 0
	s_mov_b32 s75, exec_lo
	scratch_store_b64 off, v[6:7], s33 offset:232 ; 8-byte Folded Spill
	s_wait_xcnt 0x0
	v_cmpx_ne_u32_e32 0, v2
	s_cbranch_execz .LBB6_20741
; %bb.20730:                            ;   in Loop: Header=BB6_19757 Depth=3
	v_bfe_u32 v5, v2, 23, 8
	v_or_b32_e32 v3, 0x800000, v0
	s_delay_alu instid0(VALU_DEP_2) | instskip(SKIP_2) | instid1(VALU_DEP_2)
	v_cmp_gt_u32_e64 s13, 0x72, v5
	v_sub_nc_u32_e32 v2, 0x71, v5
	v_cmp_eq_u32_e32 vcc_lo, 0, v5
	v_dual_cndmask_b32 v2, 0, v2, s13 :: v_dual_cndmask_b32 v0, v3, v0, vcc_lo
	s_delay_alu instid0(VALU_DEP_1) | instskip(NEXT) | instid1(VALU_DEP_1)
	v_cndmask_b32_e64 v6, v2, 0x70, vcc_lo
	v_dual_add_nc_u32 v2, 21, v6 :: v_dual_add_nc_u32 v7, 20, v6
	s_delay_alu instid0(VALU_DEP_1) | instskip(NEXT) | instid1(VALU_DEP_2)
	v_lshlrev_b64_e64 v[2:3], v2, -1
	v_lshlrev_b64_e64 v[16:17], v7, 1
	s_delay_alu instid0(VALU_DEP_2) | instskip(SKIP_1) | instid1(VALU_DEP_4)
	v_bfi_b32 v2, v2, 0, v0
	v_lshrrev_b64 v[0:1], v6, v[0:1]
	v_bfi_b32 v3, v3, 0, 0
	s_delay_alu instid0(VALU_DEP_1) | instskip(NEXT) | instid1(VALU_DEP_3)
	v_cmp_eq_u64_e64 s13, v[2:3], v[16:17]
	v_mov_b64_e32 v[2:3], v[0:1]
	s_and_saveexec_b32 s76, s13
; %bb.20731:                            ;   in Loop: Header=BB6_19757 Depth=3
	v_bfe_u32 v2, v0, 21, 1
	v_mov_b32_e32 v3, v113
	s_delay_alu instid0(VALU_DEP_1) | instskip(NEXT) | instid1(VALU_DEP_1)
	v_add_nc_u64_e32 v[2:3], v[0:1], v[2:3]
	v_add_nc_u64_e32 v[2:3], -1, v[2:3]
; %bb.20732:                            ;   in Loop: Header=BB6_19757 Depth=3
	s_or_b32 exec_lo, exec_lo, s76
	v_add_nc_u32_e32 v1, 0xffffff81, v5
	v_lshrrev_b32_e32 v3, 23, v0
	s_mov_b32 s13, exec_lo
	s_delay_alu instid0(VALU_DEP_2) | instskip(NEXT) | instid1(VALU_DEP_1)
	v_cndmask_b32_e64 v1, v1, 0xffffff82, vcc_lo
	v_add3_u32 v5, v6, v1, v3
	v_and_b32_e32 v1, 0x1fffff, v2
                                        ; implicit-def: $vgpr2
	s_delay_alu instid0(VALU_DEP_1) | instskip(SKIP_1) | instid1(VALU_DEP_2)
	v_dual_add_nc_u32 v3, 14, v5 :: v_dual_add_nc_u32 v0, v1, v0
	v_mov_b32_e32 v1, v113
	v_cmpx_ne_u32_e32 0, v3
	s_xor_b32 s13, exec_lo, s13
; %bb.20733:                            ;   in Loop: Header=BB6_19757 Depth=3
	s_delay_alu instid0(VALU_DEP_2) | instskip(SKIP_1) | instid1(VALU_DEP_1)
	v_cmp_lt_u64_e32 vcc_lo, 0xffffff, v[0:1]
	v_add_nc_u32_e32 v2, 15, v5
	v_cndmask_b32_e32 v2, v3, v2, vcc_lo
	v_cndmask_b32_e64 v3, 0, 1, vcc_lo
	s_delay_alu instid0(VALU_DEP_1)
	v_lshrrev_b64 v[0:1], v3, v[0:1]
; %bb.20734:                            ;   in Loop: Header=BB6_19757 Depth=3
	s_and_not1_saveexec_b32 s13, s13
; %bb.20735:                            ;   in Loop: Header=BB6_19757 Depth=3
	s_delay_alu instid0(VALU_DEP_1)
	v_bfe_u32 v2, v0, 23, 1
; %bb.20736:                            ;   in Loop: Header=BB6_19757 Depth=3
	s_or_b32 exec_lo, exec_lo, s13
	s_delay_alu instid0(VALU_DEP_2) | instskip(NEXT) | instid1(VALU_DEP_2)
	v_lshrrev_b64 v[0:1], 21, v[0:1]
	v_cmp_gt_i32_e32 vcc_lo, 32, v2
	v_cmp_ne_u32_e64 s13, 0, v2
                                        ; implicit-def: $vgpr6
	scratch_store_b64 off, v[6:7], s33 offset:232 ; 8-byte Folded Spill
	v_dual_cndmask_b32 v1, 0, v1 :: v_dual_cndmask_b32 v0, 3, v0
	s_delay_alu instid0(VALU_DEP_1) | instskip(SKIP_3) | instid1(SALU_CYCLE_1)
	v_cmp_ne_u64_e32 vcc_lo, 0, v[0:1]
	s_or_b32 s13, s13, vcc_lo
	s_wait_xcnt 0x0
	s_and_saveexec_b32 s76, s13
	s_xor_b32 s13, exec_lo, s76
	s_cbranch_execz .LBB6_20738
; %bb.20737:                            ;   in Loop: Header=BB6_19757 Depth=3
	v_min_i32_e32 v1, 31, v2
	s_delay_alu instid0(VALU_DEP_1) | instskip(NEXT) | instid1(VALU_DEP_1)
	v_lshl_or_b32 v1, v1, 2, v4
                                        ; implicit-def: $vgpr4
	v_and_or_b32 v0, v0, 3, v1
	scratch_store_b64 off, v[0:1], s33 offset:232 ; 8-byte Folded Spill
.LBB6_20738:                            ;   in Loop: Header=BB6_19757 Depth=3
	s_wait_xcnt 0x0
	s_and_not1_saveexec_b32 s13, s13
	s_cbranch_execz .LBB6_20740
; %bb.20739:                            ;   in Loop: Header=BB6_19757 Depth=3
	v_mov_b32_e32 v0, v4
	scratch_store_b64 off, v[0:1], s33 offset:232 ; 8-byte Folded Spill
.LBB6_20740:                            ;   in Loop: Header=BB6_19757 Depth=3
	s_wait_xcnt 0x0
	s_or_b32 exec_lo, exec_lo, s13
.LBB6_20741:                            ;   in Loop: Header=BB6_19757 Depth=3
	s_delay_alu instid0(SALU_CYCLE_1)
	s_or_b32 exec_lo, exec_lo, s75
                                        ; implicit-def: $vgpr4
.LBB6_20742:                            ;   in Loop: Header=BB6_19757 Depth=3
	s_and_not1_saveexec_b32 s13, s15
	s_cbranch_execz .LBB6_20744
; %bb.20743:                            ;   in Loop: Header=BB6_19757 Depth=3
	v_or_b32_e32 v0, 0x7b, v4
	scratch_store_b64 off, v[0:1], s33 offset:232 ; 8-byte Folded Spill
.LBB6_20744:                            ;   in Loop: Header=BB6_19757 Depth=3
	s_wait_xcnt 0x0
	s_or_b32 exec_lo, exec_lo, s13
                                        ; implicit-def: $vgpr2
                                        ; implicit-def: $vgpr0_vgpr1
.LBB6_20745:                            ;   in Loop: Header=BB6_19757 Depth=3
	s_and_not1_saveexec_b32 s13, s14
	s_cbranch_execz .LBB6_20751
; %bb.20746:                            ;   in Loop: Header=BB6_19757 Depth=3
	v_cmp_ne_u64_e32 vcc_lo, 0, v[0:1]
                                        ; implicit-def: $vgpr0
	scratch_store_b64 off, v[0:1], s33 offset:232 ; 8-byte Folded Spill
	s_wait_xcnt 0x0
	s_and_saveexec_b32 s14, vcc_lo
	s_delay_alu instid0(SALU_CYCLE_1)
	s_xor_b32 s14, exec_lo, s14
	s_cbranch_execz .LBB6_20748
; %bb.20747:                            ;   in Loop: Header=BB6_19757 Depth=3
	v_lshrrev_b32_e32 v0, 24, v2
                                        ; implicit-def: $vgpr2
	s_delay_alu instid0(VALU_DEP_1)
	v_or_b32_e32 v0, 0x7f, v0
	scratch_store_b64 off, v[0:1], s33 offset:232 ; 8-byte Folded Spill
.LBB6_20748:                            ;   in Loop: Header=BB6_19757 Depth=3
	s_wait_xcnt 0x0
	s_and_not1_saveexec_b32 s14, s14
	s_cbranch_execz .LBB6_20750
; %bb.20749:                            ;   in Loop: Header=BB6_19757 Depth=3
	v_cmp_lt_i32_e32 vcc_lo, -1, v2
	v_cndmask_b32_e64 v0, -4, 0x7c, vcc_lo
	scratch_store_b64 off, v[0:1], s33 offset:232 ; 8-byte Folded Spill
.LBB6_20750:                            ;   in Loop: Header=BB6_19757 Depth=3
	s_wait_xcnt 0x0
	s_or_b32 exec_lo, exec_lo, s14
.LBB6_20751:                            ;   in Loop: Header=BB6_19757 Depth=3
	s_delay_alu instid0(SALU_CYCLE_1)
	s_or_b32 exec_lo, exec_lo, s13
	flat_load_i8 v0, v[8:9] offset:928 th:TH_LOAD_NT
	v_mov_b32_e32 v1, 0
	s_mov_b32 s14, exec_lo
	s_wait_loadcnt_dscnt 0x0
	s_wait_xcnt 0x0
	v_cmpx_ne_u16_e32 0, v0
	s_cbranch_execz .LBB6_20761
; %bb.20752:                            ;   in Loop: Header=BB6_19757 Depth=3
	v_bfrev_b32_e32 v1, 1
	s_mov_b32 s15, exec_lo
	v_cmpx_ne_u16_e32 0xff80, v0
	s_cbranch_execz .LBB6_20760
; %bb.20753:                            ;   in Loop: Header=BB6_19757 Depth=3
	v_and_b32_e32 v1, 0x7c, v0
	v_and_b32_e32 v2, 3, v0
	s_delay_alu instid0(VALU_DEP_2) | instskip(SKIP_1) | instid1(SALU_CYCLE_1)
	v_cmp_ne_u32_e32 vcc_lo, 0x7c, v1
                                        ; implicit-def: $vgpr1
	s_and_saveexec_b32 s13, vcc_lo
	s_xor_b32 s13, exec_lo, s13
	s_cbranch_execz .LBB6_20757
; %bb.20754:                            ;   in Loop: Header=BB6_19757 Depth=3
	v_and_b32_e32 v1, 0xff, v0
	s_mov_b32 s75, exec_lo
	s_delay_alu instid0(VALU_DEP_1) | instskip(NEXT) | instid1(VALU_DEP_1)
	v_bfe_u32 v1, v1, 2, 5
	v_cmpx_eq_u32_e32 0, v1
; %bb.20755:                            ;   in Loop: Header=BB6_19757 Depth=3
	v_clz_i32_u32_e32 v1, v2
	s_delay_alu instid0(VALU_DEP_1) | instskip(SKIP_1) | instid1(VALU_DEP_2)
	v_min_u32_e32 v4, 32, v1
	v_mov_b32_e32 v1, v113
	v_subrev_nc_u32_e32 v2, 29, v4
	s_delay_alu instid0(VALU_DEP_1) | instskip(NEXT) | instid1(VALU_DEP_1)
	v_lshlrev_b64_e32 v[2:3], v2, v[0:1]
	v_dual_sub_nc_u32 v1, 30, v4 :: v_dual_bitop2_b32 v2, 3, v2 bitop3:0x40
; %bb.20756:                            ;   in Loop: Header=BB6_19757 Depth=3
	s_or_b32 exec_lo, exec_lo, s75
	v_bfe_i32 v0, v0, 0, 16
	s_delay_alu instid0(VALU_DEP_1) | instskip(NEXT) | instid1(VALU_DEP_1)
	v_and_b32_e32 v0, 0x80000000, v0
	v_lshl_add_u32 v0, v1, 23, v0
	s_delay_alu instid0(VALU_DEP_1) | instskip(NEXT) | instid1(VALU_DEP_1)
	v_lshl_or_b32 v0, v2, 21, v0
                                        ; implicit-def: $vgpr2
	v_add_nc_u32_e32 v1, 0x38000000, v0
                                        ; implicit-def: $vgpr0
.LBB6_20757:                            ;   in Loop: Header=BB6_19757 Depth=3
	s_and_not1_saveexec_b32 s75, s13
; %bb.20758:                            ;   in Loop: Header=BB6_19757 Depth=3
	v_cmp_lt_i16_e64 s13, -1, v0
	v_mov_b32_e32 v0, 0x7f800000
	v_cmp_eq_u32_e32 vcc_lo, 0, v2
	s_delay_alu instid0(VALU_DEP_2) | instskip(NEXT) | instid1(VALU_DEP_1)
	v_cndmask_b32_e64 v0, 0xff800000, v0, s13
	v_cndmask_b32_e32 v1, 0x7f800001, v0, vcc_lo
; %bb.20759:                            ;   in Loop: Header=BB6_19757 Depth=3
	s_or_b32 exec_lo, exec_lo, s75
.LBB6_20760:                            ;   in Loop: Header=BB6_19757 Depth=3
	s_delay_alu instid0(SALU_CYCLE_1)
	s_or_b32 exec_lo, exec_lo, s15
.LBB6_20761:                            ;   in Loop: Header=BB6_19757 Depth=3
	s_delay_alu instid0(SALU_CYCLE_1) | instskip(NEXT) | instid1(VALU_DEP_1)
	s_or_b32 exec_lo, exec_lo, s14
	v_dual_mul_f32 v2, s74, v1 :: v_dual_mov_b32 v1, v113
                                        ; implicit-def: $vgpr4
	scratch_store_b64 off, v[4:5], s33 offset:224 ; 8-byte Folded Spill
	v_and_b32_e32 v0, 0x7f800000, v2
	s_delay_alu instid0(VALU_DEP_1) | instskip(SKIP_3) | instid1(SALU_CYCLE_1)
	v_cmp_ne_u64_e32 vcc_lo, 0x7f800000, v[0:1]
	v_and_b32_e32 v0, 0x7fffff, v2
	s_wait_xcnt 0x0
	s_and_saveexec_b32 s13, vcc_lo
	s_xor_b32 s14, exec_lo, s13
	s_cbranch_execz .LBB6_20779
; %bb.20762:                            ;   in Loop: Header=BB6_19757 Depth=3
	v_and_b32_e32 v4, 0x7fffffff, v2
	v_dual_mov_b32 v5, v113 :: v_dual_lshrrev_b32 v3, 24, v2
                                        ; implicit-def: $vgpr6
	scratch_store_b64 off, v[6:7], s33 offset:224 ; 8-byte Folded Spill
	v_cmp_gt_u64_e32 vcc_lo, 0x47600001, v[4:5]
	v_and_b32_e32 v4, 0x80, v3
	s_wait_xcnt 0x0
	s_and_saveexec_b32 s13, vcc_lo
	s_delay_alu instid0(SALU_CYCLE_1)
	s_xor_b32 s15, exec_lo, s13
	s_cbranch_execz .LBB6_20776
; %bb.20763:                            ;   in Loop: Header=BB6_19757 Depth=3
	v_mov_b32_e32 v6, 0
	s_mov_b32 s75, exec_lo
	scratch_store_b64 off, v[6:7], s33 offset:224 ; 8-byte Folded Spill
	s_wait_xcnt 0x0
	v_cmpx_ne_u32_e32 0, v2
	s_cbranch_execz .LBB6_20775
; %bb.20764:                            ;   in Loop: Header=BB6_19757 Depth=3
	v_bfe_u32 v5, v2, 23, 8
	v_or_b32_e32 v3, 0x800000, v0
	s_delay_alu instid0(VALU_DEP_2) | instskip(SKIP_2) | instid1(VALU_DEP_2)
	v_cmp_gt_u32_e64 s13, 0x72, v5
	v_sub_nc_u32_e32 v2, 0x71, v5
	v_cmp_eq_u32_e32 vcc_lo, 0, v5
	v_dual_cndmask_b32 v2, 0, v2, s13 :: v_dual_cndmask_b32 v0, v3, v0, vcc_lo
	s_delay_alu instid0(VALU_DEP_1) | instskip(NEXT) | instid1(VALU_DEP_1)
	v_cndmask_b32_e64 v6, v2, 0x70, vcc_lo
	v_dual_add_nc_u32 v2, 21, v6 :: v_dual_add_nc_u32 v7, 20, v6
	s_delay_alu instid0(VALU_DEP_1) | instskip(NEXT) | instid1(VALU_DEP_2)
	v_lshlrev_b64_e64 v[2:3], v2, -1
	v_lshlrev_b64_e64 v[16:17], v7, 1
	s_delay_alu instid0(VALU_DEP_2) | instskip(SKIP_1) | instid1(VALU_DEP_4)
	v_bfi_b32 v2, v2, 0, v0
	v_lshrrev_b64 v[0:1], v6, v[0:1]
	v_bfi_b32 v3, v3, 0, 0
	s_delay_alu instid0(VALU_DEP_1) | instskip(NEXT) | instid1(VALU_DEP_3)
	v_cmp_eq_u64_e64 s13, v[2:3], v[16:17]
	v_mov_b64_e32 v[2:3], v[0:1]
	s_and_saveexec_b32 s76, s13
; %bb.20765:                            ;   in Loop: Header=BB6_19757 Depth=3
	v_bfe_u32 v2, v0, 21, 1
	v_mov_b32_e32 v3, v113
	s_delay_alu instid0(VALU_DEP_1) | instskip(NEXT) | instid1(VALU_DEP_1)
	v_add_nc_u64_e32 v[2:3], v[0:1], v[2:3]
	v_add_nc_u64_e32 v[2:3], -1, v[2:3]
; %bb.20766:                            ;   in Loop: Header=BB6_19757 Depth=3
	s_or_b32 exec_lo, exec_lo, s76
	v_add_nc_u32_e32 v1, 0xffffff81, v5
	v_lshrrev_b32_e32 v3, 23, v0
	s_mov_b32 s13, exec_lo
	s_delay_alu instid0(VALU_DEP_2) | instskip(NEXT) | instid1(VALU_DEP_1)
	v_cndmask_b32_e64 v1, v1, 0xffffff82, vcc_lo
	v_add3_u32 v5, v6, v1, v3
	v_and_b32_e32 v1, 0x1fffff, v2
                                        ; implicit-def: $vgpr2
	s_delay_alu instid0(VALU_DEP_1) | instskip(SKIP_1) | instid1(VALU_DEP_2)
	v_dual_add_nc_u32 v3, 14, v5 :: v_dual_add_nc_u32 v0, v1, v0
	v_mov_b32_e32 v1, v113
	v_cmpx_ne_u32_e32 0, v3
	s_xor_b32 s13, exec_lo, s13
; %bb.20767:                            ;   in Loop: Header=BB6_19757 Depth=3
	s_delay_alu instid0(VALU_DEP_2) | instskip(SKIP_1) | instid1(VALU_DEP_1)
	v_cmp_lt_u64_e32 vcc_lo, 0xffffff, v[0:1]
	v_add_nc_u32_e32 v2, 15, v5
	v_cndmask_b32_e32 v2, v3, v2, vcc_lo
	v_cndmask_b32_e64 v3, 0, 1, vcc_lo
	s_delay_alu instid0(VALU_DEP_1)
	v_lshrrev_b64 v[0:1], v3, v[0:1]
; %bb.20768:                            ;   in Loop: Header=BB6_19757 Depth=3
	s_and_not1_saveexec_b32 s13, s13
; %bb.20769:                            ;   in Loop: Header=BB6_19757 Depth=3
	s_delay_alu instid0(VALU_DEP_1)
	v_bfe_u32 v2, v0, 23, 1
; %bb.20770:                            ;   in Loop: Header=BB6_19757 Depth=3
	s_or_b32 exec_lo, exec_lo, s13
	s_delay_alu instid0(VALU_DEP_2) | instskip(NEXT) | instid1(VALU_DEP_2)
	v_lshrrev_b64 v[0:1], 21, v[0:1]
	v_cmp_gt_i32_e32 vcc_lo, 32, v2
	v_cmp_ne_u32_e64 s13, 0, v2
                                        ; implicit-def: $vgpr6
	scratch_store_b64 off, v[6:7], s33 offset:224 ; 8-byte Folded Spill
	v_dual_cndmask_b32 v1, 0, v1 :: v_dual_cndmask_b32 v0, 3, v0
	s_delay_alu instid0(VALU_DEP_1) | instskip(SKIP_3) | instid1(SALU_CYCLE_1)
	v_cmp_ne_u64_e32 vcc_lo, 0, v[0:1]
	s_or_b32 s13, s13, vcc_lo
	s_wait_xcnt 0x0
	s_and_saveexec_b32 s76, s13
	s_xor_b32 s13, exec_lo, s76
	s_cbranch_execz .LBB6_20772
; %bb.20771:                            ;   in Loop: Header=BB6_19757 Depth=3
	v_min_i32_e32 v1, 31, v2
	s_delay_alu instid0(VALU_DEP_1) | instskip(NEXT) | instid1(VALU_DEP_1)
	v_lshl_or_b32 v1, v1, 2, v4
                                        ; implicit-def: $vgpr4
	v_and_or_b32 v0, v0, 3, v1
	scratch_store_b64 off, v[0:1], s33 offset:224 ; 8-byte Folded Spill
.LBB6_20772:                            ;   in Loop: Header=BB6_19757 Depth=3
	s_wait_xcnt 0x0
	s_and_not1_saveexec_b32 s13, s13
	s_cbranch_execz .LBB6_20774
; %bb.20773:                            ;   in Loop: Header=BB6_19757 Depth=3
	v_mov_b32_e32 v0, v4
	scratch_store_b64 off, v[0:1], s33 offset:224 ; 8-byte Folded Spill
.LBB6_20774:                            ;   in Loop: Header=BB6_19757 Depth=3
	s_wait_xcnt 0x0
	s_or_b32 exec_lo, exec_lo, s13
.LBB6_20775:                            ;   in Loop: Header=BB6_19757 Depth=3
	s_delay_alu instid0(SALU_CYCLE_1)
	s_or_b32 exec_lo, exec_lo, s75
                                        ; implicit-def: $vgpr4
.LBB6_20776:                            ;   in Loop: Header=BB6_19757 Depth=3
	s_and_not1_saveexec_b32 s13, s15
	s_cbranch_execz .LBB6_20778
; %bb.20777:                            ;   in Loop: Header=BB6_19757 Depth=3
	v_or_b32_e32 v0, 0x7b, v4
	scratch_store_b64 off, v[0:1], s33 offset:224 ; 8-byte Folded Spill
.LBB6_20778:                            ;   in Loop: Header=BB6_19757 Depth=3
	s_wait_xcnt 0x0
	s_or_b32 exec_lo, exec_lo, s13
                                        ; implicit-def: $vgpr2
                                        ; implicit-def: $vgpr0_vgpr1
.LBB6_20779:                            ;   in Loop: Header=BB6_19757 Depth=3
	s_and_not1_saveexec_b32 s13, s14
	s_cbranch_execz .LBB6_20785
; %bb.20780:                            ;   in Loop: Header=BB6_19757 Depth=3
	v_cmp_ne_u64_e32 vcc_lo, 0, v[0:1]
                                        ; implicit-def: $vgpr0
	scratch_store_b64 off, v[0:1], s33 offset:224 ; 8-byte Folded Spill
	s_wait_xcnt 0x0
	s_and_saveexec_b32 s14, vcc_lo
	s_delay_alu instid0(SALU_CYCLE_1)
	s_xor_b32 s14, exec_lo, s14
	s_cbranch_execz .LBB6_20782
; %bb.20781:                            ;   in Loop: Header=BB6_19757 Depth=3
	v_lshrrev_b32_e32 v0, 24, v2
                                        ; implicit-def: $vgpr2
	s_delay_alu instid0(VALU_DEP_1)
	v_or_b32_e32 v0, 0x7f, v0
	scratch_store_b64 off, v[0:1], s33 offset:224 ; 8-byte Folded Spill
.LBB6_20782:                            ;   in Loop: Header=BB6_19757 Depth=3
	s_wait_xcnt 0x0
	s_and_not1_saveexec_b32 s14, s14
	s_cbranch_execz .LBB6_20784
; %bb.20783:                            ;   in Loop: Header=BB6_19757 Depth=3
	v_cmp_lt_i32_e32 vcc_lo, -1, v2
	v_cndmask_b32_e64 v0, -4, 0x7c, vcc_lo
	scratch_store_b64 off, v[0:1], s33 offset:224 ; 8-byte Folded Spill
.LBB6_20784:                            ;   in Loop: Header=BB6_19757 Depth=3
	s_wait_xcnt 0x0
	s_or_b32 exec_lo, exec_lo, s14
.LBB6_20785:                            ;   in Loop: Header=BB6_19757 Depth=3
	s_delay_alu instid0(SALU_CYCLE_1)
	s_or_b32 exec_lo, exec_lo, s13
	flat_load_i8 v0, v[8:9] offset:960 th:TH_LOAD_NT
	v_mov_b32_e32 v1, 0
	s_mov_b32 s14, exec_lo
	s_wait_loadcnt_dscnt 0x0
	s_wait_xcnt 0x0
	v_cmpx_ne_u16_e32 0, v0
	s_cbranch_execz .LBB6_20795
; %bb.20786:                            ;   in Loop: Header=BB6_19757 Depth=3
	v_bfrev_b32_e32 v1, 1
	s_mov_b32 s15, exec_lo
	v_cmpx_ne_u16_e32 0xff80, v0
	s_cbranch_execz .LBB6_20794
; %bb.20787:                            ;   in Loop: Header=BB6_19757 Depth=3
	v_and_b32_e32 v1, 0x7c, v0
	v_and_b32_e32 v2, 3, v0
	s_delay_alu instid0(VALU_DEP_2) | instskip(SKIP_1) | instid1(SALU_CYCLE_1)
	v_cmp_ne_u32_e32 vcc_lo, 0x7c, v1
                                        ; implicit-def: $vgpr1
	s_and_saveexec_b32 s13, vcc_lo
	s_xor_b32 s13, exec_lo, s13
	s_cbranch_execz .LBB6_20791
; %bb.20788:                            ;   in Loop: Header=BB6_19757 Depth=3
	v_and_b32_e32 v1, 0xff, v0
	s_mov_b32 s75, exec_lo
	s_delay_alu instid0(VALU_DEP_1) | instskip(NEXT) | instid1(VALU_DEP_1)
	v_bfe_u32 v1, v1, 2, 5
	v_cmpx_eq_u32_e32 0, v1
; %bb.20789:                            ;   in Loop: Header=BB6_19757 Depth=3
	v_clz_i32_u32_e32 v1, v2
	s_delay_alu instid0(VALU_DEP_1) | instskip(SKIP_1) | instid1(VALU_DEP_2)
	v_min_u32_e32 v4, 32, v1
	v_mov_b32_e32 v1, v113
	v_subrev_nc_u32_e32 v2, 29, v4
	s_delay_alu instid0(VALU_DEP_1) | instskip(NEXT) | instid1(VALU_DEP_1)
	v_lshlrev_b64_e32 v[2:3], v2, v[0:1]
	v_dual_sub_nc_u32 v1, 30, v4 :: v_dual_bitop2_b32 v2, 3, v2 bitop3:0x40
; %bb.20790:                            ;   in Loop: Header=BB6_19757 Depth=3
	s_or_b32 exec_lo, exec_lo, s75
	v_bfe_i32 v0, v0, 0, 16
	s_delay_alu instid0(VALU_DEP_1) | instskip(NEXT) | instid1(VALU_DEP_1)
	v_and_b32_e32 v0, 0x80000000, v0
	v_lshl_add_u32 v0, v1, 23, v0
	s_delay_alu instid0(VALU_DEP_1) | instskip(NEXT) | instid1(VALU_DEP_1)
	v_lshl_or_b32 v0, v2, 21, v0
                                        ; implicit-def: $vgpr2
	v_add_nc_u32_e32 v1, 0x38000000, v0
                                        ; implicit-def: $vgpr0
.LBB6_20791:                            ;   in Loop: Header=BB6_19757 Depth=3
	s_and_not1_saveexec_b32 s75, s13
; %bb.20792:                            ;   in Loop: Header=BB6_19757 Depth=3
	v_cmp_lt_i16_e64 s13, -1, v0
	v_mov_b32_e32 v0, 0x7f800000
	v_cmp_eq_u32_e32 vcc_lo, 0, v2
	s_delay_alu instid0(VALU_DEP_2) | instskip(NEXT) | instid1(VALU_DEP_1)
	v_cndmask_b32_e64 v0, 0xff800000, v0, s13
	v_cndmask_b32_e32 v1, 0x7f800001, v0, vcc_lo
; %bb.20793:                            ;   in Loop: Header=BB6_19757 Depth=3
	s_or_b32 exec_lo, exec_lo, s75
.LBB6_20794:                            ;   in Loop: Header=BB6_19757 Depth=3
	s_delay_alu instid0(SALU_CYCLE_1)
	s_or_b32 exec_lo, exec_lo, s15
.LBB6_20795:                            ;   in Loop: Header=BB6_19757 Depth=3
	s_delay_alu instid0(SALU_CYCLE_1) | instskip(NEXT) | instid1(VALU_DEP_1)
	s_or_b32 exec_lo, exec_lo, s14
	v_dual_mul_f32 v2, s74, v1 :: v_dual_mov_b32 v1, v113
                                        ; implicit-def: $vgpr4
	scratch_store_b64 off, v[4:5], s33 offset:216 ; 8-byte Folded Spill
	v_and_b32_e32 v0, 0x7f800000, v2
	s_delay_alu instid0(VALU_DEP_1) | instskip(SKIP_3) | instid1(SALU_CYCLE_1)
	v_cmp_ne_u64_e32 vcc_lo, 0x7f800000, v[0:1]
	v_and_b32_e32 v0, 0x7fffff, v2
	s_wait_xcnt 0x0
	s_and_saveexec_b32 s13, vcc_lo
	s_xor_b32 s14, exec_lo, s13
	s_cbranch_execz .LBB6_20813
; %bb.20796:                            ;   in Loop: Header=BB6_19757 Depth=3
	v_and_b32_e32 v4, 0x7fffffff, v2
	v_dual_mov_b32 v5, v113 :: v_dual_lshrrev_b32 v3, 24, v2
                                        ; implicit-def: $vgpr6
	scratch_store_b64 off, v[6:7], s33 offset:216 ; 8-byte Folded Spill
	v_cmp_gt_u64_e32 vcc_lo, 0x47600001, v[4:5]
	v_and_b32_e32 v4, 0x80, v3
	s_wait_xcnt 0x0
	s_and_saveexec_b32 s13, vcc_lo
	s_delay_alu instid0(SALU_CYCLE_1)
	s_xor_b32 s15, exec_lo, s13
	s_cbranch_execz .LBB6_20810
; %bb.20797:                            ;   in Loop: Header=BB6_19757 Depth=3
	v_mov_b32_e32 v6, 0
	s_mov_b32 s75, exec_lo
	scratch_store_b64 off, v[6:7], s33 offset:216 ; 8-byte Folded Spill
	s_wait_xcnt 0x0
	v_cmpx_ne_u32_e32 0, v2
	s_cbranch_execz .LBB6_20809
; %bb.20798:                            ;   in Loop: Header=BB6_19757 Depth=3
	v_bfe_u32 v5, v2, 23, 8
	v_or_b32_e32 v3, 0x800000, v0
	s_delay_alu instid0(VALU_DEP_2) | instskip(SKIP_2) | instid1(VALU_DEP_2)
	v_cmp_gt_u32_e64 s13, 0x72, v5
	v_sub_nc_u32_e32 v2, 0x71, v5
	v_cmp_eq_u32_e32 vcc_lo, 0, v5
	v_dual_cndmask_b32 v2, 0, v2, s13 :: v_dual_cndmask_b32 v0, v3, v0, vcc_lo
	s_delay_alu instid0(VALU_DEP_1) | instskip(NEXT) | instid1(VALU_DEP_1)
	v_cndmask_b32_e64 v6, v2, 0x70, vcc_lo
	v_dual_add_nc_u32 v2, 21, v6 :: v_dual_add_nc_u32 v7, 20, v6
	s_delay_alu instid0(VALU_DEP_1) | instskip(NEXT) | instid1(VALU_DEP_2)
	v_lshlrev_b64_e64 v[2:3], v2, -1
	v_lshlrev_b64_e64 v[16:17], v7, 1
	s_delay_alu instid0(VALU_DEP_2) | instskip(SKIP_1) | instid1(VALU_DEP_4)
	v_bfi_b32 v2, v2, 0, v0
	v_lshrrev_b64 v[0:1], v6, v[0:1]
	v_bfi_b32 v3, v3, 0, 0
	s_delay_alu instid0(VALU_DEP_1) | instskip(NEXT) | instid1(VALU_DEP_3)
	v_cmp_eq_u64_e64 s13, v[2:3], v[16:17]
	v_mov_b64_e32 v[2:3], v[0:1]
	s_and_saveexec_b32 s76, s13
; %bb.20799:                            ;   in Loop: Header=BB6_19757 Depth=3
	v_bfe_u32 v2, v0, 21, 1
	v_mov_b32_e32 v3, v113
	s_delay_alu instid0(VALU_DEP_1) | instskip(NEXT) | instid1(VALU_DEP_1)
	v_add_nc_u64_e32 v[2:3], v[0:1], v[2:3]
	v_add_nc_u64_e32 v[2:3], -1, v[2:3]
; %bb.20800:                            ;   in Loop: Header=BB6_19757 Depth=3
	s_or_b32 exec_lo, exec_lo, s76
	v_add_nc_u32_e32 v1, 0xffffff81, v5
	v_lshrrev_b32_e32 v3, 23, v0
	s_mov_b32 s13, exec_lo
	s_delay_alu instid0(VALU_DEP_2) | instskip(NEXT) | instid1(VALU_DEP_1)
	v_cndmask_b32_e64 v1, v1, 0xffffff82, vcc_lo
	v_add3_u32 v5, v6, v1, v3
	v_and_b32_e32 v1, 0x1fffff, v2
                                        ; implicit-def: $vgpr2
	s_delay_alu instid0(VALU_DEP_1) | instskip(SKIP_1) | instid1(VALU_DEP_2)
	v_dual_add_nc_u32 v3, 14, v5 :: v_dual_add_nc_u32 v0, v1, v0
	v_mov_b32_e32 v1, v113
	v_cmpx_ne_u32_e32 0, v3
	s_xor_b32 s13, exec_lo, s13
; %bb.20801:                            ;   in Loop: Header=BB6_19757 Depth=3
	s_delay_alu instid0(VALU_DEP_2) | instskip(SKIP_1) | instid1(VALU_DEP_1)
	v_cmp_lt_u64_e32 vcc_lo, 0xffffff, v[0:1]
	v_add_nc_u32_e32 v2, 15, v5
	v_cndmask_b32_e32 v2, v3, v2, vcc_lo
	v_cndmask_b32_e64 v3, 0, 1, vcc_lo
	s_delay_alu instid0(VALU_DEP_1)
	v_lshrrev_b64 v[0:1], v3, v[0:1]
; %bb.20802:                            ;   in Loop: Header=BB6_19757 Depth=3
	s_and_not1_saveexec_b32 s13, s13
; %bb.20803:                            ;   in Loop: Header=BB6_19757 Depth=3
	s_delay_alu instid0(VALU_DEP_1)
	v_bfe_u32 v2, v0, 23, 1
; %bb.20804:                            ;   in Loop: Header=BB6_19757 Depth=3
	s_or_b32 exec_lo, exec_lo, s13
	s_delay_alu instid0(VALU_DEP_2) | instskip(NEXT) | instid1(VALU_DEP_2)
	v_lshrrev_b64 v[0:1], 21, v[0:1]
	v_cmp_gt_i32_e32 vcc_lo, 32, v2
	v_cmp_ne_u32_e64 s13, 0, v2
                                        ; implicit-def: $vgpr6
	scratch_store_b64 off, v[6:7], s33 offset:216 ; 8-byte Folded Spill
	v_dual_cndmask_b32 v1, 0, v1 :: v_dual_cndmask_b32 v0, 3, v0
	s_delay_alu instid0(VALU_DEP_1) | instskip(SKIP_3) | instid1(SALU_CYCLE_1)
	v_cmp_ne_u64_e32 vcc_lo, 0, v[0:1]
	s_or_b32 s13, s13, vcc_lo
	s_wait_xcnt 0x0
	s_and_saveexec_b32 s76, s13
	s_xor_b32 s13, exec_lo, s76
	s_cbranch_execz .LBB6_20806
; %bb.20805:                            ;   in Loop: Header=BB6_19757 Depth=3
	v_min_i32_e32 v1, 31, v2
	s_delay_alu instid0(VALU_DEP_1) | instskip(NEXT) | instid1(VALU_DEP_1)
	v_lshl_or_b32 v1, v1, 2, v4
                                        ; implicit-def: $vgpr4
	v_and_or_b32 v0, v0, 3, v1
	scratch_store_b64 off, v[0:1], s33 offset:216 ; 8-byte Folded Spill
.LBB6_20806:                            ;   in Loop: Header=BB6_19757 Depth=3
	s_wait_xcnt 0x0
	s_and_not1_saveexec_b32 s13, s13
	s_cbranch_execz .LBB6_20808
; %bb.20807:                            ;   in Loop: Header=BB6_19757 Depth=3
	v_mov_b32_e32 v0, v4
	scratch_store_b64 off, v[0:1], s33 offset:216 ; 8-byte Folded Spill
.LBB6_20808:                            ;   in Loop: Header=BB6_19757 Depth=3
	s_wait_xcnt 0x0
	s_or_b32 exec_lo, exec_lo, s13
.LBB6_20809:                            ;   in Loop: Header=BB6_19757 Depth=3
	s_delay_alu instid0(SALU_CYCLE_1)
	s_or_b32 exec_lo, exec_lo, s75
                                        ; implicit-def: $vgpr4
.LBB6_20810:                            ;   in Loop: Header=BB6_19757 Depth=3
	s_and_not1_saveexec_b32 s13, s15
	s_cbranch_execz .LBB6_20812
; %bb.20811:                            ;   in Loop: Header=BB6_19757 Depth=3
	v_or_b32_e32 v0, 0x7b, v4
	scratch_store_b64 off, v[0:1], s33 offset:216 ; 8-byte Folded Spill
.LBB6_20812:                            ;   in Loop: Header=BB6_19757 Depth=3
	s_wait_xcnt 0x0
	s_or_b32 exec_lo, exec_lo, s13
                                        ; implicit-def: $vgpr2
                                        ; implicit-def: $vgpr0_vgpr1
.LBB6_20813:                            ;   in Loop: Header=BB6_19757 Depth=3
	s_and_not1_saveexec_b32 s13, s14
	s_cbranch_execz .LBB6_20819
; %bb.20814:                            ;   in Loop: Header=BB6_19757 Depth=3
	v_cmp_ne_u64_e32 vcc_lo, 0, v[0:1]
                                        ; implicit-def: $vgpr0
	scratch_store_b64 off, v[0:1], s33 offset:216 ; 8-byte Folded Spill
	s_wait_xcnt 0x0
	s_and_saveexec_b32 s14, vcc_lo
	s_delay_alu instid0(SALU_CYCLE_1)
	s_xor_b32 s14, exec_lo, s14
	s_cbranch_execz .LBB6_20816
; %bb.20815:                            ;   in Loop: Header=BB6_19757 Depth=3
	v_lshrrev_b32_e32 v0, 24, v2
                                        ; implicit-def: $vgpr2
	s_delay_alu instid0(VALU_DEP_1)
	v_or_b32_e32 v0, 0x7f, v0
	scratch_store_b64 off, v[0:1], s33 offset:216 ; 8-byte Folded Spill
.LBB6_20816:                            ;   in Loop: Header=BB6_19757 Depth=3
	s_wait_xcnt 0x0
	s_and_not1_saveexec_b32 s14, s14
	s_cbranch_execz .LBB6_20818
; %bb.20817:                            ;   in Loop: Header=BB6_19757 Depth=3
	v_cmp_lt_i32_e32 vcc_lo, -1, v2
	v_cndmask_b32_e64 v0, -4, 0x7c, vcc_lo
	scratch_store_b64 off, v[0:1], s33 offset:216 ; 8-byte Folded Spill
.LBB6_20818:                            ;   in Loop: Header=BB6_19757 Depth=3
	s_wait_xcnt 0x0
	s_or_b32 exec_lo, exec_lo, s14
.LBB6_20819:                            ;   in Loop: Header=BB6_19757 Depth=3
	s_delay_alu instid0(SALU_CYCLE_1)
	s_or_b32 exec_lo, exec_lo, s13
	flat_load_i8 v0, v[8:9] offset:992 th:TH_LOAD_NT
	v_mov_b32_e32 v1, 0
	s_mov_b32 s14, exec_lo
	s_wait_loadcnt_dscnt 0x0
	s_wait_xcnt 0x0
	v_cmpx_ne_u16_e32 0, v0
	s_cbranch_execz .LBB6_20829
; %bb.20820:                            ;   in Loop: Header=BB6_19757 Depth=3
	v_bfrev_b32_e32 v1, 1
	s_mov_b32 s15, exec_lo
	v_cmpx_ne_u16_e32 0xff80, v0
	s_cbranch_execz .LBB6_20828
; %bb.20821:                            ;   in Loop: Header=BB6_19757 Depth=3
	v_and_b32_e32 v1, 0x7c, v0
	v_and_b32_e32 v2, 3, v0
	s_delay_alu instid0(VALU_DEP_2) | instskip(SKIP_1) | instid1(SALU_CYCLE_1)
	v_cmp_ne_u32_e32 vcc_lo, 0x7c, v1
                                        ; implicit-def: $vgpr1
	s_and_saveexec_b32 s13, vcc_lo
	s_xor_b32 s13, exec_lo, s13
	s_cbranch_execz .LBB6_20825
; %bb.20822:                            ;   in Loop: Header=BB6_19757 Depth=3
	v_and_b32_e32 v1, 0xff, v0
	s_mov_b32 s75, exec_lo
	s_delay_alu instid0(VALU_DEP_1) | instskip(NEXT) | instid1(VALU_DEP_1)
	v_bfe_u32 v1, v1, 2, 5
	v_cmpx_eq_u32_e32 0, v1
; %bb.20823:                            ;   in Loop: Header=BB6_19757 Depth=3
	v_clz_i32_u32_e32 v1, v2
	s_delay_alu instid0(VALU_DEP_1) | instskip(SKIP_1) | instid1(VALU_DEP_2)
	v_min_u32_e32 v4, 32, v1
	v_mov_b32_e32 v1, v113
	v_subrev_nc_u32_e32 v2, 29, v4
	s_delay_alu instid0(VALU_DEP_1) | instskip(NEXT) | instid1(VALU_DEP_1)
	v_lshlrev_b64_e32 v[2:3], v2, v[0:1]
	v_dual_sub_nc_u32 v1, 30, v4 :: v_dual_bitop2_b32 v2, 3, v2 bitop3:0x40
; %bb.20824:                            ;   in Loop: Header=BB6_19757 Depth=3
	s_or_b32 exec_lo, exec_lo, s75
	v_bfe_i32 v0, v0, 0, 16
	s_delay_alu instid0(VALU_DEP_1) | instskip(NEXT) | instid1(VALU_DEP_1)
	v_and_b32_e32 v0, 0x80000000, v0
	v_lshl_add_u32 v0, v1, 23, v0
	s_delay_alu instid0(VALU_DEP_1) | instskip(NEXT) | instid1(VALU_DEP_1)
	v_lshl_or_b32 v0, v2, 21, v0
                                        ; implicit-def: $vgpr2
	v_add_nc_u32_e32 v1, 0x38000000, v0
                                        ; implicit-def: $vgpr0
.LBB6_20825:                            ;   in Loop: Header=BB6_19757 Depth=3
	s_and_not1_saveexec_b32 s75, s13
; %bb.20826:                            ;   in Loop: Header=BB6_19757 Depth=3
	v_cmp_lt_i16_e64 s13, -1, v0
	v_mov_b32_e32 v0, 0x7f800000
	v_cmp_eq_u32_e32 vcc_lo, 0, v2
	s_delay_alu instid0(VALU_DEP_2) | instskip(NEXT) | instid1(VALU_DEP_1)
	v_cndmask_b32_e64 v0, 0xff800000, v0, s13
	v_cndmask_b32_e32 v1, 0x7f800001, v0, vcc_lo
; %bb.20827:                            ;   in Loop: Header=BB6_19757 Depth=3
	s_or_b32 exec_lo, exec_lo, s75
.LBB6_20828:                            ;   in Loop: Header=BB6_19757 Depth=3
	s_delay_alu instid0(SALU_CYCLE_1)
	s_or_b32 exec_lo, exec_lo, s15
.LBB6_20829:                            ;   in Loop: Header=BB6_19757 Depth=3
	s_delay_alu instid0(SALU_CYCLE_1) | instskip(NEXT) | instid1(VALU_DEP_1)
	s_or_b32 exec_lo, exec_lo, s14
	v_dual_mul_f32 v2, s74, v1 :: v_dual_mov_b32 v1, v113
                                        ; implicit-def: $vgpr78
	s_delay_alu instid0(VALU_DEP_1) | instskip(NEXT) | instid1(VALU_DEP_1)
	v_and_b32_e32 v0, 0x7f800000, v2
	v_cmp_ne_u64_e32 vcc_lo, 0x7f800000, v[0:1]
	v_and_b32_e32 v0, 0x7fffff, v2
	s_and_saveexec_b32 s13, vcc_lo
	s_delay_alu instid0(SALU_CYCLE_1)
	s_xor_b32 s14, exec_lo, s13
	s_cbranch_execz .LBB6_20847
; %bb.20830:                            ;   in Loop: Header=BB6_19757 Depth=3
	v_and_b32_e32 v4, 0x7fffffff, v2
	v_dual_mov_b32 v5, v113 :: v_dual_lshrrev_b32 v3, 24, v2
                                        ; implicit-def: $vgpr78
	s_delay_alu instid0(VALU_DEP_1) | instskip(NEXT) | instid1(VALU_DEP_2)
	v_cmp_gt_u64_e32 vcc_lo, 0x47600001, v[4:5]
	v_and_b32_e32 v4, 0x80, v3
	s_and_saveexec_b32 s13, vcc_lo
	s_delay_alu instid0(SALU_CYCLE_1)
	s_xor_b32 s15, exec_lo, s13
	s_cbranch_execz .LBB6_20844
; %bb.20831:                            ;   in Loop: Header=BB6_19757 Depth=3
	v_mov_b32_e32 v78, 0
	s_mov_b32 s74, exec_lo
	v_cmpx_ne_u32_e32 0, v2
	s_cbranch_execz .LBB6_20843
; %bb.20832:                            ;   in Loop: Header=BB6_19757 Depth=3
	v_bfe_u32 v5, v2, 23, 8
	v_or_b32_e32 v3, 0x800000, v0
	s_delay_alu instid0(VALU_DEP_2) | instskip(SKIP_2) | instid1(VALU_DEP_2)
	v_cmp_gt_u32_e64 s13, 0x72, v5
	v_sub_nc_u32_e32 v2, 0x71, v5
	v_cmp_eq_u32_e32 vcc_lo, 0, v5
	v_dual_cndmask_b32 v2, 0, v2, s13 :: v_dual_cndmask_b32 v0, v3, v0, vcc_lo
	s_delay_alu instid0(VALU_DEP_1) | instskip(NEXT) | instid1(VALU_DEP_1)
	v_cndmask_b32_e64 v6, v2, 0x70, vcc_lo
	v_dual_add_nc_u32 v2, 21, v6 :: v_dual_add_nc_u32 v7, 20, v6
	s_delay_alu instid0(VALU_DEP_1) | instskip(NEXT) | instid1(VALU_DEP_2)
	v_lshlrev_b64_e64 v[2:3], v2, -1
	v_lshlrev_b64_e64 v[16:17], v7, 1
	s_delay_alu instid0(VALU_DEP_2) | instskip(SKIP_1) | instid1(VALU_DEP_4)
	v_bfi_b32 v2, v2, 0, v0
	v_lshrrev_b64 v[0:1], v6, v[0:1]
	v_bfi_b32 v3, v3, 0, 0
	s_delay_alu instid0(VALU_DEP_1) | instskip(NEXT) | instid1(VALU_DEP_3)
	v_cmp_eq_u64_e64 s13, v[2:3], v[16:17]
	v_mov_b64_e32 v[2:3], v[0:1]
	s_and_saveexec_b32 s75, s13
; %bb.20833:                            ;   in Loop: Header=BB6_19757 Depth=3
	v_bfe_u32 v2, v0, 21, 1
	v_mov_b32_e32 v3, v113
	s_delay_alu instid0(VALU_DEP_1) | instskip(NEXT) | instid1(VALU_DEP_1)
	v_add_nc_u64_e32 v[2:3], v[0:1], v[2:3]
	v_add_nc_u64_e32 v[2:3], -1, v[2:3]
; %bb.20834:                            ;   in Loop: Header=BB6_19757 Depth=3
	s_or_b32 exec_lo, exec_lo, s75
	v_add_nc_u32_e32 v1, 0xffffff81, v5
	v_lshrrev_b32_e32 v3, 23, v0
	s_mov_b32 s13, exec_lo
	s_delay_alu instid0(VALU_DEP_2) | instskip(NEXT) | instid1(VALU_DEP_1)
	v_cndmask_b32_e64 v1, v1, 0xffffff82, vcc_lo
	v_add3_u32 v5, v6, v1, v3
	v_and_b32_e32 v1, 0x1fffff, v2
                                        ; implicit-def: $vgpr2
	s_delay_alu instid0(VALU_DEP_1) | instskip(SKIP_1) | instid1(VALU_DEP_2)
	v_dual_add_nc_u32 v3, 14, v5 :: v_dual_add_nc_u32 v0, v1, v0
	v_mov_b32_e32 v1, v113
	v_cmpx_ne_u32_e32 0, v3
	s_xor_b32 s13, exec_lo, s13
; %bb.20835:                            ;   in Loop: Header=BB6_19757 Depth=3
	s_delay_alu instid0(VALU_DEP_2) | instskip(SKIP_1) | instid1(VALU_DEP_1)
	v_cmp_lt_u64_e32 vcc_lo, 0xffffff, v[0:1]
	v_add_nc_u32_e32 v2, 15, v5
	v_cndmask_b32_e32 v2, v3, v2, vcc_lo
	v_cndmask_b32_e64 v3, 0, 1, vcc_lo
	s_delay_alu instid0(VALU_DEP_1)
	v_lshrrev_b64 v[0:1], v3, v[0:1]
; %bb.20836:                            ;   in Loop: Header=BB6_19757 Depth=3
	s_and_not1_saveexec_b32 s13, s13
; %bb.20837:                            ;   in Loop: Header=BB6_19757 Depth=3
	s_delay_alu instid0(VALU_DEP_1)
	v_bfe_u32 v2, v0, 23, 1
; %bb.20838:                            ;   in Loop: Header=BB6_19757 Depth=3
	s_or_b32 exec_lo, exec_lo, s13
	s_delay_alu instid0(VALU_DEP_2) | instskip(NEXT) | instid1(VALU_DEP_2)
	v_lshrrev_b64 v[0:1], 21, v[0:1]
	v_cmp_gt_i32_e32 vcc_lo, 32, v2
	v_cmp_ne_u32_e64 s13, 0, v2
                                        ; implicit-def: $vgpr78
	s_delay_alu instid0(VALU_DEP_3) | instskip(NEXT) | instid1(VALU_DEP_1)
	v_dual_cndmask_b32 v1, 0, v1 :: v_dual_cndmask_b32 v0, 3, v0
	v_cmp_ne_u64_e32 vcc_lo, 0, v[0:1]
	s_or_b32 s13, s13, vcc_lo
	s_delay_alu instid0(SALU_CYCLE_1) | instskip(NEXT) | instid1(SALU_CYCLE_1)
	s_and_saveexec_b32 s75, s13
	s_xor_b32 s13, exec_lo, s75
; %bb.20839:                            ;   in Loop: Header=BB6_19757 Depth=3
	v_min_i32_e32 v1, 31, v2
	s_delay_alu instid0(VALU_DEP_1) | instskip(NEXT) | instid1(VALU_DEP_1)
	v_lshl_or_b32 v1, v1, 2, v4
                                        ; implicit-def: $vgpr4
	v_and_or_b32 v78, v0, 3, v1
; %bb.20840:                            ;   in Loop: Header=BB6_19757 Depth=3
	s_and_not1_saveexec_b32 s13, s13
; %bb.20841:                            ;   in Loop: Header=BB6_19757 Depth=3
	v_mov_b32_e32 v78, v4
; %bb.20842:                            ;   in Loop: Header=BB6_19757 Depth=3
	s_or_b32 exec_lo, exec_lo, s13
.LBB6_20843:                            ;   in Loop: Header=BB6_19757 Depth=3
	s_delay_alu instid0(SALU_CYCLE_1)
	s_or_b32 exec_lo, exec_lo, s74
                                        ; implicit-def: $vgpr4
.LBB6_20844:                            ;   in Loop: Header=BB6_19757 Depth=3
	s_and_not1_saveexec_b32 s13, s15
; %bb.20845:                            ;   in Loop: Header=BB6_19757 Depth=3
	v_or_b32_e32 v78, 0x7b, v4
; %bb.20846:                            ;   in Loop: Header=BB6_19757 Depth=3
	s_or_b32 exec_lo, exec_lo, s13
                                        ; implicit-def: $vgpr2
                                        ; implicit-def: $vgpr0_vgpr1
.LBB6_20847:                            ;   in Loop: Header=BB6_19757 Depth=3
	s_and_not1_saveexec_b32 s13, s14
	s_cbranch_execz .LBB6_20853
; %bb.20848:                            ;   in Loop: Header=BB6_19757 Depth=3
	s_mov_b32 s14, exec_lo
                                        ; implicit-def: $vgpr78
	v_cmpx_ne_u64_e32 0, v[0:1]
	s_xor_b32 s14, exec_lo, s14
; %bb.20849:                            ;   in Loop: Header=BB6_19757 Depth=3
	v_lshrrev_b32_e32 v0, 24, v2
                                        ; implicit-def: $vgpr2
	s_delay_alu instid0(VALU_DEP_1)
	v_or_b32_e32 v78, 0x7f, v0
; %bb.20850:                            ;   in Loop: Header=BB6_19757 Depth=3
	s_and_not1_saveexec_b32 s14, s14
; %bb.20851:                            ;   in Loop: Header=BB6_19757 Depth=3
	v_cmp_lt_i32_e32 vcc_lo, -1, v2
	v_cndmask_b32_e64 v78, -4, 0x7c, vcc_lo
; %bb.20852:                            ;   in Loop: Header=BB6_19757 Depth=3
	s_or_b32 exec_lo, exec_lo, s14
.LBB6_20853:                            ;   in Loop: Header=BB6_19757 Depth=3
	s_delay_alu instid0(SALU_CYCLE_1)
	s_or_b32 exec_lo, exec_lo, s13
	s_clause 0x1f
	flat_load_i8 v72, v[10:11] th:TH_LOAD_NT
	flat_load_i8 v62, v[10:11] offset:32 th:TH_LOAD_NT
	flat_load_i8 v60, v[10:11] offset:64 th:TH_LOAD_NT
	;; [unrolled: 1-line block ×31, first 2 shown]
	v_and_b32_e32 v7, 0xff, v42
	v_dual_mov_b32 v1, 0 :: v_dual_mov_b32 v3, 0
	s_mov_b32 s14, exec_lo
	s_wait_xcnt 0x0
	s_delay_alu instid0(VALU_DEP_2)
	v_cmpx_ne_u16_e32 0, v7
	s_cbranch_execz .LBB6_20863
; %bb.20854:                            ;   in Loop: Header=BB6_19757 Depth=3
	v_bfrev_b32_e32 v3, 1
	s_mov_b32 s15, exec_lo
	v_cmpx_ne_u16_e32 0x80, v7
	s_cbranch_execz .LBB6_20862
; %bb.20855:                            ;   in Loop: Header=BB6_19757 Depth=3
	v_and_b32_e32 v3, 0x7c, v42
	v_and_b32_e32 v5, 3, v42
	s_delay_alu instid0(VALU_DEP_2) | instskip(SKIP_1) | instid1(SALU_CYCLE_1)
	v_cmp_ne_u32_e32 vcc_lo, 0x7c, v3
                                        ; implicit-def: $vgpr3
	s_and_saveexec_b32 s13, vcc_lo
	s_xor_b32 s13, exec_lo, s13
	s_cbranch_execz .LBB6_20859
; %bb.20856:                            ;   in Loop: Header=BB6_19757 Depth=3
	v_bfe_u32 v3, v7, 2, 5
	s_mov_b32 s74, exec_lo
	s_delay_alu instid0(VALU_DEP_1)
	v_cmpx_eq_u32_e32 0, v3
	s_cbranch_execz .LBB6_20858
; %bb.20857:                            ;   in Loop: Header=BB6_19757 Depth=3
	v_clz_i32_u32_e32 v3, v5
	s_delay_alu instid0(VALU_DEP_1) | instskip(SKIP_1) | instid1(VALU_DEP_2)
	v_min_u32_e32 v3, 32, v3
	v_mov_b32_e32 v43, v113
	v_subrev_nc_u32_e32 v5, 29, v3
	v_sub_nc_u32_e32 v3, 30, v3
	s_delay_alu instid0(VALU_DEP_2) | instskip(NEXT) | instid1(VALU_DEP_1)
	v_lshlrev_b64_e32 v[76:77], v5, v[42:43]
	v_and_b32_e32 v5, 3, v76
.LBB6_20858:                            ;   in Loop: Header=BB6_19757 Depth=3
	s_or_b32 exec_lo, exec_lo, s74
	v_lshlrev_b32_e32 v7, 24, v42
                                        ; implicit-def: $vgpr42
	s_delay_alu instid0(VALU_DEP_1) | instskip(NEXT) | instid1(VALU_DEP_1)
	v_and_b32_e32 v7, 0x80000000, v7
	v_lshl_add_u32 v3, v3, 23, v7
	s_delay_alu instid0(VALU_DEP_1) | instskip(NEXT) | instid1(VALU_DEP_1)
	v_lshl_or_b32 v3, v5, 21, v3
                                        ; implicit-def: $vgpr5
	v_add_nc_u32_e32 v3, 0x38000000, v3
.LBB6_20859:                            ;   in Loop: Header=BB6_19757 Depth=3
	s_and_not1_saveexec_b32 s74, s13
; %bb.20860:                            ;   in Loop: Header=BB6_19757 Depth=3
	v_bfe_i32 v3, v42, 0, 8
	v_cmp_eq_u32_e32 vcc_lo, 0, v5
	s_delay_alu instid0(VALU_DEP_2) | instskip(SKIP_1) | instid1(VALU_DEP_1)
	v_cmp_lt_i16_e64 s13, -1, v3
	v_mov_b32_e32 v3, 0x7f800000
	v_cndmask_b32_e64 v3, 0xff800000, v3, s13
	s_delay_alu instid0(VALU_DEP_1)
	v_cndmask_b32_e32 v3, 0x7f800001, v3, vcc_lo
; %bb.20861:                            ;   in Loop: Header=BB6_19757 Depth=3
	s_or_b32 exec_lo, exec_lo, s74
.LBB6_20862:                            ;   in Loop: Header=BB6_19757 Depth=3
	s_delay_alu instid0(SALU_CYCLE_1)
	s_or_b32 exec_lo, exec_lo, s15
.LBB6_20863:                            ;   in Loop: Header=BB6_19757 Depth=3
	s_delay_alu instid0(SALU_CYCLE_1) | instskip(NEXT) | instid1(SALU_CYCLE_1)
	s_or_b32 exec_lo, exec_lo, s14
	s_mov_b32 s14, exec_lo
	s_wait_loadcnt_dscnt 0x1f1f
	v_cmpx_ne_u16_e32 0, v72
	s_cbranch_execz .LBB6_20873
; %bb.20864:                            ;   in Loop: Header=BB6_19757 Depth=3
	v_bfrev_b32_e32 v1, 1
	s_mov_b32 s15, exec_lo
	v_cmpx_ne_u16_e32 0xff80, v72
	s_cbranch_execz .LBB6_20872
; %bb.20865:                            ;   in Loop: Header=BB6_19757 Depth=3
	v_and_b32_e32 v1, 0x7c, v72
	v_and_b32_e32 v5, 3, v72
	s_delay_alu instid0(VALU_DEP_2) | instskip(SKIP_1) | instid1(SALU_CYCLE_1)
	v_cmp_ne_u32_e32 vcc_lo, 0x7c, v1
                                        ; implicit-def: $vgpr1
	s_and_saveexec_b32 s13, vcc_lo
	s_xor_b32 s13, exec_lo, s13
	s_cbranch_execz .LBB6_20869
; %bb.20866:                            ;   in Loop: Header=BB6_19757 Depth=3
	v_and_b32_e32 v1, 0xff, v72
	s_mov_b32 s74, exec_lo
	s_delay_alu instid0(VALU_DEP_1) | instskip(NEXT) | instid1(VALU_DEP_1)
	v_bfe_u32 v1, v1, 2, 5
	v_cmpx_eq_u32_e32 0, v1
	s_cbranch_execz .LBB6_20868
; %bb.20867:                            ;   in Loop: Header=BB6_19757 Depth=3
	v_clz_i32_u32_e32 v1, v5
	s_delay_alu instid0(VALU_DEP_1) | instskip(SKIP_1) | instid1(VALU_DEP_2)
	v_min_u32_e32 v1, 32, v1
	v_mov_b32_e32 v73, v113
	v_subrev_nc_u32_e32 v5, 29, v1
	v_sub_nc_u32_e32 v1, 30, v1
	s_delay_alu instid0(VALU_DEP_2) | instskip(NEXT) | instid1(VALU_DEP_1)
	v_lshlrev_b64_e32 v[42:43], v5, v[72:73]
	v_and_b32_e32 v5, 3, v42
.LBB6_20868:                            ;   in Loop: Header=BB6_19757 Depth=3
	s_or_b32 exec_lo, exec_lo, s74
	v_bfe_i32 v7, v72, 0, 16
                                        ; implicit-def: $vgpr72
	s_delay_alu instid0(VALU_DEP_1) | instskip(NEXT) | instid1(VALU_DEP_1)
	v_and_b32_e32 v7, 0x80000000, v7
	v_lshl_add_u32 v1, v1, 23, v7
	s_delay_alu instid0(VALU_DEP_1) | instskip(NEXT) | instid1(VALU_DEP_1)
	v_lshl_or_b32 v1, v5, 21, v1
                                        ; implicit-def: $vgpr5
	v_add_nc_u32_e32 v1, 0x38000000, v1
.LBB6_20869:                            ;   in Loop: Header=BB6_19757 Depth=3
	s_and_not1_saveexec_b32 s74, s13
; %bb.20870:                            ;   in Loop: Header=BB6_19757 Depth=3
	v_cmp_lt_i16_e64 s13, -1, v72
	v_mov_b32_e32 v1, 0x7f800000
	v_cmp_eq_u32_e32 vcc_lo, 0, v5
	s_delay_alu instid0(VALU_DEP_2) | instskip(NEXT) | instid1(VALU_DEP_1)
	v_cndmask_b32_e64 v1, 0xff800000, v1, s13
	v_cndmask_b32_e32 v1, 0x7f800001, v1, vcc_lo
; %bb.20871:                            ;   in Loop: Header=BB6_19757 Depth=3
	s_or_b32 exec_lo, exec_lo, s74
.LBB6_20872:                            ;   in Loop: Header=BB6_19757 Depth=3
	s_delay_alu instid0(SALU_CYCLE_1)
	s_or_b32 exec_lo, exec_lo, s15
.LBB6_20873:                            ;   in Loop: Header=BB6_19757 Depth=3
	s_delay_alu instid0(SALU_CYCLE_1) | instskip(NEXT) | instid1(VALU_DEP_1)
	s_or_b32 exec_lo, exec_lo, s14
	v_dual_add_f32 v3, v3, v1 :: v_dual_mov_b32 v43, v113
                                        ; implicit-def: $vgpr72
	s_delay_alu instid0(VALU_DEP_1) | instskip(NEXT) | instid1(VALU_DEP_1)
	v_and_b32_e32 v42, 0x7f800000, v3
	v_cmp_ne_u64_e32 vcc_lo, 0x7f800000, v[42:43]
	v_and_b32_e32 v42, 0x7fffff, v3
	s_and_saveexec_b32 s13, vcc_lo
	s_delay_alu instid0(SALU_CYCLE_1)
	s_xor_b32 s14, exec_lo, s13
	s_cbranch_execz .LBB6_20891
; %bb.20874:                            ;   in Loop: Header=BB6_19757 Depth=3
	v_and_b32_e32 v72, 0x7fffffff, v3
	v_dual_mov_b32 v73, v113 :: v_dual_lshrrev_b32 v1, 24, v3
	s_delay_alu instid0(VALU_DEP_1) | instskip(NEXT) | instid1(VALU_DEP_2)
	v_cmp_gt_u64_e32 vcc_lo, 0x47600001, v[72:73]
	v_and_b32_e32 v1, 0x80, v1
                                        ; implicit-def: $vgpr72
	s_and_saveexec_b32 s13, vcc_lo
	s_delay_alu instid0(SALU_CYCLE_1)
	s_xor_b32 s15, exec_lo, s13
	s_cbranch_execz .LBB6_20888
; %bb.20875:                            ;   in Loop: Header=BB6_19757 Depth=3
	v_mov_b32_e32 v72, 0
	s_mov_b32 s74, exec_lo
	v_cmpx_ne_u32_e32 0, v3
	s_cbranch_execz .LBB6_20887
; %bb.20876:                            ;   in Loop: Header=BB6_19757 Depth=3
	v_bfe_u32 v3, v3, 23, 8
	v_or_b32_e32 v7, 0x800000, v42
	s_delay_alu instid0(VALU_DEP_2) | instskip(SKIP_1) | instid1(VALU_DEP_3)
	v_cmp_eq_u32_e32 vcc_lo, 0, v3
	v_cmp_gt_u32_e64 s13, 0x72, v3
	v_dual_cndmask_b32 v42, v7, v42 :: v_dual_sub_nc_u32 v5, 0x71, v3
	s_delay_alu instid0(VALU_DEP_1) | instskip(NEXT) | instid1(VALU_DEP_1)
	v_cndmask_b32_e64 v5, 0, v5, s13
	v_cndmask_b32_e64 v5, v5, 0x70, vcc_lo
	s_delay_alu instid0(VALU_DEP_1) | instskip(NEXT) | instid1(VALU_DEP_1)
	v_add_nc_u32_e32 v7, 21, v5
	v_lshlrev_b64_e64 v[72:73], v7, -1
	v_add_nc_u32_e32 v7, 20, v5
	s_delay_alu instid0(VALU_DEP_1) | instskip(NEXT) | instid1(VALU_DEP_3)
	v_lshlrev_b64_e64 v[76:77], v7, 1
	v_bfi_b32 v72, v72, 0, v42
	v_lshrrev_b64 v[42:43], v5, v[42:43]
	v_bfi_b32 v73, v73, 0, 0
	s_delay_alu instid0(VALU_DEP_1) | instskip(NEXT) | instid1(VALU_DEP_3)
	v_cmp_eq_u64_e64 s13, v[72:73], v[76:77]
	v_mov_b64_e32 v[72:73], v[42:43]
	s_and_saveexec_b32 s75, s13
; %bb.20877:                            ;   in Loop: Header=BB6_19757 Depth=3
	v_bfe_u32 v72, v42, 21, 1
	v_mov_b32_e32 v73, v113
	s_delay_alu instid0(VALU_DEP_1) | instskip(NEXT) | instid1(VALU_DEP_1)
	v_add_nc_u64_e32 v[72:73], v[42:43], v[72:73]
	v_add_nc_u64_e32 v[72:73], -1, v[72:73]
; %bb.20878:                            ;   in Loop: Header=BB6_19757 Depth=3
	s_or_b32 exec_lo, exec_lo, s75
	v_add_nc_u32_e32 v3, 0xffffff81, v3
	v_lshrrev_b32_e32 v7, 23, v42
	s_mov_b32 s13, exec_lo
	v_mov_b32_e32 v43, v113
	s_delay_alu instid0(VALU_DEP_3) | instskip(NEXT) | instid1(VALU_DEP_1)
	v_cndmask_b32_e64 v3, v3, 0xffffff82, vcc_lo
	v_add3_u32 v7, v5, v3, v7
	v_and_b32_e32 v3, 0x1fffff, v72
	s_delay_alu instid0(VALU_DEP_1) | instskip(NEXT) | instid1(VALU_DEP_1)
	v_dual_add_nc_u32 v5, 14, v7 :: v_dual_add_nc_u32 v42, v3, v42
                                        ; implicit-def: $vgpr3
	v_cmpx_ne_u32_e32 0, v5
	s_xor_b32 s13, exec_lo, s13
; %bb.20879:                            ;   in Loop: Header=BB6_19757 Depth=3
	s_delay_alu instid0(VALU_DEP_2) | instskip(SKIP_1) | instid1(VALU_DEP_1)
	v_cmp_lt_u64_e32 vcc_lo, 0xffffff, v[42:43]
	v_add_nc_u32_e32 v3, 15, v7
	v_cndmask_b32_e32 v3, v5, v3, vcc_lo
	v_cndmask_b32_e64 v5, 0, 1, vcc_lo
	s_delay_alu instid0(VALU_DEP_1)
	v_lshrrev_b64 v[42:43], v5, v[42:43]
; %bb.20880:                            ;   in Loop: Header=BB6_19757 Depth=3
	s_and_not1_saveexec_b32 s13, s13
; %bb.20881:                            ;   in Loop: Header=BB6_19757 Depth=3
	s_delay_alu instid0(VALU_DEP_1)
	v_bfe_u32 v3, v42, 23, 1
; %bb.20882:                            ;   in Loop: Header=BB6_19757 Depth=3
	s_or_b32 exec_lo, exec_lo, s13
	s_delay_alu instid0(VALU_DEP_2) | instskip(NEXT) | instid1(VALU_DEP_2)
	v_lshrrev_b64 v[42:43], 21, v[42:43]
	v_cmp_gt_i32_e32 vcc_lo, 32, v3
	v_cmp_ne_u32_e64 s13, 0, v3
                                        ; implicit-def: $vgpr72
	s_delay_alu instid0(VALU_DEP_3) | instskip(NEXT) | instid1(VALU_DEP_1)
	v_dual_cndmask_b32 v43, 0, v43 :: v_dual_cndmask_b32 v42, 3, v42
	v_cmp_ne_u64_e32 vcc_lo, 0, v[42:43]
	s_or_b32 s13, s13, vcc_lo
	s_delay_alu instid0(SALU_CYCLE_1) | instskip(NEXT) | instid1(SALU_CYCLE_1)
	s_and_saveexec_b32 s75, s13
	s_xor_b32 s13, exec_lo, s75
; %bb.20883:                            ;   in Loop: Header=BB6_19757 Depth=3
	v_min_i32_e32 v3, 31, v3
	s_delay_alu instid0(VALU_DEP_1) | instskip(NEXT) | instid1(VALU_DEP_1)
	v_lshl_or_b32 v1, v3, 2, v1
	v_and_or_b32 v72, v42, 3, v1
                                        ; implicit-def: $vgpr1
; %bb.20884:                            ;   in Loop: Header=BB6_19757 Depth=3
	s_and_not1_saveexec_b32 s13, s13
; %bb.20885:                            ;   in Loop: Header=BB6_19757 Depth=3
	v_mov_b32_e32 v72, v1
; %bb.20886:                            ;   in Loop: Header=BB6_19757 Depth=3
	s_or_b32 exec_lo, exec_lo, s13
.LBB6_20887:                            ;   in Loop: Header=BB6_19757 Depth=3
	s_delay_alu instid0(SALU_CYCLE_1)
	s_or_b32 exec_lo, exec_lo, s74
                                        ; implicit-def: $vgpr1
.LBB6_20888:                            ;   in Loop: Header=BB6_19757 Depth=3
	s_and_not1_saveexec_b32 s13, s15
; %bb.20889:                            ;   in Loop: Header=BB6_19757 Depth=3
	v_or_b32_e32 v72, 0x7b, v1
; %bb.20890:                            ;   in Loop: Header=BB6_19757 Depth=3
	s_or_b32 exec_lo, exec_lo, s13
                                        ; implicit-def: $vgpr3
                                        ; implicit-def: $vgpr42_vgpr43
.LBB6_20891:                            ;   in Loop: Header=BB6_19757 Depth=3
	s_and_not1_saveexec_b32 s13, s14
	s_cbranch_execz .LBB6_20897
; %bb.20892:                            ;   in Loop: Header=BB6_19757 Depth=3
	s_mov_b32 s14, exec_lo
                                        ; implicit-def: $vgpr72
	v_cmpx_ne_u64_e32 0, v[42:43]
	s_xor_b32 s14, exec_lo, s14
; %bb.20893:                            ;   in Loop: Header=BB6_19757 Depth=3
	v_lshrrev_b32_e32 v1, 24, v3
                                        ; implicit-def: $vgpr3
	s_delay_alu instid0(VALU_DEP_1)
	v_or_b32_e32 v72, 0x7f, v1
; %bb.20894:                            ;   in Loop: Header=BB6_19757 Depth=3
	s_and_not1_saveexec_b32 s14, s14
; %bb.20895:                            ;   in Loop: Header=BB6_19757 Depth=3
	v_cmp_lt_i32_e32 vcc_lo, -1, v3
	v_cndmask_b32_e64 v72, -4, 0x7c, vcc_lo
; %bb.20896:                            ;   in Loop: Header=BB6_19757 Depth=3
	s_or_b32 exec_lo, exec_lo, s14
.LBB6_20897:                            ;   in Loop: Header=BB6_19757 Depth=3
	s_delay_alu instid0(SALU_CYCLE_1) | instskip(SKIP_3) | instid1(VALU_DEP_2)
	s_or_b32 exec_lo, exec_lo, s13
	v_and_b32_e32 v7, 0xff, v100
	v_dual_mov_b32 v1, 0 :: v_dual_mov_b32 v3, 0
	s_mov_b32 s14, exec_lo
	v_cmpx_ne_u16_e32 0, v7
	s_cbranch_execz .LBB6_20907
; %bb.20898:                            ;   in Loop: Header=BB6_19757 Depth=3
	v_bfrev_b32_e32 v3, 1
	s_mov_b32 s15, exec_lo
	v_cmpx_ne_u16_e32 0x80, v7
	s_cbranch_execz .LBB6_20906
; %bb.20899:                            ;   in Loop: Header=BB6_19757 Depth=3
	v_and_b32_e32 v3, 0x7c, v100
	v_and_b32_e32 v5, 3, v100
	s_delay_alu instid0(VALU_DEP_2) | instskip(SKIP_1) | instid1(SALU_CYCLE_1)
	v_cmp_ne_u32_e32 vcc_lo, 0x7c, v3
                                        ; implicit-def: $vgpr3
	s_and_saveexec_b32 s13, vcc_lo
	s_xor_b32 s13, exec_lo, s13
	s_cbranch_execz .LBB6_20903
; %bb.20900:                            ;   in Loop: Header=BB6_19757 Depth=3
	v_bfe_u32 v3, v7, 2, 5
	s_mov_b32 s74, exec_lo
	s_delay_alu instid0(VALU_DEP_1)
	v_cmpx_eq_u32_e32 0, v3
	s_cbranch_execz .LBB6_20902
; %bb.20901:                            ;   in Loop: Header=BB6_19757 Depth=3
	v_clz_i32_u32_e32 v3, v5
	s_delay_alu instid0(VALU_DEP_1) | instskip(SKIP_1) | instid1(VALU_DEP_2)
	v_min_u32_e32 v3, 32, v3
	v_mov_b32_e32 v101, v113
	v_subrev_nc_u32_e32 v5, 29, v3
	v_sub_nc_u32_e32 v3, 30, v3
	s_delay_alu instid0(VALU_DEP_2) | instskip(NEXT) | instid1(VALU_DEP_1)
	v_lshlrev_b64_e32 v[42:43], v5, v[100:101]
	v_and_b32_e32 v5, 3, v42
.LBB6_20902:                            ;   in Loop: Header=BB6_19757 Depth=3
	s_or_b32 exec_lo, exec_lo, s74
	v_lshlrev_b32_e32 v7, 24, v100
                                        ; implicit-def: $vgpr100
	s_delay_alu instid0(VALU_DEP_1) | instskip(NEXT) | instid1(VALU_DEP_1)
	v_and_b32_e32 v7, 0x80000000, v7
	v_lshl_add_u32 v3, v3, 23, v7
	s_delay_alu instid0(VALU_DEP_1) | instskip(NEXT) | instid1(VALU_DEP_1)
	v_lshl_or_b32 v3, v5, 21, v3
                                        ; implicit-def: $vgpr5
	v_add_nc_u32_e32 v3, 0x38000000, v3
.LBB6_20903:                            ;   in Loop: Header=BB6_19757 Depth=3
	s_and_not1_saveexec_b32 s74, s13
; %bb.20904:                            ;   in Loop: Header=BB6_19757 Depth=3
	v_bfe_i32 v3, v100, 0, 8
	v_cmp_eq_u32_e32 vcc_lo, 0, v5
	s_delay_alu instid0(VALU_DEP_2) | instskip(SKIP_1) | instid1(VALU_DEP_1)
	v_cmp_lt_i16_e64 s13, -1, v3
	v_mov_b32_e32 v3, 0x7f800000
	v_cndmask_b32_e64 v3, 0xff800000, v3, s13
	s_delay_alu instid0(VALU_DEP_1)
	v_cndmask_b32_e32 v3, 0x7f800001, v3, vcc_lo
; %bb.20905:                            ;   in Loop: Header=BB6_19757 Depth=3
	s_or_b32 exec_lo, exec_lo, s74
.LBB6_20906:                            ;   in Loop: Header=BB6_19757 Depth=3
	s_delay_alu instid0(SALU_CYCLE_1)
	s_or_b32 exec_lo, exec_lo, s15
.LBB6_20907:                            ;   in Loop: Header=BB6_19757 Depth=3
	s_delay_alu instid0(SALU_CYCLE_1) | instskip(NEXT) | instid1(SALU_CYCLE_1)
	s_or_b32 exec_lo, exec_lo, s14
	s_mov_b32 s14, exec_lo
	s_wait_loadcnt_dscnt 0x1e1e
	v_cmpx_ne_u16_e32 0, v62
	s_cbranch_execz .LBB6_20917
; %bb.20908:                            ;   in Loop: Header=BB6_19757 Depth=3
	v_bfrev_b32_e32 v1, 1
	s_mov_b32 s15, exec_lo
	v_cmpx_ne_u16_e32 0xff80, v62
	s_cbranch_execz .LBB6_20916
; %bb.20909:                            ;   in Loop: Header=BB6_19757 Depth=3
	v_and_b32_e32 v1, 0x7c, v62
	v_and_b32_e32 v5, 3, v62
	s_delay_alu instid0(VALU_DEP_2) | instskip(SKIP_1) | instid1(SALU_CYCLE_1)
	v_cmp_ne_u32_e32 vcc_lo, 0x7c, v1
                                        ; implicit-def: $vgpr1
	s_and_saveexec_b32 s13, vcc_lo
	s_xor_b32 s13, exec_lo, s13
	s_cbranch_execz .LBB6_20913
; %bb.20910:                            ;   in Loop: Header=BB6_19757 Depth=3
	v_and_b32_e32 v1, 0xff, v62
	s_mov_b32 s74, exec_lo
	s_delay_alu instid0(VALU_DEP_1) | instskip(NEXT) | instid1(VALU_DEP_1)
	v_bfe_u32 v1, v1, 2, 5
	v_cmpx_eq_u32_e32 0, v1
	s_cbranch_execz .LBB6_20912
; %bb.20911:                            ;   in Loop: Header=BB6_19757 Depth=3
	v_clz_i32_u32_e32 v1, v5
	s_delay_alu instid0(VALU_DEP_1) | instskip(SKIP_1) | instid1(VALU_DEP_2)
	v_min_u32_e32 v1, 32, v1
	v_mov_b32_e32 v63, v113
	v_subrev_nc_u32_e32 v5, 29, v1
	v_sub_nc_u32_e32 v1, 30, v1
	s_delay_alu instid0(VALU_DEP_2) | instskip(NEXT) | instid1(VALU_DEP_1)
	v_lshlrev_b64_e32 v[100:101], v5, v[62:63]
	v_and_b32_e32 v5, 3, v100
.LBB6_20912:                            ;   in Loop: Header=BB6_19757 Depth=3
	s_or_b32 exec_lo, exec_lo, s74
	v_bfe_i32 v7, v62, 0, 16
                                        ; implicit-def: $vgpr62
	s_delay_alu instid0(VALU_DEP_1) | instskip(NEXT) | instid1(VALU_DEP_1)
	v_and_b32_e32 v7, 0x80000000, v7
	v_lshl_add_u32 v1, v1, 23, v7
	s_delay_alu instid0(VALU_DEP_1) | instskip(NEXT) | instid1(VALU_DEP_1)
	v_lshl_or_b32 v1, v5, 21, v1
                                        ; implicit-def: $vgpr5
	v_add_nc_u32_e32 v1, 0x38000000, v1
.LBB6_20913:                            ;   in Loop: Header=BB6_19757 Depth=3
	s_and_not1_saveexec_b32 s74, s13
; %bb.20914:                            ;   in Loop: Header=BB6_19757 Depth=3
	v_cmp_lt_i16_e64 s13, -1, v62
	v_mov_b32_e32 v1, 0x7f800000
	v_cmp_eq_u32_e32 vcc_lo, 0, v5
	s_delay_alu instid0(VALU_DEP_2) | instskip(NEXT) | instid1(VALU_DEP_1)
	v_cndmask_b32_e64 v1, 0xff800000, v1, s13
	v_cndmask_b32_e32 v1, 0x7f800001, v1, vcc_lo
; %bb.20915:                            ;   in Loop: Header=BB6_19757 Depth=3
	s_or_b32 exec_lo, exec_lo, s74
.LBB6_20916:                            ;   in Loop: Header=BB6_19757 Depth=3
	s_delay_alu instid0(SALU_CYCLE_1)
	s_or_b32 exec_lo, exec_lo, s15
.LBB6_20917:                            ;   in Loop: Header=BB6_19757 Depth=3
	s_delay_alu instid0(SALU_CYCLE_1) | instskip(NEXT) | instid1(VALU_DEP_1)
	s_or_b32 exec_lo, exec_lo, s14
	v_dual_add_f32 v3, v3, v1 :: v_dual_mov_b32 v101, v113
                                        ; implicit-def: $vgpr42
	s_delay_alu instid0(VALU_DEP_1) | instskip(NEXT) | instid1(VALU_DEP_1)
	v_and_b32_e32 v100, 0x7f800000, v3
	v_cmp_ne_u64_e32 vcc_lo, 0x7f800000, v[100:101]
	v_and_b32_e32 v100, 0x7fffff, v3
	s_and_saveexec_b32 s13, vcc_lo
	s_delay_alu instid0(SALU_CYCLE_1)
	s_xor_b32 s14, exec_lo, s13
	s_cbranch_execz .LBB6_20935
; %bb.20918:                            ;   in Loop: Header=BB6_19757 Depth=3
	v_and_b32_e32 v42, 0x7fffffff, v3
	v_dual_mov_b32 v43, v113 :: v_dual_lshrrev_b32 v1, 24, v3
	s_delay_alu instid0(VALU_DEP_1) | instskip(NEXT) | instid1(VALU_DEP_2)
	v_cmp_gt_u64_e32 vcc_lo, 0x47600001, v[42:43]
	v_and_b32_e32 v1, 0x80, v1
                                        ; implicit-def: $vgpr42
	s_and_saveexec_b32 s13, vcc_lo
	s_delay_alu instid0(SALU_CYCLE_1)
	s_xor_b32 s15, exec_lo, s13
	s_cbranch_execz .LBB6_20932
; %bb.20919:                            ;   in Loop: Header=BB6_19757 Depth=3
	v_mov_b32_e32 v42, 0
	s_mov_b32 s74, exec_lo
	v_cmpx_ne_u32_e32 0, v3
	s_cbranch_execz .LBB6_20931
; %bb.20920:                            ;   in Loop: Header=BB6_19757 Depth=3
	v_bfe_u32 v3, v3, 23, 8
	v_or_b32_e32 v7, 0x800000, v100
	s_delay_alu instid0(VALU_DEP_2) | instskip(SKIP_1) | instid1(VALU_DEP_3)
	v_cmp_eq_u32_e32 vcc_lo, 0, v3
	v_cmp_gt_u32_e64 s13, 0x72, v3
	v_dual_cndmask_b32 v100, v7, v100 :: v_dual_sub_nc_u32 v5, 0x71, v3
	s_delay_alu instid0(VALU_DEP_1) | instskip(NEXT) | instid1(VALU_DEP_1)
	v_cndmask_b32_e64 v5, 0, v5, s13
	v_cndmask_b32_e64 v5, v5, 0x70, vcc_lo
	s_delay_alu instid0(VALU_DEP_1) | instskip(NEXT) | instid1(VALU_DEP_1)
	v_add_nc_u32_e32 v7, 21, v5
	v_lshlrev_b64_e64 v[42:43], v7, -1
	v_add_nc_u32_e32 v7, 20, v5
	s_delay_alu instid0(VALU_DEP_1) | instskip(NEXT) | instid1(VALU_DEP_3)
	v_lshlrev_b64_e64 v[62:63], v7, 1
	v_bfi_b32 v42, v42, 0, v100
	v_lshrrev_b64 v[100:101], v5, v[100:101]
	v_bfi_b32 v43, v43, 0, 0
	s_delay_alu instid0(VALU_DEP_1) | instskip(NEXT) | instid1(VALU_DEP_3)
	v_cmp_eq_u64_e64 s13, v[42:43], v[62:63]
	v_mov_b64_e32 v[42:43], v[100:101]
	s_and_saveexec_b32 s75, s13
; %bb.20921:                            ;   in Loop: Header=BB6_19757 Depth=3
	v_bfe_u32 v42, v100, 21, 1
	v_mov_b32_e32 v43, v113
	s_delay_alu instid0(VALU_DEP_1) | instskip(NEXT) | instid1(VALU_DEP_1)
	v_add_nc_u64_e32 v[42:43], v[100:101], v[42:43]
	v_add_nc_u64_e32 v[42:43], -1, v[42:43]
; %bb.20922:                            ;   in Loop: Header=BB6_19757 Depth=3
	s_or_b32 exec_lo, exec_lo, s75
	v_add_nc_u32_e32 v3, 0xffffff81, v3
	v_lshrrev_b32_e32 v7, 23, v100
	s_mov_b32 s13, exec_lo
	v_mov_b32_e32 v101, v113
	s_delay_alu instid0(VALU_DEP_3) | instskip(NEXT) | instid1(VALU_DEP_1)
	v_cndmask_b32_e64 v3, v3, 0xffffff82, vcc_lo
	v_add3_u32 v7, v5, v3, v7
	v_and_b32_e32 v3, 0x1fffff, v42
	s_delay_alu instid0(VALU_DEP_1) | instskip(NEXT) | instid1(VALU_DEP_1)
	v_dual_add_nc_u32 v5, 14, v7 :: v_dual_add_nc_u32 v100, v3, v100
                                        ; implicit-def: $vgpr3
	v_cmpx_ne_u32_e32 0, v5
	s_xor_b32 s13, exec_lo, s13
; %bb.20923:                            ;   in Loop: Header=BB6_19757 Depth=3
	s_delay_alu instid0(VALU_DEP_2) | instskip(SKIP_1) | instid1(VALU_DEP_1)
	v_cmp_lt_u64_e32 vcc_lo, 0xffffff, v[100:101]
	v_add_nc_u32_e32 v3, 15, v7
	v_cndmask_b32_e32 v3, v5, v3, vcc_lo
	v_cndmask_b32_e64 v5, 0, 1, vcc_lo
	s_delay_alu instid0(VALU_DEP_1)
	v_lshrrev_b64 v[100:101], v5, v[100:101]
; %bb.20924:                            ;   in Loop: Header=BB6_19757 Depth=3
	s_and_not1_saveexec_b32 s13, s13
; %bb.20925:                            ;   in Loop: Header=BB6_19757 Depth=3
	s_delay_alu instid0(VALU_DEP_1)
	v_bfe_u32 v3, v100, 23, 1
; %bb.20926:                            ;   in Loop: Header=BB6_19757 Depth=3
	s_or_b32 exec_lo, exec_lo, s13
	s_delay_alu instid0(VALU_DEP_2) | instskip(NEXT) | instid1(VALU_DEP_2)
	v_lshrrev_b64 v[100:101], 21, v[100:101]
	v_cmp_gt_i32_e32 vcc_lo, 32, v3
	v_cmp_ne_u32_e64 s13, 0, v3
                                        ; implicit-def: $vgpr42
	s_delay_alu instid0(VALU_DEP_3) | instskip(NEXT) | instid1(VALU_DEP_1)
	v_dual_cndmask_b32 v101, 0, v101 :: v_dual_cndmask_b32 v100, 3, v100
	v_cmp_ne_u64_e32 vcc_lo, 0, v[100:101]
	s_or_b32 s13, s13, vcc_lo
	s_delay_alu instid0(SALU_CYCLE_1) | instskip(NEXT) | instid1(SALU_CYCLE_1)
	s_and_saveexec_b32 s75, s13
	s_xor_b32 s13, exec_lo, s75
; %bb.20927:                            ;   in Loop: Header=BB6_19757 Depth=3
	v_min_i32_e32 v3, 31, v3
	s_delay_alu instid0(VALU_DEP_1) | instskip(NEXT) | instid1(VALU_DEP_1)
	v_lshl_or_b32 v1, v3, 2, v1
	v_and_or_b32 v42, v100, 3, v1
                                        ; implicit-def: $vgpr1
; %bb.20928:                            ;   in Loop: Header=BB6_19757 Depth=3
	s_and_not1_saveexec_b32 s13, s13
; %bb.20929:                            ;   in Loop: Header=BB6_19757 Depth=3
	v_mov_b32_e32 v42, v1
; %bb.20930:                            ;   in Loop: Header=BB6_19757 Depth=3
	s_or_b32 exec_lo, exec_lo, s13
.LBB6_20931:                            ;   in Loop: Header=BB6_19757 Depth=3
	s_delay_alu instid0(SALU_CYCLE_1)
	s_or_b32 exec_lo, exec_lo, s74
                                        ; implicit-def: $vgpr1
.LBB6_20932:                            ;   in Loop: Header=BB6_19757 Depth=3
	s_and_not1_saveexec_b32 s13, s15
; %bb.20933:                            ;   in Loop: Header=BB6_19757 Depth=3
	v_or_b32_e32 v42, 0x7b, v1
; %bb.20934:                            ;   in Loop: Header=BB6_19757 Depth=3
	s_or_b32 exec_lo, exec_lo, s13
                                        ; implicit-def: $vgpr3
                                        ; implicit-def: $vgpr100_vgpr101
.LBB6_20935:                            ;   in Loop: Header=BB6_19757 Depth=3
	s_and_not1_saveexec_b32 s13, s14
	s_cbranch_execz .LBB6_20941
; %bb.20936:                            ;   in Loop: Header=BB6_19757 Depth=3
	s_mov_b32 s14, exec_lo
                                        ; implicit-def: $vgpr42
	v_cmpx_ne_u64_e32 0, v[100:101]
	s_xor_b32 s14, exec_lo, s14
; %bb.20937:                            ;   in Loop: Header=BB6_19757 Depth=3
	v_lshrrev_b32_e32 v1, 24, v3
                                        ; implicit-def: $vgpr3
	s_delay_alu instid0(VALU_DEP_1)
	v_or_b32_e32 v42, 0x7f, v1
; %bb.20938:                            ;   in Loop: Header=BB6_19757 Depth=3
	s_and_not1_saveexec_b32 s14, s14
; %bb.20939:                            ;   in Loop: Header=BB6_19757 Depth=3
	v_cmp_lt_i32_e32 vcc_lo, -1, v3
	v_cndmask_b32_e64 v42, -4, 0x7c, vcc_lo
; %bb.20940:                            ;   in Loop: Header=BB6_19757 Depth=3
	s_or_b32 exec_lo, exec_lo, s14
.LBB6_20941:                            ;   in Loop: Header=BB6_19757 Depth=3
	s_delay_alu instid0(SALU_CYCLE_1) | instskip(SKIP_3) | instid1(VALU_DEP_2)
	s_or_b32 exec_lo, exec_lo, s13
	v_and_b32_e32 v7, 0xff, v102
	v_dual_mov_b32 v1, 0 :: v_dual_mov_b32 v3, 0
	s_mov_b32 s14, exec_lo
	v_cmpx_ne_u16_e32 0, v7
	s_cbranch_execz .LBB6_20951
; %bb.20942:                            ;   in Loop: Header=BB6_19757 Depth=3
	v_bfrev_b32_e32 v3, 1
	s_mov_b32 s15, exec_lo
	v_cmpx_ne_u16_e32 0x80, v7
	s_cbranch_execz .LBB6_20950
; %bb.20943:                            ;   in Loop: Header=BB6_19757 Depth=3
	v_and_b32_e32 v3, 0x7c, v102
	v_and_b32_e32 v5, 3, v102
	s_delay_alu instid0(VALU_DEP_2) | instskip(SKIP_1) | instid1(SALU_CYCLE_1)
	v_cmp_ne_u32_e32 vcc_lo, 0x7c, v3
                                        ; implicit-def: $vgpr3
	s_and_saveexec_b32 s13, vcc_lo
	s_xor_b32 s13, exec_lo, s13
	s_cbranch_execz .LBB6_20947
; %bb.20944:                            ;   in Loop: Header=BB6_19757 Depth=3
	v_bfe_u32 v3, v7, 2, 5
	s_mov_b32 s74, exec_lo
	s_delay_alu instid0(VALU_DEP_1)
	v_cmpx_eq_u32_e32 0, v3
	s_cbranch_execz .LBB6_20946
; %bb.20945:                            ;   in Loop: Header=BB6_19757 Depth=3
	v_clz_i32_u32_e32 v3, v5
	s_delay_alu instid0(VALU_DEP_1) | instskip(SKIP_1) | instid1(VALU_DEP_2)
	v_min_u32_e32 v3, 32, v3
	v_mov_b32_e32 v103, v113
	v_subrev_nc_u32_e32 v5, 29, v3
	v_sub_nc_u32_e32 v3, 30, v3
	s_delay_alu instid0(VALU_DEP_2) | instskip(NEXT) | instid1(VALU_DEP_1)
	v_lshlrev_b64_e32 v[100:101], v5, v[102:103]
	v_and_b32_e32 v5, 3, v100
.LBB6_20946:                            ;   in Loop: Header=BB6_19757 Depth=3
	s_or_b32 exec_lo, exec_lo, s74
	v_lshlrev_b32_e32 v7, 24, v102
                                        ; implicit-def: $vgpr102
	s_delay_alu instid0(VALU_DEP_1) | instskip(NEXT) | instid1(VALU_DEP_1)
	v_and_b32_e32 v7, 0x80000000, v7
	v_lshl_add_u32 v3, v3, 23, v7
	s_delay_alu instid0(VALU_DEP_1) | instskip(NEXT) | instid1(VALU_DEP_1)
	v_lshl_or_b32 v3, v5, 21, v3
                                        ; implicit-def: $vgpr5
	v_add_nc_u32_e32 v3, 0x38000000, v3
.LBB6_20947:                            ;   in Loop: Header=BB6_19757 Depth=3
	s_and_not1_saveexec_b32 s74, s13
; %bb.20948:                            ;   in Loop: Header=BB6_19757 Depth=3
	v_bfe_i32 v3, v102, 0, 8
	v_cmp_eq_u32_e32 vcc_lo, 0, v5
	s_delay_alu instid0(VALU_DEP_2) | instskip(SKIP_1) | instid1(VALU_DEP_1)
	v_cmp_lt_i16_e64 s13, -1, v3
	v_mov_b32_e32 v3, 0x7f800000
	v_cndmask_b32_e64 v3, 0xff800000, v3, s13
	s_delay_alu instid0(VALU_DEP_1)
	v_cndmask_b32_e32 v3, 0x7f800001, v3, vcc_lo
; %bb.20949:                            ;   in Loop: Header=BB6_19757 Depth=3
	s_or_b32 exec_lo, exec_lo, s74
.LBB6_20950:                            ;   in Loop: Header=BB6_19757 Depth=3
	s_delay_alu instid0(SALU_CYCLE_1)
	s_or_b32 exec_lo, exec_lo, s15
.LBB6_20951:                            ;   in Loop: Header=BB6_19757 Depth=3
	s_delay_alu instid0(SALU_CYCLE_1) | instskip(NEXT) | instid1(SALU_CYCLE_1)
	s_or_b32 exec_lo, exec_lo, s14
	s_mov_b32 s14, exec_lo
	s_wait_loadcnt_dscnt 0x1d1d
	v_cmpx_ne_u16_e32 0, v60
	s_cbranch_execz .LBB6_20961
; %bb.20952:                            ;   in Loop: Header=BB6_19757 Depth=3
	v_bfrev_b32_e32 v1, 1
	s_mov_b32 s15, exec_lo
	v_cmpx_ne_u16_e32 0xff80, v60
	s_cbranch_execz .LBB6_20960
; %bb.20953:                            ;   in Loop: Header=BB6_19757 Depth=3
	v_and_b32_e32 v1, 0x7c, v60
	v_and_b32_e32 v5, 3, v60
	s_delay_alu instid0(VALU_DEP_2) | instskip(SKIP_1) | instid1(SALU_CYCLE_1)
	v_cmp_ne_u32_e32 vcc_lo, 0x7c, v1
                                        ; implicit-def: $vgpr1
	s_and_saveexec_b32 s13, vcc_lo
	s_xor_b32 s13, exec_lo, s13
	s_cbranch_execz .LBB6_20957
; %bb.20954:                            ;   in Loop: Header=BB6_19757 Depth=3
	v_and_b32_e32 v1, 0xff, v60
	s_mov_b32 s74, exec_lo
	s_delay_alu instid0(VALU_DEP_1) | instskip(NEXT) | instid1(VALU_DEP_1)
	v_bfe_u32 v1, v1, 2, 5
	v_cmpx_eq_u32_e32 0, v1
	s_cbranch_execz .LBB6_20956
; %bb.20955:                            ;   in Loop: Header=BB6_19757 Depth=3
	v_clz_i32_u32_e32 v1, v5
	s_delay_alu instid0(VALU_DEP_1) | instskip(SKIP_1) | instid1(VALU_DEP_2)
	v_min_u32_e32 v1, 32, v1
	v_mov_b32_e32 v61, v113
	v_subrev_nc_u32_e32 v5, 29, v1
	v_sub_nc_u32_e32 v1, 30, v1
	s_delay_alu instid0(VALU_DEP_2) | instskip(NEXT) | instid1(VALU_DEP_1)
	v_lshlrev_b64_e32 v[100:101], v5, v[60:61]
	v_and_b32_e32 v5, 3, v100
.LBB6_20956:                            ;   in Loop: Header=BB6_19757 Depth=3
	s_or_b32 exec_lo, exec_lo, s74
	v_bfe_i32 v7, v60, 0, 16
                                        ; implicit-def: $vgpr60
	s_delay_alu instid0(VALU_DEP_1) | instskip(NEXT) | instid1(VALU_DEP_1)
	v_and_b32_e32 v7, 0x80000000, v7
	v_lshl_add_u32 v1, v1, 23, v7
	s_delay_alu instid0(VALU_DEP_1) | instskip(NEXT) | instid1(VALU_DEP_1)
	v_lshl_or_b32 v1, v5, 21, v1
                                        ; implicit-def: $vgpr5
	v_add_nc_u32_e32 v1, 0x38000000, v1
.LBB6_20957:                            ;   in Loop: Header=BB6_19757 Depth=3
	s_and_not1_saveexec_b32 s74, s13
; %bb.20958:                            ;   in Loop: Header=BB6_19757 Depth=3
	v_cmp_lt_i16_e64 s13, -1, v60
	v_mov_b32_e32 v1, 0x7f800000
	v_cmp_eq_u32_e32 vcc_lo, 0, v5
	s_delay_alu instid0(VALU_DEP_2) | instskip(NEXT) | instid1(VALU_DEP_1)
	v_cndmask_b32_e64 v1, 0xff800000, v1, s13
	v_cndmask_b32_e32 v1, 0x7f800001, v1, vcc_lo
; %bb.20959:                            ;   in Loop: Header=BB6_19757 Depth=3
	s_or_b32 exec_lo, exec_lo, s74
.LBB6_20960:                            ;   in Loop: Header=BB6_19757 Depth=3
	s_delay_alu instid0(SALU_CYCLE_1)
	s_or_b32 exec_lo, exec_lo, s15
.LBB6_20961:                            ;   in Loop: Header=BB6_19757 Depth=3
	s_delay_alu instid0(SALU_CYCLE_1) | instskip(NEXT) | instid1(VALU_DEP_1)
	s_or_b32 exec_lo, exec_lo, s14
	v_dual_add_f32 v3, v3, v1 :: v_dual_mov_b32 v101, v113
                                        ; implicit-def: $vgpr102
	s_delay_alu instid0(VALU_DEP_1) | instskip(NEXT) | instid1(VALU_DEP_1)
	v_and_b32_e32 v100, 0x7f800000, v3
	v_cmp_ne_u64_e32 vcc_lo, 0x7f800000, v[100:101]
	v_and_b32_e32 v100, 0x7fffff, v3
	s_and_saveexec_b32 s13, vcc_lo
	s_delay_alu instid0(SALU_CYCLE_1)
	s_xor_b32 s14, exec_lo, s13
	s_cbranch_execz .LBB6_20979
; %bb.20962:                            ;   in Loop: Header=BB6_19757 Depth=3
	v_and_b32_e32 v102, 0x7fffffff, v3
	v_dual_mov_b32 v103, v113 :: v_dual_lshrrev_b32 v1, 24, v3
	s_delay_alu instid0(VALU_DEP_1) | instskip(NEXT) | instid1(VALU_DEP_2)
	v_cmp_gt_u64_e32 vcc_lo, 0x47600001, v[102:103]
	v_and_b32_e32 v1, 0x80, v1
                                        ; implicit-def: $vgpr102
	s_and_saveexec_b32 s13, vcc_lo
	s_delay_alu instid0(SALU_CYCLE_1)
	s_xor_b32 s15, exec_lo, s13
	s_cbranch_execz .LBB6_20976
; %bb.20963:                            ;   in Loop: Header=BB6_19757 Depth=3
	v_mov_b32_e32 v102, 0
	s_mov_b32 s74, exec_lo
	v_cmpx_ne_u32_e32 0, v3
	s_cbranch_execz .LBB6_20975
; %bb.20964:                            ;   in Loop: Header=BB6_19757 Depth=3
	v_bfe_u32 v3, v3, 23, 8
	v_or_b32_e32 v7, 0x800000, v100
	s_delay_alu instid0(VALU_DEP_2) | instskip(SKIP_1) | instid1(VALU_DEP_3)
	v_cmp_eq_u32_e32 vcc_lo, 0, v3
	v_cmp_gt_u32_e64 s13, 0x72, v3
	v_dual_cndmask_b32 v100, v7, v100 :: v_dual_sub_nc_u32 v5, 0x71, v3
	s_delay_alu instid0(VALU_DEP_1) | instskip(NEXT) | instid1(VALU_DEP_1)
	v_cndmask_b32_e64 v5, 0, v5, s13
	v_cndmask_b32_e64 v5, v5, 0x70, vcc_lo
	s_delay_alu instid0(VALU_DEP_1) | instskip(NEXT) | instid1(VALU_DEP_1)
	v_add_nc_u32_e32 v7, 21, v5
	v_lshlrev_b64_e64 v[102:103], v7, -1
	v_add_nc_u32_e32 v7, 20, v5
	s_delay_alu instid0(VALU_DEP_1) | instskip(NEXT) | instid1(VALU_DEP_3)
	v_lshlrev_b64_e64 v[60:61], v7, 1
	v_bfi_b32 v102, v102, 0, v100
	v_lshrrev_b64 v[100:101], v5, v[100:101]
	v_bfi_b32 v103, v103, 0, 0
	s_delay_alu instid0(VALU_DEP_1) | instskip(NEXT) | instid1(VALU_DEP_3)
	v_cmp_eq_u64_e64 s13, v[102:103], v[60:61]
	v_mov_b64_e32 v[102:103], v[100:101]
	s_and_saveexec_b32 s75, s13
; %bb.20965:                            ;   in Loop: Header=BB6_19757 Depth=3
	v_bfe_u32 v102, v100, 21, 1
	v_mov_b32_e32 v103, v113
	s_delay_alu instid0(VALU_DEP_1) | instskip(NEXT) | instid1(VALU_DEP_1)
	v_add_nc_u64_e32 v[102:103], v[100:101], v[102:103]
	v_add_nc_u64_e32 v[102:103], -1, v[102:103]
; %bb.20966:                            ;   in Loop: Header=BB6_19757 Depth=3
	s_or_b32 exec_lo, exec_lo, s75
	v_add_nc_u32_e32 v3, 0xffffff81, v3
	v_lshrrev_b32_e32 v7, 23, v100
	s_mov_b32 s13, exec_lo
	v_mov_b32_e32 v101, v113
	s_delay_alu instid0(VALU_DEP_3) | instskip(NEXT) | instid1(VALU_DEP_1)
	v_cndmask_b32_e64 v3, v3, 0xffffff82, vcc_lo
	v_add3_u32 v7, v5, v3, v7
	v_and_b32_e32 v3, 0x1fffff, v102
	s_delay_alu instid0(VALU_DEP_1) | instskip(NEXT) | instid1(VALU_DEP_1)
	v_dual_add_nc_u32 v5, 14, v7 :: v_dual_add_nc_u32 v100, v3, v100
                                        ; implicit-def: $vgpr3
	v_cmpx_ne_u32_e32 0, v5
	s_xor_b32 s13, exec_lo, s13
; %bb.20967:                            ;   in Loop: Header=BB6_19757 Depth=3
	s_delay_alu instid0(VALU_DEP_2) | instskip(SKIP_1) | instid1(VALU_DEP_1)
	v_cmp_lt_u64_e32 vcc_lo, 0xffffff, v[100:101]
	v_add_nc_u32_e32 v3, 15, v7
	v_cndmask_b32_e32 v3, v5, v3, vcc_lo
	v_cndmask_b32_e64 v5, 0, 1, vcc_lo
	s_delay_alu instid0(VALU_DEP_1)
	v_lshrrev_b64 v[100:101], v5, v[100:101]
; %bb.20968:                            ;   in Loop: Header=BB6_19757 Depth=3
	s_and_not1_saveexec_b32 s13, s13
; %bb.20969:                            ;   in Loop: Header=BB6_19757 Depth=3
	s_delay_alu instid0(VALU_DEP_1)
	v_bfe_u32 v3, v100, 23, 1
; %bb.20970:                            ;   in Loop: Header=BB6_19757 Depth=3
	s_or_b32 exec_lo, exec_lo, s13
	s_delay_alu instid0(VALU_DEP_2) | instskip(NEXT) | instid1(VALU_DEP_2)
	v_lshrrev_b64 v[100:101], 21, v[100:101]
	v_cmp_gt_i32_e32 vcc_lo, 32, v3
	v_cmp_ne_u32_e64 s13, 0, v3
                                        ; implicit-def: $vgpr102
	s_delay_alu instid0(VALU_DEP_3) | instskip(NEXT) | instid1(VALU_DEP_1)
	v_dual_cndmask_b32 v101, 0, v101 :: v_dual_cndmask_b32 v100, 3, v100
	v_cmp_ne_u64_e32 vcc_lo, 0, v[100:101]
	s_or_b32 s13, s13, vcc_lo
	s_delay_alu instid0(SALU_CYCLE_1) | instskip(NEXT) | instid1(SALU_CYCLE_1)
	s_and_saveexec_b32 s75, s13
	s_xor_b32 s13, exec_lo, s75
; %bb.20971:                            ;   in Loop: Header=BB6_19757 Depth=3
	v_min_i32_e32 v3, 31, v3
	s_delay_alu instid0(VALU_DEP_1) | instskip(NEXT) | instid1(VALU_DEP_1)
	v_lshl_or_b32 v1, v3, 2, v1
	v_and_or_b32 v102, v100, 3, v1
                                        ; implicit-def: $vgpr1
; %bb.20972:                            ;   in Loop: Header=BB6_19757 Depth=3
	s_and_not1_saveexec_b32 s13, s13
; %bb.20973:                            ;   in Loop: Header=BB6_19757 Depth=3
	v_mov_b32_e32 v102, v1
; %bb.20974:                            ;   in Loop: Header=BB6_19757 Depth=3
	s_or_b32 exec_lo, exec_lo, s13
.LBB6_20975:                            ;   in Loop: Header=BB6_19757 Depth=3
	s_delay_alu instid0(SALU_CYCLE_1)
	s_or_b32 exec_lo, exec_lo, s74
                                        ; implicit-def: $vgpr1
.LBB6_20976:                            ;   in Loop: Header=BB6_19757 Depth=3
	s_and_not1_saveexec_b32 s13, s15
; %bb.20977:                            ;   in Loop: Header=BB6_19757 Depth=3
	v_or_b32_e32 v102, 0x7b, v1
; %bb.20978:                            ;   in Loop: Header=BB6_19757 Depth=3
	s_or_b32 exec_lo, exec_lo, s13
                                        ; implicit-def: $vgpr3
                                        ; implicit-def: $vgpr100_vgpr101
.LBB6_20979:                            ;   in Loop: Header=BB6_19757 Depth=3
	s_and_not1_saveexec_b32 s13, s14
	s_cbranch_execz .LBB6_20985
; %bb.20980:                            ;   in Loop: Header=BB6_19757 Depth=3
	s_mov_b32 s14, exec_lo
                                        ; implicit-def: $vgpr102
	v_cmpx_ne_u64_e32 0, v[100:101]
	s_xor_b32 s14, exec_lo, s14
; %bb.20981:                            ;   in Loop: Header=BB6_19757 Depth=3
	v_lshrrev_b32_e32 v1, 24, v3
                                        ; implicit-def: $vgpr3
	s_delay_alu instid0(VALU_DEP_1)
	v_or_b32_e32 v102, 0x7f, v1
; %bb.20982:                            ;   in Loop: Header=BB6_19757 Depth=3
	s_and_not1_saveexec_b32 s14, s14
; %bb.20983:                            ;   in Loop: Header=BB6_19757 Depth=3
	v_cmp_lt_i32_e32 vcc_lo, -1, v3
	v_cndmask_b32_e64 v102, -4, 0x7c, vcc_lo
; %bb.20984:                            ;   in Loop: Header=BB6_19757 Depth=3
	s_or_b32 exec_lo, exec_lo, s14
.LBB6_20985:                            ;   in Loop: Header=BB6_19757 Depth=3
	s_delay_alu instid0(SALU_CYCLE_1) | instskip(SKIP_3) | instid1(VALU_DEP_2)
	s_or_b32 exec_lo, exec_lo, s13
	v_and_b32_e32 v7, 0xff, v34
	v_dual_mov_b32 v1, 0 :: v_dual_mov_b32 v3, 0
	s_mov_b32 s14, exec_lo
	v_cmpx_ne_u16_e32 0, v7
	s_cbranch_execz .LBB6_20995
; %bb.20986:                            ;   in Loop: Header=BB6_19757 Depth=3
	v_bfrev_b32_e32 v3, 1
	s_mov_b32 s15, exec_lo
	v_cmpx_ne_u16_e32 0x80, v7
	s_cbranch_execz .LBB6_20994
; %bb.20987:                            ;   in Loop: Header=BB6_19757 Depth=3
	v_and_b32_e32 v3, 0x7c, v34
	v_and_b32_e32 v5, 3, v34
	s_delay_alu instid0(VALU_DEP_2) | instskip(SKIP_1) | instid1(SALU_CYCLE_1)
	v_cmp_ne_u32_e32 vcc_lo, 0x7c, v3
                                        ; implicit-def: $vgpr3
	s_and_saveexec_b32 s13, vcc_lo
	s_xor_b32 s13, exec_lo, s13
	s_cbranch_execz .LBB6_20991
; %bb.20988:                            ;   in Loop: Header=BB6_19757 Depth=3
	v_bfe_u32 v3, v7, 2, 5
	s_mov_b32 s74, exec_lo
	s_delay_alu instid0(VALU_DEP_1)
	v_cmpx_eq_u32_e32 0, v3
	s_cbranch_execz .LBB6_20990
; %bb.20989:                            ;   in Loop: Header=BB6_19757 Depth=3
	v_clz_i32_u32_e32 v3, v5
	s_delay_alu instid0(VALU_DEP_1) | instskip(SKIP_1) | instid1(VALU_DEP_2)
	v_min_u32_e32 v3, 32, v3
	v_mov_b32_e32 v35, v113
	v_subrev_nc_u32_e32 v5, 29, v3
	v_sub_nc_u32_e32 v3, 30, v3
	s_delay_alu instid0(VALU_DEP_2) | instskip(NEXT) | instid1(VALU_DEP_1)
	v_lshlrev_b64_e32 v[100:101], v5, v[34:35]
	v_and_b32_e32 v5, 3, v100
.LBB6_20990:                            ;   in Loop: Header=BB6_19757 Depth=3
	s_or_b32 exec_lo, exec_lo, s74
	v_lshlrev_b32_e32 v7, 24, v34
                                        ; implicit-def: $vgpr34
	s_delay_alu instid0(VALU_DEP_1) | instskip(NEXT) | instid1(VALU_DEP_1)
	v_and_b32_e32 v7, 0x80000000, v7
	v_lshl_add_u32 v3, v3, 23, v7
	s_delay_alu instid0(VALU_DEP_1) | instskip(NEXT) | instid1(VALU_DEP_1)
	v_lshl_or_b32 v3, v5, 21, v3
                                        ; implicit-def: $vgpr5
	v_add_nc_u32_e32 v3, 0x38000000, v3
.LBB6_20991:                            ;   in Loop: Header=BB6_19757 Depth=3
	s_and_not1_saveexec_b32 s74, s13
; %bb.20992:                            ;   in Loop: Header=BB6_19757 Depth=3
	v_bfe_i32 v3, v34, 0, 8
	v_cmp_eq_u32_e32 vcc_lo, 0, v5
	s_delay_alu instid0(VALU_DEP_2) | instskip(SKIP_1) | instid1(VALU_DEP_1)
	v_cmp_lt_i16_e64 s13, -1, v3
	v_mov_b32_e32 v3, 0x7f800000
	v_cndmask_b32_e64 v3, 0xff800000, v3, s13
	s_delay_alu instid0(VALU_DEP_1)
	v_cndmask_b32_e32 v3, 0x7f800001, v3, vcc_lo
; %bb.20993:                            ;   in Loop: Header=BB6_19757 Depth=3
	s_or_b32 exec_lo, exec_lo, s74
.LBB6_20994:                            ;   in Loop: Header=BB6_19757 Depth=3
	s_delay_alu instid0(SALU_CYCLE_1)
	s_or_b32 exec_lo, exec_lo, s15
.LBB6_20995:                            ;   in Loop: Header=BB6_19757 Depth=3
	s_delay_alu instid0(SALU_CYCLE_1) | instskip(NEXT) | instid1(SALU_CYCLE_1)
	s_or_b32 exec_lo, exec_lo, s14
	s_mov_b32 s14, exec_lo
	s_wait_loadcnt_dscnt 0x1c1c
	v_cmpx_ne_u16_e32 0, v22
	s_cbranch_execz .LBB6_21005
; %bb.20996:                            ;   in Loop: Header=BB6_19757 Depth=3
	v_bfrev_b32_e32 v1, 1
	s_mov_b32 s15, exec_lo
	v_cmpx_ne_u16_e32 0xff80, v22
	s_cbranch_execz .LBB6_21004
; %bb.20997:                            ;   in Loop: Header=BB6_19757 Depth=3
	v_and_b32_e32 v1, 0x7c, v22
	v_and_b32_e32 v5, 3, v22
	s_delay_alu instid0(VALU_DEP_2) | instskip(SKIP_1) | instid1(SALU_CYCLE_1)
	v_cmp_ne_u32_e32 vcc_lo, 0x7c, v1
                                        ; implicit-def: $vgpr1
	s_and_saveexec_b32 s13, vcc_lo
	s_xor_b32 s13, exec_lo, s13
	s_cbranch_execz .LBB6_21001
; %bb.20998:                            ;   in Loop: Header=BB6_19757 Depth=3
	v_and_b32_e32 v1, 0xff, v22
	s_mov_b32 s74, exec_lo
	s_delay_alu instid0(VALU_DEP_1) | instskip(NEXT) | instid1(VALU_DEP_1)
	v_bfe_u32 v1, v1, 2, 5
	v_cmpx_eq_u32_e32 0, v1
	s_cbranch_execz .LBB6_21000
; %bb.20999:                            ;   in Loop: Header=BB6_19757 Depth=3
	v_clz_i32_u32_e32 v1, v5
	s_delay_alu instid0(VALU_DEP_1) | instskip(SKIP_1) | instid1(VALU_DEP_2)
	v_min_u32_e32 v1, 32, v1
	v_mov_b32_e32 v23, v113
	v_subrev_nc_u32_e32 v5, 29, v1
	v_sub_nc_u32_e32 v1, 30, v1
	s_delay_alu instid0(VALU_DEP_2) | instskip(NEXT) | instid1(VALU_DEP_1)
	v_lshlrev_b64_e32 v[34:35], v5, v[22:23]
	v_and_b32_e32 v5, 3, v34
.LBB6_21000:                            ;   in Loop: Header=BB6_19757 Depth=3
	s_or_b32 exec_lo, exec_lo, s74
	v_bfe_i32 v7, v22, 0, 16
                                        ; implicit-def: $vgpr22
	s_delay_alu instid0(VALU_DEP_1) | instskip(NEXT) | instid1(VALU_DEP_1)
	v_and_b32_e32 v7, 0x80000000, v7
	v_lshl_add_u32 v1, v1, 23, v7
	s_delay_alu instid0(VALU_DEP_1) | instskip(NEXT) | instid1(VALU_DEP_1)
	v_lshl_or_b32 v1, v5, 21, v1
                                        ; implicit-def: $vgpr5
	v_add_nc_u32_e32 v1, 0x38000000, v1
.LBB6_21001:                            ;   in Loop: Header=BB6_19757 Depth=3
	s_and_not1_saveexec_b32 s74, s13
; %bb.21002:                            ;   in Loop: Header=BB6_19757 Depth=3
	v_cmp_lt_i16_e64 s13, -1, v22
	v_mov_b32_e32 v1, 0x7f800000
	v_cmp_eq_u32_e32 vcc_lo, 0, v5
	s_delay_alu instid0(VALU_DEP_2) | instskip(NEXT) | instid1(VALU_DEP_1)
	v_cndmask_b32_e64 v1, 0xff800000, v1, s13
	v_cndmask_b32_e32 v1, 0x7f800001, v1, vcc_lo
; %bb.21003:                            ;   in Loop: Header=BB6_19757 Depth=3
	s_or_b32 exec_lo, exec_lo, s74
.LBB6_21004:                            ;   in Loop: Header=BB6_19757 Depth=3
	s_delay_alu instid0(SALU_CYCLE_1)
	s_or_b32 exec_lo, exec_lo, s15
.LBB6_21005:                            ;   in Loop: Header=BB6_19757 Depth=3
	s_delay_alu instid0(SALU_CYCLE_1) | instskip(NEXT) | instid1(VALU_DEP_1)
	s_or_b32 exec_lo, exec_lo, s14
	v_dual_add_f32 v3, v3, v1 :: v_dual_mov_b32 v23, v113
                                        ; implicit-def: $vgpr34
	s_delay_alu instid0(VALU_DEP_1) | instskip(NEXT) | instid1(VALU_DEP_1)
	v_and_b32_e32 v22, 0x7f800000, v3
	v_cmp_ne_u64_e32 vcc_lo, 0x7f800000, v[22:23]
	v_and_b32_e32 v22, 0x7fffff, v3
	s_and_saveexec_b32 s13, vcc_lo
	s_delay_alu instid0(SALU_CYCLE_1)
	s_xor_b32 s14, exec_lo, s13
	s_cbranch_execz .LBB6_21023
; %bb.21006:                            ;   in Loop: Header=BB6_19757 Depth=3
	v_and_b32_e32 v34, 0x7fffffff, v3
	v_dual_mov_b32 v35, v113 :: v_dual_lshrrev_b32 v1, 24, v3
	s_delay_alu instid0(VALU_DEP_1) | instskip(NEXT) | instid1(VALU_DEP_2)
	v_cmp_gt_u64_e32 vcc_lo, 0x47600001, v[34:35]
	v_and_b32_e32 v1, 0x80, v1
                                        ; implicit-def: $vgpr34
	s_and_saveexec_b32 s13, vcc_lo
	s_delay_alu instid0(SALU_CYCLE_1)
	s_xor_b32 s15, exec_lo, s13
	s_cbranch_execz .LBB6_21020
; %bb.21007:                            ;   in Loop: Header=BB6_19757 Depth=3
	v_mov_b32_e32 v34, 0
	s_mov_b32 s74, exec_lo
	v_cmpx_ne_u32_e32 0, v3
	s_cbranch_execz .LBB6_21019
; %bb.21008:                            ;   in Loop: Header=BB6_19757 Depth=3
	v_bfe_u32 v3, v3, 23, 8
	v_or_b32_e32 v7, 0x800000, v22
	s_delay_alu instid0(VALU_DEP_2) | instskip(SKIP_1) | instid1(VALU_DEP_3)
	v_cmp_eq_u32_e32 vcc_lo, 0, v3
	v_cmp_gt_u32_e64 s13, 0x72, v3
	v_dual_cndmask_b32 v22, v7, v22 :: v_dual_sub_nc_u32 v5, 0x71, v3
	s_delay_alu instid0(VALU_DEP_1) | instskip(NEXT) | instid1(VALU_DEP_1)
	v_cndmask_b32_e64 v5, 0, v5, s13
	v_cndmask_b32_e64 v5, v5, 0x70, vcc_lo
	s_delay_alu instid0(VALU_DEP_1) | instskip(NEXT) | instid1(VALU_DEP_1)
	v_add_nc_u32_e32 v7, 21, v5
	v_lshlrev_b64_e64 v[34:35], v7, -1
	v_add_nc_u32_e32 v7, 20, v5
	s_delay_alu instid0(VALU_DEP_1) | instskip(NEXT) | instid1(VALU_DEP_3)
	v_lshlrev_b64_e64 v[100:101], v7, 1
	v_bfi_b32 v34, v34, 0, v22
	v_lshrrev_b64 v[22:23], v5, v[22:23]
	v_bfi_b32 v35, v35, 0, 0
	s_delay_alu instid0(VALU_DEP_1) | instskip(NEXT) | instid1(VALU_DEP_3)
	v_cmp_eq_u64_e64 s13, v[34:35], v[100:101]
	v_mov_b64_e32 v[34:35], v[22:23]
	s_and_saveexec_b32 s75, s13
; %bb.21009:                            ;   in Loop: Header=BB6_19757 Depth=3
	v_bfe_u32 v34, v22, 21, 1
	v_mov_b32_e32 v35, v113
	s_delay_alu instid0(VALU_DEP_1) | instskip(NEXT) | instid1(VALU_DEP_1)
	v_add_nc_u64_e32 v[34:35], v[22:23], v[34:35]
	v_add_nc_u64_e32 v[34:35], -1, v[34:35]
; %bb.21010:                            ;   in Loop: Header=BB6_19757 Depth=3
	s_or_b32 exec_lo, exec_lo, s75
	v_add_nc_u32_e32 v3, 0xffffff81, v3
	v_lshrrev_b32_e32 v7, 23, v22
	s_mov_b32 s13, exec_lo
	v_mov_b32_e32 v23, v113
	s_delay_alu instid0(VALU_DEP_3) | instskip(NEXT) | instid1(VALU_DEP_1)
	v_cndmask_b32_e64 v3, v3, 0xffffff82, vcc_lo
	v_add3_u32 v7, v5, v3, v7
	v_and_b32_e32 v3, 0x1fffff, v34
	s_delay_alu instid0(VALU_DEP_1) | instskip(NEXT) | instid1(VALU_DEP_1)
	v_dual_add_nc_u32 v5, 14, v7 :: v_dual_add_nc_u32 v22, v3, v22
                                        ; implicit-def: $vgpr3
	v_cmpx_ne_u32_e32 0, v5
	s_xor_b32 s13, exec_lo, s13
; %bb.21011:                            ;   in Loop: Header=BB6_19757 Depth=3
	s_delay_alu instid0(VALU_DEP_2) | instskip(SKIP_1) | instid1(VALU_DEP_1)
	v_cmp_lt_u64_e32 vcc_lo, 0xffffff, v[22:23]
	v_add_nc_u32_e32 v3, 15, v7
	v_cndmask_b32_e32 v3, v5, v3, vcc_lo
	v_cndmask_b32_e64 v5, 0, 1, vcc_lo
	s_delay_alu instid0(VALU_DEP_1)
	v_lshrrev_b64 v[22:23], v5, v[22:23]
; %bb.21012:                            ;   in Loop: Header=BB6_19757 Depth=3
	s_and_not1_saveexec_b32 s13, s13
; %bb.21013:                            ;   in Loop: Header=BB6_19757 Depth=3
	s_delay_alu instid0(VALU_DEP_1)
	v_bfe_u32 v3, v22, 23, 1
; %bb.21014:                            ;   in Loop: Header=BB6_19757 Depth=3
	s_or_b32 exec_lo, exec_lo, s13
	s_delay_alu instid0(VALU_DEP_2) | instskip(NEXT) | instid1(VALU_DEP_2)
	v_lshrrev_b64 v[22:23], 21, v[22:23]
	v_cmp_gt_i32_e32 vcc_lo, 32, v3
	v_cmp_ne_u32_e64 s13, 0, v3
                                        ; implicit-def: $vgpr34
	s_delay_alu instid0(VALU_DEP_3) | instskip(NEXT) | instid1(VALU_DEP_1)
	v_dual_cndmask_b32 v23, 0, v23 :: v_dual_cndmask_b32 v22, 3, v22
	v_cmp_ne_u64_e32 vcc_lo, 0, v[22:23]
	s_or_b32 s13, s13, vcc_lo
	s_delay_alu instid0(SALU_CYCLE_1) | instskip(NEXT) | instid1(SALU_CYCLE_1)
	s_and_saveexec_b32 s75, s13
	s_xor_b32 s13, exec_lo, s75
; %bb.21015:                            ;   in Loop: Header=BB6_19757 Depth=3
	v_min_i32_e32 v3, 31, v3
	s_delay_alu instid0(VALU_DEP_1) | instskip(NEXT) | instid1(VALU_DEP_1)
	v_lshl_or_b32 v1, v3, 2, v1
	v_and_or_b32 v34, v22, 3, v1
                                        ; implicit-def: $vgpr1
; %bb.21016:                            ;   in Loop: Header=BB6_19757 Depth=3
	s_and_not1_saveexec_b32 s13, s13
; %bb.21017:                            ;   in Loop: Header=BB6_19757 Depth=3
	v_mov_b32_e32 v34, v1
; %bb.21018:                            ;   in Loop: Header=BB6_19757 Depth=3
	s_or_b32 exec_lo, exec_lo, s13
.LBB6_21019:                            ;   in Loop: Header=BB6_19757 Depth=3
	s_delay_alu instid0(SALU_CYCLE_1)
	s_or_b32 exec_lo, exec_lo, s74
                                        ; implicit-def: $vgpr1
.LBB6_21020:                            ;   in Loop: Header=BB6_19757 Depth=3
	s_and_not1_saveexec_b32 s13, s15
; %bb.21021:                            ;   in Loop: Header=BB6_19757 Depth=3
	v_or_b32_e32 v34, 0x7b, v1
; %bb.21022:                            ;   in Loop: Header=BB6_19757 Depth=3
	s_or_b32 exec_lo, exec_lo, s13
                                        ; implicit-def: $vgpr3
                                        ; implicit-def: $vgpr22_vgpr23
.LBB6_21023:                            ;   in Loop: Header=BB6_19757 Depth=3
	s_and_not1_saveexec_b32 s13, s14
	s_cbranch_execz .LBB6_21029
; %bb.21024:                            ;   in Loop: Header=BB6_19757 Depth=3
	s_mov_b32 s14, exec_lo
                                        ; implicit-def: $vgpr34
	v_cmpx_ne_u64_e32 0, v[22:23]
	s_xor_b32 s14, exec_lo, s14
; %bb.21025:                            ;   in Loop: Header=BB6_19757 Depth=3
	v_lshrrev_b32_e32 v1, 24, v3
                                        ; implicit-def: $vgpr3
	s_delay_alu instid0(VALU_DEP_1)
	v_or_b32_e32 v34, 0x7f, v1
; %bb.21026:                            ;   in Loop: Header=BB6_19757 Depth=3
	s_and_not1_saveexec_b32 s14, s14
; %bb.21027:                            ;   in Loop: Header=BB6_19757 Depth=3
	v_cmp_lt_i32_e32 vcc_lo, -1, v3
	v_cndmask_b32_e64 v34, -4, 0x7c, vcc_lo
; %bb.21028:                            ;   in Loop: Header=BB6_19757 Depth=3
	s_or_b32 exec_lo, exec_lo, s14
.LBB6_21029:                            ;   in Loop: Header=BB6_19757 Depth=3
	s_delay_alu instid0(SALU_CYCLE_1) | instskip(SKIP_3) | instid1(VALU_DEP_2)
	s_or_b32 exec_lo, exec_lo, s13
	v_and_b32_e32 v7, 0xff, v56
	v_dual_mov_b32 v1, 0 :: v_dual_mov_b32 v3, 0
	s_mov_b32 s14, exec_lo
	v_cmpx_ne_u16_e32 0, v7
	s_cbranch_execz .LBB6_21039
; %bb.21030:                            ;   in Loop: Header=BB6_19757 Depth=3
	v_bfrev_b32_e32 v3, 1
	s_mov_b32 s15, exec_lo
	v_cmpx_ne_u16_e32 0x80, v7
	s_cbranch_execz .LBB6_21038
; %bb.21031:                            ;   in Loop: Header=BB6_19757 Depth=3
	v_and_b32_e32 v3, 0x7c, v56
	v_and_b32_e32 v5, 3, v56
	s_delay_alu instid0(VALU_DEP_2) | instskip(SKIP_1) | instid1(SALU_CYCLE_1)
	v_cmp_ne_u32_e32 vcc_lo, 0x7c, v3
                                        ; implicit-def: $vgpr3
	s_and_saveexec_b32 s13, vcc_lo
	s_xor_b32 s13, exec_lo, s13
	s_cbranch_execz .LBB6_21035
; %bb.21032:                            ;   in Loop: Header=BB6_19757 Depth=3
	v_bfe_u32 v3, v7, 2, 5
	s_mov_b32 s74, exec_lo
	s_delay_alu instid0(VALU_DEP_1)
	v_cmpx_eq_u32_e32 0, v3
	s_cbranch_execz .LBB6_21034
; %bb.21033:                            ;   in Loop: Header=BB6_19757 Depth=3
	v_clz_i32_u32_e32 v3, v5
	s_delay_alu instid0(VALU_DEP_1) | instskip(SKIP_1) | instid1(VALU_DEP_2)
	v_min_u32_e32 v3, 32, v3
	v_mov_b32_e32 v57, v113
	v_subrev_nc_u32_e32 v5, 29, v3
	v_sub_nc_u32_e32 v3, 30, v3
	s_delay_alu instid0(VALU_DEP_2) | instskip(NEXT) | instid1(VALU_DEP_1)
	v_lshlrev_b64_e32 v[22:23], v5, v[56:57]
	v_and_b32_e32 v5, 3, v22
.LBB6_21034:                            ;   in Loop: Header=BB6_19757 Depth=3
	s_or_b32 exec_lo, exec_lo, s74
	v_lshlrev_b32_e32 v7, 24, v56
                                        ; implicit-def: $vgpr56
	s_delay_alu instid0(VALU_DEP_1) | instskip(NEXT) | instid1(VALU_DEP_1)
	v_and_b32_e32 v7, 0x80000000, v7
	v_lshl_add_u32 v3, v3, 23, v7
	s_delay_alu instid0(VALU_DEP_1) | instskip(NEXT) | instid1(VALU_DEP_1)
	v_lshl_or_b32 v3, v5, 21, v3
                                        ; implicit-def: $vgpr5
	v_add_nc_u32_e32 v3, 0x38000000, v3
.LBB6_21035:                            ;   in Loop: Header=BB6_19757 Depth=3
	s_and_not1_saveexec_b32 s74, s13
; %bb.21036:                            ;   in Loop: Header=BB6_19757 Depth=3
	v_bfe_i32 v3, v56, 0, 8
	v_cmp_eq_u32_e32 vcc_lo, 0, v5
	s_delay_alu instid0(VALU_DEP_2) | instskip(SKIP_1) | instid1(VALU_DEP_1)
	v_cmp_lt_i16_e64 s13, -1, v3
	v_mov_b32_e32 v3, 0x7f800000
	v_cndmask_b32_e64 v3, 0xff800000, v3, s13
	s_delay_alu instid0(VALU_DEP_1)
	v_cndmask_b32_e32 v3, 0x7f800001, v3, vcc_lo
; %bb.21037:                            ;   in Loop: Header=BB6_19757 Depth=3
	s_or_b32 exec_lo, exec_lo, s74
.LBB6_21038:                            ;   in Loop: Header=BB6_19757 Depth=3
	s_delay_alu instid0(SALU_CYCLE_1)
	s_or_b32 exec_lo, exec_lo, s15
.LBB6_21039:                            ;   in Loop: Header=BB6_19757 Depth=3
	s_delay_alu instid0(SALU_CYCLE_1) | instskip(NEXT) | instid1(SALU_CYCLE_1)
	s_or_b32 exec_lo, exec_lo, s14
	s_mov_b32 s14, exec_lo
	s_wait_loadcnt_dscnt 0x1b1b
	v_cmpx_ne_u16_e32 0, v20
	s_cbranch_execz .LBB6_21049
; %bb.21040:                            ;   in Loop: Header=BB6_19757 Depth=3
	v_bfrev_b32_e32 v1, 1
	s_mov_b32 s15, exec_lo
	v_cmpx_ne_u16_e32 0xff80, v20
	s_cbranch_execz .LBB6_21048
; %bb.21041:                            ;   in Loop: Header=BB6_19757 Depth=3
	v_and_b32_e32 v1, 0x7c, v20
	v_and_b32_e32 v5, 3, v20
	s_delay_alu instid0(VALU_DEP_2) | instskip(SKIP_1) | instid1(SALU_CYCLE_1)
	v_cmp_ne_u32_e32 vcc_lo, 0x7c, v1
                                        ; implicit-def: $vgpr1
	s_and_saveexec_b32 s13, vcc_lo
	s_xor_b32 s13, exec_lo, s13
	s_cbranch_execz .LBB6_21045
; %bb.21042:                            ;   in Loop: Header=BB6_19757 Depth=3
	v_and_b32_e32 v1, 0xff, v20
	s_mov_b32 s74, exec_lo
	s_delay_alu instid0(VALU_DEP_1) | instskip(NEXT) | instid1(VALU_DEP_1)
	v_bfe_u32 v1, v1, 2, 5
	v_cmpx_eq_u32_e32 0, v1
	s_cbranch_execz .LBB6_21044
; %bb.21043:                            ;   in Loop: Header=BB6_19757 Depth=3
	v_clz_i32_u32_e32 v1, v5
	s_delay_alu instid0(VALU_DEP_1) | instskip(SKIP_1) | instid1(VALU_DEP_2)
	v_min_u32_e32 v1, 32, v1
	v_mov_b32_e32 v21, v113
	v_subrev_nc_u32_e32 v5, 29, v1
	v_sub_nc_u32_e32 v1, 30, v1
	s_delay_alu instid0(VALU_DEP_2) | instskip(NEXT) | instid1(VALU_DEP_1)
	v_lshlrev_b64_e32 v[22:23], v5, v[20:21]
	v_and_b32_e32 v5, 3, v22
.LBB6_21044:                            ;   in Loop: Header=BB6_19757 Depth=3
	s_or_b32 exec_lo, exec_lo, s74
	v_bfe_i32 v7, v20, 0, 16
                                        ; implicit-def: $vgpr20
	s_delay_alu instid0(VALU_DEP_1) | instskip(NEXT) | instid1(VALU_DEP_1)
	v_and_b32_e32 v7, 0x80000000, v7
	v_lshl_add_u32 v1, v1, 23, v7
	s_delay_alu instid0(VALU_DEP_1) | instskip(NEXT) | instid1(VALU_DEP_1)
	v_lshl_or_b32 v1, v5, 21, v1
                                        ; implicit-def: $vgpr5
	v_add_nc_u32_e32 v1, 0x38000000, v1
.LBB6_21045:                            ;   in Loop: Header=BB6_19757 Depth=3
	s_and_not1_saveexec_b32 s74, s13
; %bb.21046:                            ;   in Loop: Header=BB6_19757 Depth=3
	v_cmp_lt_i16_e64 s13, -1, v20
	v_mov_b32_e32 v1, 0x7f800000
	v_cmp_eq_u32_e32 vcc_lo, 0, v5
	s_delay_alu instid0(VALU_DEP_2) | instskip(NEXT) | instid1(VALU_DEP_1)
	v_cndmask_b32_e64 v1, 0xff800000, v1, s13
	v_cndmask_b32_e32 v1, 0x7f800001, v1, vcc_lo
; %bb.21047:                            ;   in Loop: Header=BB6_19757 Depth=3
	s_or_b32 exec_lo, exec_lo, s74
.LBB6_21048:                            ;   in Loop: Header=BB6_19757 Depth=3
	s_delay_alu instid0(SALU_CYCLE_1)
	s_or_b32 exec_lo, exec_lo, s15
.LBB6_21049:                            ;   in Loop: Header=BB6_19757 Depth=3
	s_delay_alu instid0(SALU_CYCLE_1) | instskip(NEXT) | instid1(VALU_DEP_1)
	s_or_b32 exec_lo, exec_lo, s14
	v_dual_add_f32 v3, v3, v1 :: v_dual_mov_b32 v21, v113
                                        ; implicit-def: $vgpr22
	s_delay_alu instid0(VALU_DEP_1) | instskip(NEXT) | instid1(VALU_DEP_1)
	v_and_b32_e32 v20, 0x7f800000, v3
	v_cmp_ne_u64_e32 vcc_lo, 0x7f800000, v[20:21]
	v_and_b32_e32 v20, 0x7fffff, v3
	s_and_saveexec_b32 s13, vcc_lo
	s_delay_alu instid0(SALU_CYCLE_1)
	s_xor_b32 s14, exec_lo, s13
	s_cbranch_execz .LBB6_21067
; %bb.21050:                            ;   in Loop: Header=BB6_19757 Depth=3
	v_and_b32_e32 v22, 0x7fffffff, v3
	v_dual_mov_b32 v23, v113 :: v_dual_lshrrev_b32 v1, 24, v3
	s_delay_alu instid0(VALU_DEP_1) | instskip(NEXT) | instid1(VALU_DEP_2)
	v_cmp_gt_u64_e32 vcc_lo, 0x47600001, v[22:23]
	v_and_b32_e32 v1, 0x80, v1
                                        ; implicit-def: $vgpr22
	s_and_saveexec_b32 s13, vcc_lo
	s_delay_alu instid0(SALU_CYCLE_1)
	s_xor_b32 s15, exec_lo, s13
	s_cbranch_execz .LBB6_21064
; %bb.21051:                            ;   in Loop: Header=BB6_19757 Depth=3
	v_mov_b32_e32 v22, 0
	s_mov_b32 s74, exec_lo
	v_cmpx_ne_u32_e32 0, v3
	s_cbranch_execz .LBB6_21063
; %bb.21052:                            ;   in Loop: Header=BB6_19757 Depth=3
	v_bfe_u32 v3, v3, 23, 8
	v_or_b32_e32 v7, 0x800000, v20
	s_delay_alu instid0(VALU_DEP_2) | instskip(SKIP_1) | instid1(VALU_DEP_3)
	v_cmp_eq_u32_e32 vcc_lo, 0, v3
	v_cmp_gt_u32_e64 s13, 0x72, v3
	v_dual_cndmask_b32 v20, v7, v20 :: v_dual_sub_nc_u32 v5, 0x71, v3
	s_delay_alu instid0(VALU_DEP_1) | instskip(NEXT) | instid1(VALU_DEP_1)
	v_cndmask_b32_e64 v5, 0, v5, s13
	v_cndmask_b32_e64 v5, v5, 0x70, vcc_lo
	s_delay_alu instid0(VALU_DEP_1) | instskip(NEXT) | instid1(VALU_DEP_1)
	v_add_nc_u32_e32 v7, 21, v5
	v_lshlrev_b64_e64 v[22:23], v7, -1
	v_add_nc_u32_e32 v7, 20, v5
	s_delay_alu instid0(VALU_DEP_1) | instskip(NEXT) | instid1(VALU_DEP_3)
	v_lshlrev_b64_e64 v[100:101], v7, 1
	v_bfi_b32 v22, v22, 0, v20
	v_lshrrev_b64 v[20:21], v5, v[20:21]
	v_bfi_b32 v23, v23, 0, 0
	s_delay_alu instid0(VALU_DEP_1) | instskip(NEXT) | instid1(VALU_DEP_3)
	v_cmp_eq_u64_e64 s13, v[22:23], v[100:101]
	v_mov_b64_e32 v[22:23], v[20:21]
	s_and_saveexec_b32 s75, s13
; %bb.21053:                            ;   in Loop: Header=BB6_19757 Depth=3
	v_bfe_u32 v22, v20, 21, 1
	v_mov_b32_e32 v23, v113
	s_delay_alu instid0(VALU_DEP_1) | instskip(NEXT) | instid1(VALU_DEP_1)
	v_add_nc_u64_e32 v[22:23], v[20:21], v[22:23]
	v_add_nc_u64_e32 v[22:23], -1, v[22:23]
; %bb.21054:                            ;   in Loop: Header=BB6_19757 Depth=3
	s_or_b32 exec_lo, exec_lo, s75
	v_add_nc_u32_e32 v3, 0xffffff81, v3
	v_lshrrev_b32_e32 v7, 23, v20
	s_mov_b32 s13, exec_lo
	v_mov_b32_e32 v21, v113
	s_delay_alu instid0(VALU_DEP_3) | instskip(NEXT) | instid1(VALU_DEP_1)
	v_cndmask_b32_e64 v3, v3, 0xffffff82, vcc_lo
	v_add3_u32 v7, v5, v3, v7
	v_and_b32_e32 v3, 0x1fffff, v22
	s_delay_alu instid0(VALU_DEP_1) | instskip(NEXT) | instid1(VALU_DEP_1)
	v_dual_add_nc_u32 v5, 14, v7 :: v_dual_add_nc_u32 v20, v3, v20
                                        ; implicit-def: $vgpr3
	v_cmpx_ne_u32_e32 0, v5
	s_xor_b32 s13, exec_lo, s13
; %bb.21055:                            ;   in Loop: Header=BB6_19757 Depth=3
	s_delay_alu instid0(VALU_DEP_2) | instskip(SKIP_1) | instid1(VALU_DEP_1)
	v_cmp_lt_u64_e32 vcc_lo, 0xffffff, v[20:21]
	v_add_nc_u32_e32 v3, 15, v7
	v_cndmask_b32_e32 v3, v5, v3, vcc_lo
	v_cndmask_b32_e64 v5, 0, 1, vcc_lo
	s_delay_alu instid0(VALU_DEP_1)
	v_lshrrev_b64 v[20:21], v5, v[20:21]
; %bb.21056:                            ;   in Loop: Header=BB6_19757 Depth=3
	s_and_not1_saveexec_b32 s13, s13
; %bb.21057:                            ;   in Loop: Header=BB6_19757 Depth=3
	s_delay_alu instid0(VALU_DEP_1)
	v_bfe_u32 v3, v20, 23, 1
; %bb.21058:                            ;   in Loop: Header=BB6_19757 Depth=3
	s_or_b32 exec_lo, exec_lo, s13
	s_delay_alu instid0(VALU_DEP_2) | instskip(NEXT) | instid1(VALU_DEP_2)
	v_lshrrev_b64 v[20:21], 21, v[20:21]
	v_cmp_gt_i32_e32 vcc_lo, 32, v3
	v_cmp_ne_u32_e64 s13, 0, v3
                                        ; implicit-def: $vgpr22
	s_delay_alu instid0(VALU_DEP_3) | instskip(NEXT) | instid1(VALU_DEP_1)
	v_dual_cndmask_b32 v21, 0, v21 :: v_dual_cndmask_b32 v20, 3, v20
	v_cmp_ne_u64_e32 vcc_lo, 0, v[20:21]
	s_or_b32 s13, s13, vcc_lo
	s_delay_alu instid0(SALU_CYCLE_1) | instskip(NEXT) | instid1(SALU_CYCLE_1)
	s_and_saveexec_b32 s75, s13
	s_xor_b32 s13, exec_lo, s75
; %bb.21059:                            ;   in Loop: Header=BB6_19757 Depth=3
	v_min_i32_e32 v3, 31, v3
	s_delay_alu instid0(VALU_DEP_1) | instskip(NEXT) | instid1(VALU_DEP_1)
	v_lshl_or_b32 v1, v3, 2, v1
	v_and_or_b32 v22, v20, 3, v1
                                        ; implicit-def: $vgpr1
; %bb.21060:                            ;   in Loop: Header=BB6_19757 Depth=3
	s_and_not1_saveexec_b32 s13, s13
; %bb.21061:                            ;   in Loop: Header=BB6_19757 Depth=3
	v_mov_b32_e32 v22, v1
; %bb.21062:                            ;   in Loop: Header=BB6_19757 Depth=3
	s_or_b32 exec_lo, exec_lo, s13
.LBB6_21063:                            ;   in Loop: Header=BB6_19757 Depth=3
	s_delay_alu instid0(SALU_CYCLE_1)
	s_or_b32 exec_lo, exec_lo, s74
                                        ; implicit-def: $vgpr1
.LBB6_21064:                            ;   in Loop: Header=BB6_19757 Depth=3
	s_and_not1_saveexec_b32 s13, s15
; %bb.21065:                            ;   in Loop: Header=BB6_19757 Depth=3
	v_or_b32_e32 v22, 0x7b, v1
; %bb.21066:                            ;   in Loop: Header=BB6_19757 Depth=3
	s_or_b32 exec_lo, exec_lo, s13
                                        ; implicit-def: $vgpr3
                                        ; implicit-def: $vgpr20_vgpr21
.LBB6_21067:                            ;   in Loop: Header=BB6_19757 Depth=3
	s_and_not1_saveexec_b32 s13, s14
	s_cbranch_execz .LBB6_21073
; %bb.21068:                            ;   in Loop: Header=BB6_19757 Depth=3
	s_mov_b32 s14, exec_lo
                                        ; implicit-def: $vgpr22
	v_cmpx_ne_u64_e32 0, v[20:21]
	s_xor_b32 s14, exec_lo, s14
; %bb.21069:                            ;   in Loop: Header=BB6_19757 Depth=3
	v_lshrrev_b32_e32 v1, 24, v3
                                        ; implicit-def: $vgpr3
	s_delay_alu instid0(VALU_DEP_1)
	v_or_b32_e32 v22, 0x7f, v1
; %bb.21070:                            ;   in Loop: Header=BB6_19757 Depth=3
	s_and_not1_saveexec_b32 s14, s14
; %bb.21071:                            ;   in Loop: Header=BB6_19757 Depth=3
	v_cmp_lt_i32_e32 vcc_lo, -1, v3
	v_cndmask_b32_e64 v22, -4, 0x7c, vcc_lo
; %bb.21072:                            ;   in Loop: Header=BB6_19757 Depth=3
	s_or_b32 exec_lo, exec_lo, s14
.LBB6_21073:                            ;   in Loop: Header=BB6_19757 Depth=3
	s_delay_alu instid0(SALU_CYCLE_1) | instskip(SKIP_3) | instid1(VALU_DEP_2)
	s_or_b32 exec_lo, exec_lo, s13
	v_and_b32_e32 v7, 0xff, v40
	v_dual_mov_b32 v1, 0 :: v_dual_mov_b32 v3, 0
	s_mov_b32 s14, exec_lo
	v_cmpx_ne_u16_e32 0, v7
	s_cbranch_execz .LBB6_21083
; %bb.21074:                            ;   in Loop: Header=BB6_19757 Depth=3
	v_bfrev_b32_e32 v3, 1
	s_mov_b32 s15, exec_lo
	v_cmpx_ne_u16_e32 0x80, v7
	s_cbranch_execz .LBB6_21082
; %bb.21075:                            ;   in Loop: Header=BB6_19757 Depth=3
	v_and_b32_e32 v3, 0x7c, v40
	v_and_b32_e32 v5, 3, v40
	s_delay_alu instid0(VALU_DEP_2) | instskip(SKIP_1) | instid1(SALU_CYCLE_1)
	v_cmp_ne_u32_e32 vcc_lo, 0x7c, v3
                                        ; implicit-def: $vgpr3
	s_and_saveexec_b32 s13, vcc_lo
	s_xor_b32 s13, exec_lo, s13
	s_cbranch_execz .LBB6_21079
; %bb.21076:                            ;   in Loop: Header=BB6_19757 Depth=3
	v_bfe_u32 v3, v7, 2, 5
	s_mov_b32 s74, exec_lo
	s_delay_alu instid0(VALU_DEP_1)
	v_cmpx_eq_u32_e32 0, v3
	s_cbranch_execz .LBB6_21078
; %bb.21077:                            ;   in Loop: Header=BB6_19757 Depth=3
	v_clz_i32_u32_e32 v3, v5
	s_delay_alu instid0(VALU_DEP_1) | instskip(SKIP_1) | instid1(VALU_DEP_2)
	v_min_u32_e32 v3, 32, v3
	v_mov_b32_e32 v41, v113
	v_subrev_nc_u32_e32 v5, 29, v3
	v_sub_nc_u32_e32 v3, 30, v3
	s_delay_alu instid0(VALU_DEP_2) | instskip(NEXT) | instid1(VALU_DEP_1)
	v_lshlrev_b64_e32 v[20:21], v5, v[40:41]
	v_and_b32_e32 v5, 3, v20
.LBB6_21078:                            ;   in Loop: Header=BB6_19757 Depth=3
	s_or_b32 exec_lo, exec_lo, s74
	v_lshlrev_b32_e32 v7, 24, v40
                                        ; implicit-def: $vgpr40
	s_delay_alu instid0(VALU_DEP_1) | instskip(NEXT) | instid1(VALU_DEP_1)
	v_and_b32_e32 v7, 0x80000000, v7
	v_lshl_add_u32 v3, v3, 23, v7
	s_delay_alu instid0(VALU_DEP_1) | instskip(NEXT) | instid1(VALU_DEP_1)
	v_lshl_or_b32 v3, v5, 21, v3
                                        ; implicit-def: $vgpr5
	v_add_nc_u32_e32 v3, 0x38000000, v3
.LBB6_21079:                            ;   in Loop: Header=BB6_19757 Depth=3
	s_and_not1_saveexec_b32 s74, s13
; %bb.21080:                            ;   in Loop: Header=BB6_19757 Depth=3
	v_bfe_i32 v3, v40, 0, 8
	v_cmp_eq_u32_e32 vcc_lo, 0, v5
	s_delay_alu instid0(VALU_DEP_2) | instskip(SKIP_1) | instid1(VALU_DEP_1)
	v_cmp_lt_i16_e64 s13, -1, v3
	v_mov_b32_e32 v3, 0x7f800000
	v_cndmask_b32_e64 v3, 0xff800000, v3, s13
	s_delay_alu instid0(VALU_DEP_1)
	v_cndmask_b32_e32 v3, 0x7f800001, v3, vcc_lo
; %bb.21081:                            ;   in Loop: Header=BB6_19757 Depth=3
	s_or_b32 exec_lo, exec_lo, s74
.LBB6_21082:                            ;   in Loop: Header=BB6_19757 Depth=3
	s_delay_alu instid0(SALU_CYCLE_1)
	s_or_b32 exec_lo, exec_lo, s15
.LBB6_21083:                            ;   in Loop: Header=BB6_19757 Depth=3
	s_delay_alu instid0(SALU_CYCLE_1) | instskip(NEXT) | instid1(SALU_CYCLE_1)
	s_or_b32 exec_lo, exec_lo, s14
	s_mov_b32 s14, exec_lo
	s_wait_loadcnt_dscnt 0x1a1a
	v_cmpx_ne_u16_e32 0, v16
	s_cbranch_execz .LBB6_21093
; %bb.21084:                            ;   in Loop: Header=BB6_19757 Depth=3
	v_bfrev_b32_e32 v1, 1
	s_mov_b32 s15, exec_lo
	v_cmpx_ne_u16_e32 0xff80, v16
	s_cbranch_execz .LBB6_21092
; %bb.21085:                            ;   in Loop: Header=BB6_19757 Depth=3
	v_and_b32_e32 v1, 0x7c, v16
	v_and_b32_e32 v5, 3, v16
	s_delay_alu instid0(VALU_DEP_2) | instskip(SKIP_1) | instid1(SALU_CYCLE_1)
	v_cmp_ne_u32_e32 vcc_lo, 0x7c, v1
                                        ; implicit-def: $vgpr1
	s_and_saveexec_b32 s13, vcc_lo
	s_xor_b32 s13, exec_lo, s13
	s_cbranch_execz .LBB6_21089
; %bb.21086:                            ;   in Loop: Header=BB6_19757 Depth=3
	v_and_b32_e32 v1, 0xff, v16
	s_mov_b32 s74, exec_lo
	s_delay_alu instid0(VALU_DEP_1) | instskip(NEXT) | instid1(VALU_DEP_1)
	v_bfe_u32 v1, v1, 2, 5
	v_cmpx_eq_u32_e32 0, v1
	s_cbranch_execz .LBB6_21088
; %bb.21087:                            ;   in Loop: Header=BB6_19757 Depth=3
	v_clz_i32_u32_e32 v1, v5
	s_delay_alu instid0(VALU_DEP_1) | instskip(SKIP_1) | instid1(VALU_DEP_2)
	v_min_u32_e32 v1, 32, v1
	v_mov_b32_e32 v17, v113
	v_subrev_nc_u32_e32 v5, 29, v1
	v_sub_nc_u32_e32 v1, 30, v1
	s_delay_alu instid0(VALU_DEP_2) | instskip(NEXT) | instid1(VALU_DEP_1)
	v_lshlrev_b64_e32 v[20:21], v5, v[16:17]
	v_and_b32_e32 v5, 3, v20
.LBB6_21088:                            ;   in Loop: Header=BB6_19757 Depth=3
	s_or_b32 exec_lo, exec_lo, s74
	v_bfe_i32 v7, v16, 0, 16
                                        ; implicit-def: $vgpr16
	s_delay_alu instid0(VALU_DEP_1) | instskip(NEXT) | instid1(VALU_DEP_1)
	v_and_b32_e32 v7, 0x80000000, v7
	v_lshl_add_u32 v1, v1, 23, v7
	s_delay_alu instid0(VALU_DEP_1) | instskip(NEXT) | instid1(VALU_DEP_1)
	v_lshl_or_b32 v1, v5, 21, v1
                                        ; implicit-def: $vgpr5
	v_add_nc_u32_e32 v1, 0x38000000, v1
.LBB6_21089:                            ;   in Loop: Header=BB6_19757 Depth=3
	s_and_not1_saveexec_b32 s74, s13
; %bb.21090:                            ;   in Loop: Header=BB6_19757 Depth=3
	v_cmp_lt_i16_e64 s13, -1, v16
	v_mov_b32_e32 v1, 0x7f800000
	v_cmp_eq_u32_e32 vcc_lo, 0, v5
	s_delay_alu instid0(VALU_DEP_2) | instskip(NEXT) | instid1(VALU_DEP_1)
	v_cndmask_b32_e64 v1, 0xff800000, v1, s13
	v_cndmask_b32_e32 v1, 0x7f800001, v1, vcc_lo
; %bb.21091:                            ;   in Loop: Header=BB6_19757 Depth=3
	s_or_b32 exec_lo, exec_lo, s74
.LBB6_21092:                            ;   in Loop: Header=BB6_19757 Depth=3
	s_delay_alu instid0(SALU_CYCLE_1)
	s_or_b32 exec_lo, exec_lo, s15
.LBB6_21093:                            ;   in Loop: Header=BB6_19757 Depth=3
	s_delay_alu instid0(SALU_CYCLE_1) | instskip(NEXT) | instid1(VALU_DEP_1)
	s_or_b32 exec_lo, exec_lo, s14
	v_dual_add_f32 v3, v3, v1 :: v_dual_mov_b32 v17, v113
                                        ; implicit-def: $vgpr23
	s_delay_alu instid0(VALU_DEP_1) | instskip(NEXT) | instid1(VALU_DEP_1)
	v_and_b32_e32 v16, 0x7f800000, v3
	v_cmp_ne_u64_e32 vcc_lo, 0x7f800000, v[16:17]
	v_and_b32_e32 v16, 0x7fffff, v3
	s_and_saveexec_b32 s13, vcc_lo
	s_delay_alu instid0(SALU_CYCLE_1)
	s_xor_b32 s14, exec_lo, s13
	s_cbranch_execz .LBB6_21111
; %bb.21094:                            ;   in Loop: Header=BB6_19757 Depth=3
	v_dual_mov_b32 v21, v113 :: v_dual_lshrrev_b32 v1, 24, v3
	v_and_b32_e32 v20, 0x7fffffff, v3
                                        ; implicit-def: $vgpr23
	s_mov_b32 s13, exec_lo
	s_delay_alu instid0(VALU_DEP_2) | instskip(NEXT) | instid1(VALU_DEP_2)
	v_and_b32_e32 v1, 0x80, v1
	v_cmpx_gt_u64_e32 0x47600001, v[20:21]
	s_xor_b32 s15, exec_lo, s13
	s_cbranch_execz .LBB6_21108
; %bb.21095:                            ;   in Loop: Header=BB6_19757 Depth=3
	v_mov_b32_e32 v23, 0
	s_mov_b32 s74, exec_lo
	v_cmpx_ne_u32_e32 0, v3
	s_cbranch_execz .LBB6_21107
; %bb.21096:                            ;   in Loop: Header=BB6_19757 Depth=3
	v_bfe_u32 v3, v3, 23, 8
	v_or_b32_e32 v7, 0x800000, v16
	s_delay_alu instid0(VALU_DEP_2) | instskip(SKIP_1) | instid1(VALU_DEP_3)
	v_cmp_eq_u32_e32 vcc_lo, 0, v3
	v_cmp_gt_u32_e64 s13, 0x72, v3
	v_dual_cndmask_b32 v16, v7, v16 :: v_dual_sub_nc_u32 v5, 0x71, v3
	s_delay_alu instid0(VALU_DEP_1) | instskip(NEXT) | instid1(VALU_DEP_1)
	v_cndmask_b32_e64 v5, 0, v5, s13
	v_cndmask_b32_e64 v5, v5, 0x70, vcc_lo
	s_delay_alu instid0(VALU_DEP_1) | instskip(NEXT) | instid1(VALU_DEP_1)
	v_add_nc_u32_e32 v7, 21, v5
	v_lshlrev_b64_e64 v[20:21], v7, -1
	v_add_nc_u32_e32 v7, 20, v5
	s_delay_alu instid0(VALU_DEP_1) | instskip(NEXT) | instid1(VALU_DEP_3)
	v_lshlrev_b64_e64 v[100:101], v7, 1
	v_bfi_b32 v20, v20, 0, v16
	v_lshrrev_b64 v[16:17], v5, v[16:17]
	v_bfi_b32 v21, v21, 0, 0
	s_delay_alu instid0(VALU_DEP_1) | instskip(NEXT) | instid1(VALU_DEP_3)
	v_cmp_eq_u64_e64 s13, v[20:21], v[100:101]
	v_mov_b64_e32 v[20:21], v[16:17]
	s_and_saveexec_b32 s75, s13
; %bb.21097:                            ;   in Loop: Header=BB6_19757 Depth=3
	v_bfe_u32 v20, v16, 21, 1
	v_mov_b32_e32 v21, v113
	s_delay_alu instid0(VALU_DEP_1) | instskip(NEXT) | instid1(VALU_DEP_1)
	v_add_nc_u64_e32 v[20:21], v[16:17], v[20:21]
	v_add_nc_u64_e32 v[20:21], -1, v[20:21]
; %bb.21098:                            ;   in Loop: Header=BB6_19757 Depth=3
	s_or_b32 exec_lo, exec_lo, s75
	v_add_nc_u32_e32 v3, 0xffffff81, v3
	v_lshrrev_b32_e32 v7, 23, v16
	s_mov_b32 s13, exec_lo
	v_mov_b32_e32 v17, v113
	s_delay_alu instid0(VALU_DEP_3) | instskip(NEXT) | instid1(VALU_DEP_1)
	v_cndmask_b32_e64 v3, v3, 0xffffff82, vcc_lo
	v_add3_u32 v7, v5, v3, v7
	v_and_b32_e32 v3, 0x1fffff, v20
	s_delay_alu instid0(VALU_DEP_1) | instskip(NEXT) | instid1(VALU_DEP_1)
	v_dual_add_nc_u32 v5, 14, v7 :: v_dual_add_nc_u32 v16, v3, v16
                                        ; implicit-def: $vgpr3
	v_cmpx_ne_u32_e32 0, v5
	s_xor_b32 s13, exec_lo, s13
; %bb.21099:                            ;   in Loop: Header=BB6_19757 Depth=3
	s_delay_alu instid0(VALU_DEP_2) | instskip(SKIP_1) | instid1(VALU_DEP_1)
	v_cmp_lt_u64_e32 vcc_lo, 0xffffff, v[16:17]
	v_add_nc_u32_e32 v3, 15, v7
	v_cndmask_b32_e32 v3, v5, v3, vcc_lo
	v_cndmask_b32_e64 v5, 0, 1, vcc_lo
	s_delay_alu instid0(VALU_DEP_1)
	v_lshrrev_b64 v[16:17], v5, v[16:17]
; %bb.21100:                            ;   in Loop: Header=BB6_19757 Depth=3
	s_and_not1_saveexec_b32 s13, s13
; %bb.21101:                            ;   in Loop: Header=BB6_19757 Depth=3
	s_delay_alu instid0(VALU_DEP_1)
	v_bfe_u32 v3, v16, 23, 1
; %bb.21102:                            ;   in Loop: Header=BB6_19757 Depth=3
	s_or_b32 exec_lo, exec_lo, s13
	s_delay_alu instid0(VALU_DEP_2) | instskip(NEXT) | instid1(VALU_DEP_2)
	v_lshrrev_b64 v[16:17], 21, v[16:17]
	v_cmp_gt_i32_e32 vcc_lo, 32, v3
	v_cmp_ne_u32_e64 s13, 0, v3
                                        ; implicit-def: $vgpr23
	s_delay_alu instid0(VALU_DEP_3) | instskip(NEXT) | instid1(VALU_DEP_1)
	v_dual_cndmask_b32 v17, 0, v17 :: v_dual_cndmask_b32 v16, 3, v16
	v_cmp_ne_u64_e32 vcc_lo, 0, v[16:17]
	s_or_b32 s13, s13, vcc_lo
	s_delay_alu instid0(SALU_CYCLE_1) | instskip(NEXT) | instid1(SALU_CYCLE_1)
	s_and_saveexec_b32 s75, s13
	s_xor_b32 s13, exec_lo, s75
; %bb.21103:                            ;   in Loop: Header=BB6_19757 Depth=3
	v_min_i32_e32 v3, 31, v3
	s_delay_alu instid0(VALU_DEP_1) | instskip(NEXT) | instid1(VALU_DEP_1)
	v_lshl_or_b32 v1, v3, 2, v1
	v_and_or_b32 v23, v16, 3, v1
                                        ; implicit-def: $vgpr1
; %bb.21104:                            ;   in Loop: Header=BB6_19757 Depth=3
	s_and_not1_saveexec_b32 s13, s13
; %bb.21105:                            ;   in Loop: Header=BB6_19757 Depth=3
	v_mov_b32_e32 v23, v1
; %bb.21106:                            ;   in Loop: Header=BB6_19757 Depth=3
	s_or_b32 exec_lo, exec_lo, s13
.LBB6_21107:                            ;   in Loop: Header=BB6_19757 Depth=3
	s_delay_alu instid0(SALU_CYCLE_1)
	s_or_b32 exec_lo, exec_lo, s74
                                        ; implicit-def: $vgpr1
.LBB6_21108:                            ;   in Loop: Header=BB6_19757 Depth=3
	s_and_not1_saveexec_b32 s13, s15
; %bb.21109:                            ;   in Loop: Header=BB6_19757 Depth=3
	v_or_b32_e32 v23, 0x7b, v1
; %bb.21110:                            ;   in Loop: Header=BB6_19757 Depth=3
	s_or_b32 exec_lo, exec_lo, s13
                                        ; implicit-def: $vgpr3
                                        ; implicit-def: $vgpr16_vgpr17
.LBB6_21111:                            ;   in Loop: Header=BB6_19757 Depth=3
	s_and_not1_saveexec_b32 s13, s14
	s_cbranch_execz .LBB6_21117
; %bb.21112:                            ;   in Loop: Header=BB6_19757 Depth=3
	s_mov_b32 s14, exec_lo
                                        ; implicit-def: $vgpr23
	v_cmpx_ne_u64_e32 0, v[16:17]
	s_xor_b32 s14, exec_lo, s14
; %bb.21113:                            ;   in Loop: Header=BB6_19757 Depth=3
	v_lshrrev_b32_e32 v1, 24, v3
                                        ; implicit-def: $vgpr3
	s_delay_alu instid0(VALU_DEP_1)
	v_or_b32_e32 v23, 0x7f, v1
; %bb.21114:                            ;   in Loop: Header=BB6_19757 Depth=3
	s_and_not1_saveexec_b32 s14, s14
; %bb.21115:                            ;   in Loop: Header=BB6_19757 Depth=3
	v_cmp_lt_i32_e32 vcc_lo, -1, v3
	v_cndmask_b32_e64 v23, -4, 0x7c, vcc_lo
; %bb.21116:                            ;   in Loop: Header=BB6_19757 Depth=3
	s_or_b32 exec_lo, exec_lo, s14
.LBB6_21117:                            ;   in Loop: Header=BB6_19757 Depth=3
	s_delay_alu instid0(SALU_CYCLE_1) | instskip(SKIP_3) | instid1(VALU_DEP_2)
	s_or_b32 exec_lo, exec_lo, s13
	v_and_b32_e32 v7, 0xff, v114
	v_dual_mov_b32 v1, 0 :: v_dual_mov_b32 v3, 0
	s_mov_b32 s14, exec_lo
	v_cmpx_ne_u16_e32 0, v7
	s_cbranch_execz .LBB6_21127
; %bb.21118:                            ;   in Loop: Header=BB6_19757 Depth=3
	v_bfrev_b32_e32 v3, 1
	s_mov_b32 s15, exec_lo
	v_cmpx_ne_u16_e32 0x80, v7
	s_cbranch_execz .LBB6_21126
; %bb.21119:                            ;   in Loop: Header=BB6_19757 Depth=3
	v_and_b32_e32 v3, 0x7c, v114
	v_and_b32_e32 v5, 3, v114
	s_delay_alu instid0(VALU_DEP_2) | instskip(SKIP_1) | instid1(SALU_CYCLE_1)
	v_cmp_ne_u32_e32 vcc_lo, 0x7c, v3
                                        ; implicit-def: $vgpr3
	s_and_saveexec_b32 s13, vcc_lo
	s_xor_b32 s13, exec_lo, s13
	s_cbranch_execz .LBB6_21123
; %bb.21120:                            ;   in Loop: Header=BB6_19757 Depth=3
	v_bfe_u32 v3, v7, 2, 5
	s_mov_b32 s74, exec_lo
	s_delay_alu instid0(VALU_DEP_1)
	v_cmpx_eq_u32_e32 0, v3
	s_cbranch_execz .LBB6_21122
; %bb.21121:                            ;   in Loop: Header=BB6_19757 Depth=3
	v_clz_i32_u32_e32 v3, v5
	s_delay_alu instid0(VALU_DEP_1) | instskip(SKIP_1) | instid1(VALU_DEP_2)
	v_min_u32_e32 v3, 32, v3
	v_mov_b32_e32 v115, v113
	v_subrev_nc_u32_e32 v5, 29, v3
	v_sub_nc_u32_e32 v3, 30, v3
	s_delay_alu instid0(VALU_DEP_2) | instskip(NEXT) | instid1(VALU_DEP_1)
	v_lshlrev_b64_e32 v[16:17], v5, v[114:115]
	v_and_b32_e32 v5, 3, v16
.LBB6_21122:                            ;   in Loop: Header=BB6_19757 Depth=3
	s_or_b32 exec_lo, exec_lo, s74
	v_lshlrev_b32_e32 v7, 24, v114
                                        ; implicit-def: $vgpr114
	s_delay_alu instid0(VALU_DEP_1) | instskip(NEXT) | instid1(VALU_DEP_1)
	v_and_b32_e32 v7, 0x80000000, v7
	v_lshl_add_u32 v3, v3, 23, v7
	s_delay_alu instid0(VALU_DEP_1) | instskip(NEXT) | instid1(VALU_DEP_1)
	v_lshl_or_b32 v3, v5, 21, v3
                                        ; implicit-def: $vgpr5
	v_add_nc_u32_e32 v3, 0x38000000, v3
.LBB6_21123:                            ;   in Loop: Header=BB6_19757 Depth=3
	s_and_not1_saveexec_b32 s74, s13
; %bb.21124:                            ;   in Loop: Header=BB6_19757 Depth=3
	v_bfe_i32 v3, v114, 0, 8
	v_cmp_eq_u32_e32 vcc_lo, 0, v5
	s_delay_alu instid0(VALU_DEP_2) | instskip(SKIP_1) | instid1(VALU_DEP_1)
	v_cmp_lt_i16_e64 s13, -1, v3
	v_mov_b32_e32 v3, 0x7f800000
	v_cndmask_b32_e64 v3, 0xff800000, v3, s13
	s_delay_alu instid0(VALU_DEP_1)
	v_cndmask_b32_e32 v3, 0x7f800001, v3, vcc_lo
; %bb.21125:                            ;   in Loop: Header=BB6_19757 Depth=3
	s_or_b32 exec_lo, exec_lo, s74
.LBB6_21126:                            ;   in Loop: Header=BB6_19757 Depth=3
	s_delay_alu instid0(SALU_CYCLE_1)
	s_or_b32 exec_lo, exec_lo, s15
.LBB6_21127:                            ;   in Loop: Header=BB6_19757 Depth=3
	s_delay_alu instid0(SALU_CYCLE_1) | instskip(NEXT) | instid1(SALU_CYCLE_1)
	s_or_b32 exec_lo, exec_lo, s14
	s_mov_b32 s14, exec_lo
	s_wait_loadcnt_dscnt 0x1919
	v_cmpx_ne_u16_e32 0, v50
	s_cbranch_execz .LBB6_21137
; %bb.21128:                            ;   in Loop: Header=BB6_19757 Depth=3
	v_bfrev_b32_e32 v1, 1
	s_mov_b32 s15, exec_lo
	v_cmpx_ne_u16_e32 0xff80, v50
	s_cbranch_execz .LBB6_21136
; %bb.21129:                            ;   in Loop: Header=BB6_19757 Depth=3
	v_and_b32_e32 v1, 0x7c, v50
	v_and_b32_e32 v5, 3, v50
	s_delay_alu instid0(VALU_DEP_2) | instskip(SKIP_1) | instid1(SALU_CYCLE_1)
	v_cmp_ne_u32_e32 vcc_lo, 0x7c, v1
                                        ; implicit-def: $vgpr1
	s_and_saveexec_b32 s13, vcc_lo
	s_xor_b32 s13, exec_lo, s13
	s_cbranch_execz .LBB6_21133
; %bb.21130:                            ;   in Loop: Header=BB6_19757 Depth=3
	v_and_b32_e32 v1, 0xff, v50
	s_mov_b32 s74, exec_lo
	s_delay_alu instid0(VALU_DEP_1) | instskip(NEXT) | instid1(VALU_DEP_1)
	v_bfe_u32 v1, v1, 2, 5
	v_cmpx_eq_u32_e32 0, v1
	s_cbranch_execz .LBB6_21132
; %bb.21131:                            ;   in Loop: Header=BB6_19757 Depth=3
	v_clz_i32_u32_e32 v1, v5
	s_delay_alu instid0(VALU_DEP_1) | instskip(SKIP_1) | instid1(VALU_DEP_2)
	v_min_u32_e32 v1, 32, v1
	v_mov_b32_e32 v51, v113
	v_subrev_nc_u32_e32 v5, 29, v1
	v_sub_nc_u32_e32 v1, 30, v1
	s_delay_alu instid0(VALU_DEP_2) | instskip(NEXT) | instid1(VALU_DEP_1)
	v_lshlrev_b64_e32 v[16:17], v5, v[50:51]
	v_and_b32_e32 v5, 3, v16
.LBB6_21132:                            ;   in Loop: Header=BB6_19757 Depth=3
	s_or_b32 exec_lo, exec_lo, s74
	v_bfe_i32 v7, v50, 0, 16
                                        ; implicit-def: $vgpr50
	s_delay_alu instid0(VALU_DEP_1) | instskip(NEXT) | instid1(VALU_DEP_1)
	v_and_b32_e32 v7, 0x80000000, v7
	v_lshl_add_u32 v1, v1, 23, v7
	s_delay_alu instid0(VALU_DEP_1) | instskip(NEXT) | instid1(VALU_DEP_1)
	v_lshl_or_b32 v1, v5, 21, v1
                                        ; implicit-def: $vgpr5
	v_add_nc_u32_e32 v1, 0x38000000, v1
.LBB6_21133:                            ;   in Loop: Header=BB6_19757 Depth=3
	s_and_not1_saveexec_b32 s74, s13
; %bb.21134:                            ;   in Loop: Header=BB6_19757 Depth=3
	v_cmp_lt_i16_e64 s13, -1, v50
	v_mov_b32_e32 v1, 0x7f800000
	v_cmp_eq_u32_e32 vcc_lo, 0, v5
	s_delay_alu instid0(VALU_DEP_2) | instskip(NEXT) | instid1(VALU_DEP_1)
	v_cndmask_b32_e64 v1, 0xff800000, v1, s13
	v_cndmask_b32_e32 v1, 0x7f800001, v1, vcc_lo
; %bb.21135:                            ;   in Loop: Header=BB6_19757 Depth=3
	s_or_b32 exec_lo, exec_lo, s74
.LBB6_21136:                            ;   in Loop: Header=BB6_19757 Depth=3
	s_delay_alu instid0(SALU_CYCLE_1)
	s_or_b32 exec_lo, exec_lo, s15
.LBB6_21137:                            ;   in Loop: Header=BB6_19757 Depth=3
	s_delay_alu instid0(SALU_CYCLE_1) | instskip(NEXT) | instid1(VALU_DEP_1)
	s_or_b32 exec_lo, exec_lo, s14
	v_dual_add_f32 v3, v3, v1 :: v_dual_mov_b32 v17, v113
                                        ; implicit-def: $vgpr35
	s_delay_alu instid0(VALU_DEP_1) | instskip(NEXT) | instid1(VALU_DEP_1)
	v_and_b32_e32 v16, 0x7f800000, v3
	v_cmp_ne_u64_e32 vcc_lo, 0x7f800000, v[16:17]
	v_and_b32_e32 v16, 0x7fffff, v3
	s_and_saveexec_b32 s13, vcc_lo
	s_delay_alu instid0(SALU_CYCLE_1)
	s_xor_b32 s14, exec_lo, s13
	s_cbranch_execz .LBB6_21155
; %bb.21138:                            ;   in Loop: Header=BB6_19757 Depth=3
	v_dual_mov_b32 v21, v113 :: v_dual_lshrrev_b32 v1, 24, v3
	v_and_b32_e32 v20, 0x7fffffff, v3
                                        ; implicit-def: $vgpr35
	s_mov_b32 s13, exec_lo
	s_delay_alu instid0(VALU_DEP_2) | instskip(NEXT) | instid1(VALU_DEP_2)
	v_and_b32_e32 v1, 0x80, v1
	v_cmpx_gt_u64_e32 0x47600001, v[20:21]
	s_xor_b32 s15, exec_lo, s13
	s_cbranch_execz .LBB6_21152
; %bb.21139:                            ;   in Loop: Header=BB6_19757 Depth=3
	v_mov_b32_e32 v35, 0
	s_mov_b32 s74, exec_lo
	v_cmpx_ne_u32_e32 0, v3
	s_cbranch_execz .LBB6_21151
; %bb.21140:                            ;   in Loop: Header=BB6_19757 Depth=3
	v_bfe_u32 v3, v3, 23, 8
	v_or_b32_e32 v7, 0x800000, v16
	s_delay_alu instid0(VALU_DEP_2) | instskip(SKIP_1) | instid1(VALU_DEP_3)
	v_cmp_eq_u32_e32 vcc_lo, 0, v3
	v_cmp_gt_u32_e64 s13, 0x72, v3
	v_dual_cndmask_b32 v16, v7, v16 :: v_dual_sub_nc_u32 v5, 0x71, v3
	s_delay_alu instid0(VALU_DEP_1) | instskip(NEXT) | instid1(VALU_DEP_1)
	v_cndmask_b32_e64 v5, 0, v5, s13
	v_cndmask_b32_e64 v5, v5, 0x70, vcc_lo
	s_delay_alu instid0(VALU_DEP_1) | instskip(NEXT) | instid1(VALU_DEP_1)
	v_add_nc_u32_e32 v7, 21, v5
	v_lshlrev_b64_e64 v[20:21], v7, -1
	v_add_nc_u32_e32 v7, 20, v5
	s_delay_alu instid0(VALU_DEP_1) | instskip(NEXT) | instid1(VALU_DEP_3)
	v_lshlrev_b64_e64 v[50:51], v7, 1
	v_bfi_b32 v20, v20, 0, v16
	v_lshrrev_b64 v[16:17], v5, v[16:17]
	v_bfi_b32 v21, v21, 0, 0
	s_delay_alu instid0(VALU_DEP_1) | instskip(NEXT) | instid1(VALU_DEP_3)
	v_cmp_eq_u64_e64 s13, v[20:21], v[50:51]
	v_mov_b64_e32 v[20:21], v[16:17]
	s_and_saveexec_b32 s75, s13
; %bb.21141:                            ;   in Loop: Header=BB6_19757 Depth=3
	v_bfe_u32 v20, v16, 21, 1
	v_mov_b32_e32 v21, v113
	s_delay_alu instid0(VALU_DEP_1) | instskip(NEXT) | instid1(VALU_DEP_1)
	v_add_nc_u64_e32 v[20:21], v[16:17], v[20:21]
	v_add_nc_u64_e32 v[20:21], -1, v[20:21]
; %bb.21142:                            ;   in Loop: Header=BB6_19757 Depth=3
	s_or_b32 exec_lo, exec_lo, s75
	v_add_nc_u32_e32 v3, 0xffffff81, v3
	v_lshrrev_b32_e32 v7, 23, v16
	s_mov_b32 s13, exec_lo
	v_mov_b32_e32 v17, v113
	s_delay_alu instid0(VALU_DEP_3) | instskip(NEXT) | instid1(VALU_DEP_1)
	v_cndmask_b32_e64 v3, v3, 0xffffff82, vcc_lo
	v_add3_u32 v7, v5, v3, v7
	v_and_b32_e32 v3, 0x1fffff, v20
	s_delay_alu instid0(VALU_DEP_1) | instskip(NEXT) | instid1(VALU_DEP_1)
	v_dual_add_nc_u32 v5, 14, v7 :: v_dual_add_nc_u32 v16, v3, v16
                                        ; implicit-def: $vgpr3
	v_cmpx_ne_u32_e32 0, v5
	s_xor_b32 s13, exec_lo, s13
; %bb.21143:                            ;   in Loop: Header=BB6_19757 Depth=3
	s_delay_alu instid0(VALU_DEP_2) | instskip(SKIP_1) | instid1(VALU_DEP_1)
	v_cmp_lt_u64_e32 vcc_lo, 0xffffff, v[16:17]
	v_add_nc_u32_e32 v3, 15, v7
	v_cndmask_b32_e32 v3, v5, v3, vcc_lo
	v_cndmask_b32_e64 v5, 0, 1, vcc_lo
	s_delay_alu instid0(VALU_DEP_1)
	v_lshrrev_b64 v[16:17], v5, v[16:17]
; %bb.21144:                            ;   in Loop: Header=BB6_19757 Depth=3
	s_and_not1_saveexec_b32 s13, s13
; %bb.21145:                            ;   in Loop: Header=BB6_19757 Depth=3
	s_delay_alu instid0(VALU_DEP_1)
	v_bfe_u32 v3, v16, 23, 1
; %bb.21146:                            ;   in Loop: Header=BB6_19757 Depth=3
	s_or_b32 exec_lo, exec_lo, s13
	s_delay_alu instid0(VALU_DEP_2) | instskip(NEXT) | instid1(VALU_DEP_2)
	v_lshrrev_b64 v[16:17], 21, v[16:17]
	v_cmp_gt_i32_e32 vcc_lo, 32, v3
	v_cmp_ne_u32_e64 s13, 0, v3
                                        ; implicit-def: $vgpr35
	s_delay_alu instid0(VALU_DEP_3) | instskip(NEXT) | instid1(VALU_DEP_1)
	v_dual_cndmask_b32 v17, 0, v17 :: v_dual_cndmask_b32 v16, 3, v16
	v_cmp_ne_u64_e32 vcc_lo, 0, v[16:17]
	s_or_b32 s13, s13, vcc_lo
	s_delay_alu instid0(SALU_CYCLE_1) | instskip(NEXT) | instid1(SALU_CYCLE_1)
	s_and_saveexec_b32 s75, s13
	s_xor_b32 s13, exec_lo, s75
; %bb.21147:                            ;   in Loop: Header=BB6_19757 Depth=3
	v_min_i32_e32 v3, 31, v3
	s_delay_alu instid0(VALU_DEP_1) | instskip(NEXT) | instid1(VALU_DEP_1)
	v_lshl_or_b32 v1, v3, 2, v1
	v_and_or_b32 v35, v16, 3, v1
                                        ; implicit-def: $vgpr1
; %bb.21148:                            ;   in Loop: Header=BB6_19757 Depth=3
	s_and_not1_saveexec_b32 s13, s13
; %bb.21149:                            ;   in Loop: Header=BB6_19757 Depth=3
	v_mov_b32_e32 v35, v1
; %bb.21150:                            ;   in Loop: Header=BB6_19757 Depth=3
	s_or_b32 exec_lo, exec_lo, s13
.LBB6_21151:                            ;   in Loop: Header=BB6_19757 Depth=3
	s_delay_alu instid0(SALU_CYCLE_1)
	s_or_b32 exec_lo, exec_lo, s74
                                        ; implicit-def: $vgpr1
.LBB6_21152:                            ;   in Loop: Header=BB6_19757 Depth=3
	s_and_not1_saveexec_b32 s13, s15
; %bb.21153:                            ;   in Loop: Header=BB6_19757 Depth=3
	v_or_b32_e32 v35, 0x7b, v1
; %bb.21154:                            ;   in Loop: Header=BB6_19757 Depth=3
	s_or_b32 exec_lo, exec_lo, s13
                                        ; implicit-def: $vgpr3
                                        ; implicit-def: $vgpr16_vgpr17
.LBB6_21155:                            ;   in Loop: Header=BB6_19757 Depth=3
	s_and_not1_saveexec_b32 s13, s14
	s_cbranch_execz .LBB6_21161
; %bb.21156:                            ;   in Loop: Header=BB6_19757 Depth=3
	s_mov_b32 s14, exec_lo
                                        ; implicit-def: $vgpr35
	v_cmpx_ne_u64_e32 0, v[16:17]
	s_xor_b32 s14, exec_lo, s14
; %bb.21157:                            ;   in Loop: Header=BB6_19757 Depth=3
	v_lshrrev_b32_e32 v1, 24, v3
                                        ; implicit-def: $vgpr3
	s_delay_alu instid0(VALU_DEP_1)
	v_or_b32_e32 v35, 0x7f, v1
; %bb.21158:                            ;   in Loop: Header=BB6_19757 Depth=3
	s_and_not1_saveexec_b32 s14, s14
; %bb.21159:                            ;   in Loop: Header=BB6_19757 Depth=3
	v_cmp_lt_i32_e32 vcc_lo, -1, v3
	v_cndmask_b32_e64 v35, -4, 0x7c, vcc_lo
; %bb.21160:                            ;   in Loop: Header=BB6_19757 Depth=3
	s_or_b32 exec_lo, exec_lo, s14
.LBB6_21161:                            ;   in Loop: Header=BB6_19757 Depth=3
	s_delay_alu instid0(SALU_CYCLE_1) | instskip(SKIP_3) | instid1(VALU_DEP_2)
	s_or_b32 exec_lo, exec_lo, s13
	v_and_b32_e32 v7, 0xff, v58
	v_dual_mov_b32 v1, 0 :: v_dual_mov_b32 v3, 0
	s_mov_b32 s14, exec_lo
	v_cmpx_ne_u16_e32 0, v7
	s_cbranch_execz .LBB6_21171
; %bb.21162:                            ;   in Loop: Header=BB6_19757 Depth=3
	v_bfrev_b32_e32 v3, 1
	s_mov_b32 s15, exec_lo
	v_cmpx_ne_u16_e32 0x80, v7
	s_cbranch_execz .LBB6_21170
; %bb.21163:                            ;   in Loop: Header=BB6_19757 Depth=3
	v_and_b32_e32 v3, 0x7c, v58
	v_and_b32_e32 v5, 3, v58
	s_delay_alu instid0(VALU_DEP_2) | instskip(SKIP_1) | instid1(SALU_CYCLE_1)
	v_cmp_ne_u32_e32 vcc_lo, 0x7c, v3
                                        ; implicit-def: $vgpr3
	s_and_saveexec_b32 s13, vcc_lo
	s_xor_b32 s13, exec_lo, s13
	s_cbranch_execz .LBB6_21167
; %bb.21164:                            ;   in Loop: Header=BB6_19757 Depth=3
	v_bfe_u32 v3, v7, 2, 5
	s_mov_b32 s74, exec_lo
	s_delay_alu instid0(VALU_DEP_1)
	v_cmpx_eq_u32_e32 0, v3
	s_cbranch_execz .LBB6_21166
; %bb.21165:                            ;   in Loop: Header=BB6_19757 Depth=3
	v_clz_i32_u32_e32 v3, v5
	s_delay_alu instid0(VALU_DEP_1) | instskip(SKIP_1) | instid1(VALU_DEP_2)
	v_min_u32_e32 v3, 32, v3
	v_mov_b32_e32 v59, v113
	v_subrev_nc_u32_e32 v5, 29, v3
	v_sub_nc_u32_e32 v3, 30, v3
	s_delay_alu instid0(VALU_DEP_2) | instskip(NEXT) | instid1(VALU_DEP_1)
	v_lshlrev_b64_e32 v[16:17], v5, v[58:59]
	v_and_b32_e32 v5, 3, v16
.LBB6_21166:                            ;   in Loop: Header=BB6_19757 Depth=3
	s_or_b32 exec_lo, exec_lo, s74
	v_lshlrev_b32_e32 v7, 24, v58
                                        ; implicit-def: $vgpr58
	s_delay_alu instid0(VALU_DEP_1) | instskip(NEXT) | instid1(VALU_DEP_1)
	v_and_b32_e32 v7, 0x80000000, v7
	v_lshl_add_u32 v3, v3, 23, v7
	s_delay_alu instid0(VALU_DEP_1) | instskip(NEXT) | instid1(VALU_DEP_1)
	v_lshl_or_b32 v3, v5, 21, v3
                                        ; implicit-def: $vgpr5
	v_add_nc_u32_e32 v3, 0x38000000, v3
.LBB6_21167:                            ;   in Loop: Header=BB6_19757 Depth=3
	s_and_not1_saveexec_b32 s74, s13
; %bb.21168:                            ;   in Loop: Header=BB6_19757 Depth=3
	v_bfe_i32 v3, v58, 0, 8
	v_cmp_eq_u32_e32 vcc_lo, 0, v5
	s_delay_alu instid0(VALU_DEP_2) | instskip(SKIP_1) | instid1(VALU_DEP_1)
	v_cmp_lt_i16_e64 s13, -1, v3
	v_mov_b32_e32 v3, 0x7f800000
	v_cndmask_b32_e64 v3, 0xff800000, v3, s13
	s_delay_alu instid0(VALU_DEP_1)
	v_cndmask_b32_e32 v3, 0x7f800001, v3, vcc_lo
; %bb.21169:                            ;   in Loop: Header=BB6_19757 Depth=3
	s_or_b32 exec_lo, exec_lo, s74
.LBB6_21170:                            ;   in Loop: Header=BB6_19757 Depth=3
	s_delay_alu instid0(SALU_CYCLE_1)
	s_or_b32 exec_lo, exec_lo, s15
.LBB6_21171:                            ;   in Loop: Header=BB6_19757 Depth=3
	s_delay_alu instid0(SALU_CYCLE_1) | instskip(NEXT) | instid1(SALU_CYCLE_1)
	s_or_b32 exec_lo, exec_lo, s14
	s_mov_b32 s14, exec_lo
	s_wait_loadcnt_dscnt 0x1818
	v_cmpx_ne_u16_e32 0, v32
	s_cbranch_execz .LBB6_21181
; %bb.21172:                            ;   in Loop: Header=BB6_19757 Depth=3
	v_bfrev_b32_e32 v1, 1
	s_mov_b32 s15, exec_lo
	v_cmpx_ne_u16_e32 0xff80, v32
	s_cbranch_execz .LBB6_21180
; %bb.21173:                            ;   in Loop: Header=BB6_19757 Depth=3
	v_and_b32_e32 v1, 0x7c, v32
	v_and_b32_e32 v5, 3, v32
	s_delay_alu instid0(VALU_DEP_2) | instskip(SKIP_1) | instid1(SALU_CYCLE_1)
	v_cmp_ne_u32_e32 vcc_lo, 0x7c, v1
                                        ; implicit-def: $vgpr1
	s_and_saveexec_b32 s13, vcc_lo
	s_xor_b32 s13, exec_lo, s13
	s_cbranch_execz .LBB6_21177
; %bb.21174:                            ;   in Loop: Header=BB6_19757 Depth=3
	v_and_b32_e32 v1, 0xff, v32
	s_mov_b32 s74, exec_lo
	s_delay_alu instid0(VALU_DEP_1) | instskip(NEXT) | instid1(VALU_DEP_1)
	v_bfe_u32 v1, v1, 2, 5
	v_cmpx_eq_u32_e32 0, v1
	s_cbranch_execz .LBB6_21176
; %bb.21175:                            ;   in Loop: Header=BB6_19757 Depth=3
	v_clz_i32_u32_e32 v1, v5
	s_delay_alu instid0(VALU_DEP_1) | instskip(SKIP_1) | instid1(VALU_DEP_2)
	v_min_u32_e32 v1, 32, v1
	v_mov_b32_e32 v33, v113
	v_subrev_nc_u32_e32 v5, 29, v1
	v_sub_nc_u32_e32 v1, 30, v1
	s_delay_alu instid0(VALU_DEP_2) | instskip(NEXT) | instid1(VALU_DEP_1)
	v_lshlrev_b64_e32 v[16:17], v5, v[32:33]
	v_and_b32_e32 v5, 3, v16
.LBB6_21176:                            ;   in Loop: Header=BB6_19757 Depth=3
	s_or_b32 exec_lo, exec_lo, s74
	v_bfe_i32 v7, v32, 0, 16
                                        ; implicit-def: $vgpr32
	s_delay_alu instid0(VALU_DEP_1) | instskip(NEXT) | instid1(VALU_DEP_1)
	v_and_b32_e32 v7, 0x80000000, v7
	v_lshl_add_u32 v1, v1, 23, v7
	s_delay_alu instid0(VALU_DEP_1) | instskip(NEXT) | instid1(VALU_DEP_1)
	v_lshl_or_b32 v1, v5, 21, v1
                                        ; implicit-def: $vgpr5
	v_add_nc_u32_e32 v1, 0x38000000, v1
.LBB6_21177:                            ;   in Loop: Header=BB6_19757 Depth=3
	s_and_not1_saveexec_b32 s74, s13
; %bb.21178:                            ;   in Loop: Header=BB6_19757 Depth=3
	v_cmp_lt_i16_e64 s13, -1, v32
	v_mov_b32_e32 v1, 0x7f800000
	v_cmp_eq_u32_e32 vcc_lo, 0, v5
	s_delay_alu instid0(VALU_DEP_2) | instskip(NEXT) | instid1(VALU_DEP_1)
	v_cndmask_b32_e64 v1, 0xff800000, v1, s13
	v_cndmask_b32_e32 v1, 0x7f800001, v1, vcc_lo
; %bb.21179:                            ;   in Loop: Header=BB6_19757 Depth=3
	s_or_b32 exec_lo, exec_lo, s74
.LBB6_21180:                            ;   in Loop: Header=BB6_19757 Depth=3
	s_delay_alu instid0(SALU_CYCLE_1)
	s_or_b32 exec_lo, exec_lo, s15
.LBB6_21181:                            ;   in Loop: Header=BB6_19757 Depth=3
	s_delay_alu instid0(SALU_CYCLE_1) | instskip(NEXT) | instid1(VALU_DEP_1)
	s_or_b32 exec_lo, exec_lo, s14
	v_dual_add_f32 v3, v3, v1 :: v_dual_mov_b32 v17, v113
                                        ; implicit-def: $vgpr32
	s_delay_alu instid0(VALU_DEP_1) | instskip(NEXT) | instid1(VALU_DEP_1)
	v_and_b32_e32 v16, 0x7f800000, v3
	v_cmp_ne_u64_e32 vcc_lo, 0x7f800000, v[16:17]
	v_and_b32_e32 v16, 0x7fffff, v3
	s_and_saveexec_b32 s13, vcc_lo
	s_delay_alu instid0(SALU_CYCLE_1)
	s_xor_b32 s14, exec_lo, s13
	s_cbranch_execz .LBB6_21199
; %bb.21182:                            ;   in Loop: Header=BB6_19757 Depth=3
	v_dual_mov_b32 v21, v113 :: v_dual_lshrrev_b32 v1, 24, v3
	v_and_b32_e32 v20, 0x7fffffff, v3
                                        ; implicit-def: $vgpr32
	s_mov_b32 s13, exec_lo
	s_delay_alu instid0(VALU_DEP_2) | instskip(NEXT) | instid1(VALU_DEP_2)
	v_and_b32_e32 v1, 0x80, v1
	v_cmpx_gt_u64_e32 0x47600001, v[20:21]
	s_xor_b32 s15, exec_lo, s13
	s_cbranch_execz .LBB6_21196
; %bb.21183:                            ;   in Loop: Header=BB6_19757 Depth=3
	v_mov_b32_e32 v32, 0
	s_mov_b32 s74, exec_lo
	v_cmpx_ne_u32_e32 0, v3
	s_cbranch_execz .LBB6_21195
; %bb.21184:                            ;   in Loop: Header=BB6_19757 Depth=3
	v_bfe_u32 v3, v3, 23, 8
	v_or_b32_e32 v7, 0x800000, v16
	s_delay_alu instid0(VALU_DEP_2) | instskip(SKIP_1) | instid1(VALU_DEP_3)
	v_cmp_eq_u32_e32 vcc_lo, 0, v3
	v_cmp_gt_u32_e64 s13, 0x72, v3
	v_dual_cndmask_b32 v16, v7, v16 :: v_dual_sub_nc_u32 v5, 0x71, v3
	s_delay_alu instid0(VALU_DEP_1) | instskip(NEXT) | instid1(VALU_DEP_1)
	v_cndmask_b32_e64 v5, 0, v5, s13
	v_cndmask_b32_e64 v5, v5, 0x70, vcc_lo
	s_delay_alu instid0(VALU_DEP_1) | instskip(NEXT) | instid1(VALU_DEP_1)
	v_add_nc_u32_e32 v7, 21, v5
	v_lshlrev_b64_e64 v[20:21], v7, -1
	v_add_nc_u32_e32 v7, 20, v5
	s_delay_alu instid0(VALU_DEP_1) | instskip(NEXT) | instid1(VALU_DEP_3)
	v_lshlrev_b64_e64 v[32:33], v7, 1
	v_bfi_b32 v20, v20, 0, v16
	v_lshrrev_b64 v[16:17], v5, v[16:17]
	v_bfi_b32 v21, v21, 0, 0
	s_delay_alu instid0(VALU_DEP_1) | instskip(NEXT) | instid1(VALU_DEP_3)
	v_cmp_eq_u64_e64 s13, v[20:21], v[32:33]
	v_mov_b64_e32 v[20:21], v[16:17]
	s_and_saveexec_b32 s75, s13
; %bb.21185:                            ;   in Loop: Header=BB6_19757 Depth=3
	v_bfe_u32 v20, v16, 21, 1
	v_mov_b32_e32 v21, v113
	s_delay_alu instid0(VALU_DEP_1) | instskip(NEXT) | instid1(VALU_DEP_1)
	v_add_nc_u64_e32 v[20:21], v[16:17], v[20:21]
	v_add_nc_u64_e32 v[20:21], -1, v[20:21]
; %bb.21186:                            ;   in Loop: Header=BB6_19757 Depth=3
	s_or_b32 exec_lo, exec_lo, s75
	v_add_nc_u32_e32 v3, 0xffffff81, v3
	v_lshrrev_b32_e32 v7, 23, v16
	s_mov_b32 s13, exec_lo
	v_mov_b32_e32 v17, v113
	s_delay_alu instid0(VALU_DEP_3) | instskip(NEXT) | instid1(VALU_DEP_1)
	v_cndmask_b32_e64 v3, v3, 0xffffff82, vcc_lo
	v_add3_u32 v7, v5, v3, v7
	v_and_b32_e32 v3, 0x1fffff, v20
	s_delay_alu instid0(VALU_DEP_1) | instskip(NEXT) | instid1(VALU_DEP_1)
	v_dual_add_nc_u32 v5, 14, v7 :: v_dual_add_nc_u32 v16, v3, v16
                                        ; implicit-def: $vgpr3
	v_cmpx_ne_u32_e32 0, v5
	s_xor_b32 s13, exec_lo, s13
; %bb.21187:                            ;   in Loop: Header=BB6_19757 Depth=3
	s_delay_alu instid0(VALU_DEP_2) | instskip(SKIP_1) | instid1(VALU_DEP_1)
	v_cmp_lt_u64_e32 vcc_lo, 0xffffff, v[16:17]
	v_add_nc_u32_e32 v3, 15, v7
	v_cndmask_b32_e32 v3, v5, v3, vcc_lo
	v_cndmask_b32_e64 v5, 0, 1, vcc_lo
	s_delay_alu instid0(VALU_DEP_1)
	v_lshrrev_b64 v[16:17], v5, v[16:17]
; %bb.21188:                            ;   in Loop: Header=BB6_19757 Depth=3
	s_and_not1_saveexec_b32 s13, s13
; %bb.21189:                            ;   in Loop: Header=BB6_19757 Depth=3
	s_delay_alu instid0(VALU_DEP_1)
	v_bfe_u32 v3, v16, 23, 1
; %bb.21190:                            ;   in Loop: Header=BB6_19757 Depth=3
	s_or_b32 exec_lo, exec_lo, s13
	s_delay_alu instid0(VALU_DEP_2) | instskip(NEXT) | instid1(VALU_DEP_2)
	v_lshrrev_b64 v[16:17], 21, v[16:17]
	v_cmp_gt_i32_e32 vcc_lo, 32, v3
	v_cmp_ne_u32_e64 s13, 0, v3
                                        ; implicit-def: $vgpr32
	s_delay_alu instid0(VALU_DEP_3) | instskip(NEXT) | instid1(VALU_DEP_1)
	v_dual_cndmask_b32 v17, 0, v17 :: v_dual_cndmask_b32 v16, 3, v16
	v_cmp_ne_u64_e32 vcc_lo, 0, v[16:17]
	s_or_b32 s13, s13, vcc_lo
	s_delay_alu instid0(SALU_CYCLE_1) | instskip(NEXT) | instid1(SALU_CYCLE_1)
	s_and_saveexec_b32 s75, s13
	s_xor_b32 s13, exec_lo, s75
; %bb.21191:                            ;   in Loop: Header=BB6_19757 Depth=3
	v_min_i32_e32 v3, 31, v3
	s_delay_alu instid0(VALU_DEP_1) | instskip(NEXT) | instid1(VALU_DEP_1)
	v_lshl_or_b32 v1, v3, 2, v1
	v_and_or_b32 v32, v16, 3, v1
                                        ; implicit-def: $vgpr1
; %bb.21192:                            ;   in Loop: Header=BB6_19757 Depth=3
	s_and_not1_saveexec_b32 s13, s13
; %bb.21193:                            ;   in Loop: Header=BB6_19757 Depth=3
	v_mov_b32_e32 v32, v1
; %bb.21194:                            ;   in Loop: Header=BB6_19757 Depth=3
	s_or_b32 exec_lo, exec_lo, s13
.LBB6_21195:                            ;   in Loop: Header=BB6_19757 Depth=3
	s_delay_alu instid0(SALU_CYCLE_1)
	s_or_b32 exec_lo, exec_lo, s74
                                        ; implicit-def: $vgpr1
.LBB6_21196:                            ;   in Loop: Header=BB6_19757 Depth=3
	s_and_not1_saveexec_b32 s13, s15
; %bb.21197:                            ;   in Loop: Header=BB6_19757 Depth=3
	v_or_b32_e32 v32, 0x7b, v1
; %bb.21198:                            ;   in Loop: Header=BB6_19757 Depth=3
	s_or_b32 exec_lo, exec_lo, s13
                                        ; implicit-def: $vgpr3
                                        ; implicit-def: $vgpr16_vgpr17
.LBB6_21199:                            ;   in Loop: Header=BB6_19757 Depth=3
	s_and_not1_saveexec_b32 s13, s14
	s_cbranch_execz .LBB6_21205
; %bb.21200:                            ;   in Loop: Header=BB6_19757 Depth=3
	s_mov_b32 s14, exec_lo
                                        ; implicit-def: $vgpr32
	v_cmpx_ne_u64_e32 0, v[16:17]
	s_xor_b32 s14, exec_lo, s14
; %bb.21201:                            ;   in Loop: Header=BB6_19757 Depth=3
	v_lshrrev_b32_e32 v1, 24, v3
                                        ; implicit-def: $vgpr3
	s_delay_alu instid0(VALU_DEP_1)
	v_or_b32_e32 v32, 0x7f, v1
; %bb.21202:                            ;   in Loop: Header=BB6_19757 Depth=3
	s_and_not1_saveexec_b32 s14, s14
; %bb.21203:                            ;   in Loop: Header=BB6_19757 Depth=3
	v_cmp_lt_i32_e32 vcc_lo, -1, v3
	v_cndmask_b32_e64 v32, -4, 0x7c, vcc_lo
; %bb.21204:                            ;   in Loop: Header=BB6_19757 Depth=3
	s_or_b32 exec_lo, exec_lo, s14
.LBB6_21205:                            ;   in Loop: Header=BB6_19757 Depth=3
	s_delay_alu instid0(SALU_CYCLE_1) | instskip(SKIP_3) | instid1(VALU_DEP_2)
	s_or_b32 exec_lo, exec_lo, s13
	v_and_b32_e32 v7, 0xff, v46
	v_dual_mov_b32 v1, 0 :: v_dual_mov_b32 v3, 0
	s_mov_b32 s14, exec_lo
	v_cmpx_ne_u16_e32 0, v7
	s_cbranch_execz .LBB6_21215
; %bb.21206:                            ;   in Loop: Header=BB6_19757 Depth=3
	v_bfrev_b32_e32 v3, 1
	s_mov_b32 s15, exec_lo
	v_cmpx_ne_u16_e32 0x80, v7
	s_cbranch_execz .LBB6_21214
; %bb.21207:                            ;   in Loop: Header=BB6_19757 Depth=3
	v_and_b32_e32 v3, 0x7c, v46
	v_and_b32_e32 v5, 3, v46
	s_delay_alu instid0(VALU_DEP_2) | instskip(SKIP_1) | instid1(SALU_CYCLE_1)
	v_cmp_ne_u32_e32 vcc_lo, 0x7c, v3
                                        ; implicit-def: $vgpr3
	s_and_saveexec_b32 s13, vcc_lo
	s_xor_b32 s13, exec_lo, s13
	s_cbranch_execz .LBB6_21211
; %bb.21208:                            ;   in Loop: Header=BB6_19757 Depth=3
	v_bfe_u32 v3, v7, 2, 5
	s_mov_b32 s74, exec_lo
	s_delay_alu instid0(VALU_DEP_1)
	v_cmpx_eq_u32_e32 0, v3
	s_cbranch_execz .LBB6_21210
; %bb.21209:                            ;   in Loop: Header=BB6_19757 Depth=3
	v_clz_i32_u32_e32 v3, v5
	s_delay_alu instid0(VALU_DEP_1) | instskip(SKIP_1) | instid1(VALU_DEP_2)
	v_min_u32_e32 v3, 32, v3
	v_mov_b32_e32 v47, v113
	v_subrev_nc_u32_e32 v5, 29, v3
	v_sub_nc_u32_e32 v3, 30, v3
	s_delay_alu instid0(VALU_DEP_2) | instskip(NEXT) | instid1(VALU_DEP_1)
	v_lshlrev_b64_e32 v[16:17], v5, v[46:47]
	v_and_b32_e32 v5, 3, v16
.LBB6_21210:                            ;   in Loop: Header=BB6_19757 Depth=3
	s_or_b32 exec_lo, exec_lo, s74
	v_lshlrev_b32_e32 v7, 24, v46
                                        ; implicit-def: $vgpr46
	s_delay_alu instid0(VALU_DEP_1) | instskip(NEXT) | instid1(VALU_DEP_1)
	v_and_b32_e32 v7, 0x80000000, v7
	v_lshl_add_u32 v3, v3, 23, v7
	s_delay_alu instid0(VALU_DEP_1) | instskip(NEXT) | instid1(VALU_DEP_1)
	v_lshl_or_b32 v3, v5, 21, v3
                                        ; implicit-def: $vgpr5
	v_add_nc_u32_e32 v3, 0x38000000, v3
.LBB6_21211:                            ;   in Loop: Header=BB6_19757 Depth=3
	s_and_not1_saveexec_b32 s74, s13
; %bb.21212:                            ;   in Loop: Header=BB6_19757 Depth=3
	v_bfe_i32 v3, v46, 0, 8
	v_cmp_eq_u32_e32 vcc_lo, 0, v5
	s_delay_alu instid0(VALU_DEP_2) | instskip(SKIP_1) | instid1(VALU_DEP_1)
	v_cmp_lt_i16_e64 s13, -1, v3
	v_mov_b32_e32 v3, 0x7f800000
	v_cndmask_b32_e64 v3, 0xff800000, v3, s13
	s_delay_alu instid0(VALU_DEP_1)
	v_cndmask_b32_e32 v3, 0x7f800001, v3, vcc_lo
; %bb.21213:                            ;   in Loop: Header=BB6_19757 Depth=3
	s_or_b32 exec_lo, exec_lo, s74
.LBB6_21214:                            ;   in Loop: Header=BB6_19757 Depth=3
	s_delay_alu instid0(SALU_CYCLE_1)
	s_or_b32 exec_lo, exec_lo, s15
.LBB6_21215:                            ;   in Loop: Header=BB6_19757 Depth=3
	s_delay_alu instid0(SALU_CYCLE_1) | instskip(NEXT) | instid1(SALU_CYCLE_1)
	s_or_b32 exec_lo, exec_lo, s14
	s_mov_b32 s14, exec_lo
	s_wait_loadcnt_dscnt 0x1717
	v_cmpx_ne_u16_e32 0, v44
	s_cbranch_execz .LBB6_21225
; %bb.21216:                            ;   in Loop: Header=BB6_19757 Depth=3
	v_bfrev_b32_e32 v1, 1
	s_mov_b32 s15, exec_lo
	v_cmpx_ne_u16_e32 0xff80, v44
	s_cbranch_execz .LBB6_21224
; %bb.21217:                            ;   in Loop: Header=BB6_19757 Depth=3
	v_and_b32_e32 v1, 0x7c, v44
	v_and_b32_e32 v5, 3, v44
	s_delay_alu instid0(VALU_DEP_2) | instskip(SKIP_1) | instid1(SALU_CYCLE_1)
	v_cmp_ne_u32_e32 vcc_lo, 0x7c, v1
                                        ; implicit-def: $vgpr1
	s_and_saveexec_b32 s13, vcc_lo
	s_xor_b32 s13, exec_lo, s13
	s_cbranch_execz .LBB6_21221
; %bb.21218:                            ;   in Loop: Header=BB6_19757 Depth=3
	v_and_b32_e32 v1, 0xff, v44
	s_mov_b32 s74, exec_lo
	s_delay_alu instid0(VALU_DEP_1) | instskip(NEXT) | instid1(VALU_DEP_1)
	v_bfe_u32 v1, v1, 2, 5
	v_cmpx_eq_u32_e32 0, v1
	s_cbranch_execz .LBB6_21220
; %bb.21219:                            ;   in Loop: Header=BB6_19757 Depth=3
	v_clz_i32_u32_e32 v1, v5
	s_delay_alu instid0(VALU_DEP_1) | instskip(SKIP_1) | instid1(VALU_DEP_2)
	v_min_u32_e32 v1, 32, v1
	v_mov_b32_e32 v45, v113
	v_subrev_nc_u32_e32 v5, 29, v1
	v_sub_nc_u32_e32 v1, 30, v1
	s_delay_alu instid0(VALU_DEP_2) | instskip(NEXT) | instid1(VALU_DEP_1)
	v_lshlrev_b64_e32 v[16:17], v5, v[44:45]
	v_and_b32_e32 v5, 3, v16
.LBB6_21220:                            ;   in Loop: Header=BB6_19757 Depth=3
	s_or_b32 exec_lo, exec_lo, s74
	v_bfe_i32 v7, v44, 0, 16
                                        ; implicit-def: $vgpr44
	s_delay_alu instid0(VALU_DEP_1) | instskip(NEXT) | instid1(VALU_DEP_1)
	v_and_b32_e32 v7, 0x80000000, v7
	v_lshl_add_u32 v1, v1, 23, v7
	s_delay_alu instid0(VALU_DEP_1) | instskip(NEXT) | instid1(VALU_DEP_1)
	v_lshl_or_b32 v1, v5, 21, v1
                                        ; implicit-def: $vgpr5
	v_add_nc_u32_e32 v1, 0x38000000, v1
.LBB6_21221:                            ;   in Loop: Header=BB6_19757 Depth=3
	s_and_not1_saveexec_b32 s74, s13
; %bb.21222:                            ;   in Loop: Header=BB6_19757 Depth=3
	v_cmp_lt_i16_e64 s13, -1, v44
	v_mov_b32_e32 v1, 0x7f800000
	v_cmp_eq_u32_e32 vcc_lo, 0, v5
	s_delay_alu instid0(VALU_DEP_2) | instskip(NEXT) | instid1(VALU_DEP_1)
	v_cndmask_b32_e64 v1, 0xff800000, v1, s13
	v_cndmask_b32_e32 v1, 0x7f800001, v1, vcc_lo
; %bb.21223:                            ;   in Loop: Header=BB6_19757 Depth=3
	s_or_b32 exec_lo, exec_lo, s74
.LBB6_21224:                            ;   in Loop: Header=BB6_19757 Depth=3
	s_delay_alu instid0(SALU_CYCLE_1)
	s_or_b32 exec_lo, exec_lo, s15
.LBB6_21225:                            ;   in Loop: Header=BB6_19757 Depth=3
	s_delay_alu instid0(SALU_CYCLE_1) | instskip(NEXT) | instid1(VALU_DEP_1)
	s_or_b32 exec_lo, exec_lo, s14
	v_dual_add_f32 v3, v3, v1 :: v_dual_mov_b32 v17, v113
                                        ; implicit-def: $vgpr33
	s_delay_alu instid0(VALU_DEP_1) | instskip(NEXT) | instid1(VALU_DEP_1)
	v_and_b32_e32 v16, 0x7f800000, v3
	v_cmp_ne_u64_e32 vcc_lo, 0x7f800000, v[16:17]
	v_and_b32_e32 v16, 0x7fffff, v3
	s_and_saveexec_b32 s13, vcc_lo
	s_delay_alu instid0(SALU_CYCLE_1)
	s_xor_b32 s14, exec_lo, s13
	s_cbranch_execz .LBB6_21243
; %bb.21226:                            ;   in Loop: Header=BB6_19757 Depth=3
	v_dual_mov_b32 v21, v113 :: v_dual_lshrrev_b32 v1, 24, v3
	v_and_b32_e32 v20, 0x7fffffff, v3
                                        ; implicit-def: $vgpr33
	s_mov_b32 s13, exec_lo
	s_delay_alu instid0(VALU_DEP_2) | instskip(NEXT) | instid1(VALU_DEP_2)
	v_and_b32_e32 v1, 0x80, v1
	v_cmpx_gt_u64_e32 0x47600001, v[20:21]
	s_xor_b32 s15, exec_lo, s13
	s_cbranch_execz .LBB6_21240
; %bb.21227:                            ;   in Loop: Header=BB6_19757 Depth=3
	v_mov_b32_e32 v33, 0
	s_mov_b32 s74, exec_lo
	v_cmpx_ne_u32_e32 0, v3
	s_cbranch_execz .LBB6_21239
; %bb.21228:                            ;   in Loop: Header=BB6_19757 Depth=3
	v_bfe_u32 v3, v3, 23, 8
	v_or_b32_e32 v7, 0x800000, v16
	s_delay_alu instid0(VALU_DEP_2) | instskip(SKIP_1) | instid1(VALU_DEP_3)
	v_cmp_eq_u32_e32 vcc_lo, 0, v3
	v_cmp_gt_u32_e64 s13, 0x72, v3
	v_dual_cndmask_b32 v16, v7, v16 :: v_dual_sub_nc_u32 v5, 0x71, v3
	s_delay_alu instid0(VALU_DEP_1) | instskip(NEXT) | instid1(VALU_DEP_1)
	v_cndmask_b32_e64 v5, 0, v5, s13
	v_cndmask_b32_e64 v5, v5, 0x70, vcc_lo
	s_delay_alu instid0(VALU_DEP_1) | instskip(NEXT) | instid1(VALU_DEP_1)
	v_add_nc_u32_e32 v7, 21, v5
	v_lshlrev_b64_e64 v[20:21], v7, -1
	v_add_nc_u32_e32 v7, 20, v5
	s_delay_alu instid0(VALU_DEP_1) | instskip(NEXT) | instid1(VALU_DEP_3)
	v_lshlrev_b64_e64 v[50:51], v7, 1
	v_bfi_b32 v20, v20, 0, v16
	v_lshrrev_b64 v[16:17], v5, v[16:17]
	v_bfi_b32 v21, v21, 0, 0
	s_delay_alu instid0(VALU_DEP_1) | instskip(NEXT) | instid1(VALU_DEP_3)
	v_cmp_eq_u64_e64 s13, v[20:21], v[50:51]
	v_mov_b64_e32 v[20:21], v[16:17]
	s_and_saveexec_b32 s75, s13
; %bb.21229:                            ;   in Loop: Header=BB6_19757 Depth=3
	v_bfe_u32 v20, v16, 21, 1
	v_mov_b32_e32 v21, v113
	s_delay_alu instid0(VALU_DEP_1) | instskip(NEXT) | instid1(VALU_DEP_1)
	v_add_nc_u64_e32 v[20:21], v[16:17], v[20:21]
	v_add_nc_u64_e32 v[20:21], -1, v[20:21]
; %bb.21230:                            ;   in Loop: Header=BB6_19757 Depth=3
	s_or_b32 exec_lo, exec_lo, s75
	v_add_nc_u32_e32 v3, 0xffffff81, v3
	v_lshrrev_b32_e32 v7, 23, v16
	s_mov_b32 s13, exec_lo
	v_mov_b32_e32 v17, v113
	s_delay_alu instid0(VALU_DEP_3) | instskip(NEXT) | instid1(VALU_DEP_1)
	v_cndmask_b32_e64 v3, v3, 0xffffff82, vcc_lo
	v_add3_u32 v7, v5, v3, v7
	v_and_b32_e32 v3, 0x1fffff, v20
	s_delay_alu instid0(VALU_DEP_1) | instskip(NEXT) | instid1(VALU_DEP_1)
	v_dual_add_nc_u32 v5, 14, v7 :: v_dual_add_nc_u32 v16, v3, v16
                                        ; implicit-def: $vgpr3
	v_cmpx_ne_u32_e32 0, v5
	s_xor_b32 s13, exec_lo, s13
; %bb.21231:                            ;   in Loop: Header=BB6_19757 Depth=3
	s_delay_alu instid0(VALU_DEP_2) | instskip(SKIP_1) | instid1(VALU_DEP_1)
	v_cmp_lt_u64_e32 vcc_lo, 0xffffff, v[16:17]
	v_add_nc_u32_e32 v3, 15, v7
	v_cndmask_b32_e32 v3, v5, v3, vcc_lo
	v_cndmask_b32_e64 v5, 0, 1, vcc_lo
	s_delay_alu instid0(VALU_DEP_1)
	v_lshrrev_b64 v[16:17], v5, v[16:17]
; %bb.21232:                            ;   in Loop: Header=BB6_19757 Depth=3
	s_and_not1_saveexec_b32 s13, s13
; %bb.21233:                            ;   in Loop: Header=BB6_19757 Depth=3
	s_delay_alu instid0(VALU_DEP_1)
	v_bfe_u32 v3, v16, 23, 1
; %bb.21234:                            ;   in Loop: Header=BB6_19757 Depth=3
	s_or_b32 exec_lo, exec_lo, s13
	s_delay_alu instid0(VALU_DEP_2) | instskip(NEXT) | instid1(VALU_DEP_2)
	v_lshrrev_b64 v[16:17], 21, v[16:17]
	v_cmp_gt_i32_e32 vcc_lo, 32, v3
	v_cmp_ne_u32_e64 s13, 0, v3
                                        ; implicit-def: $vgpr33
	s_delay_alu instid0(VALU_DEP_3) | instskip(NEXT) | instid1(VALU_DEP_1)
	v_dual_cndmask_b32 v17, 0, v17 :: v_dual_cndmask_b32 v16, 3, v16
	v_cmp_ne_u64_e32 vcc_lo, 0, v[16:17]
	s_or_b32 s13, s13, vcc_lo
	s_delay_alu instid0(SALU_CYCLE_1) | instskip(NEXT) | instid1(SALU_CYCLE_1)
	s_and_saveexec_b32 s75, s13
	s_xor_b32 s13, exec_lo, s75
; %bb.21235:                            ;   in Loop: Header=BB6_19757 Depth=3
	v_min_i32_e32 v3, 31, v3
	s_delay_alu instid0(VALU_DEP_1) | instskip(NEXT) | instid1(VALU_DEP_1)
	v_lshl_or_b32 v1, v3, 2, v1
	v_and_or_b32 v33, v16, 3, v1
                                        ; implicit-def: $vgpr1
; %bb.21236:                            ;   in Loop: Header=BB6_19757 Depth=3
	s_and_not1_saveexec_b32 s13, s13
; %bb.21237:                            ;   in Loop: Header=BB6_19757 Depth=3
	v_mov_b32_e32 v33, v1
; %bb.21238:                            ;   in Loop: Header=BB6_19757 Depth=3
	s_or_b32 exec_lo, exec_lo, s13
.LBB6_21239:                            ;   in Loop: Header=BB6_19757 Depth=3
	s_delay_alu instid0(SALU_CYCLE_1)
	s_or_b32 exec_lo, exec_lo, s74
                                        ; implicit-def: $vgpr1
.LBB6_21240:                            ;   in Loop: Header=BB6_19757 Depth=3
	s_and_not1_saveexec_b32 s13, s15
; %bb.21241:                            ;   in Loop: Header=BB6_19757 Depth=3
	v_or_b32_e32 v33, 0x7b, v1
; %bb.21242:                            ;   in Loop: Header=BB6_19757 Depth=3
	s_or_b32 exec_lo, exec_lo, s13
                                        ; implicit-def: $vgpr3
                                        ; implicit-def: $vgpr16_vgpr17
.LBB6_21243:                            ;   in Loop: Header=BB6_19757 Depth=3
	s_and_not1_saveexec_b32 s13, s14
	s_cbranch_execz .LBB6_21249
; %bb.21244:                            ;   in Loop: Header=BB6_19757 Depth=3
	s_mov_b32 s14, exec_lo
                                        ; implicit-def: $vgpr33
	v_cmpx_ne_u64_e32 0, v[16:17]
	s_xor_b32 s14, exec_lo, s14
; %bb.21245:                            ;   in Loop: Header=BB6_19757 Depth=3
	v_lshrrev_b32_e32 v1, 24, v3
                                        ; implicit-def: $vgpr3
	s_delay_alu instid0(VALU_DEP_1)
	v_or_b32_e32 v33, 0x7f, v1
; %bb.21246:                            ;   in Loop: Header=BB6_19757 Depth=3
	s_and_not1_saveexec_b32 s14, s14
; %bb.21247:                            ;   in Loop: Header=BB6_19757 Depth=3
	v_cmp_lt_i32_e32 vcc_lo, -1, v3
	v_cndmask_b32_e64 v33, -4, 0x7c, vcc_lo
; %bb.21248:                            ;   in Loop: Header=BB6_19757 Depth=3
	s_or_b32 exec_lo, exec_lo, s14
.LBB6_21249:                            ;   in Loop: Header=BB6_19757 Depth=3
	s_delay_alu instid0(SALU_CYCLE_1) | instskip(SKIP_3) | instid1(VALU_DEP_2)
	s_or_b32 exec_lo, exec_lo, s13
	v_and_b32_e32 v7, 0xff, v118
	v_dual_mov_b32 v1, 0 :: v_dual_mov_b32 v3, 0
	s_mov_b32 s14, exec_lo
	v_cmpx_ne_u16_e32 0, v7
	s_cbranch_execz .LBB6_21259
; %bb.21250:                            ;   in Loop: Header=BB6_19757 Depth=3
	v_bfrev_b32_e32 v3, 1
	s_mov_b32 s15, exec_lo
	v_cmpx_ne_u16_e32 0x80, v7
	s_cbranch_execz .LBB6_21258
; %bb.21251:                            ;   in Loop: Header=BB6_19757 Depth=3
	v_and_b32_e32 v3, 0x7c, v118
	v_and_b32_e32 v5, 3, v118
	s_delay_alu instid0(VALU_DEP_2) | instskip(SKIP_1) | instid1(SALU_CYCLE_1)
	v_cmp_ne_u32_e32 vcc_lo, 0x7c, v3
                                        ; implicit-def: $vgpr3
	s_and_saveexec_b32 s13, vcc_lo
	s_xor_b32 s13, exec_lo, s13
	s_cbranch_execz .LBB6_21255
; %bb.21252:                            ;   in Loop: Header=BB6_19757 Depth=3
	v_bfe_u32 v3, v7, 2, 5
	s_mov_b32 s74, exec_lo
	s_delay_alu instid0(VALU_DEP_1)
	v_cmpx_eq_u32_e32 0, v3
	s_cbranch_execz .LBB6_21254
; %bb.21253:                            ;   in Loop: Header=BB6_19757 Depth=3
	v_clz_i32_u32_e32 v3, v5
	s_delay_alu instid0(VALU_DEP_1) | instskip(SKIP_1) | instid1(VALU_DEP_2)
	v_min_u32_e32 v3, 32, v3
	v_mov_b32_e32 v119, v113
	v_subrev_nc_u32_e32 v5, 29, v3
	v_sub_nc_u32_e32 v3, 30, v3
	s_delay_alu instid0(VALU_DEP_2) | instskip(NEXT) | instid1(VALU_DEP_1)
	v_lshlrev_b64_e32 v[16:17], v5, v[118:119]
	v_and_b32_e32 v5, 3, v16
.LBB6_21254:                            ;   in Loop: Header=BB6_19757 Depth=3
	s_or_b32 exec_lo, exec_lo, s74
	v_lshlrev_b32_e32 v7, 24, v118
                                        ; implicit-def: $vgpr118
	s_delay_alu instid0(VALU_DEP_1) | instskip(NEXT) | instid1(VALU_DEP_1)
	v_and_b32_e32 v7, 0x80000000, v7
	v_lshl_add_u32 v3, v3, 23, v7
	s_delay_alu instid0(VALU_DEP_1) | instskip(NEXT) | instid1(VALU_DEP_1)
	v_lshl_or_b32 v3, v5, 21, v3
                                        ; implicit-def: $vgpr5
	v_add_nc_u32_e32 v3, 0x38000000, v3
.LBB6_21255:                            ;   in Loop: Header=BB6_19757 Depth=3
	s_and_not1_saveexec_b32 s74, s13
; %bb.21256:                            ;   in Loop: Header=BB6_19757 Depth=3
	v_bfe_i32 v3, v118, 0, 8
	v_cmp_eq_u32_e32 vcc_lo, 0, v5
	s_delay_alu instid0(VALU_DEP_2) | instskip(SKIP_1) | instid1(VALU_DEP_1)
	v_cmp_lt_i16_e64 s13, -1, v3
	v_mov_b32_e32 v3, 0x7f800000
	v_cndmask_b32_e64 v3, 0xff800000, v3, s13
	s_delay_alu instid0(VALU_DEP_1)
	v_cndmask_b32_e32 v3, 0x7f800001, v3, vcc_lo
; %bb.21257:                            ;   in Loop: Header=BB6_19757 Depth=3
	s_or_b32 exec_lo, exec_lo, s74
.LBB6_21258:                            ;   in Loop: Header=BB6_19757 Depth=3
	s_delay_alu instid0(SALU_CYCLE_1)
	s_or_b32 exec_lo, exec_lo, s15
.LBB6_21259:                            ;   in Loop: Header=BB6_19757 Depth=3
	s_delay_alu instid0(SALU_CYCLE_1) | instskip(NEXT) | instid1(SALU_CYCLE_1)
	s_or_b32 exec_lo, exec_lo, s14
	s_mov_b32 s14, exec_lo
	s_wait_loadcnt_dscnt 0x1616
	v_cmpx_ne_u16_e32 0, v80
	s_cbranch_execz .LBB6_21269
; %bb.21260:                            ;   in Loop: Header=BB6_19757 Depth=3
	v_bfrev_b32_e32 v1, 1
	s_mov_b32 s15, exec_lo
	v_cmpx_ne_u16_e32 0xff80, v80
	s_cbranch_execz .LBB6_21268
; %bb.21261:                            ;   in Loop: Header=BB6_19757 Depth=3
	v_and_b32_e32 v1, 0x7c, v80
	v_and_b32_e32 v5, 3, v80
	s_delay_alu instid0(VALU_DEP_2) | instskip(SKIP_1) | instid1(SALU_CYCLE_1)
	v_cmp_ne_u32_e32 vcc_lo, 0x7c, v1
                                        ; implicit-def: $vgpr1
	s_and_saveexec_b32 s13, vcc_lo
	s_xor_b32 s13, exec_lo, s13
	s_cbranch_execz .LBB6_21265
; %bb.21262:                            ;   in Loop: Header=BB6_19757 Depth=3
	v_and_b32_e32 v1, 0xff, v80
	s_mov_b32 s74, exec_lo
	s_delay_alu instid0(VALU_DEP_1) | instskip(NEXT) | instid1(VALU_DEP_1)
	v_bfe_u32 v1, v1, 2, 5
	v_cmpx_eq_u32_e32 0, v1
	s_cbranch_execz .LBB6_21264
; %bb.21263:                            ;   in Loop: Header=BB6_19757 Depth=3
	v_clz_i32_u32_e32 v1, v5
	s_delay_alu instid0(VALU_DEP_1) | instskip(SKIP_1) | instid1(VALU_DEP_2)
	v_min_u32_e32 v1, 32, v1
	v_mov_b32_e32 v81, v113
	v_subrev_nc_u32_e32 v5, 29, v1
	v_sub_nc_u32_e32 v1, 30, v1
	s_delay_alu instid0(VALU_DEP_2) | instskip(NEXT) | instid1(VALU_DEP_1)
	v_lshlrev_b64_e32 v[16:17], v5, v[80:81]
	v_and_b32_e32 v5, 3, v16
.LBB6_21264:                            ;   in Loop: Header=BB6_19757 Depth=3
	s_or_b32 exec_lo, exec_lo, s74
	v_bfe_i32 v7, v80, 0, 16
                                        ; implicit-def: $vgpr80
	s_delay_alu instid0(VALU_DEP_1) | instskip(NEXT) | instid1(VALU_DEP_1)
	v_and_b32_e32 v7, 0x80000000, v7
	v_lshl_add_u32 v1, v1, 23, v7
	s_delay_alu instid0(VALU_DEP_1) | instskip(NEXT) | instid1(VALU_DEP_1)
	v_lshl_or_b32 v1, v5, 21, v1
                                        ; implicit-def: $vgpr5
	v_add_nc_u32_e32 v1, 0x38000000, v1
.LBB6_21265:                            ;   in Loop: Header=BB6_19757 Depth=3
	s_and_not1_saveexec_b32 s74, s13
; %bb.21266:                            ;   in Loop: Header=BB6_19757 Depth=3
	v_cmp_lt_i16_e64 s13, -1, v80
	v_mov_b32_e32 v1, 0x7f800000
	v_cmp_eq_u32_e32 vcc_lo, 0, v5
	s_delay_alu instid0(VALU_DEP_2) | instskip(NEXT) | instid1(VALU_DEP_1)
	v_cndmask_b32_e64 v1, 0xff800000, v1, s13
	v_cndmask_b32_e32 v1, 0x7f800001, v1, vcc_lo
; %bb.21267:                            ;   in Loop: Header=BB6_19757 Depth=3
	s_or_b32 exec_lo, exec_lo, s74
.LBB6_21268:                            ;   in Loop: Header=BB6_19757 Depth=3
	s_delay_alu instid0(SALU_CYCLE_1)
	s_or_b32 exec_lo, exec_lo, s15
.LBB6_21269:                            ;   in Loop: Header=BB6_19757 Depth=3
	s_delay_alu instid0(SALU_CYCLE_1) | instskip(NEXT) | instid1(VALU_DEP_1)
	s_or_b32 exec_lo, exec_lo, s14
	v_dual_add_f32 v3, v3, v1 :: v_dual_mov_b32 v17, v113
                                        ; implicit-def: $vgpr50
	s_delay_alu instid0(VALU_DEP_1) | instskip(NEXT) | instid1(VALU_DEP_1)
	v_and_b32_e32 v16, 0x7f800000, v3
	v_cmp_ne_u64_e32 vcc_lo, 0x7f800000, v[16:17]
	v_and_b32_e32 v16, 0x7fffff, v3
	s_and_saveexec_b32 s13, vcc_lo
	s_delay_alu instid0(SALU_CYCLE_1)
	s_xor_b32 s14, exec_lo, s13
	s_cbranch_execz .LBB6_21287
; %bb.21270:                            ;   in Loop: Header=BB6_19757 Depth=3
	v_dual_mov_b32 v21, v113 :: v_dual_lshrrev_b32 v1, 24, v3
	v_and_b32_e32 v20, 0x7fffffff, v3
                                        ; implicit-def: $vgpr50
	s_mov_b32 s13, exec_lo
	s_delay_alu instid0(VALU_DEP_2) | instskip(NEXT) | instid1(VALU_DEP_2)
	v_and_b32_e32 v1, 0x80, v1
	v_cmpx_gt_u64_e32 0x47600001, v[20:21]
	s_xor_b32 s15, exec_lo, s13
	s_cbranch_execz .LBB6_21284
; %bb.21271:                            ;   in Loop: Header=BB6_19757 Depth=3
	v_mov_b32_e32 v50, 0
	s_mov_b32 s74, exec_lo
	v_cmpx_ne_u32_e32 0, v3
	s_cbranch_execz .LBB6_21283
; %bb.21272:                            ;   in Loop: Header=BB6_19757 Depth=3
	v_bfe_u32 v3, v3, 23, 8
	v_or_b32_e32 v7, 0x800000, v16
	s_delay_alu instid0(VALU_DEP_2) | instskip(SKIP_1) | instid1(VALU_DEP_3)
	v_cmp_eq_u32_e32 vcc_lo, 0, v3
	v_cmp_gt_u32_e64 s13, 0x72, v3
	v_dual_cndmask_b32 v16, v7, v16 :: v_dual_sub_nc_u32 v5, 0x71, v3
	s_delay_alu instid0(VALU_DEP_1) | instskip(NEXT) | instid1(VALU_DEP_1)
	v_cndmask_b32_e64 v5, 0, v5, s13
	v_cndmask_b32_e64 v5, v5, 0x70, vcc_lo
	s_delay_alu instid0(VALU_DEP_1) | instskip(NEXT) | instid1(VALU_DEP_1)
	v_add_nc_u32_e32 v7, 21, v5
	v_lshlrev_b64_e64 v[20:21], v7, -1
	v_add_nc_u32_e32 v7, 20, v5
	s_delay_alu instid0(VALU_DEP_1) | instskip(NEXT) | instid1(VALU_DEP_3)
	v_lshlrev_b64_e64 v[50:51], v7, 1
	v_bfi_b32 v20, v20, 0, v16
	v_lshrrev_b64 v[16:17], v5, v[16:17]
	v_bfi_b32 v21, v21, 0, 0
	s_delay_alu instid0(VALU_DEP_1) | instskip(NEXT) | instid1(VALU_DEP_3)
	v_cmp_eq_u64_e64 s13, v[20:21], v[50:51]
	v_mov_b64_e32 v[20:21], v[16:17]
	s_and_saveexec_b32 s75, s13
; %bb.21273:                            ;   in Loop: Header=BB6_19757 Depth=3
	v_bfe_u32 v20, v16, 21, 1
	v_mov_b32_e32 v21, v113
	s_delay_alu instid0(VALU_DEP_1) | instskip(NEXT) | instid1(VALU_DEP_1)
	v_add_nc_u64_e32 v[20:21], v[16:17], v[20:21]
	v_add_nc_u64_e32 v[20:21], -1, v[20:21]
; %bb.21274:                            ;   in Loop: Header=BB6_19757 Depth=3
	s_or_b32 exec_lo, exec_lo, s75
	v_add_nc_u32_e32 v3, 0xffffff81, v3
	v_lshrrev_b32_e32 v7, 23, v16
	s_mov_b32 s13, exec_lo
	v_mov_b32_e32 v17, v113
	s_delay_alu instid0(VALU_DEP_3) | instskip(NEXT) | instid1(VALU_DEP_1)
	v_cndmask_b32_e64 v3, v3, 0xffffff82, vcc_lo
	v_add3_u32 v7, v5, v3, v7
	v_and_b32_e32 v3, 0x1fffff, v20
	s_delay_alu instid0(VALU_DEP_1) | instskip(NEXT) | instid1(VALU_DEP_1)
	v_dual_add_nc_u32 v5, 14, v7 :: v_dual_add_nc_u32 v16, v3, v16
                                        ; implicit-def: $vgpr3
	v_cmpx_ne_u32_e32 0, v5
	s_xor_b32 s13, exec_lo, s13
; %bb.21275:                            ;   in Loop: Header=BB6_19757 Depth=3
	s_delay_alu instid0(VALU_DEP_2) | instskip(SKIP_1) | instid1(VALU_DEP_1)
	v_cmp_lt_u64_e32 vcc_lo, 0xffffff, v[16:17]
	v_add_nc_u32_e32 v3, 15, v7
	v_cndmask_b32_e32 v3, v5, v3, vcc_lo
	v_cndmask_b32_e64 v5, 0, 1, vcc_lo
	s_delay_alu instid0(VALU_DEP_1)
	v_lshrrev_b64 v[16:17], v5, v[16:17]
; %bb.21276:                            ;   in Loop: Header=BB6_19757 Depth=3
	s_and_not1_saveexec_b32 s13, s13
; %bb.21277:                            ;   in Loop: Header=BB6_19757 Depth=3
	s_delay_alu instid0(VALU_DEP_1)
	v_bfe_u32 v3, v16, 23, 1
; %bb.21278:                            ;   in Loop: Header=BB6_19757 Depth=3
	s_or_b32 exec_lo, exec_lo, s13
	s_delay_alu instid0(VALU_DEP_2) | instskip(NEXT) | instid1(VALU_DEP_2)
	v_lshrrev_b64 v[16:17], 21, v[16:17]
	v_cmp_gt_i32_e32 vcc_lo, 32, v3
	v_cmp_ne_u32_e64 s13, 0, v3
                                        ; implicit-def: $vgpr50
	s_delay_alu instid0(VALU_DEP_3) | instskip(NEXT) | instid1(VALU_DEP_1)
	v_dual_cndmask_b32 v17, 0, v17 :: v_dual_cndmask_b32 v16, 3, v16
	v_cmp_ne_u64_e32 vcc_lo, 0, v[16:17]
	s_or_b32 s13, s13, vcc_lo
	s_delay_alu instid0(SALU_CYCLE_1) | instskip(NEXT) | instid1(SALU_CYCLE_1)
	s_and_saveexec_b32 s75, s13
	s_xor_b32 s13, exec_lo, s75
; %bb.21279:                            ;   in Loop: Header=BB6_19757 Depth=3
	v_min_i32_e32 v3, 31, v3
	s_delay_alu instid0(VALU_DEP_1) | instskip(NEXT) | instid1(VALU_DEP_1)
	v_lshl_or_b32 v1, v3, 2, v1
	v_and_or_b32 v50, v16, 3, v1
                                        ; implicit-def: $vgpr1
; %bb.21280:                            ;   in Loop: Header=BB6_19757 Depth=3
	s_and_not1_saveexec_b32 s13, s13
; %bb.21281:                            ;   in Loop: Header=BB6_19757 Depth=3
	v_mov_b32_e32 v50, v1
; %bb.21282:                            ;   in Loop: Header=BB6_19757 Depth=3
	s_or_b32 exec_lo, exec_lo, s13
.LBB6_21283:                            ;   in Loop: Header=BB6_19757 Depth=3
	s_delay_alu instid0(SALU_CYCLE_1)
	s_or_b32 exec_lo, exec_lo, s74
                                        ; implicit-def: $vgpr1
.LBB6_21284:                            ;   in Loop: Header=BB6_19757 Depth=3
	s_and_not1_saveexec_b32 s13, s15
; %bb.21285:                            ;   in Loop: Header=BB6_19757 Depth=3
	v_or_b32_e32 v50, 0x7b, v1
; %bb.21286:                            ;   in Loop: Header=BB6_19757 Depth=3
	s_or_b32 exec_lo, exec_lo, s13
                                        ; implicit-def: $vgpr3
                                        ; implicit-def: $vgpr16_vgpr17
.LBB6_21287:                            ;   in Loop: Header=BB6_19757 Depth=3
	s_and_not1_saveexec_b32 s13, s14
	s_cbranch_execz .LBB6_21293
; %bb.21288:                            ;   in Loop: Header=BB6_19757 Depth=3
	s_mov_b32 s14, exec_lo
                                        ; implicit-def: $vgpr50
	v_cmpx_ne_u64_e32 0, v[16:17]
	s_xor_b32 s14, exec_lo, s14
; %bb.21289:                            ;   in Loop: Header=BB6_19757 Depth=3
	v_lshrrev_b32_e32 v1, 24, v3
                                        ; implicit-def: $vgpr3
	s_delay_alu instid0(VALU_DEP_1)
	v_or_b32_e32 v50, 0x7f, v1
; %bb.21290:                            ;   in Loop: Header=BB6_19757 Depth=3
	s_and_not1_saveexec_b32 s14, s14
; %bb.21291:                            ;   in Loop: Header=BB6_19757 Depth=3
	v_cmp_lt_i32_e32 vcc_lo, -1, v3
	v_cndmask_b32_e64 v50, -4, 0x7c, vcc_lo
; %bb.21292:                            ;   in Loop: Header=BB6_19757 Depth=3
	s_or_b32 exec_lo, exec_lo, s14
.LBB6_21293:                            ;   in Loop: Header=BB6_19757 Depth=3
	s_delay_alu instid0(SALU_CYCLE_1) | instskip(SKIP_3) | instid1(VALU_DEP_2)
	s_or_b32 exec_lo, exec_lo, s13
	v_and_b32_e32 v7, 0xff, v66
	v_dual_mov_b32 v1, 0 :: v_dual_mov_b32 v3, 0
	s_mov_b32 s14, exec_lo
	v_cmpx_ne_u16_e32 0, v7
	s_cbranch_execz .LBB6_21303
; %bb.21294:                            ;   in Loop: Header=BB6_19757 Depth=3
	v_bfrev_b32_e32 v3, 1
	s_mov_b32 s15, exec_lo
	v_cmpx_ne_u16_e32 0x80, v7
	s_cbranch_execz .LBB6_21302
; %bb.21295:                            ;   in Loop: Header=BB6_19757 Depth=3
	v_and_b32_e32 v3, 0x7c, v66
	v_and_b32_e32 v5, 3, v66
	s_delay_alu instid0(VALU_DEP_2) | instskip(SKIP_1) | instid1(SALU_CYCLE_1)
	v_cmp_ne_u32_e32 vcc_lo, 0x7c, v3
                                        ; implicit-def: $vgpr3
	s_and_saveexec_b32 s13, vcc_lo
	s_xor_b32 s13, exec_lo, s13
	s_cbranch_execz .LBB6_21299
; %bb.21296:                            ;   in Loop: Header=BB6_19757 Depth=3
	v_bfe_u32 v3, v7, 2, 5
	s_mov_b32 s74, exec_lo
	s_delay_alu instid0(VALU_DEP_1)
	v_cmpx_eq_u32_e32 0, v3
	s_cbranch_execz .LBB6_21298
; %bb.21297:                            ;   in Loop: Header=BB6_19757 Depth=3
	v_clz_i32_u32_e32 v3, v5
	s_delay_alu instid0(VALU_DEP_1) | instskip(SKIP_1) | instid1(VALU_DEP_2)
	v_min_u32_e32 v3, 32, v3
	v_mov_b32_e32 v67, v113
	v_subrev_nc_u32_e32 v5, 29, v3
	v_sub_nc_u32_e32 v3, 30, v3
	s_delay_alu instid0(VALU_DEP_2) | instskip(NEXT) | instid1(VALU_DEP_1)
	v_lshlrev_b64_e32 v[16:17], v5, v[66:67]
	v_and_b32_e32 v5, 3, v16
.LBB6_21298:                            ;   in Loop: Header=BB6_19757 Depth=3
	s_or_b32 exec_lo, exec_lo, s74
	v_lshlrev_b32_e32 v7, 24, v66
                                        ; implicit-def: $vgpr66
	s_delay_alu instid0(VALU_DEP_1) | instskip(NEXT) | instid1(VALU_DEP_1)
	v_and_b32_e32 v7, 0x80000000, v7
	v_lshl_add_u32 v3, v3, 23, v7
	s_delay_alu instid0(VALU_DEP_1) | instskip(NEXT) | instid1(VALU_DEP_1)
	v_lshl_or_b32 v3, v5, 21, v3
                                        ; implicit-def: $vgpr5
	v_add_nc_u32_e32 v3, 0x38000000, v3
.LBB6_21299:                            ;   in Loop: Header=BB6_19757 Depth=3
	s_and_not1_saveexec_b32 s74, s13
; %bb.21300:                            ;   in Loop: Header=BB6_19757 Depth=3
	v_bfe_i32 v3, v66, 0, 8
	v_cmp_eq_u32_e32 vcc_lo, 0, v5
	s_delay_alu instid0(VALU_DEP_2) | instskip(SKIP_1) | instid1(VALU_DEP_1)
	v_cmp_lt_i16_e64 s13, -1, v3
	v_mov_b32_e32 v3, 0x7f800000
	v_cndmask_b32_e64 v3, 0xff800000, v3, s13
	s_delay_alu instid0(VALU_DEP_1)
	v_cndmask_b32_e32 v3, 0x7f800001, v3, vcc_lo
; %bb.21301:                            ;   in Loop: Header=BB6_19757 Depth=3
	s_or_b32 exec_lo, exec_lo, s74
.LBB6_21302:                            ;   in Loop: Header=BB6_19757 Depth=3
	s_delay_alu instid0(SALU_CYCLE_1)
	s_or_b32 exec_lo, exec_lo, s15
.LBB6_21303:                            ;   in Loop: Header=BB6_19757 Depth=3
	s_delay_alu instid0(SALU_CYCLE_1) | instskip(NEXT) | instid1(SALU_CYCLE_1)
	s_or_b32 exec_lo, exec_lo, s14
	s_mov_b32 s14, exec_lo
	s_wait_loadcnt_dscnt 0x1515
	v_cmpx_ne_u16_e32 0, v48
	s_cbranch_execz .LBB6_21313
; %bb.21304:                            ;   in Loop: Header=BB6_19757 Depth=3
	v_bfrev_b32_e32 v1, 1
	s_mov_b32 s15, exec_lo
	v_cmpx_ne_u16_e32 0xff80, v48
	s_cbranch_execz .LBB6_21312
; %bb.21305:                            ;   in Loop: Header=BB6_19757 Depth=3
	v_and_b32_e32 v1, 0x7c, v48
	v_and_b32_e32 v5, 3, v48
	s_delay_alu instid0(VALU_DEP_2) | instskip(SKIP_1) | instid1(SALU_CYCLE_1)
	v_cmp_ne_u32_e32 vcc_lo, 0x7c, v1
                                        ; implicit-def: $vgpr1
	s_and_saveexec_b32 s13, vcc_lo
	s_xor_b32 s13, exec_lo, s13
	s_cbranch_execz .LBB6_21309
; %bb.21306:                            ;   in Loop: Header=BB6_19757 Depth=3
	v_and_b32_e32 v1, 0xff, v48
	s_mov_b32 s74, exec_lo
	s_delay_alu instid0(VALU_DEP_1) | instskip(NEXT) | instid1(VALU_DEP_1)
	v_bfe_u32 v1, v1, 2, 5
	v_cmpx_eq_u32_e32 0, v1
	s_cbranch_execz .LBB6_21308
; %bb.21307:                            ;   in Loop: Header=BB6_19757 Depth=3
	v_clz_i32_u32_e32 v1, v5
	s_delay_alu instid0(VALU_DEP_1) | instskip(SKIP_1) | instid1(VALU_DEP_2)
	v_min_u32_e32 v1, 32, v1
	v_mov_b32_e32 v49, v113
	v_subrev_nc_u32_e32 v5, 29, v1
	v_sub_nc_u32_e32 v1, 30, v1
	s_delay_alu instid0(VALU_DEP_2) | instskip(NEXT) | instid1(VALU_DEP_1)
	v_lshlrev_b64_e32 v[16:17], v5, v[48:49]
	v_and_b32_e32 v5, 3, v16
.LBB6_21308:                            ;   in Loop: Header=BB6_19757 Depth=3
	s_or_b32 exec_lo, exec_lo, s74
	v_bfe_i32 v7, v48, 0, 16
                                        ; implicit-def: $vgpr48
	s_delay_alu instid0(VALU_DEP_1) | instskip(NEXT) | instid1(VALU_DEP_1)
	v_and_b32_e32 v7, 0x80000000, v7
	v_lshl_add_u32 v1, v1, 23, v7
	s_delay_alu instid0(VALU_DEP_1) | instskip(NEXT) | instid1(VALU_DEP_1)
	v_lshl_or_b32 v1, v5, 21, v1
                                        ; implicit-def: $vgpr5
	v_add_nc_u32_e32 v1, 0x38000000, v1
.LBB6_21309:                            ;   in Loop: Header=BB6_19757 Depth=3
	s_and_not1_saveexec_b32 s74, s13
; %bb.21310:                            ;   in Loop: Header=BB6_19757 Depth=3
	v_cmp_lt_i16_e64 s13, -1, v48
	v_mov_b32_e32 v1, 0x7f800000
	v_cmp_eq_u32_e32 vcc_lo, 0, v5
	s_delay_alu instid0(VALU_DEP_2) | instskip(NEXT) | instid1(VALU_DEP_1)
	v_cndmask_b32_e64 v1, 0xff800000, v1, s13
	v_cndmask_b32_e32 v1, 0x7f800001, v1, vcc_lo
; %bb.21311:                            ;   in Loop: Header=BB6_19757 Depth=3
	s_or_b32 exec_lo, exec_lo, s74
.LBB6_21312:                            ;   in Loop: Header=BB6_19757 Depth=3
	s_delay_alu instid0(SALU_CYCLE_1)
	s_or_b32 exec_lo, exec_lo, s15
.LBB6_21313:                            ;   in Loop: Header=BB6_19757 Depth=3
	s_delay_alu instid0(SALU_CYCLE_1) | instskip(NEXT) | instid1(VALU_DEP_1)
	s_or_b32 exec_lo, exec_lo, s14
	v_dual_add_f32 v3, v3, v1 :: v_dual_mov_b32 v17, v113
                                        ; implicit-def: $vgpr48
	s_delay_alu instid0(VALU_DEP_1) | instskip(NEXT) | instid1(VALU_DEP_1)
	v_and_b32_e32 v16, 0x7f800000, v3
	v_cmp_ne_u64_e32 vcc_lo, 0x7f800000, v[16:17]
	v_and_b32_e32 v16, 0x7fffff, v3
	s_and_saveexec_b32 s13, vcc_lo
	s_delay_alu instid0(SALU_CYCLE_1)
	s_xor_b32 s14, exec_lo, s13
	s_cbranch_execz .LBB6_21331
; %bb.21314:                            ;   in Loop: Header=BB6_19757 Depth=3
	v_dual_mov_b32 v21, v113 :: v_dual_lshrrev_b32 v1, 24, v3
	v_and_b32_e32 v20, 0x7fffffff, v3
                                        ; implicit-def: $vgpr48
	s_mov_b32 s13, exec_lo
	s_delay_alu instid0(VALU_DEP_2) | instskip(NEXT) | instid1(VALU_DEP_2)
	v_and_b32_e32 v1, 0x80, v1
	v_cmpx_gt_u64_e32 0x47600001, v[20:21]
	s_xor_b32 s15, exec_lo, s13
	s_cbranch_execz .LBB6_21328
; %bb.21315:                            ;   in Loop: Header=BB6_19757 Depth=3
	v_mov_b32_e32 v48, 0
	s_mov_b32 s74, exec_lo
	v_cmpx_ne_u32_e32 0, v3
	s_cbranch_execz .LBB6_21327
; %bb.21316:                            ;   in Loop: Header=BB6_19757 Depth=3
	v_bfe_u32 v3, v3, 23, 8
	v_or_b32_e32 v7, 0x800000, v16
	s_delay_alu instid0(VALU_DEP_2) | instskip(SKIP_1) | instid1(VALU_DEP_3)
	v_cmp_eq_u32_e32 vcc_lo, 0, v3
	v_cmp_gt_u32_e64 s13, 0x72, v3
	v_dual_cndmask_b32 v16, v7, v16 :: v_dual_sub_nc_u32 v5, 0x71, v3
	s_delay_alu instid0(VALU_DEP_1) | instskip(NEXT) | instid1(VALU_DEP_1)
	v_cndmask_b32_e64 v5, 0, v5, s13
	v_cndmask_b32_e64 v5, v5, 0x70, vcc_lo
	s_delay_alu instid0(VALU_DEP_1) | instskip(NEXT) | instid1(VALU_DEP_1)
	v_add_nc_u32_e32 v7, 21, v5
	v_lshlrev_b64_e64 v[20:21], v7, -1
	v_add_nc_u32_e32 v7, 20, v5
	s_delay_alu instid0(VALU_DEP_1) | instskip(NEXT) | instid1(VALU_DEP_3)
	v_lshlrev_b64_e64 v[48:49], v7, 1
	v_bfi_b32 v20, v20, 0, v16
	v_lshrrev_b64 v[16:17], v5, v[16:17]
	v_bfi_b32 v21, v21, 0, 0
	s_delay_alu instid0(VALU_DEP_1) | instskip(NEXT) | instid1(VALU_DEP_3)
	v_cmp_eq_u64_e64 s13, v[20:21], v[48:49]
	v_mov_b64_e32 v[20:21], v[16:17]
	s_and_saveexec_b32 s75, s13
; %bb.21317:                            ;   in Loop: Header=BB6_19757 Depth=3
	v_bfe_u32 v20, v16, 21, 1
	v_mov_b32_e32 v21, v113
	s_delay_alu instid0(VALU_DEP_1) | instskip(NEXT) | instid1(VALU_DEP_1)
	v_add_nc_u64_e32 v[20:21], v[16:17], v[20:21]
	v_add_nc_u64_e32 v[20:21], -1, v[20:21]
; %bb.21318:                            ;   in Loop: Header=BB6_19757 Depth=3
	s_or_b32 exec_lo, exec_lo, s75
	v_add_nc_u32_e32 v3, 0xffffff81, v3
	v_lshrrev_b32_e32 v7, 23, v16
	s_mov_b32 s13, exec_lo
	v_mov_b32_e32 v17, v113
	s_delay_alu instid0(VALU_DEP_3) | instskip(NEXT) | instid1(VALU_DEP_1)
	v_cndmask_b32_e64 v3, v3, 0xffffff82, vcc_lo
	v_add3_u32 v7, v5, v3, v7
	v_and_b32_e32 v3, 0x1fffff, v20
	s_delay_alu instid0(VALU_DEP_1) | instskip(NEXT) | instid1(VALU_DEP_1)
	v_dual_add_nc_u32 v5, 14, v7 :: v_dual_add_nc_u32 v16, v3, v16
                                        ; implicit-def: $vgpr3
	v_cmpx_ne_u32_e32 0, v5
	s_xor_b32 s13, exec_lo, s13
; %bb.21319:                            ;   in Loop: Header=BB6_19757 Depth=3
	s_delay_alu instid0(VALU_DEP_2) | instskip(SKIP_1) | instid1(VALU_DEP_1)
	v_cmp_lt_u64_e32 vcc_lo, 0xffffff, v[16:17]
	v_add_nc_u32_e32 v3, 15, v7
	v_cndmask_b32_e32 v3, v5, v3, vcc_lo
	v_cndmask_b32_e64 v5, 0, 1, vcc_lo
	s_delay_alu instid0(VALU_DEP_1)
	v_lshrrev_b64 v[16:17], v5, v[16:17]
; %bb.21320:                            ;   in Loop: Header=BB6_19757 Depth=3
	s_and_not1_saveexec_b32 s13, s13
; %bb.21321:                            ;   in Loop: Header=BB6_19757 Depth=3
	s_delay_alu instid0(VALU_DEP_1)
	v_bfe_u32 v3, v16, 23, 1
; %bb.21322:                            ;   in Loop: Header=BB6_19757 Depth=3
	s_or_b32 exec_lo, exec_lo, s13
	s_delay_alu instid0(VALU_DEP_2) | instskip(NEXT) | instid1(VALU_DEP_2)
	v_lshrrev_b64 v[16:17], 21, v[16:17]
	v_cmp_gt_i32_e32 vcc_lo, 32, v3
	v_cmp_ne_u32_e64 s13, 0, v3
                                        ; implicit-def: $vgpr48
	s_delay_alu instid0(VALU_DEP_3) | instskip(NEXT) | instid1(VALU_DEP_1)
	v_dual_cndmask_b32 v17, 0, v17 :: v_dual_cndmask_b32 v16, 3, v16
	v_cmp_ne_u64_e32 vcc_lo, 0, v[16:17]
	s_or_b32 s13, s13, vcc_lo
	s_delay_alu instid0(SALU_CYCLE_1) | instskip(NEXT) | instid1(SALU_CYCLE_1)
	s_and_saveexec_b32 s75, s13
	s_xor_b32 s13, exec_lo, s75
; %bb.21323:                            ;   in Loop: Header=BB6_19757 Depth=3
	v_min_i32_e32 v3, 31, v3
	s_delay_alu instid0(VALU_DEP_1) | instskip(NEXT) | instid1(VALU_DEP_1)
	v_lshl_or_b32 v1, v3, 2, v1
	v_and_or_b32 v48, v16, 3, v1
                                        ; implicit-def: $vgpr1
; %bb.21324:                            ;   in Loop: Header=BB6_19757 Depth=3
	s_and_not1_saveexec_b32 s13, s13
; %bb.21325:                            ;   in Loop: Header=BB6_19757 Depth=3
	v_mov_b32_e32 v48, v1
; %bb.21326:                            ;   in Loop: Header=BB6_19757 Depth=3
	s_or_b32 exec_lo, exec_lo, s13
.LBB6_21327:                            ;   in Loop: Header=BB6_19757 Depth=3
	s_delay_alu instid0(SALU_CYCLE_1)
	s_or_b32 exec_lo, exec_lo, s74
                                        ; implicit-def: $vgpr1
.LBB6_21328:                            ;   in Loop: Header=BB6_19757 Depth=3
	s_and_not1_saveexec_b32 s13, s15
; %bb.21329:                            ;   in Loop: Header=BB6_19757 Depth=3
	v_or_b32_e32 v48, 0x7b, v1
; %bb.21330:                            ;   in Loop: Header=BB6_19757 Depth=3
	s_or_b32 exec_lo, exec_lo, s13
                                        ; implicit-def: $vgpr3
                                        ; implicit-def: $vgpr16_vgpr17
.LBB6_21331:                            ;   in Loop: Header=BB6_19757 Depth=3
	s_and_not1_saveexec_b32 s13, s14
	s_cbranch_execz .LBB6_21337
; %bb.21332:                            ;   in Loop: Header=BB6_19757 Depth=3
	s_mov_b32 s14, exec_lo
                                        ; implicit-def: $vgpr48
	v_cmpx_ne_u64_e32 0, v[16:17]
	s_xor_b32 s14, exec_lo, s14
; %bb.21333:                            ;   in Loop: Header=BB6_19757 Depth=3
	v_lshrrev_b32_e32 v1, 24, v3
                                        ; implicit-def: $vgpr3
	s_delay_alu instid0(VALU_DEP_1)
	v_or_b32_e32 v48, 0x7f, v1
; %bb.21334:                            ;   in Loop: Header=BB6_19757 Depth=3
	s_and_not1_saveexec_b32 s14, s14
; %bb.21335:                            ;   in Loop: Header=BB6_19757 Depth=3
	v_cmp_lt_i32_e32 vcc_lo, -1, v3
	v_cndmask_b32_e64 v48, -4, 0x7c, vcc_lo
; %bb.21336:                            ;   in Loop: Header=BB6_19757 Depth=3
	s_or_b32 exec_lo, exec_lo, s14
.LBB6_21337:                            ;   in Loop: Header=BB6_19757 Depth=3
	s_delay_alu instid0(SALU_CYCLE_1) | instskip(SKIP_3) | instid1(VALU_DEP_2)
	s_or_b32 exec_lo, exec_lo, s13
	v_and_b32_e32 v7, 0xff, v82
	v_dual_mov_b32 v1, 0 :: v_dual_mov_b32 v3, 0
	s_mov_b32 s14, exec_lo
	v_cmpx_ne_u16_e32 0, v7
	s_cbranch_execz .LBB6_21347
; %bb.21338:                            ;   in Loop: Header=BB6_19757 Depth=3
	v_bfrev_b32_e32 v3, 1
	s_mov_b32 s15, exec_lo
	v_cmpx_ne_u16_e32 0x80, v7
	s_cbranch_execz .LBB6_21346
; %bb.21339:                            ;   in Loop: Header=BB6_19757 Depth=3
	v_and_b32_e32 v3, 0x7c, v82
	v_and_b32_e32 v5, 3, v82
	s_delay_alu instid0(VALU_DEP_2) | instskip(SKIP_1) | instid1(SALU_CYCLE_1)
	v_cmp_ne_u32_e32 vcc_lo, 0x7c, v3
                                        ; implicit-def: $vgpr3
	s_and_saveexec_b32 s13, vcc_lo
	s_xor_b32 s13, exec_lo, s13
	s_cbranch_execz .LBB6_21343
; %bb.21340:                            ;   in Loop: Header=BB6_19757 Depth=3
	v_bfe_u32 v3, v7, 2, 5
	s_mov_b32 s74, exec_lo
	s_delay_alu instid0(VALU_DEP_1)
	v_cmpx_eq_u32_e32 0, v3
	s_cbranch_execz .LBB6_21342
; %bb.21341:                            ;   in Loop: Header=BB6_19757 Depth=3
	v_clz_i32_u32_e32 v3, v5
	s_delay_alu instid0(VALU_DEP_1) | instskip(SKIP_1) | instid1(VALU_DEP_2)
	v_min_u32_e32 v3, 32, v3
	v_mov_b32_e32 v83, v113
	v_subrev_nc_u32_e32 v5, 29, v3
	v_sub_nc_u32_e32 v3, 30, v3
	s_delay_alu instid0(VALU_DEP_2) | instskip(NEXT) | instid1(VALU_DEP_1)
	v_lshlrev_b64_e32 v[16:17], v5, v[82:83]
	v_and_b32_e32 v5, 3, v16
.LBB6_21342:                            ;   in Loop: Header=BB6_19757 Depth=3
	s_or_b32 exec_lo, exec_lo, s74
	v_lshlrev_b32_e32 v7, 24, v82
                                        ; implicit-def: $vgpr82
	s_delay_alu instid0(VALU_DEP_1) | instskip(NEXT) | instid1(VALU_DEP_1)
	v_and_b32_e32 v7, 0x80000000, v7
	v_lshl_add_u32 v3, v3, 23, v7
	s_delay_alu instid0(VALU_DEP_1) | instskip(NEXT) | instid1(VALU_DEP_1)
	v_lshl_or_b32 v3, v5, 21, v3
                                        ; implicit-def: $vgpr5
	v_add_nc_u32_e32 v3, 0x38000000, v3
.LBB6_21343:                            ;   in Loop: Header=BB6_19757 Depth=3
	s_and_not1_saveexec_b32 s74, s13
; %bb.21344:                            ;   in Loop: Header=BB6_19757 Depth=3
	v_bfe_i32 v3, v82, 0, 8
	v_cmp_eq_u32_e32 vcc_lo, 0, v5
	s_delay_alu instid0(VALU_DEP_2) | instskip(SKIP_1) | instid1(VALU_DEP_1)
	v_cmp_lt_i16_e64 s13, -1, v3
	v_mov_b32_e32 v3, 0x7f800000
	v_cndmask_b32_e64 v3, 0xff800000, v3, s13
	s_delay_alu instid0(VALU_DEP_1)
	v_cndmask_b32_e32 v3, 0x7f800001, v3, vcc_lo
; %bb.21345:                            ;   in Loop: Header=BB6_19757 Depth=3
	s_or_b32 exec_lo, exec_lo, s74
.LBB6_21346:                            ;   in Loop: Header=BB6_19757 Depth=3
	s_delay_alu instid0(SALU_CYCLE_1)
	s_or_b32 exec_lo, exec_lo, s15
.LBB6_21347:                            ;   in Loop: Header=BB6_19757 Depth=3
	s_delay_alu instid0(SALU_CYCLE_1) | instskip(NEXT) | instid1(SALU_CYCLE_1)
	s_or_b32 exec_lo, exec_lo, s14
	s_mov_b32 s14, exec_lo
	s_wait_loadcnt_dscnt 0x1414
	v_cmpx_ne_u16_e32 0, v52
	s_cbranch_execz .LBB6_21357
; %bb.21348:                            ;   in Loop: Header=BB6_19757 Depth=3
	v_bfrev_b32_e32 v1, 1
	s_mov_b32 s15, exec_lo
	v_cmpx_ne_u16_e32 0xff80, v52
	s_cbranch_execz .LBB6_21356
; %bb.21349:                            ;   in Loop: Header=BB6_19757 Depth=3
	v_and_b32_e32 v1, 0x7c, v52
	v_and_b32_e32 v5, 3, v52
	s_delay_alu instid0(VALU_DEP_2) | instskip(SKIP_1) | instid1(SALU_CYCLE_1)
	v_cmp_ne_u32_e32 vcc_lo, 0x7c, v1
                                        ; implicit-def: $vgpr1
	s_and_saveexec_b32 s13, vcc_lo
	s_xor_b32 s13, exec_lo, s13
	s_cbranch_execz .LBB6_21353
; %bb.21350:                            ;   in Loop: Header=BB6_19757 Depth=3
	v_and_b32_e32 v1, 0xff, v52
	s_mov_b32 s74, exec_lo
	s_delay_alu instid0(VALU_DEP_1) | instskip(NEXT) | instid1(VALU_DEP_1)
	v_bfe_u32 v1, v1, 2, 5
	v_cmpx_eq_u32_e32 0, v1
	s_cbranch_execz .LBB6_21352
; %bb.21351:                            ;   in Loop: Header=BB6_19757 Depth=3
	v_clz_i32_u32_e32 v1, v5
	s_delay_alu instid0(VALU_DEP_1) | instskip(SKIP_1) | instid1(VALU_DEP_2)
	v_min_u32_e32 v1, 32, v1
	v_mov_b32_e32 v53, v113
	v_subrev_nc_u32_e32 v5, 29, v1
	v_sub_nc_u32_e32 v1, 30, v1
	s_delay_alu instid0(VALU_DEP_2) | instskip(NEXT) | instid1(VALU_DEP_1)
	v_lshlrev_b64_e32 v[16:17], v5, v[52:53]
	v_and_b32_e32 v5, 3, v16
.LBB6_21352:                            ;   in Loop: Header=BB6_19757 Depth=3
	s_or_b32 exec_lo, exec_lo, s74
	v_bfe_i32 v7, v52, 0, 16
                                        ; implicit-def: $vgpr52
	s_delay_alu instid0(VALU_DEP_1) | instskip(NEXT) | instid1(VALU_DEP_1)
	v_and_b32_e32 v7, 0x80000000, v7
	v_lshl_add_u32 v1, v1, 23, v7
	s_delay_alu instid0(VALU_DEP_1) | instskip(NEXT) | instid1(VALU_DEP_1)
	v_lshl_or_b32 v1, v5, 21, v1
                                        ; implicit-def: $vgpr5
	v_add_nc_u32_e32 v1, 0x38000000, v1
.LBB6_21353:                            ;   in Loop: Header=BB6_19757 Depth=3
	s_and_not1_saveexec_b32 s74, s13
; %bb.21354:                            ;   in Loop: Header=BB6_19757 Depth=3
	v_cmp_lt_i16_e64 s13, -1, v52
	v_mov_b32_e32 v1, 0x7f800000
	v_cmp_eq_u32_e32 vcc_lo, 0, v5
	s_delay_alu instid0(VALU_DEP_2) | instskip(NEXT) | instid1(VALU_DEP_1)
	v_cndmask_b32_e64 v1, 0xff800000, v1, s13
	v_cndmask_b32_e32 v1, 0x7f800001, v1, vcc_lo
; %bb.21355:                            ;   in Loop: Header=BB6_19757 Depth=3
	s_or_b32 exec_lo, exec_lo, s74
.LBB6_21356:                            ;   in Loop: Header=BB6_19757 Depth=3
	s_delay_alu instid0(SALU_CYCLE_1)
	s_or_b32 exec_lo, exec_lo, s15
.LBB6_21357:                            ;   in Loop: Header=BB6_19757 Depth=3
	s_delay_alu instid0(SALU_CYCLE_1) | instskip(NEXT) | instid1(VALU_DEP_1)
	s_or_b32 exec_lo, exec_lo, s14
	v_dual_add_f32 v3, v3, v1 :: v_dual_mov_b32 v17, v113
                                        ; implicit-def: $vgpr49
	s_delay_alu instid0(VALU_DEP_1) | instskip(NEXT) | instid1(VALU_DEP_1)
	v_and_b32_e32 v16, 0x7f800000, v3
	v_cmp_ne_u64_e32 vcc_lo, 0x7f800000, v[16:17]
	v_and_b32_e32 v16, 0x7fffff, v3
	s_and_saveexec_b32 s13, vcc_lo
	s_delay_alu instid0(SALU_CYCLE_1)
	s_xor_b32 s14, exec_lo, s13
	s_cbranch_execz .LBB6_21375
; %bb.21358:                            ;   in Loop: Header=BB6_19757 Depth=3
	v_dual_mov_b32 v21, v113 :: v_dual_lshrrev_b32 v1, 24, v3
	v_and_b32_e32 v20, 0x7fffffff, v3
                                        ; implicit-def: $vgpr49
	s_mov_b32 s13, exec_lo
	s_delay_alu instid0(VALU_DEP_2) | instskip(NEXT) | instid1(VALU_DEP_2)
	v_and_b32_e32 v1, 0x80, v1
	v_cmpx_gt_u64_e32 0x47600001, v[20:21]
	s_xor_b32 s15, exec_lo, s13
	s_cbranch_execz .LBB6_21372
; %bb.21359:                            ;   in Loop: Header=BB6_19757 Depth=3
	v_mov_b32_e32 v49, 0
	s_mov_b32 s74, exec_lo
	v_cmpx_ne_u32_e32 0, v3
	s_cbranch_execz .LBB6_21371
; %bb.21360:                            ;   in Loop: Header=BB6_19757 Depth=3
	v_bfe_u32 v3, v3, 23, 8
	v_or_b32_e32 v7, 0x800000, v16
	s_delay_alu instid0(VALU_DEP_2) | instskip(SKIP_1) | instid1(VALU_DEP_3)
	v_cmp_eq_u32_e32 vcc_lo, 0, v3
	v_cmp_gt_u32_e64 s13, 0x72, v3
	v_dual_cndmask_b32 v16, v7, v16 :: v_dual_sub_nc_u32 v5, 0x71, v3
	s_delay_alu instid0(VALU_DEP_1) | instskip(NEXT) | instid1(VALU_DEP_1)
	v_cndmask_b32_e64 v5, 0, v5, s13
	v_cndmask_b32_e64 v5, v5, 0x70, vcc_lo
	s_delay_alu instid0(VALU_DEP_1) | instskip(NEXT) | instid1(VALU_DEP_1)
	v_add_nc_u32_e32 v7, 21, v5
	v_lshlrev_b64_e64 v[20:21], v7, -1
	v_add_nc_u32_e32 v7, 20, v5
	s_delay_alu instid0(VALU_DEP_1) | instskip(NEXT) | instid1(VALU_DEP_3)
	v_lshlrev_b64_e64 v[52:53], v7, 1
	v_bfi_b32 v20, v20, 0, v16
	v_lshrrev_b64 v[16:17], v5, v[16:17]
	v_bfi_b32 v21, v21, 0, 0
	s_delay_alu instid0(VALU_DEP_1) | instskip(NEXT) | instid1(VALU_DEP_3)
	v_cmp_eq_u64_e64 s13, v[20:21], v[52:53]
	v_mov_b64_e32 v[20:21], v[16:17]
	s_and_saveexec_b32 s75, s13
; %bb.21361:                            ;   in Loop: Header=BB6_19757 Depth=3
	v_bfe_u32 v20, v16, 21, 1
	v_mov_b32_e32 v21, v113
	s_delay_alu instid0(VALU_DEP_1) | instskip(NEXT) | instid1(VALU_DEP_1)
	v_add_nc_u64_e32 v[20:21], v[16:17], v[20:21]
	v_add_nc_u64_e32 v[20:21], -1, v[20:21]
; %bb.21362:                            ;   in Loop: Header=BB6_19757 Depth=3
	s_or_b32 exec_lo, exec_lo, s75
	v_add_nc_u32_e32 v3, 0xffffff81, v3
	v_lshrrev_b32_e32 v7, 23, v16
	s_mov_b32 s13, exec_lo
	v_mov_b32_e32 v17, v113
	s_delay_alu instid0(VALU_DEP_3) | instskip(NEXT) | instid1(VALU_DEP_1)
	v_cndmask_b32_e64 v3, v3, 0xffffff82, vcc_lo
	v_add3_u32 v7, v5, v3, v7
	v_and_b32_e32 v3, 0x1fffff, v20
	s_delay_alu instid0(VALU_DEP_1) | instskip(NEXT) | instid1(VALU_DEP_1)
	v_dual_add_nc_u32 v5, 14, v7 :: v_dual_add_nc_u32 v16, v3, v16
                                        ; implicit-def: $vgpr3
	v_cmpx_ne_u32_e32 0, v5
	s_xor_b32 s13, exec_lo, s13
; %bb.21363:                            ;   in Loop: Header=BB6_19757 Depth=3
	s_delay_alu instid0(VALU_DEP_2) | instskip(SKIP_1) | instid1(VALU_DEP_1)
	v_cmp_lt_u64_e32 vcc_lo, 0xffffff, v[16:17]
	v_add_nc_u32_e32 v3, 15, v7
	v_cndmask_b32_e32 v3, v5, v3, vcc_lo
	v_cndmask_b32_e64 v5, 0, 1, vcc_lo
	s_delay_alu instid0(VALU_DEP_1)
	v_lshrrev_b64 v[16:17], v5, v[16:17]
; %bb.21364:                            ;   in Loop: Header=BB6_19757 Depth=3
	s_and_not1_saveexec_b32 s13, s13
; %bb.21365:                            ;   in Loop: Header=BB6_19757 Depth=3
	s_delay_alu instid0(VALU_DEP_1)
	v_bfe_u32 v3, v16, 23, 1
; %bb.21366:                            ;   in Loop: Header=BB6_19757 Depth=3
	s_or_b32 exec_lo, exec_lo, s13
	s_delay_alu instid0(VALU_DEP_2) | instskip(NEXT) | instid1(VALU_DEP_2)
	v_lshrrev_b64 v[16:17], 21, v[16:17]
	v_cmp_gt_i32_e32 vcc_lo, 32, v3
	v_cmp_ne_u32_e64 s13, 0, v3
                                        ; implicit-def: $vgpr49
	s_delay_alu instid0(VALU_DEP_3) | instskip(NEXT) | instid1(VALU_DEP_1)
	v_dual_cndmask_b32 v17, 0, v17 :: v_dual_cndmask_b32 v16, 3, v16
	v_cmp_ne_u64_e32 vcc_lo, 0, v[16:17]
	s_or_b32 s13, s13, vcc_lo
	s_delay_alu instid0(SALU_CYCLE_1) | instskip(NEXT) | instid1(SALU_CYCLE_1)
	s_and_saveexec_b32 s75, s13
	s_xor_b32 s13, exec_lo, s75
; %bb.21367:                            ;   in Loop: Header=BB6_19757 Depth=3
	v_min_i32_e32 v3, 31, v3
	s_delay_alu instid0(VALU_DEP_1) | instskip(NEXT) | instid1(VALU_DEP_1)
	v_lshl_or_b32 v1, v3, 2, v1
	v_and_or_b32 v49, v16, 3, v1
                                        ; implicit-def: $vgpr1
; %bb.21368:                            ;   in Loop: Header=BB6_19757 Depth=3
	s_and_not1_saveexec_b32 s13, s13
; %bb.21369:                            ;   in Loop: Header=BB6_19757 Depth=3
	v_mov_b32_e32 v49, v1
; %bb.21370:                            ;   in Loop: Header=BB6_19757 Depth=3
	s_or_b32 exec_lo, exec_lo, s13
.LBB6_21371:                            ;   in Loop: Header=BB6_19757 Depth=3
	s_delay_alu instid0(SALU_CYCLE_1)
	s_or_b32 exec_lo, exec_lo, s74
                                        ; implicit-def: $vgpr1
.LBB6_21372:                            ;   in Loop: Header=BB6_19757 Depth=3
	s_and_not1_saveexec_b32 s13, s15
; %bb.21373:                            ;   in Loop: Header=BB6_19757 Depth=3
	v_or_b32_e32 v49, 0x7b, v1
; %bb.21374:                            ;   in Loop: Header=BB6_19757 Depth=3
	s_or_b32 exec_lo, exec_lo, s13
                                        ; implicit-def: $vgpr3
                                        ; implicit-def: $vgpr16_vgpr17
.LBB6_21375:                            ;   in Loop: Header=BB6_19757 Depth=3
	s_and_not1_saveexec_b32 s13, s14
	s_cbranch_execz .LBB6_21381
; %bb.21376:                            ;   in Loop: Header=BB6_19757 Depth=3
	s_mov_b32 s14, exec_lo
                                        ; implicit-def: $vgpr49
	v_cmpx_ne_u64_e32 0, v[16:17]
	s_xor_b32 s14, exec_lo, s14
; %bb.21377:                            ;   in Loop: Header=BB6_19757 Depth=3
	v_lshrrev_b32_e32 v1, 24, v3
                                        ; implicit-def: $vgpr3
	s_delay_alu instid0(VALU_DEP_1)
	v_or_b32_e32 v49, 0x7f, v1
; %bb.21378:                            ;   in Loop: Header=BB6_19757 Depth=3
	s_and_not1_saveexec_b32 s14, s14
; %bb.21379:                            ;   in Loop: Header=BB6_19757 Depth=3
	v_cmp_lt_i32_e32 vcc_lo, -1, v3
	v_cndmask_b32_e64 v49, -4, 0x7c, vcc_lo
; %bb.21380:                            ;   in Loop: Header=BB6_19757 Depth=3
	s_or_b32 exec_lo, exec_lo, s14
.LBB6_21381:                            ;   in Loop: Header=BB6_19757 Depth=3
	s_delay_alu instid0(SALU_CYCLE_1) | instskip(SKIP_3) | instid1(VALU_DEP_2)
	s_or_b32 exec_lo, exec_lo, s13
	v_and_b32_e32 v7, 0xff, v24
	v_dual_mov_b32 v1, 0 :: v_dual_mov_b32 v3, 0
	s_mov_b32 s14, exec_lo
	v_cmpx_ne_u16_e32 0, v7
	s_cbranch_execz .LBB6_21391
; %bb.21382:                            ;   in Loop: Header=BB6_19757 Depth=3
	v_bfrev_b32_e32 v3, 1
	s_mov_b32 s15, exec_lo
	v_cmpx_ne_u16_e32 0x80, v7
	s_cbranch_execz .LBB6_21390
; %bb.21383:                            ;   in Loop: Header=BB6_19757 Depth=3
	v_and_b32_e32 v3, 0x7c, v24
	v_and_b32_e32 v5, 3, v24
	s_delay_alu instid0(VALU_DEP_2) | instskip(SKIP_1) | instid1(SALU_CYCLE_1)
	v_cmp_ne_u32_e32 vcc_lo, 0x7c, v3
                                        ; implicit-def: $vgpr3
	s_and_saveexec_b32 s13, vcc_lo
	s_xor_b32 s13, exec_lo, s13
	s_cbranch_execz .LBB6_21387
; %bb.21384:                            ;   in Loop: Header=BB6_19757 Depth=3
	v_bfe_u32 v3, v7, 2, 5
	s_mov_b32 s74, exec_lo
	s_delay_alu instid0(VALU_DEP_1)
	v_cmpx_eq_u32_e32 0, v3
	s_cbranch_execz .LBB6_21386
; %bb.21385:                            ;   in Loop: Header=BB6_19757 Depth=3
	v_clz_i32_u32_e32 v3, v5
	s_delay_alu instid0(VALU_DEP_1) | instskip(SKIP_1) | instid1(VALU_DEP_2)
	v_min_u32_e32 v3, 32, v3
	v_mov_b32_e32 v25, v113
	v_subrev_nc_u32_e32 v5, 29, v3
	v_sub_nc_u32_e32 v3, 30, v3
	s_delay_alu instid0(VALU_DEP_2) | instskip(NEXT) | instid1(VALU_DEP_1)
	v_lshlrev_b64_e32 v[16:17], v5, v[24:25]
	v_and_b32_e32 v5, 3, v16
.LBB6_21386:                            ;   in Loop: Header=BB6_19757 Depth=3
	s_or_b32 exec_lo, exec_lo, s74
	v_lshlrev_b32_e32 v7, 24, v24
                                        ; implicit-def: $vgpr24
	s_delay_alu instid0(VALU_DEP_1) | instskip(NEXT) | instid1(VALU_DEP_1)
	v_and_b32_e32 v7, 0x80000000, v7
	v_lshl_add_u32 v3, v3, 23, v7
	s_delay_alu instid0(VALU_DEP_1) | instskip(NEXT) | instid1(VALU_DEP_1)
	v_lshl_or_b32 v3, v5, 21, v3
                                        ; implicit-def: $vgpr5
	v_add_nc_u32_e32 v3, 0x38000000, v3
.LBB6_21387:                            ;   in Loop: Header=BB6_19757 Depth=3
	s_and_not1_saveexec_b32 s74, s13
; %bb.21388:                            ;   in Loop: Header=BB6_19757 Depth=3
	v_bfe_i32 v3, v24, 0, 8
	v_cmp_eq_u32_e32 vcc_lo, 0, v5
	s_delay_alu instid0(VALU_DEP_2) | instskip(SKIP_1) | instid1(VALU_DEP_1)
	v_cmp_lt_i16_e64 s13, -1, v3
	v_mov_b32_e32 v3, 0x7f800000
	v_cndmask_b32_e64 v3, 0xff800000, v3, s13
	s_delay_alu instid0(VALU_DEP_1)
	v_cndmask_b32_e32 v3, 0x7f800001, v3, vcc_lo
; %bb.21389:                            ;   in Loop: Header=BB6_19757 Depth=3
	s_or_b32 exec_lo, exec_lo, s74
.LBB6_21390:                            ;   in Loop: Header=BB6_19757 Depth=3
	s_delay_alu instid0(SALU_CYCLE_1)
	s_or_b32 exec_lo, exec_lo, s15
.LBB6_21391:                            ;   in Loop: Header=BB6_19757 Depth=3
	s_delay_alu instid0(SALU_CYCLE_1) | instskip(NEXT) | instid1(SALU_CYCLE_1)
	s_or_b32 exec_lo, exec_lo, s14
	s_mov_b32 s14, exec_lo
	s_wait_loadcnt_dscnt 0x1313
	v_cmpx_ne_u16_e32 0, v116
	s_cbranch_execz .LBB6_21401
; %bb.21392:                            ;   in Loop: Header=BB6_19757 Depth=3
	v_bfrev_b32_e32 v1, 1
	s_mov_b32 s15, exec_lo
	v_cmpx_ne_u16_e32 0xff80, v116
	s_cbranch_execz .LBB6_21400
; %bb.21393:                            ;   in Loop: Header=BB6_19757 Depth=3
	v_and_b32_e32 v1, 0x7c, v116
	v_and_b32_e32 v5, 3, v116
	s_delay_alu instid0(VALU_DEP_2) | instskip(SKIP_1) | instid1(SALU_CYCLE_1)
	v_cmp_ne_u32_e32 vcc_lo, 0x7c, v1
                                        ; implicit-def: $vgpr1
	s_and_saveexec_b32 s13, vcc_lo
	s_xor_b32 s13, exec_lo, s13
	s_cbranch_execz .LBB6_21397
; %bb.21394:                            ;   in Loop: Header=BB6_19757 Depth=3
	v_and_b32_e32 v1, 0xff, v116
	s_mov_b32 s74, exec_lo
	s_delay_alu instid0(VALU_DEP_1) | instskip(NEXT) | instid1(VALU_DEP_1)
	v_bfe_u32 v1, v1, 2, 5
	v_cmpx_eq_u32_e32 0, v1
	s_cbranch_execz .LBB6_21396
; %bb.21395:                            ;   in Loop: Header=BB6_19757 Depth=3
	v_clz_i32_u32_e32 v1, v5
	s_delay_alu instid0(VALU_DEP_1) | instskip(SKIP_1) | instid1(VALU_DEP_2)
	v_min_u32_e32 v1, 32, v1
	v_mov_b32_e32 v117, v113
	v_subrev_nc_u32_e32 v5, 29, v1
	v_sub_nc_u32_e32 v1, 30, v1
	s_delay_alu instid0(VALU_DEP_2) | instskip(NEXT) | instid1(VALU_DEP_1)
	v_lshlrev_b64_e32 v[16:17], v5, v[116:117]
	v_and_b32_e32 v5, 3, v16
.LBB6_21396:                            ;   in Loop: Header=BB6_19757 Depth=3
	s_or_b32 exec_lo, exec_lo, s74
	v_bfe_i32 v7, v116, 0, 16
                                        ; implicit-def: $vgpr116
	s_delay_alu instid0(VALU_DEP_1) | instskip(NEXT) | instid1(VALU_DEP_1)
	v_and_b32_e32 v7, 0x80000000, v7
	v_lshl_add_u32 v1, v1, 23, v7
	s_delay_alu instid0(VALU_DEP_1) | instskip(NEXT) | instid1(VALU_DEP_1)
	v_lshl_or_b32 v1, v5, 21, v1
                                        ; implicit-def: $vgpr5
	v_add_nc_u32_e32 v1, 0x38000000, v1
.LBB6_21397:                            ;   in Loop: Header=BB6_19757 Depth=3
	s_and_not1_saveexec_b32 s74, s13
; %bb.21398:                            ;   in Loop: Header=BB6_19757 Depth=3
	v_cmp_lt_i16_e64 s13, -1, v116
	v_mov_b32_e32 v1, 0x7f800000
	v_cmp_eq_u32_e32 vcc_lo, 0, v5
	s_delay_alu instid0(VALU_DEP_2) | instskip(NEXT) | instid1(VALU_DEP_1)
	v_cndmask_b32_e64 v1, 0xff800000, v1, s13
	v_cndmask_b32_e32 v1, 0x7f800001, v1, vcc_lo
; %bb.21399:                            ;   in Loop: Header=BB6_19757 Depth=3
	s_or_b32 exec_lo, exec_lo, s74
.LBB6_21400:                            ;   in Loop: Header=BB6_19757 Depth=3
	s_delay_alu instid0(SALU_CYCLE_1)
	s_or_b32 exec_lo, exec_lo, s15
.LBB6_21401:                            ;   in Loop: Header=BB6_19757 Depth=3
	s_delay_alu instid0(SALU_CYCLE_1) | instskip(NEXT) | instid1(VALU_DEP_1)
	s_or_b32 exec_lo, exec_lo, s14
	v_dual_add_f32 v3, v3, v1 :: v_dual_mov_b32 v17, v113
                                        ; implicit-def: $vgpr24
	s_delay_alu instid0(VALU_DEP_1) | instskip(NEXT) | instid1(VALU_DEP_1)
	v_and_b32_e32 v16, 0x7f800000, v3
	v_cmp_ne_u64_e32 vcc_lo, 0x7f800000, v[16:17]
	v_and_b32_e32 v16, 0x7fffff, v3
	s_and_saveexec_b32 s13, vcc_lo
	s_delay_alu instid0(SALU_CYCLE_1)
	s_xor_b32 s14, exec_lo, s13
	s_cbranch_execz .LBB6_21419
; %bb.21402:                            ;   in Loop: Header=BB6_19757 Depth=3
	v_dual_mov_b32 v21, v113 :: v_dual_lshrrev_b32 v1, 24, v3
	v_and_b32_e32 v20, 0x7fffffff, v3
                                        ; implicit-def: $vgpr24
	s_mov_b32 s13, exec_lo
	s_delay_alu instid0(VALU_DEP_2) | instskip(NEXT) | instid1(VALU_DEP_2)
	v_and_b32_e32 v1, 0x80, v1
	v_cmpx_gt_u64_e32 0x47600001, v[20:21]
	s_xor_b32 s15, exec_lo, s13
	s_cbranch_execz .LBB6_21416
; %bb.21403:                            ;   in Loop: Header=BB6_19757 Depth=3
	v_mov_b32_e32 v24, 0
	s_mov_b32 s74, exec_lo
	v_cmpx_ne_u32_e32 0, v3
	s_cbranch_execz .LBB6_21415
; %bb.21404:                            ;   in Loop: Header=BB6_19757 Depth=3
	v_bfe_u32 v3, v3, 23, 8
	v_or_b32_e32 v7, 0x800000, v16
	s_delay_alu instid0(VALU_DEP_2) | instskip(SKIP_1) | instid1(VALU_DEP_3)
	v_cmp_eq_u32_e32 vcc_lo, 0, v3
	v_cmp_gt_u32_e64 s13, 0x72, v3
	v_dual_cndmask_b32 v16, v7, v16 :: v_dual_sub_nc_u32 v5, 0x71, v3
	s_delay_alu instid0(VALU_DEP_1) | instskip(NEXT) | instid1(VALU_DEP_1)
	v_cndmask_b32_e64 v5, 0, v5, s13
	v_cndmask_b32_e64 v5, v5, 0x70, vcc_lo
	s_delay_alu instid0(VALU_DEP_1) | instskip(NEXT) | instid1(VALU_DEP_1)
	v_add_nc_u32_e32 v7, 21, v5
	v_lshlrev_b64_e64 v[20:21], v7, -1
	v_add_nc_u32_e32 v7, 20, v5
	s_delay_alu instid0(VALU_DEP_1) | instskip(NEXT) | instid1(VALU_DEP_3)
	v_lshlrev_b64_e64 v[24:25], v7, 1
	v_bfi_b32 v20, v20, 0, v16
	v_lshrrev_b64 v[16:17], v5, v[16:17]
	v_bfi_b32 v21, v21, 0, 0
	s_delay_alu instid0(VALU_DEP_1) | instskip(NEXT) | instid1(VALU_DEP_3)
	v_cmp_eq_u64_e64 s13, v[20:21], v[24:25]
	v_mov_b64_e32 v[20:21], v[16:17]
	s_and_saveexec_b32 s75, s13
; %bb.21405:                            ;   in Loop: Header=BB6_19757 Depth=3
	v_bfe_u32 v20, v16, 21, 1
	v_mov_b32_e32 v21, v113
	s_delay_alu instid0(VALU_DEP_1) | instskip(NEXT) | instid1(VALU_DEP_1)
	v_add_nc_u64_e32 v[20:21], v[16:17], v[20:21]
	v_add_nc_u64_e32 v[20:21], -1, v[20:21]
; %bb.21406:                            ;   in Loop: Header=BB6_19757 Depth=3
	s_or_b32 exec_lo, exec_lo, s75
	v_add_nc_u32_e32 v3, 0xffffff81, v3
	v_lshrrev_b32_e32 v7, 23, v16
	s_mov_b32 s13, exec_lo
	v_mov_b32_e32 v17, v113
	s_delay_alu instid0(VALU_DEP_3) | instskip(NEXT) | instid1(VALU_DEP_1)
	v_cndmask_b32_e64 v3, v3, 0xffffff82, vcc_lo
	v_add3_u32 v7, v5, v3, v7
	v_and_b32_e32 v3, 0x1fffff, v20
	s_delay_alu instid0(VALU_DEP_1) | instskip(NEXT) | instid1(VALU_DEP_1)
	v_dual_add_nc_u32 v5, 14, v7 :: v_dual_add_nc_u32 v16, v3, v16
                                        ; implicit-def: $vgpr3
	v_cmpx_ne_u32_e32 0, v5
	s_xor_b32 s13, exec_lo, s13
; %bb.21407:                            ;   in Loop: Header=BB6_19757 Depth=3
	s_delay_alu instid0(VALU_DEP_2) | instskip(SKIP_1) | instid1(VALU_DEP_1)
	v_cmp_lt_u64_e32 vcc_lo, 0xffffff, v[16:17]
	v_add_nc_u32_e32 v3, 15, v7
	v_cndmask_b32_e32 v3, v5, v3, vcc_lo
	v_cndmask_b32_e64 v5, 0, 1, vcc_lo
	s_delay_alu instid0(VALU_DEP_1)
	v_lshrrev_b64 v[16:17], v5, v[16:17]
; %bb.21408:                            ;   in Loop: Header=BB6_19757 Depth=3
	s_and_not1_saveexec_b32 s13, s13
; %bb.21409:                            ;   in Loop: Header=BB6_19757 Depth=3
	s_delay_alu instid0(VALU_DEP_1)
	v_bfe_u32 v3, v16, 23, 1
; %bb.21410:                            ;   in Loop: Header=BB6_19757 Depth=3
	s_or_b32 exec_lo, exec_lo, s13
	s_delay_alu instid0(VALU_DEP_2) | instskip(NEXT) | instid1(VALU_DEP_2)
	v_lshrrev_b64 v[16:17], 21, v[16:17]
	v_cmp_gt_i32_e32 vcc_lo, 32, v3
	v_cmp_ne_u32_e64 s13, 0, v3
                                        ; implicit-def: $vgpr24
	s_delay_alu instid0(VALU_DEP_3) | instskip(NEXT) | instid1(VALU_DEP_1)
	v_dual_cndmask_b32 v17, 0, v17 :: v_dual_cndmask_b32 v16, 3, v16
	v_cmp_ne_u64_e32 vcc_lo, 0, v[16:17]
	s_or_b32 s13, s13, vcc_lo
	s_delay_alu instid0(SALU_CYCLE_1) | instskip(NEXT) | instid1(SALU_CYCLE_1)
	s_and_saveexec_b32 s75, s13
	s_xor_b32 s13, exec_lo, s75
; %bb.21411:                            ;   in Loop: Header=BB6_19757 Depth=3
	v_min_i32_e32 v3, 31, v3
	s_delay_alu instid0(VALU_DEP_1) | instskip(NEXT) | instid1(VALU_DEP_1)
	v_lshl_or_b32 v1, v3, 2, v1
	v_and_or_b32 v24, v16, 3, v1
                                        ; implicit-def: $vgpr1
; %bb.21412:                            ;   in Loop: Header=BB6_19757 Depth=3
	s_and_not1_saveexec_b32 s13, s13
; %bb.21413:                            ;   in Loop: Header=BB6_19757 Depth=3
	v_mov_b32_e32 v24, v1
; %bb.21414:                            ;   in Loop: Header=BB6_19757 Depth=3
	s_or_b32 exec_lo, exec_lo, s13
.LBB6_21415:                            ;   in Loop: Header=BB6_19757 Depth=3
	s_delay_alu instid0(SALU_CYCLE_1)
	s_or_b32 exec_lo, exec_lo, s74
                                        ; implicit-def: $vgpr1
.LBB6_21416:                            ;   in Loop: Header=BB6_19757 Depth=3
	s_and_not1_saveexec_b32 s13, s15
; %bb.21417:                            ;   in Loop: Header=BB6_19757 Depth=3
	v_or_b32_e32 v24, 0x7b, v1
; %bb.21418:                            ;   in Loop: Header=BB6_19757 Depth=3
	s_or_b32 exec_lo, exec_lo, s13
                                        ; implicit-def: $vgpr3
                                        ; implicit-def: $vgpr16_vgpr17
.LBB6_21419:                            ;   in Loop: Header=BB6_19757 Depth=3
	s_and_not1_saveexec_b32 s13, s14
	s_cbranch_execz .LBB6_21425
; %bb.21420:                            ;   in Loop: Header=BB6_19757 Depth=3
	s_mov_b32 s14, exec_lo
                                        ; implicit-def: $vgpr24
	v_cmpx_ne_u64_e32 0, v[16:17]
	s_xor_b32 s14, exec_lo, s14
; %bb.21421:                            ;   in Loop: Header=BB6_19757 Depth=3
	v_lshrrev_b32_e32 v1, 24, v3
                                        ; implicit-def: $vgpr3
	s_delay_alu instid0(VALU_DEP_1)
	v_or_b32_e32 v24, 0x7f, v1
; %bb.21422:                            ;   in Loop: Header=BB6_19757 Depth=3
	s_and_not1_saveexec_b32 s14, s14
; %bb.21423:                            ;   in Loop: Header=BB6_19757 Depth=3
	v_cmp_lt_i32_e32 vcc_lo, -1, v3
	v_cndmask_b32_e64 v24, -4, 0x7c, vcc_lo
; %bb.21424:                            ;   in Loop: Header=BB6_19757 Depth=3
	s_or_b32 exec_lo, exec_lo, s14
.LBB6_21425:                            ;   in Loop: Header=BB6_19757 Depth=3
	s_delay_alu instid0(SALU_CYCLE_1) | instskip(SKIP_3) | instid1(VALU_DEP_2)
	s_or_b32 exec_lo, exec_lo, s13
	v_and_b32_e32 v7, 0xff, v30
	v_dual_mov_b32 v1, 0 :: v_dual_mov_b32 v3, 0
	s_mov_b32 s14, exec_lo
	v_cmpx_ne_u16_e32 0, v7
	s_cbranch_execz .LBB6_21435
; %bb.21426:                            ;   in Loop: Header=BB6_19757 Depth=3
	v_bfrev_b32_e32 v3, 1
	s_mov_b32 s15, exec_lo
	v_cmpx_ne_u16_e32 0x80, v7
	s_cbranch_execz .LBB6_21434
; %bb.21427:                            ;   in Loop: Header=BB6_19757 Depth=3
	v_and_b32_e32 v3, 0x7c, v30
	v_and_b32_e32 v5, 3, v30
	s_delay_alu instid0(VALU_DEP_2) | instskip(SKIP_1) | instid1(SALU_CYCLE_1)
	v_cmp_ne_u32_e32 vcc_lo, 0x7c, v3
                                        ; implicit-def: $vgpr3
	s_and_saveexec_b32 s13, vcc_lo
	s_xor_b32 s13, exec_lo, s13
	s_cbranch_execz .LBB6_21431
; %bb.21428:                            ;   in Loop: Header=BB6_19757 Depth=3
	v_bfe_u32 v3, v7, 2, 5
	s_mov_b32 s74, exec_lo
	s_delay_alu instid0(VALU_DEP_1)
	v_cmpx_eq_u32_e32 0, v3
	s_cbranch_execz .LBB6_21430
; %bb.21429:                            ;   in Loop: Header=BB6_19757 Depth=3
	v_clz_i32_u32_e32 v3, v5
	s_delay_alu instid0(VALU_DEP_1) | instskip(SKIP_1) | instid1(VALU_DEP_2)
	v_min_u32_e32 v3, 32, v3
	v_mov_b32_e32 v31, v113
	v_subrev_nc_u32_e32 v5, 29, v3
	v_sub_nc_u32_e32 v3, 30, v3
	s_delay_alu instid0(VALU_DEP_2) | instskip(NEXT) | instid1(VALU_DEP_1)
	v_lshlrev_b64_e32 v[16:17], v5, v[30:31]
	v_and_b32_e32 v5, 3, v16
.LBB6_21430:                            ;   in Loop: Header=BB6_19757 Depth=3
	s_or_b32 exec_lo, exec_lo, s74
	v_lshlrev_b32_e32 v7, 24, v30
                                        ; implicit-def: $vgpr30
	s_delay_alu instid0(VALU_DEP_1) | instskip(NEXT) | instid1(VALU_DEP_1)
	v_and_b32_e32 v7, 0x80000000, v7
	v_lshl_add_u32 v3, v3, 23, v7
	s_delay_alu instid0(VALU_DEP_1) | instskip(NEXT) | instid1(VALU_DEP_1)
	v_lshl_or_b32 v3, v5, 21, v3
                                        ; implicit-def: $vgpr5
	v_add_nc_u32_e32 v3, 0x38000000, v3
.LBB6_21431:                            ;   in Loop: Header=BB6_19757 Depth=3
	s_and_not1_saveexec_b32 s74, s13
; %bb.21432:                            ;   in Loop: Header=BB6_19757 Depth=3
	v_bfe_i32 v3, v30, 0, 8
	v_cmp_eq_u32_e32 vcc_lo, 0, v5
	s_delay_alu instid0(VALU_DEP_2) | instskip(SKIP_1) | instid1(VALU_DEP_1)
	v_cmp_lt_i16_e64 s13, -1, v3
	v_mov_b32_e32 v3, 0x7f800000
	v_cndmask_b32_e64 v3, 0xff800000, v3, s13
	s_delay_alu instid0(VALU_DEP_1)
	v_cndmask_b32_e32 v3, 0x7f800001, v3, vcc_lo
; %bb.21433:                            ;   in Loop: Header=BB6_19757 Depth=3
	s_or_b32 exec_lo, exec_lo, s74
.LBB6_21434:                            ;   in Loop: Header=BB6_19757 Depth=3
	s_delay_alu instid0(SALU_CYCLE_1)
	s_or_b32 exec_lo, exec_lo, s15
.LBB6_21435:                            ;   in Loop: Header=BB6_19757 Depth=3
	s_delay_alu instid0(SALU_CYCLE_1) | instskip(NEXT) | instid1(SALU_CYCLE_1)
	s_or_b32 exec_lo, exec_lo, s14
	s_mov_b32 s14, exec_lo
	s_wait_loadcnt_dscnt 0x1212
	v_cmpx_ne_u16_e32 0, v86
	s_cbranch_execz .LBB6_21445
; %bb.21436:                            ;   in Loop: Header=BB6_19757 Depth=3
	v_bfrev_b32_e32 v1, 1
	s_mov_b32 s15, exec_lo
	v_cmpx_ne_u16_e32 0xff80, v86
	s_cbranch_execz .LBB6_21444
; %bb.21437:                            ;   in Loop: Header=BB6_19757 Depth=3
	v_and_b32_e32 v1, 0x7c, v86
	v_and_b32_e32 v5, 3, v86
	s_delay_alu instid0(VALU_DEP_2) | instskip(SKIP_1) | instid1(SALU_CYCLE_1)
	v_cmp_ne_u32_e32 vcc_lo, 0x7c, v1
                                        ; implicit-def: $vgpr1
	s_and_saveexec_b32 s13, vcc_lo
	s_xor_b32 s13, exec_lo, s13
	s_cbranch_execz .LBB6_21441
; %bb.21438:                            ;   in Loop: Header=BB6_19757 Depth=3
	v_and_b32_e32 v1, 0xff, v86
	s_mov_b32 s74, exec_lo
	s_delay_alu instid0(VALU_DEP_1) | instskip(NEXT) | instid1(VALU_DEP_1)
	v_bfe_u32 v1, v1, 2, 5
	v_cmpx_eq_u32_e32 0, v1
	s_cbranch_execz .LBB6_21440
; %bb.21439:                            ;   in Loop: Header=BB6_19757 Depth=3
	v_clz_i32_u32_e32 v1, v5
	s_delay_alu instid0(VALU_DEP_1) | instskip(SKIP_1) | instid1(VALU_DEP_2)
	v_min_u32_e32 v1, 32, v1
	v_mov_b32_e32 v87, v113
	v_subrev_nc_u32_e32 v5, 29, v1
	v_sub_nc_u32_e32 v1, 30, v1
	s_delay_alu instid0(VALU_DEP_2) | instskip(NEXT) | instid1(VALU_DEP_1)
	v_lshlrev_b64_e32 v[16:17], v5, v[86:87]
	v_and_b32_e32 v5, 3, v16
.LBB6_21440:                            ;   in Loop: Header=BB6_19757 Depth=3
	s_or_b32 exec_lo, exec_lo, s74
	v_bfe_i32 v7, v86, 0, 16
                                        ; implicit-def: $vgpr86
	s_delay_alu instid0(VALU_DEP_1) | instskip(NEXT) | instid1(VALU_DEP_1)
	v_and_b32_e32 v7, 0x80000000, v7
	v_lshl_add_u32 v1, v1, 23, v7
	s_delay_alu instid0(VALU_DEP_1) | instskip(NEXT) | instid1(VALU_DEP_1)
	v_lshl_or_b32 v1, v5, 21, v1
                                        ; implicit-def: $vgpr5
	v_add_nc_u32_e32 v1, 0x38000000, v1
.LBB6_21441:                            ;   in Loop: Header=BB6_19757 Depth=3
	s_and_not1_saveexec_b32 s74, s13
; %bb.21442:                            ;   in Loop: Header=BB6_19757 Depth=3
	v_cmp_lt_i16_e64 s13, -1, v86
	v_mov_b32_e32 v1, 0x7f800000
	v_cmp_eq_u32_e32 vcc_lo, 0, v5
	s_delay_alu instid0(VALU_DEP_2) | instskip(NEXT) | instid1(VALU_DEP_1)
	v_cndmask_b32_e64 v1, 0xff800000, v1, s13
	v_cndmask_b32_e32 v1, 0x7f800001, v1, vcc_lo
; %bb.21443:                            ;   in Loop: Header=BB6_19757 Depth=3
	s_or_b32 exec_lo, exec_lo, s74
.LBB6_21444:                            ;   in Loop: Header=BB6_19757 Depth=3
	s_delay_alu instid0(SALU_CYCLE_1)
	s_or_b32 exec_lo, exec_lo, s15
.LBB6_21445:                            ;   in Loop: Header=BB6_19757 Depth=3
	s_delay_alu instid0(SALU_CYCLE_1) | instskip(NEXT) | instid1(VALU_DEP_1)
	s_or_b32 exec_lo, exec_lo, s14
	v_dual_add_f32 v3, v3, v1 :: v_dual_mov_b32 v17, v113
                                        ; implicit-def: $vgpr25
	s_delay_alu instid0(VALU_DEP_1) | instskip(NEXT) | instid1(VALU_DEP_1)
	v_and_b32_e32 v16, 0x7f800000, v3
	v_cmp_ne_u64_e32 vcc_lo, 0x7f800000, v[16:17]
	v_and_b32_e32 v16, 0x7fffff, v3
	s_and_saveexec_b32 s13, vcc_lo
	s_delay_alu instid0(SALU_CYCLE_1)
	s_xor_b32 s14, exec_lo, s13
	s_cbranch_execz .LBB6_21463
; %bb.21446:                            ;   in Loop: Header=BB6_19757 Depth=3
	v_dual_mov_b32 v21, v113 :: v_dual_lshrrev_b32 v1, 24, v3
	v_and_b32_e32 v20, 0x7fffffff, v3
                                        ; implicit-def: $vgpr25
	s_mov_b32 s13, exec_lo
	s_delay_alu instid0(VALU_DEP_2) | instskip(NEXT) | instid1(VALU_DEP_2)
	v_and_b32_e32 v1, 0x80, v1
	v_cmpx_gt_u64_e32 0x47600001, v[20:21]
	s_xor_b32 s15, exec_lo, s13
	s_cbranch_execz .LBB6_21460
; %bb.21447:                            ;   in Loop: Header=BB6_19757 Depth=3
	v_mov_b32_e32 v25, 0
	s_mov_b32 s74, exec_lo
	v_cmpx_ne_u32_e32 0, v3
	s_cbranch_execz .LBB6_21459
; %bb.21448:                            ;   in Loop: Header=BB6_19757 Depth=3
	v_bfe_u32 v3, v3, 23, 8
	v_or_b32_e32 v7, 0x800000, v16
	s_delay_alu instid0(VALU_DEP_2) | instskip(SKIP_1) | instid1(VALU_DEP_3)
	v_cmp_eq_u32_e32 vcc_lo, 0, v3
	v_cmp_gt_u32_e64 s13, 0x72, v3
	v_dual_cndmask_b32 v16, v7, v16 :: v_dual_sub_nc_u32 v5, 0x71, v3
	s_delay_alu instid0(VALU_DEP_1) | instskip(NEXT) | instid1(VALU_DEP_1)
	v_cndmask_b32_e64 v5, 0, v5, s13
	v_cndmask_b32_e64 v5, v5, 0x70, vcc_lo
	s_delay_alu instid0(VALU_DEP_1) | instskip(NEXT) | instid1(VALU_DEP_1)
	v_add_nc_u32_e32 v7, 21, v5
	v_lshlrev_b64_e64 v[20:21], v7, -1
	v_add_nc_u32_e32 v7, 20, v5
	s_delay_alu instid0(VALU_DEP_1) | instskip(NEXT) | instid1(VALU_DEP_3)
	v_lshlrev_b64_e64 v[30:31], v7, 1
	v_bfi_b32 v20, v20, 0, v16
	v_lshrrev_b64 v[16:17], v5, v[16:17]
	v_bfi_b32 v21, v21, 0, 0
	s_delay_alu instid0(VALU_DEP_1) | instskip(NEXT) | instid1(VALU_DEP_3)
	v_cmp_eq_u64_e64 s13, v[20:21], v[30:31]
	v_mov_b64_e32 v[20:21], v[16:17]
	s_and_saveexec_b32 s75, s13
; %bb.21449:                            ;   in Loop: Header=BB6_19757 Depth=3
	v_bfe_u32 v20, v16, 21, 1
	v_mov_b32_e32 v21, v113
	s_delay_alu instid0(VALU_DEP_1) | instskip(NEXT) | instid1(VALU_DEP_1)
	v_add_nc_u64_e32 v[20:21], v[16:17], v[20:21]
	v_add_nc_u64_e32 v[20:21], -1, v[20:21]
; %bb.21450:                            ;   in Loop: Header=BB6_19757 Depth=3
	s_or_b32 exec_lo, exec_lo, s75
	v_add_nc_u32_e32 v3, 0xffffff81, v3
	v_lshrrev_b32_e32 v7, 23, v16
	s_mov_b32 s13, exec_lo
	v_mov_b32_e32 v17, v113
	s_delay_alu instid0(VALU_DEP_3) | instskip(NEXT) | instid1(VALU_DEP_1)
	v_cndmask_b32_e64 v3, v3, 0xffffff82, vcc_lo
	v_add3_u32 v7, v5, v3, v7
	v_and_b32_e32 v3, 0x1fffff, v20
	s_delay_alu instid0(VALU_DEP_1) | instskip(NEXT) | instid1(VALU_DEP_1)
	v_dual_add_nc_u32 v5, 14, v7 :: v_dual_add_nc_u32 v16, v3, v16
                                        ; implicit-def: $vgpr3
	v_cmpx_ne_u32_e32 0, v5
	s_xor_b32 s13, exec_lo, s13
; %bb.21451:                            ;   in Loop: Header=BB6_19757 Depth=3
	s_delay_alu instid0(VALU_DEP_2) | instskip(SKIP_1) | instid1(VALU_DEP_1)
	v_cmp_lt_u64_e32 vcc_lo, 0xffffff, v[16:17]
	v_add_nc_u32_e32 v3, 15, v7
	v_cndmask_b32_e32 v3, v5, v3, vcc_lo
	v_cndmask_b32_e64 v5, 0, 1, vcc_lo
	s_delay_alu instid0(VALU_DEP_1)
	v_lshrrev_b64 v[16:17], v5, v[16:17]
; %bb.21452:                            ;   in Loop: Header=BB6_19757 Depth=3
	s_and_not1_saveexec_b32 s13, s13
; %bb.21453:                            ;   in Loop: Header=BB6_19757 Depth=3
	s_delay_alu instid0(VALU_DEP_1)
	v_bfe_u32 v3, v16, 23, 1
; %bb.21454:                            ;   in Loop: Header=BB6_19757 Depth=3
	s_or_b32 exec_lo, exec_lo, s13
	s_delay_alu instid0(VALU_DEP_2) | instskip(NEXT) | instid1(VALU_DEP_2)
	v_lshrrev_b64 v[16:17], 21, v[16:17]
	v_cmp_gt_i32_e32 vcc_lo, 32, v3
	v_cmp_ne_u32_e64 s13, 0, v3
                                        ; implicit-def: $vgpr25
	s_delay_alu instid0(VALU_DEP_3) | instskip(NEXT) | instid1(VALU_DEP_1)
	v_dual_cndmask_b32 v17, 0, v17 :: v_dual_cndmask_b32 v16, 3, v16
	v_cmp_ne_u64_e32 vcc_lo, 0, v[16:17]
	s_or_b32 s13, s13, vcc_lo
	s_delay_alu instid0(SALU_CYCLE_1) | instskip(NEXT) | instid1(SALU_CYCLE_1)
	s_and_saveexec_b32 s75, s13
	s_xor_b32 s13, exec_lo, s75
; %bb.21455:                            ;   in Loop: Header=BB6_19757 Depth=3
	v_min_i32_e32 v3, 31, v3
	s_delay_alu instid0(VALU_DEP_1) | instskip(NEXT) | instid1(VALU_DEP_1)
	v_lshl_or_b32 v1, v3, 2, v1
	v_and_or_b32 v25, v16, 3, v1
                                        ; implicit-def: $vgpr1
; %bb.21456:                            ;   in Loop: Header=BB6_19757 Depth=3
	s_and_not1_saveexec_b32 s13, s13
; %bb.21457:                            ;   in Loop: Header=BB6_19757 Depth=3
	v_mov_b32_e32 v25, v1
; %bb.21458:                            ;   in Loop: Header=BB6_19757 Depth=3
	s_or_b32 exec_lo, exec_lo, s13
.LBB6_21459:                            ;   in Loop: Header=BB6_19757 Depth=3
	s_delay_alu instid0(SALU_CYCLE_1)
	s_or_b32 exec_lo, exec_lo, s74
                                        ; implicit-def: $vgpr1
.LBB6_21460:                            ;   in Loop: Header=BB6_19757 Depth=3
	s_and_not1_saveexec_b32 s13, s15
; %bb.21461:                            ;   in Loop: Header=BB6_19757 Depth=3
	v_or_b32_e32 v25, 0x7b, v1
; %bb.21462:                            ;   in Loop: Header=BB6_19757 Depth=3
	s_or_b32 exec_lo, exec_lo, s13
                                        ; implicit-def: $vgpr3
                                        ; implicit-def: $vgpr16_vgpr17
.LBB6_21463:                            ;   in Loop: Header=BB6_19757 Depth=3
	s_and_not1_saveexec_b32 s13, s14
	s_cbranch_execz .LBB6_21469
; %bb.21464:                            ;   in Loop: Header=BB6_19757 Depth=3
	s_mov_b32 s14, exec_lo
                                        ; implicit-def: $vgpr25
	v_cmpx_ne_u64_e32 0, v[16:17]
	s_xor_b32 s14, exec_lo, s14
; %bb.21465:                            ;   in Loop: Header=BB6_19757 Depth=3
	v_lshrrev_b32_e32 v1, 24, v3
                                        ; implicit-def: $vgpr3
	s_delay_alu instid0(VALU_DEP_1)
	v_or_b32_e32 v25, 0x7f, v1
; %bb.21466:                            ;   in Loop: Header=BB6_19757 Depth=3
	s_and_not1_saveexec_b32 s14, s14
; %bb.21467:                            ;   in Loop: Header=BB6_19757 Depth=3
	v_cmp_lt_i32_e32 vcc_lo, -1, v3
	v_cndmask_b32_e64 v25, -4, 0x7c, vcc_lo
; %bb.21468:                            ;   in Loop: Header=BB6_19757 Depth=3
	s_or_b32 exec_lo, exec_lo, s14
.LBB6_21469:                            ;   in Loop: Header=BB6_19757 Depth=3
	s_delay_alu instid0(SALU_CYCLE_1) | instskip(SKIP_3) | instid1(VALU_DEP_2)
	s_or_b32 exec_lo, exec_lo, s13
	v_and_b32_e32 v7, 0xff, v26
	v_dual_mov_b32 v1, 0 :: v_dual_mov_b32 v3, 0
	s_mov_b32 s14, exec_lo
	v_cmpx_ne_u16_e32 0, v7
	s_cbranch_execz .LBB6_21479
; %bb.21470:                            ;   in Loop: Header=BB6_19757 Depth=3
	v_bfrev_b32_e32 v3, 1
	s_mov_b32 s15, exec_lo
	v_cmpx_ne_u16_e32 0x80, v7
	s_cbranch_execz .LBB6_21478
; %bb.21471:                            ;   in Loop: Header=BB6_19757 Depth=3
	v_and_b32_e32 v3, 0x7c, v26
	v_and_b32_e32 v5, 3, v26
	s_delay_alu instid0(VALU_DEP_2) | instskip(SKIP_1) | instid1(SALU_CYCLE_1)
	v_cmp_ne_u32_e32 vcc_lo, 0x7c, v3
                                        ; implicit-def: $vgpr3
	s_and_saveexec_b32 s13, vcc_lo
	s_xor_b32 s13, exec_lo, s13
	s_cbranch_execz .LBB6_21475
; %bb.21472:                            ;   in Loop: Header=BB6_19757 Depth=3
	v_bfe_u32 v3, v7, 2, 5
	s_mov_b32 s74, exec_lo
	s_delay_alu instid0(VALU_DEP_1)
	v_cmpx_eq_u32_e32 0, v3
	s_cbranch_execz .LBB6_21474
; %bb.21473:                            ;   in Loop: Header=BB6_19757 Depth=3
	v_clz_i32_u32_e32 v3, v5
	s_delay_alu instid0(VALU_DEP_1) | instskip(SKIP_1) | instid1(VALU_DEP_2)
	v_min_u32_e32 v3, 32, v3
	v_mov_b32_e32 v27, v113
	v_subrev_nc_u32_e32 v5, 29, v3
	v_sub_nc_u32_e32 v3, 30, v3
	s_delay_alu instid0(VALU_DEP_2) | instskip(NEXT) | instid1(VALU_DEP_1)
	v_lshlrev_b64_e32 v[16:17], v5, v[26:27]
	v_and_b32_e32 v5, 3, v16
.LBB6_21474:                            ;   in Loop: Header=BB6_19757 Depth=3
	s_or_b32 exec_lo, exec_lo, s74
	v_lshlrev_b32_e32 v7, 24, v26
                                        ; implicit-def: $vgpr26
	s_delay_alu instid0(VALU_DEP_1) | instskip(NEXT) | instid1(VALU_DEP_1)
	v_and_b32_e32 v7, 0x80000000, v7
	v_lshl_add_u32 v3, v3, 23, v7
	s_delay_alu instid0(VALU_DEP_1) | instskip(NEXT) | instid1(VALU_DEP_1)
	v_lshl_or_b32 v3, v5, 21, v3
                                        ; implicit-def: $vgpr5
	v_add_nc_u32_e32 v3, 0x38000000, v3
.LBB6_21475:                            ;   in Loop: Header=BB6_19757 Depth=3
	s_and_not1_saveexec_b32 s74, s13
; %bb.21476:                            ;   in Loop: Header=BB6_19757 Depth=3
	v_bfe_i32 v3, v26, 0, 8
	v_cmp_eq_u32_e32 vcc_lo, 0, v5
	s_delay_alu instid0(VALU_DEP_2) | instskip(SKIP_1) | instid1(VALU_DEP_1)
	v_cmp_lt_i16_e64 s13, -1, v3
	v_mov_b32_e32 v3, 0x7f800000
	v_cndmask_b32_e64 v3, 0xff800000, v3, s13
	s_delay_alu instid0(VALU_DEP_1)
	v_cndmask_b32_e32 v3, 0x7f800001, v3, vcc_lo
; %bb.21477:                            ;   in Loop: Header=BB6_19757 Depth=3
	s_or_b32 exec_lo, exec_lo, s74
.LBB6_21478:                            ;   in Loop: Header=BB6_19757 Depth=3
	s_delay_alu instid0(SALU_CYCLE_1)
	s_or_b32 exec_lo, exec_lo, s15
.LBB6_21479:                            ;   in Loop: Header=BB6_19757 Depth=3
	s_delay_alu instid0(SALU_CYCLE_1) | instskip(NEXT) | instid1(SALU_CYCLE_1)
	s_or_b32 exec_lo, exec_lo, s14
	s_mov_b32 s14, exec_lo
	s_wait_loadcnt_dscnt 0x1111
	v_cmpx_ne_u16_e32 0, v54
	s_cbranch_execz .LBB6_21489
; %bb.21480:                            ;   in Loop: Header=BB6_19757 Depth=3
	v_bfrev_b32_e32 v1, 1
	s_mov_b32 s15, exec_lo
	v_cmpx_ne_u16_e32 0xff80, v54
	s_cbranch_execz .LBB6_21488
; %bb.21481:                            ;   in Loop: Header=BB6_19757 Depth=3
	v_and_b32_e32 v1, 0x7c, v54
	v_and_b32_e32 v5, 3, v54
	s_delay_alu instid0(VALU_DEP_2) | instskip(SKIP_1) | instid1(SALU_CYCLE_1)
	v_cmp_ne_u32_e32 vcc_lo, 0x7c, v1
                                        ; implicit-def: $vgpr1
	s_and_saveexec_b32 s13, vcc_lo
	s_xor_b32 s13, exec_lo, s13
	s_cbranch_execz .LBB6_21485
; %bb.21482:                            ;   in Loop: Header=BB6_19757 Depth=3
	v_and_b32_e32 v1, 0xff, v54
	s_mov_b32 s74, exec_lo
	s_delay_alu instid0(VALU_DEP_1) | instskip(NEXT) | instid1(VALU_DEP_1)
	v_bfe_u32 v1, v1, 2, 5
	v_cmpx_eq_u32_e32 0, v1
	s_cbranch_execz .LBB6_21484
; %bb.21483:                            ;   in Loop: Header=BB6_19757 Depth=3
	v_clz_i32_u32_e32 v1, v5
	s_delay_alu instid0(VALU_DEP_1) | instskip(SKIP_1) | instid1(VALU_DEP_2)
	v_min_u32_e32 v1, 32, v1
	v_mov_b32_e32 v55, v113
	v_subrev_nc_u32_e32 v5, 29, v1
	v_sub_nc_u32_e32 v1, 30, v1
	s_delay_alu instid0(VALU_DEP_2) | instskip(NEXT) | instid1(VALU_DEP_1)
	v_lshlrev_b64_e32 v[16:17], v5, v[54:55]
	v_and_b32_e32 v5, 3, v16
.LBB6_21484:                            ;   in Loop: Header=BB6_19757 Depth=3
	s_or_b32 exec_lo, exec_lo, s74
	v_bfe_i32 v7, v54, 0, 16
                                        ; implicit-def: $vgpr54
	s_delay_alu instid0(VALU_DEP_1) | instskip(NEXT) | instid1(VALU_DEP_1)
	v_and_b32_e32 v7, 0x80000000, v7
	v_lshl_add_u32 v1, v1, 23, v7
	s_delay_alu instid0(VALU_DEP_1) | instskip(NEXT) | instid1(VALU_DEP_1)
	v_lshl_or_b32 v1, v5, 21, v1
                                        ; implicit-def: $vgpr5
	v_add_nc_u32_e32 v1, 0x38000000, v1
.LBB6_21485:                            ;   in Loop: Header=BB6_19757 Depth=3
	s_and_not1_saveexec_b32 s74, s13
; %bb.21486:                            ;   in Loop: Header=BB6_19757 Depth=3
	v_cmp_lt_i16_e64 s13, -1, v54
	v_mov_b32_e32 v1, 0x7f800000
	v_cmp_eq_u32_e32 vcc_lo, 0, v5
	s_delay_alu instid0(VALU_DEP_2) | instskip(NEXT) | instid1(VALU_DEP_1)
	v_cndmask_b32_e64 v1, 0xff800000, v1, s13
	v_cndmask_b32_e32 v1, 0x7f800001, v1, vcc_lo
; %bb.21487:                            ;   in Loop: Header=BB6_19757 Depth=3
	s_or_b32 exec_lo, exec_lo, s74
.LBB6_21488:                            ;   in Loop: Header=BB6_19757 Depth=3
	s_delay_alu instid0(SALU_CYCLE_1)
	s_or_b32 exec_lo, exec_lo, s15
.LBB6_21489:                            ;   in Loop: Header=BB6_19757 Depth=3
	s_delay_alu instid0(SALU_CYCLE_1) | instskip(NEXT) | instid1(VALU_DEP_1)
	s_or_b32 exec_lo, exec_lo, s14
	v_dual_add_f32 v3, v3, v1 :: v_dual_mov_b32 v17, v113
                                        ; implicit-def: $vgpr26
	s_delay_alu instid0(VALU_DEP_1) | instskip(NEXT) | instid1(VALU_DEP_1)
	v_and_b32_e32 v16, 0x7f800000, v3
	v_cmp_ne_u64_e32 vcc_lo, 0x7f800000, v[16:17]
	v_and_b32_e32 v16, 0x7fffff, v3
	s_and_saveexec_b32 s13, vcc_lo
	s_delay_alu instid0(SALU_CYCLE_1)
	s_xor_b32 s14, exec_lo, s13
	s_cbranch_execz .LBB6_21507
; %bb.21490:                            ;   in Loop: Header=BB6_19757 Depth=3
	v_dual_mov_b32 v21, v113 :: v_dual_lshrrev_b32 v1, 24, v3
	v_and_b32_e32 v20, 0x7fffffff, v3
                                        ; implicit-def: $vgpr26
	s_mov_b32 s13, exec_lo
	s_delay_alu instid0(VALU_DEP_2) | instskip(NEXT) | instid1(VALU_DEP_2)
	v_and_b32_e32 v1, 0x80, v1
	v_cmpx_gt_u64_e32 0x47600001, v[20:21]
	s_xor_b32 s15, exec_lo, s13
	s_cbranch_execz .LBB6_21504
; %bb.21491:                            ;   in Loop: Header=BB6_19757 Depth=3
	v_mov_b32_e32 v26, 0
	s_mov_b32 s74, exec_lo
	v_cmpx_ne_u32_e32 0, v3
	s_cbranch_execz .LBB6_21503
; %bb.21492:                            ;   in Loop: Header=BB6_19757 Depth=3
	v_bfe_u32 v3, v3, 23, 8
	v_or_b32_e32 v7, 0x800000, v16
	s_delay_alu instid0(VALU_DEP_2) | instskip(SKIP_1) | instid1(VALU_DEP_3)
	v_cmp_eq_u32_e32 vcc_lo, 0, v3
	v_cmp_gt_u32_e64 s13, 0x72, v3
	v_dual_cndmask_b32 v16, v7, v16 :: v_dual_sub_nc_u32 v5, 0x71, v3
	s_delay_alu instid0(VALU_DEP_1) | instskip(NEXT) | instid1(VALU_DEP_1)
	v_cndmask_b32_e64 v5, 0, v5, s13
	v_cndmask_b32_e64 v5, v5, 0x70, vcc_lo
	s_delay_alu instid0(VALU_DEP_1) | instskip(NEXT) | instid1(VALU_DEP_1)
	v_add_nc_u32_e32 v7, 21, v5
	v_lshlrev_b64_e64 v[20:21], v7, -1
	v_add_nc_u32_e32 v7, 20, v5
	s_delay_alu instid0(VALU_DEP_1) | instskip(NEXT) | instid1(VALU_DEP_3)
	v_lshlrev_b64_e64 v[26:27], v7, 1
	v_bfi_b32 v20, v20, 0, v16
	v_lshrrev_b64 v[16:17], v5, v[16:17]
	v_bfi_b32 v21, v21, 0, 0
	s_delay_alu instid0(VALU_DEP_1) | instskip(NEXT) | instid1(VALU_DEP_3)
	v_cmp_eq_u64_e64 s13, v[20:21], v[26:27]
	v_mov_b64_e32 v[20:21], v[16:17]
	s_and_saveexec_b32 s75, s13
; %bb.21493:                            ;   in Loop: Header=BB6_19757 Depth=3
	v_bfe_u32 v20, v16, 21, 1
	v_mov_b32_e32 v21, v113
	s_delay_alu instid0(VALU_DEP_1) | instskip(NEXT) | instid1(VALU_DEP_1)
	v_add_nc_u64_e32 v[20:21], v[16:17], v[20:21]
	v_add_nc_u64_e32 v[20:21], -1, v[20:21]
; %bb.21494:                            ;   in Loop: Header=BB6_19757 Depth=3
	s_or_b32 exec_lo, exec_lo, s75
	v_add_nc_u32_e32 v3, 0xffffff81, v3
	v_lshrrev_b32_e32 v7, 23, v16
	s_mov_b32 s13, exec_lo
	v_mov_b32_e32 v17, v113
	s_delay_alu instid0(VALU_DEP_3) | instskip(NEXT) | instid1(VALU_DEP_1)
	v_cndmask_b32_e64 v3, v3, 0xffffff82, vcc_lo
	v_add3_u32 v7, v5, v3, v7
	v_and_b32_e32 v3, 0x1fffff, v20
	s_delay_alu instid0(VALU_DEP_1) | instskip(NEXT) | instid1(VALU_DEP_1)
	v_dual_add_nc_u32 v5, 14, v7 :: v_dual_add_nc_u32 v16, v3, v16
                                        ; implicit-def: $vgpr3
	v_cmpx_ne_u32_e32 0, v5
	s_xor_b32 s13, exec_lo, s13
; %bb.21495:                            ;   in Loop: Header=BB6_19757 Depth=3
	s_delay_alu instid0(VALU_DEP_2) | instskip(SKIP_1) | instid1(VALU_DEP_1)
	v_cmp_lt_u64_e32 vcc_lo, 0xffffff, v[16:17]
	v_add_nc_u32_e32 v3, 15, v7
	v_cndmask_b32_e32 v3, v5, v3, vcc_lo
	v_cndmask_b32_e64 v5, 0, 1, vcc_lo
	s_delay_alu instid0(VALU_DEP_1)
	v_lshrrev_b64 v[16:17], v5, v[16:17]
; %bb.21496:                            ;   in Loop: Header=BB6_19757 Depth=3
	s_and_not1_saveexec_b32 s13, s13
; %bb.21497:                            ;   in Loop: Header=BB6_19757 Depth=3
	s_delay_alu instid0(VALU_DEP_1)
	v_bfe_u32 v3, v16, 23, 1
; %bb.21498:                            ;   in Loop: Header=BB6_19757 Depth=3
	s_or_b32 exec_lo, exec_lo, s13
	s_delay_alu instid0(VALU_DEP_2) | instskip(NEXT) | instid1(VALU_DEP_2)
	v_lshrrev_b64 v[16:17], 21, v[16:17]
	v_cmp_gt_i32_e32 vcc_lo, 32, v3
	v_cmp_ne_u32_e64 s13, 0, v3
                                        ; implicit-def: $vgpr26
	s_delay_alu instid0(VALU_DEP_3) | instskip(NEXT) | instid1(VALU_DEP_1)
	v_dual_cndmask_b32 v17, 0, v17 :: v_dual_cndmask_b32 v16, 3, v16
	v_cmp_ne_u64_e32 vcc_lo, 0, v[16:17]
	s_or_b32 s13, s13, vcc_lo
	s_delay_alu instid0(SALU_CYCLE_1) | instskip(NEXT) | instid1(SALU_CYCLE_1)
	s_and_saveexec_b32 s75, s13
	s_xor_b32 s13, exec_lo, s75
; %bb.21499:                            ;   in Loop: Header=BB6_19757 Depth=3
	v_min_i32_e32 v3, 31, v3
	s_delay_alu instid0(VALU_DEP_1) | instskip(NEXT) | instid1(VALU_DEP_1)
	v_lshl_or_b32 v1, v3, 2, v1
	v_and_or_b32 v26, v16, 3, v1
                                        ; implicit-def: $vgpr1
; %bb.21500:                            ;   in Loop: Header=BB6_19757 Depth=3
	s_and_not1_saveexec_b32 s13, s13
; %bb.21501:                            ;   in Loop: Header=BB6_19757 Depth=3
	v_mov_b32_e32 v26, v1
; %bb.21502:                            ;   in Loop: Header=BB6_19757 Depth=3
	s_or_b32 exec_lo, exec_lo, s13
.LBB6_21503:                            ;   in Loop: Header=BB6_19757 Depth=3
	s_delay_alu instid0(SALU_CYCLE_1)
	s_or_b32 exec_lo, exec_lo, s74
                                        ; implicit-def: $vgpr1
.LBB6_21504:                            ;   in Loop: Header=BB6_19757 Depth=3
	s_and_not1_saveexec_b32 s13, s15
; %bb.21505:                            ;   in Loop: Header=BB6_19757 Depth=3
	v_or_b32_e32 v26, 0x7b, v1
; %bb.21506:                            ;   in Loop: Header=BB6_19757 Depth=3
	s_or_b32 exec_lo, exec_lo, s13
                                        ; implicit-def: $vgpr3
                                        ; implicit-def: $vgpr16_vgpr17
.LBB6_21507:                            ;   in Loop: Header=BB6_19757 Depth=3
	s_and_not1_saveexec_b32 s13, s14
	s_cbranch_execz .LBB6_21513
; %bb.21508:                            ;   in Loop: Header=BB6_19757 Depth=3
	s_mov_b32 s14, exec_lo
                                        ; implicit-def: $vgpr26
	v_cmpx_ne_u64_e32 0, v[16:17]
	s_xor_b32 s14, exec_lo, s14
; %bb.21509:                            ;   in Loop: Header=BB6_19757 Depth=3
	v_lshrrev_b32_e32 v1, 24, v3
                                        ; implicit-def: $vgpr3
	s_delay_alu instid0(VALU_DEP_1)
	v_or_b32_e32 v26, 0x7f, v1
; %bb.21510:                            ;   in Loop: Header=BB6_19757 Depth=3
	s_and_not1_saveexec_b32 s14, s14
; %bb.21511:                            ;   in Loop: Header=BB6_19757 Depth=3
	v_cmp_lt_i32_e32 vcc_lo, -1, v3
	v_cndmask_b32_e64 v26, -4, 0x7c, vcc_lo
; %bb.21512:                            ;   in Loop: Header=BB6_19757 Depth=3
	s_or_b32 exec_lo, exec_lo, s14
.LBB6_21513:                            ;   in Loop: Header=BB6_19757 Depth=3
	s_delay_alu instid0(SALU_CYCLE_1) | instskip(SKIP_3) | instid1(VALU_DEP_2)
	s_or_b32 exec_lo, exec_lo, s13
	v_and_b32_e32 v7, 0xff, v124
	v_dual_mov_b32 v1, 0 :: v_dual_mov_b32 v3, 0
	s_mov_b32 s14, exec_lo
	v_cmpx_ne_u16_e32 0, v7
	s_cbranch_execz .LBB6_21523
; %bb.21514:                            ;   in Loop: Header=BB6_19757 Depth=3
	v_bfrev_b32_e32 v3, 1
	s_mov_b32 s15, exec_lo
	v_cmpx_ne_u16_e32 0x80, v7
	s_cbranch_execz .LBB6_21522
; %bb.21515:                            ;   in Loop: Header=BB6_19757 Depth=3
	v_and_b32_e32 v3, 0x7c, v124
	v_and_b32_e32 v5, 3, v124
	s_delay_alu instid0(VALU_DEP_2) | instskip(SKIP_1) | instid1(SALU_CYCLE_1)
	v_cmp_ne_u32_e32 vcc_lo, 0x7c, v3
                                        ; implicit-def: $vgpr3
	s_and_saveexec_b32 s13, vcc_lo
	s_xor_b32 s13, exec_lo, s13
	s_cbranch_execz .LBB6_21519
; %bb.21516:                            ;   in Loop: Header=BB6_19757 Depth=3
	v_bfe_u32 v3, v7, 2, 5
	s_mov_b32 s74, exec_lo
	s_delay_alu instid0(VALU_DEP_1)
	v_cmpx_eq_u32_e32 0, v3
	s_cbranch_execz .LBB6_21518
; %bb.21517:                            ;   in Loop: Header=BB6_19757 Depth=3
	v_clz_i32_u32_e32 v3, v5
	s_delay_alu instid0(VALU_DEP_1) | instskip(SKIP_1) | instid1(VALU_DEP_2)
	v_min_u32_e32 v3, 32, v3
	v_mov_b32_e32 v125, v113
	v_subrev_nc_u32_e32 v5, 29, v3
	v_sub_nc_u32_e32 v3, 30, v3
	s_delay_alu instid0(VALU_DEP_2) | instskip(NEXT) | instid1(VALU_DEP_1)
	v_lshlrev_b64_e32 v[16:17], v5, v[124:125]
	v_and_b32_e32 v5, 3, v16
.LBB6_21518:                            ;   in Loop: Header=BB6_19757 Depth=3
	s_or_b32 exec_lo, exec_lo, s74
	v_lshlrev_b32_e32 v7, 24, v124
                                        ; implicit-def: $vgpr124
	s_delay_alu instid0(VALU_DEP_1) | instskip(NEXT) | instid1(VALU_DEP_1)
	v_and_b32_e32 v7, 0x80000000, v7
	v_lshl_add_u32 v3, v3, 23, v7
	s_delay_alu instid0(VALU_DEP_1) | instskip(NEXT) | instid1(VALU_DEP_1)
	v_lshl_or_b32 v3, v5, 21, v3
                                        ; implicit-def: $vgpr5
	v_add_nc_u32_e32 v3, 0x38000000, v3
.LBB6_21519:                            ;   in Loop: Header=BB6_19757 Depth=3
	s_and_not1_saveexec_b32 s74, s13
; %bb.21520:                            ;   in Loop: Header=BB6_19757 Depth=3
	v_bfe_i32 v3, v124, 0, 8
	v_cmp_eq_u32_e32 vcc_lo, 0, v5
	s_delay_alu instid0(VALU_DEP_2) | instskip(SKIP_1) | instid1(VALU_DEP_1)
	v_cmp_lt_i16_e64 s13, -1, v3
	v_mov_b32_e32 v3, 0x7f800000
	v_cndmask_b32_e64 v3, 0xff800000, v3, s13
	s_delay_alu instid0(VALU_DEP_1)
	v_cndmask_b32_e32 v3, 0x7f800001, v3, vcc_lo
; %bb.21521:                            ;   in Loop: Header=BB6_19757 Depth=3
	s_or_b32 exec_lo, exec_lo, s74
.LBB6_21522:                            ;   in Loop: Header=BB6_19757 Depth=3
	s_delay_alu instid0(SALU_CYCLE_1)
	s_or_b32 exec_lo, exec_lo, s15
.LBB6_21523:                            ;   in Loop: Header=BB6_19757 Depth=3
	s_delay_alu instid0(SALU_CYCLE_1) | instskip(NEXT) | instid1(SALU_CYCLE_1)
	s_or_b32 exec_lo, exec_lo, s14
	s_mov_b32 s14, exec_lo
	s_wait_loadcnt_dscnt 0x1010
	v_cmpx_ne_u16_e32 0, v70
	s_cbranch_execz .LBB6_21533
; %bb.21524:                            ;   in Loop: Header=BB6_19757 Depth=3
	v_bfrev_b32_e32 v1, 1
	s_mov_b32 s15, exec_lo
	v_cmpx_ne_u16_e32 0xff80, v70
	s_cbranch_execz .LBB6_21532
; %bb.21525:                            ;   in Loop: Header=BB6_19757 Depth=3
	v_and_b32_e32 v1, 0x7c, v70
	v_and_b32_e32 v5, 3, v70
	s_delay_alu instid0(VALU_DEP_2) | instskip(SKIP_1) | instid1(SALU_CYCLE_1)
	v_cmp_ne_u32_e32 vcc_lo, 0x7c, v1
                                        ; implicit-def: $vgpr1
	s_and_saveexec_b32 s13, vcc_lo
	s_xor_b32 s13, exec_lo, s13
	s_cbranch_execz .LBB6_21529
; %bb.21526:                            ;   in Loop: Header=BB6_19757 Depth=3
	v_and_b32_e32 v1, 0xff, v70
	s_mov_b32 s74, exec_lo
	s_delay_alu instid0(VALU_DEP_1) | instskip(NEXT) | instid1(VALU_DEP_1)
	v_bfe_u32 v1, v1, 2, 5
	v_cmpx_eq_u32_e32 0, v1
	s_cbranch_execz .LBB6_21528
; %bb.21527:                            ;   in Loop: Header=BB6_19757 Depth=3
	v_clz_i32_u32_e32 v1, v5
	s_delay_alu instid0(VALU_DEP_1) | instskip(SKIP_1) | instid1(VALU_DEP_2)
	v_min_u32_e32 v1, 32, v1
	v_mov_b32_e32 v71, v113
	v_subrev_nc_u32_e32 v5, 29, v1
	v_sub_nc_u32_e32 v1, 30, v1
	s_delay_alu instid0(VALU_DEP_2) | instskip(NEXT) | instid1(VALU_DEP_1)
	v_lshlrev_b64_e32 v[16:17], v5, v[70:71]
	v_and_b32_e32 v5, 3, v16
.LBB6_21528:                            ;   in Loop: Header=BB6_19757 Depth=3
	s_or_b32 exec_lo, exec_lo, s74
	v_bfe_i32 v7, v70, 0, 16
                                        ; implicit-def: $vgpr70
	s_delay_alu instid0(VALU_DEP_1) | instskip(NEXT) | instid1(VALU_DEP_1)
	v_and_b32_e32 v7, 0x80000000, v7
	v_lshl_add_u32 v1, v1, 23, v7
	s_delay_alu instid0(VALU_DEP_1) | instskip(NEXT) | instid1(VALU_DEP_1)
	v_lshl_or_b32 v1, v5, 21, v1
                                        ; implicit-def: $vgpr5
	v_add_nc_u32_e32 v1, 0x38000000, v1
.LBB6_21529:                            ;   in Loop: Header=BB6_19757 Depth=3
	s_and_not1_saveexec_b32 s74, s13
; %bb.21530:                            ;   in Loop: Header=BB6_19757 Depth=3
	v_cmp_lt_i16_e64 s13, -1, v70
	v_mov_b32_e32 v1, 0x7f800000
	v_cmp_eq_u32_e32 vcc_lo, 0, v5
	s_delay_alu instid0(VALU_DEP_2) | instskip(NEXT) | instid1(VALU_DEP_1)
	v_cndmask_b32_e64 v1, 0xff800000, v1, s13
	v_cndmask_b32_e32 v1, 0x7f800001, v1, vcc_lo
; %bb.21531:                            ;   in Loop: Header=BB6_19757 Depth=3
	s_or_b32 exec_lo, exec_lo, s74
.LBB6_21532:                            ;   in Loop: Header=BB6_19757 Depth=3
	s_delay_alu instid0(SALU_CYCLE_1)
	s_or_b32 exec_lo, exec_lo, s15
.LBB6_21533:                            ;   in Loop: Header=BB6_19757 Depth=3
	s_delay_alu instid0(SALU_CYCLE_1) | instskip(NEXT) | instid1(VALU_DEP_1)
	s_or_b32 exec_lo, exec_lo, s14
	v_dual_add_f32 v3, v3, v1 :: v_dual_mov_b32 v17, v113
                                        ; implicit-def: $vgpr27
	s_delay_alu instid0(VALU_DEP_1) | instskip(NEXT) | instid1(VALU_DEP_1)
	v_and_b32_e32 v16, 0x7f800000, v3
	v_cmp_ne_u64_e32 vcc_lo, 0x7f800000, v[16:17]
	v_and_b32_e32 v16, 0x7fffff, v3
	s_and_saveexec_b32 s13, vcc_lo
	s_delay_alu instid0(SALU_CYCLE_1)
	s_xor_b32 s14, exec_lo, s13
	s_cbranch_execz .LBB6_21551
; %bb.21534:                            ;   in Loop: Header=BB6_19757 Depth=3
	v_dual_mov_b32 v21, v113 :: v_dual_lshrrev_b32 v1, 24, v3
	v_and_b32_e32 v20, 0x7fffffff, v3
                                        ; implicit-def: $vgpr27
	s_mov_b32 s13, exec_lo
	s_delay_alu instid0(VALU_DEP_2) | instskip(NEXT) | instid1(VALU_DEP_2)
	v_and_b32_e32 v1, 0x80, v1
	v_cmpx_gt_u64_e32 0x47600001, v[20:21]
	s_xor_b32 s15, exec_lo, s13
	s_cbranch_execz .LBB6_21548
; %bb.21535:                            ;   in Loop: Header=BB6_19757 Depth=3
	v_mov_b32_e32 v27, 0
	s_mov_b32 s74, exec_lo
	v_cmpx_ne_u32_e32 0, v3
	s_cbranch_execz .LBB6_21547
; %bb.21536:                            ;   in Loop: Header=BB6_19757 Depth=3
	v_bfe_u32 v3, v3, 23, 8
	v_or_b32_e32 v7, 0x800000, v16
	s_delay_alu instid0(VALU_DEP_2) | instskip(SKIP_1) | instid1(VALU_DEP_3)
	v_cmp_eq_u32_e32 vcc_lo, 0, v3
	v_cmp_gt_u32_e64 s13, 0x72, v3
	v_dual_cndmask_b32 v16, v7, v16 :: v_dual_sub_nc_u32 v5, 0x71, v3
	s_delay_alu instid0(VALU_DEP_1) | instskip(NEXT) | instid1(VALU_DEP_1)
	v_cndmask_b32_e64 v5, 0, v5, s13
	v_cndmask_b32_e64 v5, v5, 0x70, vcc_lo
	s_delay_alu instid0(VALU_DEP_1) | instskip(NEXT) | instid1(VALU_DEP_1)
	v_add_nc_u32_e32 v7, 21, v5
	v_lshlrev_b64_e64 v[20:21], v7, -1
	v_add_nc_u32_e32 v7, 20, v5
	s_delay_alu instid0(VALU_DEP_1) | instskip(NEXT) | instid1(VALU_DEP_3)
	v_lshlrev_b64_e64 v[30:31], v7, 1
	v_bfi_b32 v20, v20, 0, v16
	v_lshrrev_b64 v[16:17], v5, v[16:17]
	v_bfi_b32 v21, v21, 0, 0
	s_delay_alu instid0(VALU_DEP_1) | instskip(NEXT) | instid1(VALU_DEP_3)
	v_cmp_eq_u64_e64 s13, v[20:21], v[30:31]
	v_mov_b64_e32 v[20:21], v[16:17]
	s_and_saveexec_b32 s75, s13
; %bb.21537:                            ;   in Loop: Header=BB6_19757 Depth=3
	v_bfe_u32 v20, v16, 21, 1
	v_mov_b32_e32 v21, v113
	s_delay_alu instid0(VALU_DEP_1) | instskip(NEXT) | instid1(VALU_DEP_1)
	v_add_nc_u64_e32 v[20:21], v[16:17], v[20:21]
	v_add_nc_u64_e32 v[20:21], -1, v[20:21]
; %bb.21538:                            ;   in Loop: Header=BB6_19757 Depth=3
	s_or_b32 exec_lo, exec_lo, s75
	v_add_nc_u32_e32 v3, 0xffffff81, v3
	v_lshrrev_b32_e32 v7, 23, v16
	s_mov_b32 s13, exec_lo
	v_mov_b32_e32 v17, v113
	s_delay_alu instid0(VALU_DEP_3) | instskip(NEXT) | instid1(VALU_DEP_1)
	v_cndmask_b32_e64 v3, v3, 0xffffff82, vcc_lo
	v_add3_u32 v7, v5, v3, v7
	v_and_b32_e32 v3, 0x1fffff, v20
	s_delay_alu instid0(VALU_DEP_1) | instskip(NEXT) | instid1(VALU_DEP_1)
	v_dual_add_nc_u32 v5, 14, v7 :: v_dual_add_nc_u32 v16, v3, v16
                                        ; implicit-def: $vgpr3
	v_cmpx_ne_u32_e32 0, v5
	s_xor_b32 s13, exec_lo, s13
; %bb.21539:                            ;   in Loop: Header=BB6_19757 Depth=3
	s_delay_alu instid0(VALU_DEP_2) | instskip(SKIP_1) | instid1(VALU_DEP_1)
	v_cmp_lt_u64_e32 vcc_lo, 0xffffff, v[16:17]
	v_add_nc_u32_e32 v3, 15, v7
	v_cndmask_b32_e32 v3, v5, v3, vcc_lo
	v_cndmask_b32_e64 v5, 0, 1, vcc_lo
	s_delay_alu instid0(VALU_DEP_1)
	v_lshrrev_b64 v[16:17], v5, v[16:17]
; %bb.21540:                            ;   in Loop: Header=BB6_19757 Depth=3
	s_and_not1_saveexec_b32 s13, s13
; %bb.21541:                            ;   in Loop: Header=BB6_19757 Depth=3
	s_delay_alu instid0(VALU_DEP_1)
	v_bfe_u32 v3, v16, 23, 1
; %bb.21542:                            ;   in Loop: Header=BB6_19757 Depth=3
	s_or_b32 exec_lo, exec_lo, s13
	s_delay_alu instid0(VALU_DEP_2) | instskip(NEXT) | instid1(VALU_DEP_2)
	v_lshrrev_b64 v[16:17], 21, v[16:17]
	v_cmp_gt_i32_e32 vcc_lo, 32, v3
	v_cmp_ne_u32_e64 s13, 0, v3
                                        ; implicit-def: $vgpr27
	s_delay_alu instid0(VALU_DEP_3) | instskip(NEXT) | instid1(VALU_DEP_1)
	v_dual_cndmask_b32 v17, 0, v17 :: v_dual_cndmask_b32 v16, 3, v16
	v_cmp_ne_u64_e32 vcc_lo, 0, v[16:17]
	s_or_b32 s13, s13, vcc_lo
	s_delay_alu instid0(SALU_CYCLE_1) | instskip(NEXT) | instid1(SALU_CYCLE_1)
	s_and_saveexec_b32 s75, s13
	s_xor_b32 s13, exec_lo, s75
; %bb.21543:                            ;   in Loop: Header=BB6_19757 Depth=3
	v_min_i32_e32 v3, 31, v3
	s_delay_alu instid0(VALU_DEP_1) | instskip(NEXT) | instid1(VALU_DEP_1)
	v_lshl_or_b32 v1, v3, 2, v1
	v_and_or_b32 v27, v16, 3, v1
                                        ; implicit-def: $vgpr1
; %bb.21544:                            ;   in Loop: Header=BB6_19757 Depth=3
	s_and_not1_saveexec_b32 s13, s13
; %bb.21545:                            ;   in Loop: Header=BB6_19757 Depth=3
	v_mov_b32_e32 v27, v1
; %bb.21546:                            ;   in Loop: Header=BB6_19757 Depth=3
	s_or_b32 exec_lo, exec_lo, s13
.LBB6_21547:                            ;   in Loop: Header=BB6_19757 Depth=3
	s_delay_alu instid0(SALU_CYCLE_1)
	s_or_b32 exec_lo, exec_lo, s74
                                        ; implicit-def: $vgpr1
.LBB6_21548:                            ;   in Loop: Header=BB6_19757 Depth=3
	s_and_not1_saveexec_b32 s13, s15
; %bb.21549:                            ;   in Loop: Header=BB6_19757 Depth=3
	v_or_b32_e32 v27, 0x7b, v1
; %bb.21550:                            ;   in Loop: Header=BB6_19757 Depth=3
	s_or_b32 exec_lo, exec_lo, s13
                                        ; implicit-def: $vgpr3
                                        ; implicit-def: $vgpr16_vgpr17
.LBB6_21551:                            ;   in Loop: Header=BB6_19757 Depth=3
	s_and_not1_saveexec_b32 s13, s14
	s_cbranch_execz .LBB6_21557
; %bb.21552:                            ;   in Loop: Header=BB6_19757 Depth=3
	s_mov_b32 s14, exec_lo
                                        ; implicit-def: $vgpr27
	v_cmpx_ne_u64_e32 0, v[16:17]
	s_xor_b32 s14, exec_lo, s14
; %bb.21553:                            ;   in Loop: Header=BB6_19757 Depth=3
	v_lshrrev_b32_e32 v1, 24, v3
                                        ; implicit-def: $vgpr3
	s_delay_alu instid0(VALU_DEP_1)
	v_or_b32_e32 v27, 0x7f, v1
; %bb.21554:                            ;   in Loop: Header=BB6_19757 Depth=3
	s_and_not1_saveexec_b32 s14, s14
; %bb.21555:                            ;   in Loop: Header=BB6_19757 Depth=3
	v_cmp_lt_i32_e32 vcc_lo, -1, v3
	v_cndmask_b32_e64 v27, -4, 0x7c, vcc_lo
; %bb.21556:                            ;   in Loop: Header=BB6_19757 Depth=3
	s_or_b32 exec_lo, exec_lo, s14
.LBB6_21557:                            ;   in Loop: Header=BB6_19757 Depth=3
	s_delay_alu instid0(SALU_CYCLE_1) | instskip(SKIP_3) | instid1(VALU_DEP_2)
	s_or_b32 exec_lo, exec_lo, s13
	v_and_b32_e32 v7, 0xff, v122
	v_dual_mov_b32 v1, 0 :: v_dual_mov_b32 v3, 0
	s_mov_b32 s14, exec_lo
	v_cmpx_ne_u16_e32 0, v7
	s_cbranch_execz .LBB6_21567
; %bb.21558:                            ;   in Loop: Header=BB6_19757 Depth=3
	v_bfrev_b32_e32 v3, 1
	s_mov_b32 s15, exec_lo
	v_cmpx_ne_u16_e32 0x80, v7
	s_cbranch_execz .LBB6_21566
; %bb.21559:                            ;   in Loop: Header=BB6_19757 Depth=3
	v_and_b32_e32 v3, 0x7c, v122
	v_and_b32_e32 v5, 3, v122
	s_delay_alu instid0(VALU_DEP_2) | instskip(SKIP_1) | instid1(SALU_CYCLE_1)
	v_cmp_ne_u32_e32 vcc_lo, 0x7c, v3
                                        ; implicit-def: $vgpr3
	s_and_saveexec_b32 s13, vcc_lo
	s_xor_b32 s13, exec_lo, s13
	s_cbranch_execz .LBB6_21563
; %bb.21560:                            ;   in Loop: Header=BB6_19757 Depth=3
	v_bfe_u32 v3, v7, 2, 5
	s_mov_b32 s74, exec_lo
	s_delay_alu instid0(VALU_DEP_1)
	v_cmpx_eq_u32_e32 0, v3
	s_cbranch_execz .LBB6_21562
; %bb.21561:                            ;   in Loop: Header=BB6_19757 Depth=3
	v_clz_i32_u32_e32 v3, v5
	s_delay_alu instid0(VALU_DEP_1) | instskip(SKIP_1) | instid1(VALU_DEP_2)
	v_min_u32_e32 v3, 32, v3
	v_mov_b32_e32 v123, v113
	v_subrev_nc_u32_e32 v5, 29, v3
	v_sub_nc_u32_e32 v3, 30, v3
	s_delay_alu instid0(VALU_DEP_2) | instskip(NEXT) | instid1(VALU_DEP_1)
	v_lshlrev_b64_e32 v[16:17], v5, v[122:123]
	v_and_b32_e32 v5, 3, v16
.LBB6_21562:                            ;   in Loop: Header=BB6_19757 Depth=3
	s_or_b32 exec_lo, exec_lo, s74
	v_lshlrev_b32_e32 v7, 24, v122
                                        ; implicit-def: $vgpr122
	s_delay_alu instid0(VALU_DEP_1) | instskip(NEXT) | instid1(VALU_DEP_1)
	v_and_b32_e32 v7, 0x80000000, v7
	v_lshl_add_u32 v3, v3, 23, v7
	s_delay_alu instid0(VALU_DEP_1) | instskip(NEXT) | instid1(VALU_DEP_1)
	v_lshl_or_b32 v3, v5, 21, v3
                                        ; implicit-def: $vgpr5
	v_add_nc_u32_e32 v3, 0x38000000, v3
.LBB6_21563:                            ;   in Loop: Header=BB6_19757 Depth=3
	s_and_not1_saveexec_b32 s74, s13
; %bb.21564:                            ;   in Loop: Header=BB6_19757 Depth=3
	v_bfe_i32 v3, v122, 0, 8
	v_cmp_eq_u32_e32 vcc_lo, 0, v5
	s_delay_alu instid0(VALU_DEP_2) | instskip(SKIP_1) | instid1(VALU_DEP_1)
	v_cmp_lt_i16_e64 s13, -1, v3
	v_mov_b32_e32 v3, 0x7f800000
	v_cndmask_b32_e64 v3, 0xff800000, v3, s13
	s_delay_alu instid0(VALU_DEP_1)
	v_cndmask_b32_e32 v3, 0x7f800001, v3, vcc_lo
; %bb.21565:                            ;   in Loop: Header=BB6_19757 Depth=3
	s_or_b32 exec_lo, exec_lo, s74
.LBB6_21566:                            ;   in Loop: Header=BB6_19757 Depth=3
	s_delay_alu instid0(SALU_CYCLE_1)
	s_or_b32 exec_lo, exec_lo, s15
.LBB6_21567:                            ;   in Loop: Header=BB6_19757 Depth=3
	s_delay_alu instid0(SALU_CYCLE_1) | instskip(NEXT) | instid1(SALU_CYCLE_1)
	s_or_b32 exec_lo, exec_lo, s14
	s_mov_b32 s14, exec_lo
	s_wait_loadcnt_dscnt 0xf0f
	v_cmpx_ne_u16_e32 0, v98
	s_cbranch_execz .LBB6_21577
; %bb.21568:                            ;   in Loop: Header=BB6_19757 Depth=3
	v_bfrev_b32_e32 v1, 1
	s_mov_b32 s15, exec_lo
	v_cmpx_ne_u16_e32 0xff80, v98
	s_cbranch_execz .LBB6_21576
; %bb.21569:                            ;   in Loop: Header=BB6_19757 Depth=3
	v_and_b32_e32 v1, 0x7c, v98
	v_and_b32_e32 v5, 3, v98
	s_delay_alu instid0(VALU_DEP_2) | instskip(SKIP_1) | instid1(SALU_CYCLE_1)
	v_cmp_ne_u32_e32 vcc_lo, 0x7c, v1
                                        ; implicit-def: $vgpr1
	s_and_saveexec_b32 s13, vcc_lo
	s_xor_b32 s13, exec_lo, s13
	s_cbranch_execz .LBB6_21573
; %bb.21570:                            ;   in Loop: Header=BB6_19757 Depth=3
	v_and_b32_e32 v1, 0xff, v98
	s_mov_b32 s74, exec_lo
	s_delay_alu instid0(VALU_DEP_1) | instskip(NEXT) | instid1(VALU_DEP_1)
	v_bfe_u32 v1, v1, 2, 5
	v_cmpx_eq_u32_e32 0, v1
	s_cbranch_execz .LBB6_21572
; %bb.21571:                            ;   in Loop: Header=BB6_19757 Depth=3
	v_clz_i32_u32_e32 v1, v5
	s_delay_alu instid0(VALU_DEP_1) | instskip(SKIP_1) | instid1(VALU_DEP_2)
	v_min_u32_e32 v1, 32, v1
	v_mov_b32_e32 v99, v113
	v_subrev_nc_u32_e32 v5, 29, v1
	v_sub_nc_u32_e32 v1, 30, v1
	s_delay_alu instid0(VALU_DEP_2) | instskip(NEXT) | instid1(VALU_DEP_1)
	v_lshlrev_b64_e32 v[16:17], v5, v[98:99]
	v_and_b32_e32 v5, 3, v16
.LBB6_21572:                            ;   in Loop: Header=BB6_19757 Depth=3
	s_or_b32 exec_lo, exec_lo, s74
	v_bfe_i32 v7, v98, 0, 16
                                        ; implicit-def: $vgpr98
	s_delay_alu instid0(VALU_DEP_1) | instskip(NEXT) | instid1(VALU_DEP_1)
	v_and_b32_e32 v7, 0x80000000, v7
	v_lshl_add_u32 v1, v1, 23, v7
	s_delay_alu instid0(VALU_DEP_1) | instskip(NEXT) | instid1(VALU_DEP_1)
	v_lshl_or_b32 v1, v5, 21, v1
                                        ; implicit-def: $vgpr5
	v_add_nc_u32_e32 v1, 0x38000000, v1
.LBB6_21573:                            ;   in Loop: Header=BB6_19757 Depth=3
	s_and_not1_saveexec_b32 s74, s13
; %bb.21574:                            ;   in Loop: Header=BB6_19757 Depth=3
	v_cmp_lt_i16_e64 s13, -1, v98
	v_mov_b32_e32 v1, 0x7f800000
	v_cmp_eq_u32_e32 vcc_lo, 0, v5
	s_delay_alu instid0(VALU_DEP_2) | instskip(NEXT) | instid1(VALU_DEP_1)
	v_cndmask_b32_e64 v1, 0xff800000, v1, s13
	v_cndmask_b32_e32 v1, 0x7f800001, v1, vcc_lo
; %bb.21575:                            ;   in Loop: Header=BB6_19757 Depth=3
	s_or_b32 exec_lo, exec_lo, s74
.LBB6_21576:                            ;   in Loop: Header=BB6_19757 Depth=3
	s_delay_alu instid0(SALU_CYCLE_1)
	s_or_b32 exec_lo, exec_lo, s15
.LBB6_21577:                            ;   in Loop: Header=BB6_19757 Depth=3
	s_delay_alu instid0(SALU_CYCLE_1) | instskip(NEXT) | instid1(VALU_DEP_1)
	s_or_b32 exec_lo, exec_lo, s14
	v_dual_add_f32 v3, v3, v1 :: v_dual_mov_b32 v17, v113
                                        ; implicit-def: $vgpr30
	s_delay_alu instid0(VALU_DEP_1) | instskip(NEXT) | instid1(VALU_DEP_1)
	v_and_b32_e32 v16, 0x7f800000, v3
	v_cmp_ne_u64_e32 vcc_lo, 0x7f800000, v[16:17]
	v_and_b32_e32 v16, 0x7fffff, v3
	s_and_saveexec_b32 s13, vcc_lo
	s_delay_alu instid0(SALU_CYCLE_1)
	s_xor_b32 s14, exec_lo, s13
	s_cbranch_execz .LBB6_21595
; %bb.21578:                            ;   in Loop: Header=BB6_19757 Depth=3
	v_dual_mov_b32 v21, v113 :: v_dual_lshrrev_b32 v1, 24, v3
	v_and_b32_e32 v20, 0x7fffffff, v3
                                        ; implicit-def: $vgpr30
	s_mov_b32 s13, exec_lo
	s_delay_alu instid0(VALU_DEP_2) | instskip(NEXT) | instid1(VALU_DEP_2)
	v_and_b32_e32 v1, 0x80, v1
	v_cmpx_gt_u64_e32 0x47600001, v[20:21]
	s_xor_b32 s15, exec_lo, s13
	s_cbranch_execz .LBB6_21592
; %bb.21579:                            ;   in Loop: Header=BB6_19757 Depth=3
	v_mov_b32_e32 v30, 0
	s_mov_b32 s74, exec_lo
	v_cmpx_ne_u32_e32 0, v3
	s_cbranch_execz .LBB6_21591
; %bb.21580:                            ;   in Loop: Header=BB6_19757 Depth=3
	v_bfe_u32 v3, v3, 23, 8
	v_or_b32_e32 v7, 0x800000, v16
	s_delay_alu instid0(VALU_DEP_2) | instskip(SKIP_1) | instid1(VALU_DEP_3)
	v_cmp_eq_u32_e32 vcc_lo, 0, v3
	v_cmp_gt_u32_e64 s13, 0x72, v3
	v_dual_cndmask_b32 v16, v7, v16 :: v_dual_sub_nc_u32 v5, 0x71, v3
	s_delay_alu instid0(VALU_DEP_1) | instskip(NEXT) | instid1(VALU_DEP_1)
	v_cndmask_b32_e64 v5, 0, v5, s13
	v_cndmask_b32_e64 v5, v5, 0x70, vcc_lo
	s_delay_alu instid0(VALU_DEP_1) | instskip(NEXT) | instid1(VALU_DEP_1)
	v_add_nc_u32_e32 v7, 21, v5
	v_lshlrev_b64_e64 v[20:21], v7, -1
	v_add_nc_u32_e32 v7, 20, v5
	s_delay_alu instid0(VALU_DEP_1) | instskip(NEXT) | instid1(VALU_DEP_3)
	v_lshlrev_b64_e64 v[30:31], v7, 1
	v_bfi_b32 v20, v20, 0, v16
	v_lshrrev_b64 v[16:17], v5, v[16:17]
	v_bfi_b32 v21, v21, 0, 0
	s_delay_alu instid0(VALU_DEP_1) | instskip(NEXT) | instid1(VALU_DEP_3)
	v_cmp_eq_u64_e64 s13, v[20:21], v[30:31]
	v_mov_b64_e32 v[20:21], v[16:17]
	s_and_saveexec_b32 s75, s13
; %bb.21581:                            ;   in Loop: Header=BB6_19757 Depth=3
	v_bfe_u32 v20, v16, 21, 1
	v_mov_b32_e32 v21, v113
	s_delay_alu instid0(VALU_DEP_1) | instskip(NEXT) | instid1(VALU_DEP_1)
	v_add_nc_u64_e32 v[20:21], v[16:17], v[20:21]
	v_add_nc_u64_e32 v[20:21], -1, v[20:21]
; %bb.21582:                            ;   in Loop: Header=BB6_19757 Depth=3
	s_or_b32 exec_lo, exec_lo, s75
	v_add_nc_u32_e32 v3, 0xffffff81, v3
	v_lshrrev_b32_e32 v7, 23, v16
	s_mov_b32 s13, exec_lo
	v_mov_b32_e32 v17, v113
	s_delay_alu instid0(VALU_DEP_3) | instskip(NEXT) | instid1(VALU_DEP_1)
	v_cndmask_b32_e64 v3, v3, 0xffffff82, vcc_lo
	v_add3_u32 v7, v5, v3, v7
	v_and_b32_e32 v3, 0x1fffff, v20
	s_delay_alu instid0(VALU_DEP_1) | instskip(NEXT) | instid1(VALU_DEP_1)
	v_dual_add_nc_u32 v5, 14, v7 :: v_dual_add_nc_u32 v16, v3, v16
                                        ; implicit-def: $vgpr3
	v_cmpx_ne_u32_e32 0, v5
	s_xor_b32 s13, exec_lo, s13
; %bb.21583:                            ;   in Loop: Header=BB6_19757 Depth=3
	s_delay_alu instid0(VALU_DEP_2) | instskip(SKIP_1) | instid1(VALU_DEP_1)
	v_cmp_lt_u64_e32 vcc_lo, 0xffffff, v[16:17]
	v_add_nc_u32_e32 v3, 15, v7
	v_cndmask_b32_e32 v3, v5, v3, vcc_lo
	v_cndmask_b32_e64 v5, 0, 1, vcc_lo
	s_delay_alu instid0(VALU_DEP_1)
	v_lshrrev_b64 v[16:17], v5, v[16:17]
; %bb.21584:                            ;   in Loop: Header=BB6_19757 Depth=3
	s_and_not1_saveexec_b32 s13, s13
; %bb.21585:                            ;   in Loop: Header=BB6_19757 Depth=3
	s_delay_alu instid0(VALU_DEP_1)
	v_bfe_u32 v3, v16, 23, 1
; %bb.21586:                            ;   in Loop: Header=BB6_19757 Depth=3
	s_or_b32 exec_lo, exec_lo, s13
	s_delay_alu instid0(VALU_DEP_2) | instskip(NEXT) | instid1(VALU_DEP_2)
	v_lshrrev_b64 v[16:17], 21, v[16:17]
	v_cmp_gt_i32_e32 vcc_lo, 32, v3
	v_cmp_ne_u32_e64 s13, 0, v3
                                        ; implicit-def: $vgpr30
	s_delay_alu instid0(VALU_DEP_3) | instskip(NEXT) | instid1(VALU_DEP_1)
	v_dual_cndmask_b32 v17, 0, v17 :: v_dual_cndmask_b32 v16, 3, v16
	v_cmp_ne_u64_e32 vcc_lo, 0, v[16:17]
	s_or_b32 s13, s13, vcc_lo
	s_delay_alu instid0(SALU_CYCLE_1) | instskip(NEXT) | instid1(SALU_CYCLE_1)
	s_and_saveexec_b32 s75, s13
	s_xor_b32 s13, exec_lo, s75
; %bb.21587:                            ;   in Loop: Header=BB6_19757 Depth=3
	v_min_i32_e32 v3, 31, v3
	s_delay_alu instid0(VALU_DEP_1) | instskip(NEXT) | instid1(VALU_DEP_1)
	v_lshl_or_b32 v1, v3, 2, v1
	v_and_or_b32 v30, v16, 3, v1
                                        ; implicit-def: $vgpr1
; %bb.21588:                            ;   in Loop: Header=BB6_19757 Depth=3
	s_and_not1_saveexec_b32 s13, s13
; %bb.21589:                            ;   in Loop: Header=BB6_19757 Depth=3
	v_mov_b32_e32 v30, v1
; %bb.21590:                            ;   in Loop: Header=BB6_19757 Depth=3
	s_or_b32 exec_lo, exec_lo, s13
.LBB6_21591:                            ;   in Loop: Header=BB6_19757 Depth=3
	s_delay_alu instid0(SALU_CYCLE_1)
	s_or_b32 exec_lo, exec_lo, s74
                                        ; implicit-def: $vgpr1
.LBB6_21592:                            ;   in Loop: Header=BB6_19757 Depth=3
	s_and_not1_saveexec_b32 s13, s15
; %bb.21593:                            ;   in Loop: Header=BB6_19757 Depth=3
	v_or_b32_e32 v30, 0x7b, v1
; %bb.21594:                            ;   in Loop: Header=BB6_19757 Depth=3
	s_or_b32 exec_lo, exec_lo, s13
                                        ; implicit-def: $vgpr3
                                        ; implicit-def: $vgpr16_vgpr17
.LBB6_21595:                            ;   in Loop: Header=BB6_19757 Depth=3
	s_and_not1_saveexec_b32 s13, s14
	s_cbranch_execz .LBB6_21601
; %bb.21596:                            ;   in Loop: Header=BB6_19757 Depth=3
	s_mov_b32 s14, exec_lo
                                        ; implicit-def: $vgpr30
	v_cmpx_ne_u64_e32 0, v[16:17]
	s_xor_b32 s14, exec_lo, s14
; %bb.21597:                            ;   in Loop: Header=BB6_19757 Depth=3
	v_lshrrev_b32_e32 v1, 24, v3
                                        ; implicit-def: $vgpr3
	s_delay_alu instid0(VALU_DEP_1)
	v_or_b32_e32 v30, 0x7f, v1
; %bb.21598:                            ;   in Loop: Header=BB6_19757 Depth=3
	s_and_not1_saveexec_b32 s14, s14
; %bb.21599:                            ;   in Loop: Header=BB6_19757 Depth=3
	v_cmp_lt_i32_e32 vcc_lo, -1, v3
	v_cndmask_b32_e64 v30, -4, 0x7c, vcc_lo
; %bb.21600:                            ;   in Loop: Header=BB6_19757 Depth=3
	s_or_b32 exec_lo, exec_lo, s14
.LBB6_21601:                            ;   in Loop: Header=BB6_19757 Depth=3
	s_delay_alu instid0(SALU_CYCLE_1) | instskip(SKIP_3) | instid1(VALU_DEP_2)
	s_or_b32 exec_lo, exec_lo, s13
	v_and_b32_e32 v7, 0xff, v120
	v_dual_mov_b32 v1, 0 :: v_dual_mov_b32 v3, 0
	s_mov_b32 s14, exec_lo
	v_cmpx_ne_u16_e32 0, v7
	s_cbranch_execz .LBB6_21611
; %bb.21602:                            ;   in Loop: Header=BB6_19757 Depth=3
	v_bfrev_b32_e32 v3, 1
	s_mov_b32 s15, exec_lo
	v_cmpx_ne_u16_e32 0x80, v7
	s_cbranch_execz .LBB6_21610
; %bb.21603:                            ;   in Loop: Header=BB6_19757 Depth=3
	v_and_b32_e32 v3, 0x7c, v120
	v_and_b32_e32 v5, 3, v120
	s_delay_alu instid0(VALU_DEP_2) | instskip(SKIP_1) | instid1(SALU_CYCLE_1)
	v_cmp_ne_u32_e32 vcc_lo, 0x7c, v3
                                        ; implicit-def: $vgpr3
	s_and_saveexec_b32 s13, vcc_lo
	s_xor_b32 s13, exec_lo, s13
	s_cbranch_execz .LBB6_21607
; %bb.21604:                            ;   in Loop: Header=BB6_19757 Depth=3
	v_bfe_u32 v3, v7, 2, 5
	s_mov_b32 s74, exec_lo
	s_delay_alu instid0(VALU_DEP_1)
	v_cmpx_eq_u32_e32 0, v3
	s_cbranch_execz .LBB6_21606
; %bb.21605:                            ;   in Loop: Header=BB6_19757 Depth=3
	v_clz_i32_u32_e32 v3, v5
	s_delay_alu instid0(VALU_DEP_1) | instskip(SKIP_1) | instid1(VALU_DEP_2)
	v_min_u32_e32 v3, 32, v3
	v_mov_b32_e32 v121, v113
	v_subrev_nc_u32_e32 v5, 29, v3
	v_sub_nc_u32_e32 v3, 30, v3
	s_delay_alu instid0(VALU_DEP_2) | instskip(NEXT) | instid1(VALU_DEP_1)
	v_lshlrev_b64_e32 v[16:17], v5, v[120:121]
	v_and_b32_e32 v5, 3, v16
.LBB6_21606:                            ;   in Loop: Header=BB6_19757 Depth=3
	s_or_b32 exec_lo, exec_lo, s74
	v_lshlrev_b32_e32 v7, 24, v120
                                        ; implicit-def: $vgpr120
	s_delay_alu instid0(VALU_DEP_1) | instskip(NEXT) | instid1(VALU_DEP_1)
	v_and_b32_e32 v7, 0x80000000, v7
	v_lshl_add_u32 v3, v3, 23, v7
	s_delay_alu instid0(VALU_DEP_1) | instskip(NEXT) | instid1(VALU_DEP_1)
	v_lshl_or_b32 v3, v5, 21, v3
                                        ; implicit-def: $vgpr5
	v_add_nc_u32_e32 v3, 0x38000000, v3
.LBB6_21607:                            ;   in Loop: Header=BB6_19757 Depth=3
	s_and_not1_saveexec_b32 s74, s13
; %bb.21608:                            ;   in Loop: Header=BB6_19757 Depth=3
	v_bfe_i32 v3, v120, 0, 8
	v_cmp_eq_u32_e32 vcc_lo, 0, v5
	s_delay_alu instid0(VALU_DEP_2) | instskip(SKIP_1) | instid1(VALU_DEP_1)
	v_cmp_lt_i16_e64 s13, -1, v3
	v_mov_b32_e32 v3, 0x7f800000
	v_cndmask_b32_e64 v3, 0xff800000, v3, s13
	s_delay_alu instid0(VALU_DEP_1)
	v_cndmask_b32_e32 v3, 0x7f800001, v3, vcc_lo
; %bb.21609:                            ;   in Loop: Header=BB6_19757 Depth=3
	s_or_b32 exec_lo, exec_lo, s74
.LBB6_21610:                            ;   in Loop: Header=BB6_19757 Depth=3
	s_delay_alu instid0(SALU_CYCLE_1)
	s_or_b32 exec_lo, exec_lo, s15
.LBB6_21611:                            ;   in Loop: Header=BB6_19757 Depth=3
	s_delay_alu instid0(SALU_CYCLE_1) | instskip(NEXT) | instid1(SALU_CYCLE_1)
	s_or_b32 exec_lo, exec_lo, s14
	s_mov_b32 s14, exec_lo
	s_wait_loadcnt_dscnt 0xe0e
	v_cmpx_ne_u16_e32 0, v68
	s_cbranch_execz .LBB6_21621
; %bb.21612:                            ;   in Loop: Header=BB6_19757 Depth=3
	v_bfrev_b32_e32 v1, 1
	s_mov_b32 s15, exec_lo
	v_cmpx_ne_u16_e32 0xff80, v68
	s_cbranch_execz .LBB6_21620
; %bb.21613:                            ;   in Loop: Header=BB6_19757 Depth=3
	v_and_b32_e32 v1, 0x7c, v68
	v_and_b32_e32 v5, 3, v68
	s_delay_alu instid0(VALU_DEP_2) | instskip(SKIP_1) | instid1(SALU_CYCLE_1)
	v_cmp_ne_u32_e32 vcc_lo, 0x7c, v1
                                        ; implicit-def: $vgpr1
	s_and_saveexec_b32 s13, vcc_lo
	s_xor_b32 s13, exec_lo, s13
	s_cbranch_execz .LBB6_21617
; %bb.21614:                            ;   in Loop: Header=BB6_19757 Depth=3
	v_and_b32_e32 v1, 0xff, v68
	s_mov_b32 s74, exec_lo
	s_delay_alu instid0(VALU_DEP_1) | instskip(NEXT) | instid1(VALU_DEP_1)
	v_bfe_u32 v1, v1, 2, 5
	v_cmpx_eq_u32_e32 0, v1
	s_cbranch_execz .LBB6_21616
; %bb.21615:                            ;   in Loop: Header=BB6_19757 Depth=3
	v_clz_i32_u32_e32 v1, v5
	s_delay_alu instid0(VALU_DEP_1) | instskip(SKIP_1) | instid1(VALU_DEP_2)
	v_min_u32_e32 v1, 32, v1
	v_mov_b32_e32 v69, v113
	v_subrev_nc_u32_e32 v5, 29, v1
	v_sub_nc_u32_e32 v1, 30, v1
	s_delay_alu instid0(VALU_DEP_2) | instskip(NEXT) | instid1(VALU_DEP_1)
	v_lshlrev_b64_e32 v[16:17], v5, v[68:69]
	v_and_b32_e32 v5, 3, v16
.LBB6_21616:                            ;   in Loop: Header=BB6_19757 Depth=3
	s_or_b32 exec_lo, exec_lo, s74
	v_bfe_i32 v7, v68, 0, 16
                                        ; implicit-def: $vgpr68
	s_delay_alu instid0(VALU_DEP_1) | instskip(NEXT) | instid1(VALU_DEP_1)
	v_and_b32_e32 v7, 0x80000000, v7
	v_lshl_add_u32 v1, v1, 23, v7
	s_delay_alu instid0(VALU_DEP_1) | instskip(NEXT) | instid1(VALU_DEP_1)
	v_lshl_or_b32 v1, v5, 21, v1
                                        ; implicit-def: $vgpr5
	v_add_nc_u32_e32 v1, 0x38000000, v1
.LBB6_21617:                            ;   in Loop: Header=BB6_19757 Depth=3
	s_and_not1_saveexec_b32 s74, s13
; %bb.21618:                            ;   in Loop: Header=BB6_19757 Depth=3
	v_cmp_lt_i16_e64 s13, -1, v68
	v_mov_b32_e32 v1, 0x7f800000
	v_cmp_eq_u32_e32 vcc_lo, 0, v5
	s_delay_alu instid0(VALU_DEP_2) | instskip(NEXT) | instid1(VALU_DEP_1)
	v_cndmask_b32_e64 v1, 0xff800000, v1, s13
	v_cndmask_b32_e32 v1, 0x7f800001, v1, vcc_lo
; %bb.21619:                            ;   in Loop: Header=BB6_19757 Depth=3
	s_or_b32 exec_lo, exec_lo, s74
.LBB6_21620:                            ;   in Loop: Header=BB6_19757 Depth=3
	s_delay_alu instid0(SALU_CYCLE_1)
	s_or_b32 exec_lo, exec_lo, s15
.LBB6_21621:                            ;   in Loop: Header=BB6_19757 Depth=3
	s_delay_alu instid0(SALU_CYCLE_1) | instskip(NEXT) | instid1(VALU_DEP_1)
	s_or_b32 exec_lo, exec_lo, s14
	v_dual_add_f32 v3, v3, v1 :: v_dual_mov_b32 v17, v113
                                        ; implicit-def: $vgpr20
	s_delay_alu instid0(VALU_DEP_1) | instskip(NEXT) | instid1(VALU_DEP_1)
	v_and_b32_e32 v16, 0x7f800000, v3
	v_cmp_ne_u64_e32 vcc_lo, 0x7f800000, v[16:17]
	v_and_b32_e32 v16, 0x7fffff, v3
	s_and_saveexec_b32 s13, vcc_lo
	s_delay_alu instid0(SALU_CYCLE_1)
	s_xor_b32 s14, exec_lo, s13
	s_cbranch_execz .LBB6_21639
; %bb.21622:                            ;   in Loop: Header=BB6_19757 Depth=3
	v_and_b32_e32 v20, 0x7fffffff, v3
	v_dual_mov_b32 v21, v113 :: v_dual_lshrrev_b32 v1, 24, v3
	s_delay_alu instid0(VALU_DEP_1) | instskip(NEXT) | instid1(VALU_DEP_2)
	v_cmp_gt_u64_e32 vcc_lo, 0x47600001, v[20:21]
	v_and_b32_e32 v1, 0x80, v1
                                        ; implicit-def: $vgpr20
	s_and_saveexec_b32 s13, vcc_lo
	s_delay_alu instid0(SALU_CYCLE_1)
	s_xor_b32 s15, exec_lo, s13
	s_cbranch_execz .LBB6_21636
; %bb.21623:                            ;   in Loop: Header=BB6_19757 Depth=3
	v_mov_b32_e32 v20, 0
	s_mov_b32 s74, exec_lo
	v_cmpx_ne_u32_e32 0, v3
	s_cbranch_execz .LBB6_21635
; %bb.21624:                            ;   in Loop: Header=BB6_19757 Depth=3
	v_bfe_u32 v3, v3, 23, 8
	v_or_b32_e32 v7, 0x800000, v16
	s_delay_alu instid0(VALU_DEP_2) | instskip(SKIP_1) | instid1(VALU_DEP_3)
	v_cmp_eq_u32_e32 vcc_lo, 0, v3
	v_cmp_gt_u32_e64 s13, 0x72, v3
	v_dual_cndmask_b32 v16, v7, v16 :: v_dual_sub_nc_u32 v5, 0x71, v3
	s_delay_alu instid0(VALU_DEP_1) | instskip(NEXT) | instid1(VALU_DEP_1)
	v_cndmask_b32_e64 v5, 0, v5, s13
	v_cndmask_b32_e64 v5, v5, 0x70, vcc_lo
	s_delay_alu instid0(VALU_DEP_1) | instskip(NEXT) | instid1(VALU_DEP_1)
	v_add_nc_u32_e32 v7, 21, v5
	v_lshlrev_b64_e64 v[20:21], v7, -1
	v_add_nc_u32_e32 v7, 20, v5
	s_delay_alu instid0(VALU_DEP_1) | instskip(NEXT) | instid1(VALU_DEP_3)
	v_lshlrev_b64_e64 v[52:53], v7, 1
	v_bfi_b32 v20, v20, 0, v16
	v_lshrrev_b64 v[16:17], v5, v[16:17]
	v_bfi_b32 v21, v21, 0, 0
	s_delay_alu instid0(VALU_DEP_1) | instskip(NEXT) | instid1(VALU_DEP_3)
	v_cmp_eq_u64_e64 s13, v[20:21], v[52:53]
	v_mov_b64_e32 v[20:21], v[16:17]
	s_and_saveexec_b32 s75, s13
; %bb.21625:                            ;   in Loop: Header=BB6_19757 Depth=3
	v_bfe_u32 v20, v16, 21, 1
	v_mov_b32_e32 v21, v113
	s_delay_alu instid0(VALU_DEP_1) | instskip(NEXT) | instid1(VALU_DEP_1)
	v_add_nc_u64_e32 v[20:21], v[16:17], v[20:21]
	v_add_nc_u64_e32 v[20:21], -1, v[20:21]
; %bb.21626:                            ;   in Loop: Header=BB6_19757 Depth=3
	s_or_b32 exec_lo, exec_lo, s75
	v_add_nc_u32_e32 v3, 0xffffff81, v3
	v_lshrrev_b32_e32 v7, 23, v16
	s_mov_b32 s13, exec_lo
	v_mov_b32_e32 v17, v113
	s_delay_alu instid0(VALU_DEP_3) | instskip(NEXT) | instid1(VALU_DEP_1)
	v_cndmask_b32_e64 v3, v3, 0xffffff82, vcc_lo
	v_add3_u32 v7, v5, v3, v7
	v_and_b32_e32 v3, 0x1fffff, v20
	s_delay_alu instid0(VALU_DEP_1) | instskip(NEXT) | instid1(VALU_DEP_1)
	v_dual_add_nc_u32 v5, 14, v7 :: v_dual_add_nc_u32 v16, v3, v16
                                        ; implicit-def: $vgpr3
	v_cmpx_ne_u32_e32 0, v5
	s_xor_b32 s13, exec_lo, s13
; %bb.21627:                            ;   in Loop: Header=BB6_19757 Depth=3
	s_delay_alu instid0(VALU_DEP_2) | instskip(SKIP_1) | instid1(VALU_DEP_1)
	v_cmp_lt_u64_e32 vcc_lo, 0xffffff, v[16:17]
	v_add_nc_u32_e32 v3, 15, v7
	v_cndmask_b32_e32 v3, v5, v3, vcc_lo
	v_cndmask_b32_e64 v5, 0, 1, vcc_lo
	s_delay_alu instid0(VALU_DEP_1)
	v_lshrrev_b64 v[16:17], v5, v[16:17]
; %bb.21628:                            ;   in Loop: Header=BB6_19757 Depth=3
	s_and_not1_saveexec_b32 s13, s13
; %bb.21629:                            ;   in Loop: Header=BB6_19757 Depth=3
	s_delay_alu instid0(VALU_DEP_1)
	v_bfe_u32 v3, v16, 23, 1
; %bb.21630:                            ;   in Loop: Header=BB6_19757 Depth=3
	s_or_b32 exec_lo, exec_lo, s13
	s_delay_alu instid0(VALU_DEP_2) | instskip(NEXT) | instid1(VALU_DEP_2)
	v_lshrrev_b64 v[16:17], 21, v[16:17]
	v_cmp_gt_i32_e32 vcc_lo, 32, v3
	v_cmp_ne_u32_e64 s13, 0, v3
                                        ; implicit-def: $vgpr20
	s_delay_alu instid0(VALU_DEP_3) | instskip(NEXT) | instid1(VALU_DEP_1)
	v_dual_cndmask_b32 v17, 0, v17 :: v_dual_cndmask_b32 v16, 3, v16
	v_cmp_ne_u64_e32 vcc_lo, 0, v[16:17]
	s_or_b32 s13, s13, vcc_lo
	s_delay_alu instid0(SALU_CYCLE_1) | instskip(NEXT) | instid1(SALU_CYCLE_1)
	s_and_saveexec_b32 s75, s13
	s_xor_b32 s13, exec_lo, s75
; %bb.21631:                            ;   in Loop: Header=BB6_19757 Depth=3
	v_min_i32_e32 v3, 31, v3
	s_delay_alu instid0(VALU_DEP_1) | instskip(NEXT) | instid1(VALU_DEP_1)
	v_lshl_or_b32 v1, v3, 2, v1
	v_and_or_b32 v20, v16, 3, v1
                                        ; implicit-def: $vgpr1
; %bb.21632:                            ;   in Loop: Header=BB6_19757 Depth=3
	s_and_not1_saveexec_b32 s13, s13
; %bb.21633:                            ;   in Loop: Header=BB6_19757 Depth=3
	v_mov_b32_e32 v20, v1
; %bb.21634:                            ;   in Loop: Header=BB6_19757 Depth=3
	s_or_b32 exec_lo, exec_lo, s13
.LBB6_21635:                            ;   in Loop: Header=BB6_19757 Depth=3
	s_delay_alu instid0(SALU_CYCLE_1)
	s_or_b32 exec_lo, exec_lo, s74
                                        ; implicit-def: $vgpr1
.LBB6_21636:                            ;   in Loop: Header=BB6_19757 Depth=3
	s_and_not1_saveexec_b32 s13, s15
; %bb.21637:                            ;   in Loop: Header=BB6_19757 Depth=3
	v_or_b32_e32 v20, 0x7b, v1
; %bb.21638:                            ;   in Loop: Header=BB6_19757 Depth=3
	s_or_b32 exec_lo, exec_lo, s13
                                        ; implicit-def: $vgpr3
                                        ; implicit-def: $vgpr16_vgpr17
.LBB6_21639:                            ;   in Loop: Header=BB6_19757 Depth=3
	s_and_not1_saveexec_b32 s13, s14
	s_cbranch_execz .LBB6_21645
; %bb.21640:                            ;   in Loop: Header=BB6_19757 Depth=3
	s_mov_b32 s14, exec_lo
                                        ; implicit-def: $vgpr20
	v_cmpx_ne_u64_e32 0, v[16:17]
	s_xor_b32 s14, exec_lo, s14
; %bb.21641:                            ;   in Loop: Header=BB6_19757 Depth=3
	v_lshrrev_b32_e32 v1, 24, v3
                                        ; implicit-def: $vgpr3
	s_delay_alu instid0(VALU_DEP_1)
	v_or_b32_e32 v20, 0x7f, v1
; %bb.21642:                            ;   in Loop: Header=BB6_19757 Depth=3
	s_and_not1_saveexec_b32 s14, s14
; %bb.21643:                            ;   in Loop: Header=BB6_19757 Depth=3
	v_cmp_lt_i32_e32 vcc_lo, -1, v3
	v_cndmask_b32_e64 v20, -4, 0x7c, vcc_lo
; %bb.21644:                            ;   in Loop: Header=BB6_19757 Depth=3
	s_or_b32 exec_lo, exec_lo, s14
.LBB6_21645:                            ;   in Loop: Header=BB6_19757 Depth=3
	s_delay_alu instid0(SALU_CYCLE_1) | instskip(SKIP_3) | instid1(VALU_DEP_2)
	s_or_b32 exec_lo, exec_lo, s13
	v_and_b32_e32 v7, 0xff, v108
	v_dual_mov_b32 v1, 0 :: v_dual_mov_b32 v5, 0
	s_mov_b32 s14, exec_lo
	v_cmpx_ne_u16_e32 0, v7
	s_cbranch_execz .LBB6_21655
; %bb.21646:                            ;   in Loop: Header=BB6_19757 Depth=3
	v_bfrev_b32_e32 v5, 1
	s_mov_b32 s15, exec_lo
	v_cmpx_ne_u16_e32 0x80, v7
	s_cbranch_execz .LBB6_21654
; %bb.21647:                            ;   in Loop: Header=BB6_19757 Depth=3
	v_and_b32_e32 v5, 0x7c, v108
	v_and_b32_e32 v3, 3, v108
	s_delay_alu instid0(VALU_DEP_2) | instskip(SKIP_1) | instid1(SALU_CYCLE_1)
	v_cmp_ne_u32_e32 vcc_lo, 0x7c, v5
                                        ; implicit-def: $vgpr5
	s_and_saveexec_b32 s13, vcc_lo
	s_xor_b32 s13, exec_lo, s13
	s_cbranch_execz .LBB6_21651
; %bb.21648:                            ;   in Loop: Header=BB6_19757 Depth=3
	v_bfe_u32 v5, v7, 2, 5
	s_mov_b32 s74, exec_lo
	s_delay_alu instid0(VALU_DEP_1)
	v_cmpx_eq_u32_e32 0, v5
; %bb.21649:                            ;   in Loop: Header=BB6_19757 Depth=3
	v_clz_i32_u32_e32 v3, v3
	s_delay_alu instid0(VALU_DEP_1) | instskip(SKIP_1) | instid1(VALU_DEP_2)
	v_min_u32_e32 v3, 32, v3
	v_mov_b32_e32 v109, v113
	v_subrev_nc_u32_e32 v5, 29, v3
	s_delay_alu instid0(VALU_DEP_1) | instskip(NEXT) | instid1(VALU_DEP_1)
	v_lshlrev_b64_e32 v[16:17], v5, v[108:109]
	v_dual_sub_nc_u32 v5, 30, v3 :: v_dual_bitop2_b32 v3, 3, v16 bitop3:0x40
; %bb.21650:                            ;   in Loop: Header=BB6_19757 Depth=3
	s_or_b32 exec_lo, exec_lo, s74
	v_lshlrev_b32_e32 v7, 24, v108
                                        ; implicit-def: $vgpr108
	s_delay_alu instid0(VALU_DEP_1) | instskip(NEXT) | instid1(VALU_DEP_1)
	v_and_b32_e32 v7, 0x80000000, v7
	v_lshl_add_u32 v5, v5, 23, v7
	s_delay_alu instid0(VALU_DEP_1) | instskip(NEXT) | instid1(VALU_DEP_1)
	v_lshl_or_b32 v3, v3, 21, v5
	v_add_nc_u32_e32 v5, 0x38000000, v3
                                        ; implicit-def: $vgpr3
.LBB6_21651:                            ;   in Loop: Header=BB6_19757 Depth=3
	s_and_not1_saveexec_b32 s74, s13
; %bb.21652:                            ;   in Loop: Header=BB6_19757 Depth=3
	v_cmp_eq_u32_e32 vcc_lo, 0, v3
	v_bfe_i32 v3, v108, 0, 8
	s_delay_alu instid0(VALU_DEP_1) | instskip(SKIP_1) | instid1(VALU_DEP_1)
	v_cmp_lt_i16_e64 s13, -1, v3
	v_mov_b32_e32 v3, 0x7f800000
	v_cndmask_b32_e64 v3, 0xff800000, v3, s13
	s_delay_alu instid0(VALU_DEP_1)
	v_cndmask_b32_e32 v5, 0x7f800001, v3, vcc_lo
; %bb.21653:                            ;   in Loop: Header=BB6_19757 Depth=3
	s_or_b32 exec_lo, exec_lo, s74
.LBB6_21654:                            ;   in Loop: Header=BB6_19757 Depth=3
	s_delay_alu instid0(SALU_CYCLE_1)
	s_or_b32 exec_lo, exec_lo, s15
.LBB6_21655:                            ;   in Loop: Header=BB6_19757 Depth=3
	s_delay_alu instid0(SALU_CYCLE_1) | instskip(NEXT) | instid1(SALU_CYCLE_1)
	s_or_b32 exec_lo, exec_lo, s14
	s_mov_b32 s14, exec_lo
	s_wait_loadcnt_dscnt 0xd0d
	v_cmpx_ne_u16_e32 0, v2
	s_cbranch_execz .LBB6_21665
; %bb.21656:                            ;   in Loop: Header=BB6_19757 Depth=3
	v_bfrev_b32_e32 v1, 1
	s_mov_b32 s15, exec_lo
	v_cmpx_ne_u16_e32 0xff80, v2
	s_cbranch_execz .LBB6_21664
; %bb.21657:                            ;   in Loop: Header=BB6_19757 Depth=3
	v_and_b32_e32 v1, 0x7c, v2
	v_and_b32_e32 v3, 3, v2
	s_delay_alu instid0(VALU_DEP_2) | instskip(SKIP_1) | instid1(SALU_CYCLE_1)
	v_cmp_ne_u32_e32 vcc_lo, 0x7c, v1
                                        ; implicit-def: $vgpr1
	s_and_saveexec_b32 s13, vcc_lo
	s_xor_b32 s13, exec_lo, s13
	s_cbranch_execz .LBB6_21661
; %bb.21658:                            ;   in Loop: Header=BB6_19757 Depth=3
	v_and_b32_e32 v1, 0xff, v2
	s_mov_b32 s74, exec_lo
	s_delay_alu instid0(VALU_DEP_1) | instskip(NEXT) | instid1(VALU_DEP_1)
	v_bfe_u32 v1, v1, 2, 5
	v_cmpx_eq_u32_e32 0, v1
	s_cbranch_execz .LBB6_21660
; %bb.21659:                            ;   in Loop: Header=BB6_19757 Depth=3
	v_clz_i32_u32_e32 v1, v3
	s_delay_alu instid0(VALU_DEP_1) | instskip(SKIP_1) | instid1(VALU_DEP_2)
	v_min_u32_e32 v1, 32, v1
	v_mov_b32_e32 v3, v113
	v_subrev_nc_u32_e32 v7, 29, v1
	v_sub_nc_u32_e32 v1, 30, v1
	s_delay_alu instid0(VALU_DEP_2) | instskip(NEXT) | instid1(VALU_DEP_1)
	v_lshlrev_b64_e32 v[16:17], v7, v[2:3]
	v_and_b32_e32 v3, 3, v16
.LBB6_21660:                            ;   in Loop: Header=BB6_19757 Depth=3
	s_or_b32 exec_lo, exec_lo, s74
	v_bfe_i32 v2, v2, 0, 16
	s_delay_alu instid0(VALU_DEP_1) | instskip(NEXT) | instid1(VALU_DEP_1)
	v_and_b32_e32 v2, 0x80000000, v2
	v_lshl_add_u32 v1, v1, 23, v2
                                        ; implicit-def: $vgpr2
	s_delay_alu instid0(VALU_DEP_1) | instskip(NEXT) | instid1(VALU_DEP_1)
	v_lshl_or_b32 v1, v3, 21, v1
                                        ; implicit-def: $vgpr3
	v_add_nc_u32_e32 v1, 0x38000000, v1
.LBB6_21661:                            ;   in Loop: Header=BB6_19757 Depth=3
	s_and_not1_saveexec_b32 s74, s13
; %bb.21662:                            ;   in Loop: Header=BB6_19757 Depth=3
	v_cmp_lt_i16_e64 s13, -1, v2
	v_mov_b32_e32 v1, 0x7f800000
	v_cmp_eq_u32_e32 vcc_lo, 0, v3
	s_delay_alu instid0(VALU_DEP_2) | instskip(NEXT) | instid1(VALU_DEP_1)
	v_cndmask_b32_e64 v1, 0xff800000, v1, s13
	v_cndmask_b32_e32 v1, 0x7f800001, v1, vcc_lo
; %bb.21663:                            ;   in Loop: Header=BB6_19757 Depth=3
	s_or_b32 exec_lo, exec_lo, s74
.LBB6_21664:                            ;   in Loop: Header=BB6_19757 Depth=3
	s_delay_alu instid0(SALU_CYCLE_1)
	s_or_b32 exec_lo, exec_lo, s15
.LBB6_21665:                            ;   in Loop: Header=BB6_19757 Depth=3
	s_delay_alu instid0(SALU_CYCLE_1) | instskip(NEXT) | instid1(VALU_DEP_1)
	s_or_b32 exec_lo, exec_lo, s14
	v_add_f32_e32 v5, v5, v1
	v_mov_b32_e32 v3, v113
                                        ; implicit-def: $vgpr21
	s_delay_alu instid0(VALU_DEP_2) | instskip(NEXT) | instid1(VALU_DEP_1)
	v_and_b32_e32 v2, 0x7f800000, v5
	v_cmp_ne_u64_e32 vcc_lo, 0x7f800000, v[2:3]
	v_and_b32_e32 v2, 0x7fffff, v5
	s_and_saveexec_b32 s13, vcc_lo
	s_delay_alu instid0(SALU_CYCLE_1)
	s_xor_b32 s14, exec_lo, s13
	s_cbranch_execz .LBB6_21683
; %bb.21666:                            ;   in Loop: Header=BB6_19757 Depth=3
	v_dual_mov_b32 v17, v113 :: v_dual_lshrrev_b32 v1, 24, v5
	v_and_b32_e32 v16, 0x7fffffff, v5
                                        ; implicit-def: $vgpr21
	s_mov_b32 s13, exec_lo
	s_delay_alu instid0(VALU_DEP_2) | instskip(NEXT) | instid1(VALU_DEP_2)
	v_and_b32_e32 v1, 0x80, v1
	v_cmpx_gt_u64_e32 0x47600001, v[16:17]
	s_xor_b32 s15, exec_lo, s13
	s_cbranch_execz .LBB6_21680
; %bb.21667:                            ;   in Loop: Header=BB6_19757 Depth=3
	v_mov_b32_e32 v21, 0
	s_mov_b32 s74, exec_lo
	v_cmpx_ne_u32_e32 0, v5
	s_cbranch_execz .LBB6_21679
; %bb.21668:                            ;   in Loop: Header=BB6_19757 Depth=3
	v_bfe_u32 v5, v5, 23, 8
	v_or_b32_e32 v16, 0x800000, v2
	s_delay_alu instid0(VALU_DEP_2) | instskip(SKIP_1) | instid1(VALU_DEP_3)
	v_cmp_eq_u32_e32 vcc_lo, 0, v5
	v_cmp_gt_u32_e64 s13, 0x72, v5
	v_dual_cndmask_b32 v2, v16, v2 :: v_dual_sub_nc_u32 v7, 0x71, v5
	s_delay_alu instid0(VALU_DEP_1) | instskip(NEXT) | instid1(VALU_DEP_1)
	v_cndmask_b32_e64 v7, 0, v7, s13
	v_cndmask_b32_e64 v7, v7, 0x70, vcc_lo
	s_delay_alu instid0(VALU_DEP_1) | instskip(NEXT) | instid1(VALU_DEP_1)
	v_dual_add_nc_u32 v16, 21, v7 :: v_dual_add_nc_u32 v19, 20, v7
	v_lshlrev_b64_e64 v[16:17], v16, -1
	s_delay_alu instid0(VALU_DEP_2) | instskip(NEXT) | instid1(VALU_DEP_2)
	v_lshlrev_b64_e64 v[52:53], v19, 1
	v_bfi_b32 v16, v16, 0, v2
	v_lshrrev_b64 v[2:3], v7, v[2:3]
	s_delay_alu instid0(VALU_DEP_4) | instskip(NEXT) | instid1(VALU_DEP_1)
	v_bfi_b32 v17, v17, 0, 0
	v_cmp_eq_u64_e64 s13, v[16:17], v[52:53]
	s_delay_alu instid0(VALU_DEP_3)
	v_mov_b64_e32 v[16:17], v[2:3]
	s_and_saveexec_b32 s75, s13
; %bb.21669:                            ;   in Loop: Header=BB6_19757 Depth=3
	v_bfe_u32 v16, v2, 21, 1
	v_mov_b32_e32 v17, v113
	s_delay_alu instid0(VALU_DEP_1) | instskip(NEXT) | instid1(VALU_DEP_1)
	v_add_nc_u64_e32 v[16:17], v[2:3], v[16:17]
	v_add_nc_u64_e32 v[16:17], -1, v[16:17]
; %bb.21670:                            ;   in Loop: Header=BB6_19757 Depth=3
	s_or_b32 exec_lo, exec_lo, s75
	v_add_nc_u32_e32 v3, 0xffffff81, v5
	v_lshrrev_b32_e32 v5, 23, v2
	s_mov_b32 s13, exec_lo
	s_delay_alu instid0(VALU_DEP_2) | instskip(NEXT) | instid1(VALU_DEP_1)
	v_cndmask_b32_e64 v3, v3, 0xffffff82, vcc_lo
	v_add3_u32 v17, v7, v3, v5
	v_and_b32_e32 v3, 0x1fffff, v16
                                        ; implicit-def: $vgpr5
	s_delay_alu instid0(VALU_DEP_1) | instskip(SKIP_1) | instid1(VALU_DEP_2)
	v_dual_add_nc_u32 v7, 14, v17 :: v_dual_add_nc_u32 v2, v3, v2
	v_mov_b32_e32 v3, v113
	v_cmpx_ne_u32_e32 0, v7
	s_xor_b32 s13, exec_lo, s13
; %bb.21671:                            ;   in Loop: Header=BB6_19757 Depth=3
	s_delay_alu instid0(VALU_DEP_2) | instskip(SKIP_1) | instid1(VALU_DEP_1)
	v_cmp_lt_u64_e32 vcc_lo, 0xffffff, v[2:3]
	v_add_nc_u32_e32 v5, 15, v17
	v_cndmask_b32_e32 v5, v7, v5, vcc_lo
	v_cndmask_b32_e64 v7, 0, 1, vcc_lo
	s_delay_alu instid0(VALU_DEP_1)
	v_lshrrev_b64 v[2:3], v7, v[2:3]
; %bb.21672:                            ;   in Loop: Header=BB6_19757 Depth=3
	s_and_not1_saveexec_b32 s13, s13
; %bb.21673:                            ;   in Loop: Header=BB6_19757 Depth=3
	s_delay_alu instid0(VALU_DEP_1)
	v_bfe_u32 v5, v2, 23, 1
; %bb.21674:                            ;   in Loop: Header=BB6_19757 Depth=3
	s_or_b32 exec_lo, exec_lo, s13
	s_delay_alu instid0(VALU_DEP_2) | instskip(NEXT) | instid1(VALU_DEP_2)
	v_lshrrev_b64 v[2:3], 21, v[2:3]
	v_cmp_gt_i32_e32 vcc_lo, 32, v5
	v_cmp_ne_u32_e64 s13, 0, v5
                                        ; implicit-def: $vgpr21
	s_delay_alu instid0(VALU_DEP_3) | instskip(NEXT) | instid1(VALU_DEP_1)
	v_dual_cndmask_b32 v3, 0, v3 :: v_dual_cndmask_b32 v2, 3, v2
	v_cmp_ne_u64_e32 vcc_lo, 0, v[2:3]
	s_or_b32 s13, s13, vcc_lo
	s_delay_alu instid0(SALU_CYCLE_1) | instskip(NEXT) | instid1(SALU_CYCLE_1)
	s_and_saveexec_b32 s75, s13
	s_xor_b32 s13, exec_lo, s75
; %bb.21675:                            ;   in Loop: Header=BB6_19757 Depth=3
	v_min_i32_e32 v3, 31, v5
	s_delay_alu instid0(VALU_DEP_1) | instskip(NEXT) | instid1(VALU_DEP_1)
	v_lshl_or_b32 v1, v3, 2, v1
	v_and_or_b32 v21, v2, 3, v1
                                        ; implicit-def: $vgpr1
; %bb.21676:                            ;   in Loop: Header=BB6_19757 Depth=3
	s_and_not1_saveexec_b32 s13, s13
; %bb.21677:                            ;   in Loop: Header=BB6_19757 Depth=3
	v_mov_b32_e32 v21, v1
; %bb.21678:                            ;   in Loop: Header=BB6_19757 Depth=3
	s_or_b32 exec_lo, exec_lo, s13
.LBB6_21679:                            ;   in Loop: Header=BB6_19757 Depth=3
	s_delay_alu instid0(SALU_CYCLE_1)
	s_or_b32 exec_lo, exec_lo, s74
                                        ; implicit-def: $vgpr1
.LBB6_21680:                            ;   in Loop: Header=BB6_19757 Depth=3
	s_and_not1_saveexec_b32 s13, s15
; %bb.21681:                            ;   in Loop: Header=BB6_19757 Depth=3
	v_or_b32_e32 v21, 0x7b, v1
; %bb.21682:                            ;   in Loop: Header=BB6_19757 Depth=3
	s_or_b32 exec_lo, exec_lo, s13
                                        ; implicit-def: $vgpr5
                                        ; implicit-def: $vgpr2_vgpr3
.LBB6_21683:                            ;   in Loop: Header=BB6_19757 Depth=3
	s_and_not1_saveexec_b32 s13, s14
	s_cbranch_execz .LBB6_21689
; %bb.21684:                            ;   in Loop: Header=BB6_19757 Depth=3
	s_mov_b32 s14, exec_lo
                                        ; implicit-def: $vgpr21
	v_cmpx_ne_u64_e32 0, v[2:3]
	s_xor_b32 s14, exec_lo, s14
; %bb.21685:                            ;   in Loop: Header=BB6_19757 Depth=3
	v_lshrrev_b32_e32 v1, 24, v5
                                        ; implicit-def: $vgpr5
	s_delay_alu instid0(VALU_DEP_1)
	v_or_b32_e32 v21, 0x7f, v1
; %bb.21686:                            ;   in Loop: Header=BB6_19757 Depth=3
	s_and_not1_saveexec_b32 s14, s14
; %bb.21687:                            ;   in Loop: Header=BB6_19757 Depth=3
	v_cmp_lt_i32_e32 vcc_lo, -1, v5
	v_cndmask_b32_e64 v21, -4, 0x7c, vcc_lo
; %bb.21688:                            ;   in Loop: Header=BB6_19757 Depth=3
	s_or_b32 exec_lo, exec_lo, s14
.LBB6_21689:                            ;   in Loop: Header=BB6_19757 Depth=3
	s_delay_alu instid0(SALU_CYCLE_1) | instskip(SKIP_3) | instid1(VALU_DEP_2)
	s_or_b32 exec_lo, exec_lo, s13
	v_and_b32_e32 v5, 0xff, v106
	v_dual_mov_b32 v1, 0 :: v_dual_mov_b32 v2, 0
	s_mov_b32 s14, exec_lo
	v_cmpx_ne_u16_e32 0, v5
	s_cbranch_execz .LBB6_21699
; %bb.21690:                            ;   in Loop: Header=BB6_19757 Depth=3
	v_bfrev_b32_e32 v2, 1
	s_mov_b32 s15, exec_lo
	v_cmpx_ne_u16_e32 0x80, v5
	s_cbranch_execz .LBB6_21698
; %bb.21691:                            ;   in Loop: Header=BB6_19757 Depth=3
	v_and_b32_e32 v2, 0x7c, v106
	v_and_b32_e32 v3, 3, v106
	s_delay_alu instid0(VALU_DEP_2) | instskip(SKIP_1) | instid1(SALU_CYCLE_1)
	v_cmp_ne_u32_e32 vcc_lo, 0x7c, v2
                                        ; implicit-def: $vgpr2
	s_and_saveexec_b32 s13, vcc_lo
	s_xor_b32 s13, exec_lo, s13
	s_cbranch_execz .LBB6_21695
; %bb.21692:                            ;   in Loop: Header=BB6_19757 Depth=3
	v_bfe_u32 v2, v5, 2, 5
	s_mov_b32 s74, exec_lo
	s_delay_alu instid0(VALU_DEP_1)
	v_cmpx_eq_u32_e32 0, v2
	s_cbranch_execz .LBB6_21694
; %bb.21693:                            ;   in Loop: Header=BB6_19757 Depth=3
	v_clz_i32_u32_e32 v2, v3
	s_delay_alu instid0(VALU_DEP_1) | instskip(SKIP_1) | instid1(VALU_DEP_2)
	v_min_u32_e32 v2, 32, v2
	v_mov_b32_e32 v107, v113
	v_subrev_nc_u32_e32 v3, 29, v2
	v_sub_nc_u32_e32 v2, 30, v2
	s_delay_alu instid0(VALU_DEP_2) | instskip(NEXT) | instid1(VALU_DEP_1)
	v_lshlrev_b64_e32 v[16:17], v3, v[106:107]
	v_and_b32_e32 v3, 3, v16
.LBB6_21694:                            ;   in Loop: Header=BB6_19757 Depth=3
	s_or_b32 exec_lo, exec_lo, s74
	v_lshlrev_b32_e32 v5, 24, v106
                                        ; implicit-def: $vgpr106
	s_delay_alu instid0(VALU_DEP_1) | instskip(NEXT) | instid1(VALU_DEP_1)
	v_and_b32_e32 v5, 0x80000000, v5
	v_lshl_add_u32 v2, v2, 23, v5
	s_delay_alu instid0(VALU_DEP_1) | instskip(NEXT) | instid1(VALU_DEP_1)
	v_lshl_or_b32 v2, v3, 21, v2
                                        ; implicit-def: $vgpr3
	v_add_nc_u32_e32 v2, 0x38000000, v2
.LBB6_21695:                            ;   in Loop: Header=BB6_19757 Depth=3
	s_and_not1_saveexec_b32 s74, s13
; %bb.21696:                            ;   in Loop: Header=BB6_19757 Depth=3
	v_bfe_i32 v2, v106, 0, 8
	v_cmp_eq_u32_e32 vcc_lo, 0, v3
	s_delay_alu instid0(VALU_DEP_2) | instskip(SKIP_1) | instid1(VALU_DEP_1)
	v_cmp_lt_i16_e64 s13, -1, v2
	v_mov_b32_e32 v2, 0x7f800000
	v_cndmask_b32_e64 v2, 0xff800000, v2, s13
	s_delay_alu instid0(VALU_DEP_1)
	v_cndmask_b32_e32 v2, 0x7f800001, v2, vcc_lo
; %bb.21697:                            ;   in Loop: Header=BB6_19757 Depth=3
	s_or_b32 exec_lo, exec_lo, s74
.LBB6_21698:                            ;   in Loop: Header=BB6_19757 Depth=3
	s_delay_alu instid0(SALU_CYCLE_1)
	s_or_b32 exec_lo, exec_lo, s15
.LBB6_21699:                            ;   in Loop: Header=BB6_19757 Depth=3
	s_delay_alu instid0(SALU_CYCLE_1) | instskip(NEXT) | instid1(SALU_CYCLE_1)
	s_or_b32 exec_lo, exec_lo, s14
	s_mov_b32 s14, exec_lo
	s_wait_loadcnt_dscnt 0xc0c
	v_cmpx_ne_u16_e32 0, v36
	s_cbranch_execz .LBB6_21709
; %bb.21700:                            ;   in Loop: Header=BB6_19757 Depth=3
	v_bfrev_b32_e32 v1, 1
	s_mov_b32 s15, exec_lo
	v_cmpx_ne_u16_e32 0xff80, v36
	s_cbranch_execz .LBB6_21708
; %bb.21701:                            ;   in Loop: Header=BB6_19757 Depth=3
	v_and_b32_e32 v1, 0x7c, v36
	v_and_b32_e32 v3, 3, v36
	s_delay_alu instid0(VALU_DEP_2) | instskip(SKIP_1) | instid1(SALU_CYCLE_1)
	v_cmp_ne_u32_e32 vcc_lo, 0x7c, v1
                                        ; implicit-def: $vgpr1
	s_and_saveexec_b32 s13, vcc_lo
	s_xor_b32 s13, exec_lo, s13
	s_cbranch_execz .LBB6_21705
; %bb.21702:                            ;   in Loop: Header=BB6_19757 Depth=3
	v_and_b32_e32 v1, 0xff, v36
	s_mov_b32 s74, exec_lo
	s_delay_alu instid0(VALU_DEP_1) | instskip(NEXT) | instid1(VALU_DEP_1)
	v_bfe_u32 v1, v1, 2, 5
	v_cmpx_eq_u32_e32 0, v1
	s_cbranch_execz .LBB6_21704
; %bb.21703:                            ;   in Loop: Header=BB6_19757 Depth=3
	v_clz_i32_u32_e32 v1, v3
	s_delay_alu instid0(VALU_DEP_1) | instskip(SKIP_1) | instid1(VALU_DEP_2)
	v_min_u32_e32 v1, 32, v1
	v_mov_b32_e32 v37, v113
	v_subrev_nc_u32_e32 v3, 29, v1
	v_sub_nc_u32_e32 v1, 30, v1
	s_delay_alu instid0(VALU_DEP_2) | instskip(NEXT) | instid1(VALU_DEP_1)
	v_lshlrev_b64_e32 v[16:17], v3, v[36:37]
	v_and_b32_e32 v3, 3, v16
.LBB6_21704:                            ;   in Loop: Header=BB6_19757 Depth=3
	s_or_b32 exec_lo, exec_lo, s74
	v_bfe_i32 v5, v36, 0, 16
                                        ; implicit-def: $vgpr36
	s_delay_alu instid0(VALU_DEP_1) | instskip(NEXT) | instid1(VALU_DEP_1)
	v_and_b32_e32 v5, 0x80000000, v5
	v_lshl_add_u32 v1, v1, 23, v5
	s_delay_alu instid0(VALU_DEP_1) | instskip(NEXT) | instid1(VALU_DEP_1)
	v_lshl_or_b32 v1, v3, 21, v1
                                        ; implicit-def: $vgpr3
	v_add_nc_u32_e32 v1, 0x38000000, v1
.LBB6_21705:                            ;   in Loop: Header=BB6_19757 Depth=3
	s_and_not1_saveexec_b32 s74, s13
; %bb.21706:                            ;   in Loop: Header=BB6_19757 Depth=3
	v_cmp_lt_i16_e64 s13, -1, v36
	v_mov_b32_e32 v1, 0x7f800000
	v_cmp_eq_u32_e32 vcc_lo, 0, v3
	s_delay_alu instid0(VALU_DEP_2) | instskip(NEXT) | instid1(VALU_DEP_1)
	v_cndmask_b32_e64 v1, 0xff800000, v1, s13
	v_cndmask_b32_e32 v1, 0x7f800001, v1, vcc_lo
; %bb.21707:                            ;   in Loop: Header=BB6_19757 Depth=3
	s_or_b32 exec_lo, exec_lo, s74
.LBB6_21708:                            ;   in Loop: Header=BB6_19757 Depth=3
	s_delay_alu instid0(SALU_CYCLE_1)
	s_or_b32 exec_lo, exec_lo, s15
.LBB6_21709:                            ;   in Loop: Header=BB6_19757 Depth=3
	s_delay_alu instid0(SALU_CYCLE_1) | instskip(NEXT) | instid1(VALU_DEP_1)
	s_or_b32 exec_lo, exec_lo, s14
	v_dual_add_f32 v5, v2, v1 :: v_dual_mov_b32 v3, v113
                                        ; implicit-def: $vgpr16
	s_delay_alu instid0(VALU_DEP_1) | instskip(NEXT) | instid1(VALU_DEP_1)
	v_and_b32_e32 v2, 0x7f800000, v5
	v_cmp_ne_u64_e32 vcc_lo, 0x7f800000, v[2:3]
	v_and_b32_e32 v2, 0x7fffff, v5
	s_and_saveexec_b32 s13, vcc_lo
	s_delay_alu instid0(SALU_CYCLE_1)
	s_xor_b32 s14, exec_lo, s13
	s_cbranch_execz .LBB6_21727
; %bb.21710:                            ;   in Loop: Header=BB6_19757 Depth=3
	v_and_b32_e32 v16, 0x7fffffff, v5
	v_dual_mov_b32 v17, v113 :: v_dual_lshrrev_b32 v1, 24, v5
	s_delay_alu instid0(VALU_DEP_1) | instskip(NEXT) | instid1(VALU_DEP_2)
	v_cmp_gt_u64_e32 vcc_lo, 0x47600001, v[16:17]
	v_and_b32_e32 v1, 0x80, v1
                                        ; implicit-def: $vgpr16
	s_and_saveexec_b32 s13, vcc_lo
	s_delay_alu instid0(SALU_CYCLE_1)
	s_xor_b32 s15, exec_lo, s13
	s_cbranch_execz .LBB6_21724
; %bb.21711:                            ;   in Loop: Header=BB6_19757 Depth=3
	v_mov_b32_e32 v16, 0
	s_mov_b32 s74, exec_lo
	v_cmpx_ne_u32_e32 0, v5
	s_cbranch_execz .LBB6_21723
; %bb.21712:                            ;   in Loop: Header=BB6_19757 Depth=3
	v_bfe_u32 v5, v5, 23, 8
	v_or_b32_e32 v16, 0x800000, v2
	s_delay_alu instid0(VALU_DEP_2) | instskip(SKIP_1) | instid1(VALU_DEP_3)
	v_cmp_eq_u32_e32 vcc_lo, 0, v5
	v_cmp_gt_u32_e64 s13, 0x72, v5
	v_dual_cndmask_b32 v2, v16, v2 :: v_dual_sub_nc_u32 v7, 0x71, v5
	s_delay_alu instid0(VALU_DEP_1) | instskip(NEXT) | instid1(VALU_DEP_1)
	v_cndmask_b32_e64 v7, 0, v7, s13
	v_cndmask_b32_e64 v7, v7, 0x70, vcc_lo
	s_delay_alu instid0(VALU_DEP_1) | instskip(NEXT) | instid1(VALU_DEP_1)
	v_dual_add_nc_u32 v16, 21, v7 :: v_dual_add_nc_u32 v19, 20, v7
	v_lshlrev_b64_e64 v[16:17], v16, -1
	s_delay_alu instid0(VALU_DEP_2) | instskip(NEXT) | instid1(VALU_DEP_2)
	v_lshlrev_b64_e64 v[36:37], v19, 1
	v_bfi_b32 v16, v16, 0, v2
	v_lshrrev_b64 v[2:3], v7, v[2:3]
	s_delay_alu instid0(VALU_DEP_4) | instskip(NEXT) | instid1(VALU_DEP_1)
	v_bfi_b32 v17, v17, 0, 0
	v_cmp_eq_u64_e64 s13, v[16:17], v[36:37]
	s_delay_alu instid0(VALU_DEP_3)
	v_mov_b64_e32 v[16:17], v[2:3]
	s_and_saveexec_b32 s75, s13
; %bb.21713:                            ;   in Loop: Header=BB6_19757 Depth=3
	v_bfe_u32 v16, v2, 21, 1
	v_mov_b32_e32 v17, v113
	s_delay_alu instid0(VALU_DEP_1) | instskip(NEXT) | instid1(VALU_DEP_1)
	v_add_nc_u64_e32 v[16:17], v[2:3], v[16:17]
	v_add_nc_u64_e32 v[16:17], -1, v[16:17]
; %bb.21714:                            ;   in Loop: Header=BB6_19757 Depth=3
	s_or_b32 exec_lo, exec_lo, s75
	v_add_nc_u32_e32 v3, 0xffffff81, v5
	v_lshrrev_b32_e32 v5, 23, v2
	s_mov_b32 s13, exec_lo
	s_delay_alu instid0(VALU_DEP_2) | instskip(NEXT) | instid1(VALU_DEP_1)
	v_cndmask_b32_e64 v3, v3, 0xffffff82, vcc_lo
	v_add3_u32 v17, v7, v3, v5
	v_and_b32_e32 v3, 0x1fffff, v16
                                        ; implicit-def: $vgpr5
	s_delay_alu instid0(VALU_DEP_1) | instskip(SKIP_1) | instid1(VALU_DEP_2)
	v_dual_add_nc_u32 v7, 14, v17 :: v_dual_add_nc_u32 v2, v3, v2
	v_mov_b32_e32 v3, v113
	v_cmpx_ne_u32_e32 0, v7
	s_xor_b32 s13, exec_lo, s13
; %bb.21715:                            ;   in Loop: Header=BB6_19757 Depth=3
	s_delay_alu instid0(VALU_DEP_2) | instskip(SKIP_1) | instid1(VALU_DEP_1)
	v_cmp_lt_u64_e32 vcc_lo, 0xffffff, v[2:3]
	v_add_nc_u32_e32 v5, 15, v17
	v_cndmask_b32_e32 v5, v7, v5, vcc_lo
	v_cndmask_b32_e64 v7, 0, 1, vcc_lo
	s_delay_alu instid0(VALU_DEP_1)
	v_lshrrev_b64 v[2:3], v7, v[2:3]
; %bb.21716:                            ;   in Loop: Header=BB6_19757 Depth=3
	s_and_not1_saveexec_b32 s13, s13
; %bb.21717:                            ;   in Loop: Header=BB6_19757 Depth=3
	s_delay_alu instid0(VALU_DEP_1)
	v_bfe_u32 v5, v2, 23, 1
; %bb.21718:                            ;   in Loop: Header=BB6_19757 Depth=3
	s_or_b32 exec_lo, exec_lo, s13
	s_delay_alu instid0(VALU_DEP_2) | instskip(NEXT) | instid1(VALU_DEP_2)
	v_lshrrev_b64 v[2:3], 21, v[2:3]
	v_cmp_gt_i32_e32 vcc_lo, 32, v5
	v_cmp_ne_u32_e64 s13, 0, v5
                                        ; implicit-def: $vgpr16
	s_delay_alu instid0(VALU_DEP_3) | instskip(NEXT) | instid1(VALU_DEP_1)
	v_dual_cndmask_b32 v3, 0, v3 :: v_dual_cndmask_b32 v2, 3, v2
	v_cmp_ne_u64_e32 vcc_lo, 0, v[2:3]
	s_or_b32 s13, s13, vcc_lo
	s_delay_alu instid0(SALU_CYCLE_1) | instskip(NEXT) | instid1(SALU_CYCLE_1)
	s_and_saveexec_b32 s75, s13
	s_xor_b32 s13, exec_lo, s75
; %bb.21719:                            ;   in Loop: Header=BB6_19757 Depth=3
	v_min_i32_e32 v3, 31, v5
	s_delay_alu instid0(VALU_DEP_1) | instskip(NEXT) | instid1(VALU_DEP_1)
	v_lshl_or_b32 v1, v3, 2, v1
	v_and_or_b32 v16, v2, 3, v1
                                        ; implicit-def: $vgpr1
; %bb.21720:                            ;   in Loop: Header=BB6_19757 Depth=3
	s_and_not1_saveexec_b32 s13, s13
; %bb.21721:                            ;   in Loop: Header=BB6_19757 Depth=3
	v_mov_b32_e32 v16, v1
; %bb.21722:                            ;   in Loop: Header=BB6_19757 Depth=3
	s_or_b32 exec_lo, exec_lo, s13
.LBB6_21723:                            ;   in Loop: Header=BB6_19757 Depth=3
	s_delay_alu instid0(SALU_CYCLE_1)
	s_or_b32 exec_lo, exec_lo, s74
                                        ; implicit-def: $vgpr1
.LBB6_21724:                            ;   in Loop: Header=BB6_19757 Depth=3
	s_and_not1_saveexec_b32 s13, s15
; %bb.21725:                            ;   in Loop: Header=BB6_19757 Depth=3
	v_or_b32_e32 v16, 0x7b, v1
; %bb.21726:                            ;   in Loop: Header=BB6_19757 Depth=3
	s_or_b32 exec_lo, exec_lo, s13
                                        ; implicit-def: $vgpr5
                                        ; implicit-def: $vgpr2_vgpr3
.LBB6_21727:                            ;   in Loop: Header=BB6_19757 Depth=3
	s_and_not1_saveexec_b32 s13, s14
	s_cbranch_execz .LBB6_21733
; %bb.21728:                            ;   in Loop: Header=BB6_19757 Depth=3
	s_mov_b32 s14, exec_lo
                                        ; implicit-def: $vgpr16
	v_cmpx_ne_u64_e32 0, v[2:3]
	s_xor_b32 s14, exec_lo, s14
; %bb.21729:                            ;   in Loop: Header=BB6_19757 Depth=3
	v_lshrrev_b32_e32 v1, 24, v5
                                        ; implicit-def: $vgpr5
	s_delay_alu instid0(VALU_DEP_1)
	v_or_b32_e32 v16, 0x7f, v1
; %bb.21730:                            ;   in Loop: Header=BB6_19757 Depth=3
	s_and_not1_saveexec_b32 s14, s14
; %bb.21731:                            ;   in Loop: Header=BB6_19757 Depth=3
	v_cmp_lt_i32_e32 vcc_lo, -1, v5
	v_cndmask_b32_e64 v16, -4, 0x7c, vcc_lo
; %bb.21732:                            ;   in Loop: Header=BB6_19757 Depth=3
	s_or_b32 exec_lo, exec_lo, s14
.LBB6_21733:                            ;   in Loop: Header=BB6_19757 Depth=3
	s_delay_alu instid0(SALU_CYCLE_1) | instskip(SKIP_3) | instid1(VALU_DEP_2)
	s_or_b32 exec_lo, exec_lo, s13
	v_and_b32_e32 v5, 0xff, v104
	v_dual_mov_b32 v1, 0 :: v_dual_mov_b32 v2, 0
	s_mov_b32 s14, exec_lo
	v_cmpx_ne_u16_e32 0, v5
	s_cbranch_execz .LBB6_21743
; %bb.21734:                            ;   in Loop: Header=BB6_19757 Depth=3
	v_bfrev_b32_e32 v2, 1
	s_mov_b32 s15, exec_lo
	v_cmpx_ne_u16_e32 0x80, v5
	s_cbranch_execz .LBB6_21742
; %bb.21735:                            ;   in Loop: Header=BB6_19757 Depth=3
	v_and_b32_e32 v2, 0x7c, v104
	v_and_b32_e32 v3, 3, v104
	s_delay_alu instid0(VALU_DEP_2) | instskip(SKIP_1) | instid1(SALU_CYCLE_1)
	v_cmp_ne_u32_e32 vcc_lo, 0x7c, v2
                                        ; implicit-def: $vgpr2
	s_and_saveexec_b32 s13, vcc_lo
	s_xor_b32 s13, exec_lo, s13
	s_cbranch_execz .LBB6_21739
; %bb.21736:                            ;   in Loop: Header=BB6_19757 Depth=3
	v_bfe_u32 v2, v5, 2, 5
	s_mov_b32 s74, exec_lo
	s_delay_alu instid0(VALU_DEP_1)
	v_cmpx_eq_u32_e32 0, v2
	s_cbranch_execz .LBB6_21738
; %bb.21737:                            ;   in Loop: Header=BB6_19757 Depth=3
	v_clz_i32_u32_e32 v2, v3
	s_delay_alu instid0(VALU_DEP_1) | instskip(SKIP_1) | instid1(VALU_DEP_2)
	v_min_u32_e32 v2, 32, v2
	v_mov_b32_e32 v105, v113
	v_subrev_nc_u32_e32 v3, 29, v2
	v_sub_nc_u32_e32 v2, 30, v2
	s_delay_alu instid0(VALU_DEP_2) | instskip(NEXT) | instid1(VALU_DEP_1)
	v_lshlrev_b64_e32 v[36:37], v3, v[104:105]
	v_and_b32_e32 v3, 3, v36
.LBB6_21738:                            ;   in Loop: Header=BB6_19757 Depth=3
	s_or_b32 exec_lo, exec_lo, s74
	v_lshlrev_b32_e32 v5, 24, v104
                                        ; implicit-def: $vgpr104
	s_delay_alu instid0(VALU_DEP_1) | instskip(NEXT) | instid1(VALU_DEP_1)
	v_and_b32_e32 v5, 0x80000000, v5
	v_lshl_add_u32 v2, v2, 23, v5
	s_delay_alu instid0(VALU_DEP_1) | instskip(NEXT) | instid1(VALU_DEP_1)
	v_lshl_or_b32 v2, v3, 21, v2
                                        ; implicit-def: $vgpr3
	v_add_nc_u32_e32 v2, 0x38000000, v2
.LBB6_21739:                            ;   in Loop: Header=BB6_19757 Depth=3
	s_and_not1_saveexec_b32 s74, s13
; %bb.21740:                            ;   in Loop: Header=BB6_19757 Depth=3
	v_bfe_i32 v2, v104, 0, 8
	v_cmp_eq_u32_e32 vcc_lo, 0, v3
	s_delay_alu instid0(VALU_DEP_2) | instskip(SKIP_1) | instid1(VALU_DEP_1)
	v_cmp_lt_i16_e64 s13, -1, v2
	v_mov_b32_e32 v2, 0x7f800000
	v_cndmask_b32_e64 v2, 0xff800000, v2, s13
	s_delay_alu instid0(VALU_DEP_1)
	v_cndmask_b32_e32 v2, 0x7f800001, v2, vcc_lo
; %bb.21741:                            ;   in Loop: Header=BB6_19757 Depth=3
	s_or_b32 exec_lo, exec_lo, s74
.LBB6_21742:                            ;   in Loop: Header=BB6_19757 Depth=3
	s_delay_alu instid0(SALU_CYCLE_1)
	s_or_b32 exec_lo, exec_lo, s15
.LBB6_21743:                            ;   in Loop: Header=BB6_19757 Depth=3
	s_delay_alu instid0(SALU_CYCLE_1) | instskip(NEXT) | instid1(SALU_CYCLE_1)
	s_or_b32 exec_lo, exec_lo, s14
	s_mov_b32 s14, exec_lo
	s_wait_loadcnt_dscnt 0xb0b
	v_cmpx_ne_u16_e32 0, v6
	s_cbranch_execz .LBB6_21753
; %bb.21744:                            ;   in Loop: Header=BB6_19757 Depth=3
	v_bfrev_b32_e32 v1, 1
	s_mov_b32 s15, exec_lo
	v_cmpx_ne_u16_e32 0xff80, v6
	s_cbranch_execz .LBB6_21752
; %bb.21745:                            ;   in Loop: Header=BB6_19757 Depth=3
	v_and_b32_e32 v1, 0x7c, v6
	v_and_b32_e32 v3, 3, v6
	s_delay_alu instid0(VALU_DEP_2) | instskip(SKIP_1) | instid1(SALU_CYCLE_1)
	v_cmp_ne_u32_e32 vcc_lo, 0x7c, v1
                                        ; implicit-def: $vgpr1
	s_and_saveexec_b32 s13, vcc_lo
	s_xor_b32 s13, exec_lo, s13
	s_cbranch_execz .LBB6_21749
; %bb.21746:                            ;   in Loop: Header=BB6_19757 Depth=3
	v_and_b32_e32 v1, 0xff, v6
	s_mov_b32 s74, exec_lo
	s_delay_alu instid0(VALU_DEP_1) | instskip(NEXT) | instid1(VALU_DEP_1)
	v_bfe_u32 v1, v1, 2, 5
	v_cmpx_eq_u32_e32 0, v1
	s_cbranch_execz .LBB6_21748
; %bb.21747:                            ;   in Loop: Header=BB6_19757 Depth=3
	v_clz_i32_u32_e32 v1, v3
	s_delay_alu instid0(VALU_DEP_1) | instskip(SKIP_1) | instid1(VALU_DEP_2)
	v_min_u32_e32 v1, 32, v1
	v_mov_b32_e32 v7, v113
	v_subrev_nc_u32_e32 v3, 29, v1
	v_sub_nc_u32_e32 v1, 30, v1
	s_delay_alu instid0(VALU_DEP_2) | instskip(NEXT) | instid1(VALU_DEP_1)
	v_lshlrev_b64_e32 v[36:37], v3, v[6:7]
	v_and_b32_e32 v3, 3, v36
.LBB6_21748:                            ;   in Loop: Header=BB6_19757 Depth=3
	s_or_b32 exec_lo, exec_lo, s74
	v_bfe_i32 v5, v6, 0, 16
                                        ; implicit-def: $vgpr6
	s_delay_alu instid0(VALU_DEP_1) | instskip(NEXT) | instid1(VALU_DEP_1)
	v_and_b32_e32 v5, 0x80000000, v5
	v_lshl_add_u32 v1, v1, 23, v5
	s_delay_alu instid0(VALU_DEP_1) | instskip(NEXT) | instid1(VALU_DEP_1)
	v_lshl_or_b32 v1, v3, 21, v1
                                        ; implicit-def: $vgpr3
	v_add_nc_u32_e32 v1, 0x38000000, v1
.LBB6_21749:                            ;   in Loop: Header=BB6_19757 Depth=3
	s_and_not1_saveexec_b32 s74, s13
; %bb.21750:                            ;   in Loop: Header=BB6_19757 Depth=3
	v_cmp_lt_i16_e64 s13, -1, v6
	v_mov_b32_e32 v1, 0x7f800000
	v_cmp_eq_u32_e32 vcc_lo, 0, v3
	s_delay_alu instid0(VALU_DEP_2) | instskip(NEXT) | instid1(VALU_DEP_1)
	v_cndmask_b32_e64 v1, 0xff800000, v1, s13
	v_cndmask_b32_e32 v1, 0x7f800001, v1, vcc_lo
; %bb.21751:                            ;   in Loop: Header=BB6_19757 Depth=3
	s_or_b32 exec_lo, exec_lo, s74
.LBB6_21752:                            ;   in Loop: Header=BB6_19757 Depth=3
	s_delay_alu instid0(SALU_CYCLE_1)
	s_or_b32 exec_lo, exec_lo, s15
.LBB6_21753:                            ;   in Loop: Header=BB6_19757 Depth=3
	s_delay_alu instid0(SALU_CYCLE_1) | instskip(NEXT) | instid1(VALU_DEP_1)
	s_or_b32 exec_lo, exec_lo, s14
	v_dual_add_f32 v5, v2, v1 :: v_dual_mov_b32 v3, v113
                                        ; implicit-def: $vgpr17
	s_delay_alu instid0(VALU_DEP_1) | instskip(NEXT) | instid1(VALU_DEP_1)
	v_and_b32_e32 v2, 0x7f800000, v5
	v_cmp_ne_u64_e32 vcc_lo, 0x7f800000, v[2:3]
	v_and_b32_e32 v2, 0x7fffff, v5
	s_and_saveexec_b32 s13, vcc_lo
	s_delay_alu instid0(SALU_CYCLE_1)
	s_xor_b32 s14, exec_lo, s13
	s_cbranch_execz .LBB6_21771
; %bb.21754:                            ;   in Loop: Header=BB6_19757 Depth=3
	v_dual_mov_b32 v7, v113 :: v_dual_lshrrev_b32 v1, 24, v5
	v_and_b32_e32 v6, 0x7fffffff, v5
                                        ; implicit-def: $vgpr17
	s_mov_b32 s13, exec_lo
	s_delay_alu instid0(VALU_DEP_2) | instskip(NEXT) | instid1(VALU_DEP_2)
	v_and_b32_e32 v1, 0x80, v1
	v_cmpx_gt_u64_e32 0x47600001, v[6:7]
	s_xor_b32 s15, exec_lo, s13
	s_cbranch_execz .LBB6_21768
; %bb.21755:                            ;   in Loop: Header=BB6_19757 Depth=3
	v_mov_b32_e32 v17, 0
	s_mov_b32 s74, exec_lo
	v_cmpx_ne_u32_e32 0, v5
	s_cbranch_execz .LBB6_21767
; %bb.21756:                            ;   in Loop: Header=BB6_19757 Depth=3
	v_bfe_u32 v5, v5, 23, 8
	v_or_b32_e32 v7, 0x800000, v2
	s_delay_alu instid0(VALU_DEP_2) | instskip(SKIP_2) | instid1(VALU_DEP_2)
	v_cmp_gt_u32_e64 s13, 0x72, v5
	v_sub_nc_u32_e32 v6, 0x71, v5
	v_cmp_eq_u32_e32 vcc_lo, 0, v5
	v_cndmask_b32_e64 v6, 0, v6, s13
	s_delay_alu instid0(VALU_DEP_1) | instskip(NEXT) | instid1(VALU_DEP_1)
	v_cndmask_b32_e64 v17, v6, 0x70, vcc_lo
	v_dual_cndmask_b32 v2, v7, v2, vcc_lo :: v_dual_add_nc_u32 v6, 21, v17
	v_add_nc_u32_e32 v19, 20, v17
	s_delay_alu instid0(VALU_DEP_2) | instskip(NEXT) | instid1(VALU_DEP_2)
	v_lshlrev_b64_e64 v[6:7], v6, -1
	v_lshlrev_b64_e64 v[36:37], v19, 1
	s_delay_alu instid0(VALU_DEP_2) | instskip(SKIP_1) | instid1(VALU_DEP_4)
	v_bfi_b32 v6, v6, 0, v2
	v_lshrrev_b64 v[2:3], v17, v[2:3]
	v_bfi_b32 v7, v7, 0, 0
	s_delay_alu instid0(VALU_DEP_1) | instskip(NEXT) | instid1(VALU_DEP_3)
	v_cmp_eq_u64_e64 s13, v[6:7], v[36:37]
	v_mov_b64_e32 v[6:7], v[2:3]
	s_and_saveexec_b32 s75, s13
; %bb.21757:                            ;   in Loop: Header=BB6_19757 Depth=3
	v_bfe_u32 v6, v2, 21, 1
	v_mov_b32_e32 v7, v113
	s_delay_alu instid0(VALU_DEP_1) | instskip(NEXT) | instid1(VALU_DEP_1)
	v_add_nc_u64_e32 v[6:7], v[2:3], v[6:7]
	v_add_nc_u64_e32 v[6:7], -1, v[6:7]
; %bb.21758:                            ;   in Loop: Header=BB6_19757 Depth=3
	s_or_b32 exec_lo, exec_lo, s75
	v_add_nc_u32_e32 v3, 0xffffff81, v5
	v_lshrrev_b32_e32 v5, 23, v2
	s_mov_b32 s13, exec_lo
	s_delay_alu instid0(VALU_DEP_2) | instskip(NEXT) | instid1(VALU_DEP_1)
	v_cndmask_b32_e64 v3, v3, 0xffffff82, vcc_lo
	v_add3_u32 v7, v17, v3, v5
	v_and_b32_e32 v3, 0x1fffff, v6
                                        ; implicit-def: $vgpr5
	s_delay_alu instid0(VALU_DEP_1) | instskip(SKIP_1) | instid1(VALU_DEP_2)
	v_dual_add_nc_u32 v6, 14, v7 :: v_dual_add_nc_u32 v2, v3, v2
	v_mov_b32_e32 v3, v113
	v_cmpx_ne_u32_e32 0, v6
	s_xor_b32 s13, exec_lo, s13
; %bb.21759:                            ;   in Loop: Header=BB6_19757 Depth=3
	s_delay_alu instid0(VALU_DEP_2) | instskip(SKIP_1) | instid1(VALU_DEP_1)
	v_cmp_lt_u64_e32 vcc_lo, 0xffffff, v[2:3]
	v_add_nc_u32_e32 v5, 15, v7
	v_cndmask_b32_e32 v5, v6, v5, vcc_lo
	v_cndmask_b32_e64 v6, 0, 1, vcc_lo
	s_delay_alu instid0(VALU_DEP_1)
	v_lshrrev_b64 v[2:3], v6, v[2:3]
; %bb.21760:                            ;   in Loop: Header=BB6_19757 Depth=3
	s_and_not1_saveexec_b32 s13, s13
; %bb.21761:                            ;   in Loop: Header=BB6_19757 Depth=3
	s_delay_alu instid0(VALU_DEP_1)
	v_bfe_u32 v5, v2, 23, 1
; %bb.21762:                            ;   in Loop: Header=BB6_19757 Depth=3
	s_or_b32 exec_lo, exec_lo, s13
	s_delay_alu instid0(VALU_DEP_2) | instskip(NEXT) | instid1(VALU_DEP_2)
	v_lshrrev_b64 v[2:3], 21, v[2:3]
	v_cmp_gt_i32_e32 vcc_lo, 32, v5
	v_cmp_ne_u32_e64 s13, 0, v5
                                        ; implicit-def: $vgpr17
	s_delay_alu instid0(VALU_DEP_3) | instskip(NEXT) | instid1(VALU_DEP_1)
	v_dual_cndmask_b32 v3, 0, v3 :: v_dual_cndmask_b32 v2, 3, v2
	v_cmp_ne_u64_e32 vcc_lo, 0, v[2:3]
	s_or_b32 s13, s13, vcc_lo
	s_delay_alu instid0(SALU_CYCLE_1) | instskip(NEXT) | instid1(SALU_CYCLE_1)
	s_and_saveexec_b32 s75, s13
	s_xor_b32 s13, exec_lo, s75
; %bb.21763:                            ;   in Loop: Header=BB6_19757 Depth=3
	v_min_i32_e32 v3, 31, v5
	s_delay_alu instid0(VALU_DEP_1) | instskip(NEXT) | instid1(VALU_DEP_1)
	v_lshl_or_b32 v1, v3, 2, v1
	v_and_or_b32 v17, v2, 3, v1
                                        ; implicit-def: $vgpr1
; %bb.21764:                            ;   in Loop: Header=BB6_19757 Depth=3
	s_and_not1_saveexec_b32 s13, s13
; %bb.21765:                            ;   in Loop: Header=BB6_19757 Depth=3
	v_mov_b32_e32 v17, v1
; %bb.21766:                            ;   in Loop: Header=BB6_19757 Depth=3
	s_or_b32 exec_lo, exec_lo, s13
.LBB6_21767:                            ;   in Loop: Header=BB6_19757 Depth=3
	s_delay_alu instid0(SALU_CYCLE_1)
	s_or_b32 exec_lo, exec_lo, s74
                                        ; implicit-def: $vgpr1
.LBB6_21768:                            ;   in Loop: Header=BB6_19757 Depth=3
	s_and_not1_saveexec_b32 s13, s15
; %bb.21769:                            ;   in Loop: Header=BB6_19757 Depth=3
	v_or_b32_e32 v17, 0x7b, v1
; %bb.21770:                            ;   in Loop: Header=BB6_19757 Depth=3
	s_or_b32 exec_lo, exec_lo, s13
                                        ; implicit-def: $vgpr5
                                        ; implicit-def: $vgpr2_vgpr3
.LBB6_21771:                            ;   in Loop: Header=BB6_19757 Depth=3
	s_and_not1_saveexec_b32 s13, s14
	s_cbranch_execz .LBB6_21777
; %bb.21772:                            ;   in Loop: Header=BB6_19757 Depth=3
	s_mov_b32 s14, exec_lo
                                        ; implicit-def: $vgpr17
	v_cmpx_ne_u64_e32 0, v[2:3]
	s_xor_b32 s14, exec_lo, s14
; %bb.21773:                            ;   in Loop: Header=BB6_19757 Depth=3
	v_lshrrev_b32_e32 v1, 24, v5
                                        ; implicit-def: $vgpr5
	s_delay_alu instid0(VALU_DEP_1)
	v_or_b32_e32 v17, 0x7f, v1
; %bb.21774:                            ;   in Loop: Header=BB6_19757 Depth=3
	s_and_not1_saveexec_b32 s14, s14
; %bb.21775:                            ;   in Loop: Header=BB6_19757 Depth=3
	v_cmp_lt_i32_e32 vcc_lo, -1, v5
	v_cndmask_b32_e64 v17, -4, 0x7c, vcc_lo
; %bb.21776:                            ;   in Loop: Header=BB6_19757 Depth=3
	s_or_b32 exec_lo, exec_lo, s14
.LBB6_21777:                            ;   in Loop: Header=BB6_19757 Depth=3
	s_delay_alu instid0(SALU_CYCLE_1) | instskip(SKIP_3) | instid1(VALU_DEP_2)
	s_or_b32 exec_lo, exec_lo, s13
	v_and_b32_e32 v5, 0xff, v94
	v_dual_mov_b32 v1, 0 :: v_dual_mov_b32 v2, 0
	s_mov_b32 s14, exec_lo
	v_cmpx_ne_u16_e32 0, v5
	s_cbranch_execz .LBB6_21787
; %bb.21778:                            ;   in Loop: Header=BB6_19757 Depth=3
	v_bfrev_b32_e32 v2, 1
	s_mov_b32 s15, exec_lo
	v_cmpx_ne_u16_e32 0x80, v5
	s_cbranch_execz .LBB6_21786
; %bb.21779:                            ;   in Loop: Header=BB6_19757 Depth=3
	v_and_b32_e32 v2, 0x7c, v94
	v_and_b32_e32 v3, 3, v94
	s_delay_alu instid0(VALU_DEP_2) | instskip(SKIP_1) | instid1(SALU_CYCLE_1)
	v_cmp_ne_u32_e32 vcc_lo, 0x7c, v2
                                        ; implicit-def: $vgpr2
	s_and_saveexec_b32 s13, vcc_lo
	s_xor_b32 s13, exec_lo, s13
	s_cbranch_execz .LBB6_21783
; %bb.21780:                            ;   in Loop: Header=BB6_19757 Depth=3
	v_bfe_u32 v2, v5, 2, 5
	s_mov_b32 s74, exec_lo
	s_delay_alu instid0(VALU_DEP_1)
	v_cmpx_eq_u32_e32 0, v2
	s_cbranch_execz .LBB6_21782
; %bb.21781:                            ;   in Loop: Header=BB6_19757 Depth=3
	v_clz_i32_u32_e32 v2, v3
	s_delay_alu instid0(VALU_DEP_1) | instskip(SKIP_1) | instid1(VALU_DEP_2)
	v_min_u32_e32 v2, 32, v2
	v_mov_b32_e32 v95, v113
	v_subrev_nc_u32_e32 v3, 29, v2
	v_sub_nc_u32_e32 v2, 30, v2
	s_delay_alu instid0(VALU_DEP_2) | instskip(NEXT) | instid1(VALU_DEP_1)
	v_lshlrev_b64_e32 v[6:7], v3, v[94:95]
	v_and_b32_e32 v3, 3, v6
.LBB6_21782:                            ;   in Loop: Header=BB6_19757 Depth=3
	s_or_b32 exec_lo, exec_lo, s74
	v_lshlrev_b32_e32 v5, 24, v94
                                        ; implicit-def: $vgpr94
	s_delay_alu instid0(VALU_DEP_1) | instskip(NEXT) | instid1(VALU_DEP_1)
	v_and_b32_e32 v5, 0x80000000, v5
	v_lshl_add_u32 v2, v2, 23, v5
	s_delay_alu instid0(VALU_DEP_1) | instskip(NEXT) | instid1(VALU_DEP_1)
	v_lshl_or_b32 v2, v3, 21, v2
                                        ; implicit-def: $vgpr3
	v_add_nc_u32_e32 v2, 0x38000000, v2
.LBB6_21783:                            ;   in Loop: Header=BB6_19757 Depth=3
	s_and_not1_saveexec_b32 s74, s13
; %bb.21784:                            ;   in Loop: Header=BB6_19757 Depth=3
	v_bfe_i32 v2, v94, 0, 8
	v_cmp_eq_u32_e32 vcc_lo, 0, v3
	s_delay_alu instid0(VALU_DEP_2) | instskip(SKIP_1) | instid1(VALU_DEP_1)
	v_cmp_lt_i16_e64 s13, -1, v2
	v_mov_b32_e32 v2, 0x7f800000
	v_cndmask_b32_e64 v2, 0xff800000, v2, s13
	s_delay_alu instid0(VALU_DEP_1)
	v_cndmask_b32_e32 v2, 0x7f800001, v2, vcc_lo
; %bb.21785:                            ;   in Loop: Header=BB6_19757 Depth=3
	s_or_b32 exec_lo, exec_lo, s74
.LBB6_21786:                            ;   in Loop: Header=BB6_19757 Depth=3
	s_delay_alu instid0(SALU_CYCLE_1)
	s_or_b32 exec_lo, exec_lo, s15
.LBB6_21787:                            ;   in Loop: Header=BB6_19757 Depth=3
	s_delay_alu instid0(SALU_CYCLE_1) | instskip(NEXT) | instid1(SALU_CYCLE_1)
	s_or_b32 exec_lo, exec_lo, s14
	s_mov_b32 s14, exec_lo
	s_wait_loadcnt_dscnt 0xa0a
	v_cmpx_ne_u16_e32 0, v38
	s_cbranch_execz .LBB6_21797
; %bb.21788:                            ;   in Loop: Header=BB6_19757 Depth=3
	v_bfrev_b32_e32 v1, 1
	s_mov_b32 s15, exec_lo
	v_cmpx_ne_u16_e32 0xff80, v38
	s_cbranch_execz .LBB6_21796
; %bb.21789:                            ;   in Loop: Header=BB6_19757 Depth=3
	v_and_b32_e32 v1, 0x7c, v38
	v_and_b32_e32 v3, 3, v38
	s_delay_alu instid0(VALU_DEP_2) | instskip(SKIP_1) | instid1(SALU_CYCLE_1)
	v_cmp_ne_u32_e32 vcc_lo, 0x7c, v1
                                        ; implicit-def: $vgpr1
	s_and_saveexec_b32 s13, vcc_lo
	s_xor_b32 s13, exec_lo, s13
	s_cbranch_execz .LBB6_21793
; %bb.21790:                            ;   in Loop: Header=BB6_19757 Depth=3
	v_and_b32_e32 v1, 0xff, v38
	s_mov_b32 s74, exec_lo
	s_delay_alu instid0(VALU_DEP_1) | instskip(NEXT) | instid1(VALU_DEP_1)
	v_bfe_u32 v1, v1, 2, 5
	v_cmpx_eq_u32_e32 0, v1
	s_cbranch_execz .LBB6_21792
; %bb.21791:                            ;   in Loop: Header=BB6_19757 Depth=3
	v_clz_i32_u32_e32 v1, v3
	s_delay_alu instid0(VALU_DEP_1) | instskip(SKIP_1) | instid1(VALU_DEP_2)
	v_min_u32_e32 v1, 32, v1
	v_mov_b32_e32 v39, v113
	v_subrev_nc_u32_e32 v3, 29, v1
	v_sub_nc_u32_e32 v1, 30, v1
	s_delay_alu instid0(VALU_DEP_2) | instskip(NEXT) | instid1(VALU_DEP_1)
	v_lshlrev_b64_e32 v[6:7], v3, v[38:39]
	v_and_b32_e32 v3, 3, v6
.LBB6_21792:                            ;   in Loop: Header=BB6_19757 Depth=3
	s_or_b32 exec_lo, exec_lo, s74
	v_bfe_i32 v5, v38, 0, 16
                                        ; implicit-def: $vgpr38
	s_delay_alu instid0(VALU_DEP_1) | instskip(NEXT) | instid1(VALU_DEP_1)
	v_and_b32_e32 v5, 0x80000000, v5
	v_lshl_add_u32 v1, v1, 23, v5
	s_delay_alu instid0(VALU_DEP_1) | instskip(NEXT) | instid1(VALU_DEP_1)
	v_lshl_or_b32 v1, v3, 21, v1
                                        ; implicit-def: $vgpr3
	v_add_nc_u32_e32 v1, 0x38000000, v1
.LBB6_21793:                            ;   in Loop: Header=BB6_19757 Depth=3
	s_and_not1_saveexec_b32 s74, s13
; %bb.21794:                            ;   in Loop: Header=BB6_19757 Depth=3
	v_cmp_lt_i16_e64 s13, -1, v38
	v_mov_b32_e32 v1, 0x7f800000
	v_cmp_eq_u32_e32 vcc_lo, 0, v3
	s_delay_alu instid0(VALU_DEP_2) | instskip(NEXT) | instid1(VALU_DEP_1)
	v_cndmask_b32_e64 v1, 0xff800000, v1, s13
	v_cndmask_b32_e32 v1, 0x7f800001, v1, vcc_lo
; %bb.21795:                            ;   in Loop: Header=BB6_19757 Depth=3
	s_or_b32 exec_lo, exec_lo, s74
.LBB6_21796:                            ;   in Loop: Header=BB6_19757 Depth=3
	s_delay_alu instid0(SALU_CYCLE_1)
	s_or_b32 exec_lo, exec_lo, s15
.LBB6_21797:                            ;   in Loop: Header=BB6_19757 Depth=3
	s_delay_alu instid0(SALU_CYCLE_1) | instskip(NEXT) | instid1(VALU_DEP_1)
	s_or_b32 exec_lo, exec_lo, s14
	v_dual_add_f32 v5, v2, v1 :: v_dual_mov_b32 v3, v113
                                        ; implicit-def: $vgpr31
	s_delay_alu instid0(VALU_DEP_1) | instskip(NEXT) | instid1(VALU_DEP_1)
	v_and_b32_e32 v2, 0x7f800000, v5
	v_cmp_ne_u64_e32 vcc_lo, 0x7f800000, v[2:3]
	v_and_b32_e32 v2, 0x7fffff, v5
	s_and_saveexec_b32 s13, vcc_lo
	s_delay_alu instid0(SALU_CYCLE_1)
	s_xor_b32 s14, exec_lo, s13
	s_cbranch_execz .LBB6_21815
; %bb.21798:                            ;   in Loop: Header=BB6_19757 Depth=3
	v_dual_mov_b32 v7, v113 :: v_dual_lshrrev_b32 v1, 24, v5
	v_and_b32_e32 v6, 0x7fffffff, v5
                                        ; implicit-def: $vgpr31
	s_mov_b32 s13, exec_lo
	s_delay_alu instid0(VALU_DEP_2) | instskip(NEXT) | instid1(VALU_DEP_2)
	v_and_b32_e32 v1, 0x80, v1
	v_cmpx_gt_u64_e32 0x47600001, v[6:7]
	s_xor_b32 s15, exec_lo, s13
	s_cbranch_execz .LBB6_21812
; %bb.21799:                            ;   in Loop: Header=BB6_19757 Depth=3
	v_mov_b32_e32 v31, 0
	s_mov_b32 s74, exec_lo
	v_cmpx_ne_u32_e32 0, v5
	s_cbranch_execz .LBB6_21811
; %bb.21800:                            ;   in Loop: Header=BB6_19757 Depth=3
	v_bfe_u32 v5, v5, 23, 8
	v_or_b32_e32 v7, 0x800000, v2
	s_delay_alu instid0(VALU_DEP_2) | instskip(SKIP_2) | instid1(VALU_DEP_2)
	v_cmp_gt_u32_e64 s13, 0x72, v5
	v_sub_nc_u32_e32 v6, 0x71, v5
	v_cmp_eq_u32_e32 vcc_lo, 0, v5
	v_cndmask_b32_e64 v6, 0, v6, s13
	s_delay_alu instid0(VALU_DEP_1) | instskip(NEXT) | instid1(VALU_DEP_1)
	v_cndmask_b32_e64 v19, v6, 0x70, vcc_lo
	v_dual_cndmask_b32 v2, v7, v2, vcc_lo :: v_dual_add_nc_u32 v6, 21, v19
	v_add_nc_u32_e32 v29, 20, v19
	s_delay_alu instid0(VALU_DEP_2) | instskip(NEXT) | instid1(VALU_DEP_2)
	v_lshlrev_b64_e64 v[6:7], v6, -1
	v_lshlrev_b64_e64 v[36:37], v29, 1
	s_delay_alu instid0(VALU_DEP_2) | instskip(SKIP_1) | instid1(VALU_DEP_4)
	v_bfi_b32 v6, v6, 0, v2
	v_lshrrev_b64 v[2:3], v19, v[2:3]
	v_bfi_b32 v7, v7, 0, 0
	s_delay_alu instid0(VALU_DEP_1) | instskip(NEXT) | instid1(VALU_DEP_3)
	v_cmp_eq_u64_e64 s13, v[6:7], v[36:37]
	v_mov_b64_e32 v[6:7], v[2:3]
	s_and_saveexec_b32 s75, s13
; %bb.21801:                            ;   in Loop: Header=BB6_19757 Depth=3
	v_bfe_u32 v6, v2, 21, 1
	v_mov_b32_e32 v7, v113
	s_delay_alu instid0(VALU_DEP_1) | instskip(NEXT) | instid1(VALU_DEP_1)
	v_add_nc_u64_e32 v[6:7], v[2:3], v[6:7]
	v_add_nc_u64_e32 v[6:7], -1, v[6:7]
; %bb.21802:                            ;   in Loop: Header=BB6_19757 Depth=3
	s_or_b32 exec_lo, exec_lo, s75
	v_add_nc_u32_e32 v3, 0xffffff81, v5
	v_lshrrev_b32_e32 v5, 23, v2
	s_mov_b32 s13, exec_lo
	s_delay_alu instid0(VALU_DEP_2) | instskip(NEXT) | instid1(VALU_DEP_1)
	v_cndmask_b32_e64 v3, v3, 0xffffff82, vcc_lo
	v_add3_u32 v7, v19, v3, v5
	v_and_b32_e32 v3, 0x1fffff, v6
                                        ; implicit-def: $vgpr5
	s_delay_alu instid0(VALU_DEP_1) | instskip(SKIP_1) | instid1(VALU_DEP_2)
	v_dual_add_nc_u32 v6, 14, v7 :: v_dual_add_nc_u32 v2, v3, v2
	v_mov_b32_e32 v3, v113
	v_cmpx_ne_u32_e32 0, v6
	s_xor_b32 s13, exec_lo, s13
; %bb.21803:                            ;   in Loop: Header=BB6_19757 Depth=3
	s_delay_alu instid0(VALU_DEP_2) | instskip(SKIP_1) | instid1(VALU_DEP_1)
	v_cmp_lt_u64_e32 vcc_lo, 0xffffff, v[2:3]
	v_add_nc_u32_e32 v5, 15, v7
	v_cndmask_b32_e32 v5, v6, v5, vcc_lo
	v_cndmask_b32_e64 v6, 0, 1, vcc_lo
	s_delay_alu instid0(VALU_DEP_1)
	v_lshrrev_b64 v[2:3], v6, v[2:3]
; %bb.21804:                            ;   in Loop: Header=BB6_19757 Depth=3
	s_and_not1_saveexec_b32 s13, s13
; %bb.21805:                            ;   in Loop: Header=BB6_19757 Depth=3
	s_delay_alu instid0(VALU_DEP_1)
	v_bfe_u32 v5, v2, 23, 1
; %bb.21806:                            ;   in Loop: Header=BB6_19757 Depth=3
	s_or_b32 exec_lo, exec_lo, s13
	s_delay_alu instid0(VALU_DEP_2) | instskip(NEXT) | instid1(VALU_DEP_2)
	v_lshrrev_b64 v[2:3], 21, v[2:3]
	v_cmp_gt_i32_e32 vcc_lo, 32, v5
	v_cmp_ne_u32_e64 s13, 0, v5
                                        ; implicit-def: $vgpr31
	s_delay_alu instid0(VALU_DEP_3) | instskip(NEXT) | instid1(VALU_DEP_1)
	v_dual_cndmask_b32 v3, 0, v3 :: v_dual_cndmask_b32 v2, 3, v2
	v_cmp_ne_u64_e32 vcc_lo, 0, v[2:3]
	s_or_b32 s13, s13, vcc_lo
	s_delay_alu instid0(SALU_CYCLE_1) | instskip(NEXT) | instid1(SALU_CYCLE_1)
	s_and_saveexec_b32 s75, s13
	s_xor_b32 s13, exec_lo, s75
; %bb.21807:                            ;   in Loop: Header=BB6_19757 Depth=3
	v_min_i32_e32 v3, 31, v5
	s_delay_alu instid0(VALU_DEP_1) | instskip(NEXT) | instid1(VALU_DEP_1)
	v_lshl_or_b32 v1, v3, 2, v1
	v_and_or_b32 v31, v2, 3, v1
                                        ; implicit-def: $vgpr1
; %bb.21808:                            ;   in Loop: Header=BB6_19757 Depth=3
	s_and_not1_saveexec_b32 s13, s13
; %bb.21809:                            ;   in Loop: Header=BB6_19757 Depth=3
	v_mov_b32_e32 v31, v1
; %bb.21810:                            ;   in Loop: Header=BB6_19757 Depth=3
	s_or_b32 exec_lo, exec_lo, s13
.LBB6_21811:                            ;   in Loop: Header=BB6_19757 Depth=3
	s_delay_alu instid0(SALU_CYCLE_1)
	s_or_b32 exec_lo, exec_lo, s74
                                        ; implicit-def: $vgpr1
.LBB6_21812:                            ;   in Loop: Header=BB6_19757 Depth=3
	s_and_not1_saveexec_b32 s13, s15
; %bb.21813:                            ;   in Loop: Header=BB6_19757 Depth=3
	v_or_b32_e32 v31, 0x7b, v1
; %bb.21814:                            ;   in Loop: Header=BB6_19757 Depth=3
	s_or_b32 exec_lo, exec_lo, s13
                                        ; implicit-def: $vgpr5
                                        ; implicit-def: $vgpr2_vgpr3
.LBB6_21815:                            ;   in Loop: Header=BB6_19757 Depth=3
	s_and_not1_saveexec_b32 s13, s14
	s_cbranch_execz .LBB6_21821
; %bb.21816:                            ;   in Loop: Header=BB6_19757 Depth=3
	s_mov_b32 s14, exec_lo
                                        ; implicit-def: $vgpr31
	v_cmpx_ne_u64_e32 0, v[2:3]
	s_xor_b32 s14, exec_lo, s14
; %bb.21817:                            ;   in Loop: Header=BB6_19757 Depth=3
	v_lshrrev_b32_e32 v1, 24, v5
                                        ; implicit-def: $vgpr5
	s_delay_alu instid0(VALU_DEP_1)
	v_or_b32_e32 v31, 0x7f, v1
; %bb.21818:                            ;   in Loop: Header=BB6_19757 Depth=3
	s_and_not1_saveexec_b32 s14, s14
; %bb.21819:                            ;   in Loop: Header=BB6_19757 Depth=3
	v_cmp_lt_i32_e32 vcc_lo, -1, v5
	v_cndmask_b32_e64 v31, -4, 0x7c, vcc_lo
; %bb.21820:                            ;   in Loop: Header=BB6_19757 Depth=3
	s_or_b32 exec_lo, exec_lo, s14
.LBB6_21821:                            ;   in Loop: Header=BB6_19757 Depth=3
	s_delay_alu instid0(SALU_CYCLE_1) | instskip(SKIP_3) | instid1(VALU_DEP_2)
	s_or_b32 exec_lo, exec_lo, s13
	v_and_b32_e32 v5, 0xff, v90
	v_dual_mov_b32 v1, 0 :: v_dual_mov_b32 v2, 0
	s_mov_b32 s14, exec_lo
	v_cmpx_ne_u16_e32 0, v5
	s_cbranch_execz .LBB6_21831
; %bb.21822:                            ;   in Loop: Header=BB6_19757 Depth=3
	v_bfrev_b32_e32 v2, 1
	s_mov_b32 s15, exec_lo
	v_cmpx_ne_u16_e32 0x80, v5
	s_cbranch_execz .LBB6_21830
; %bb.21823:                            ;   in Loop: Header=BB6_19757 Depth=3
	v_and_b32_e32 v2, 0x7c, v90
	v_and_b32_e32 v3, 3, v90
	s_delay_alu instid0(VALU_DEP_2) | instskip(SKIP_1) | instid1(SALU_CYCLE_1)
	v_cmp_ne_u32_e32 vcc_lo, 0x7c, v2
                                        ; implicit-def: $vgpr2
	s_and_saveexec_b32 s13, vcc_lo
	s_xor_b32 s13, exec_lo, s13
	s_cbranch_execz .LBB6_21827
; %bb.21824:                            ;   in Loop: Header=BB6_19757 Depth=3
	v_bfe_u32 v2, v5, 2, 5
	s_mov_b32 s74, exec_lo
	s_delay_alu instid0(VALU_DEP_1)
	v_cmpx_eq_u32_e32 0, v2
	s_cbranch_execz .LBB6_21826
; %bb.21825:                            ;   in Loop: Header=BB6_19757 Depth=3
	v_clz_i32_u32_e32 v2, v3
	s_delay_alu instid0(VALU_DEP_1) | instskip(SKIP_1) | instid1(VALU_DEP_2)
	v_min_u32_e32 v2, 32, v2
	v_mov_b32_e32 v91, v113
	v_subrev_nc_u32_e32 v3, 29, v2
	v_sub_nc_u32_e32 v2, 30, v2
	s_delay_alu instid0(VALU_DEP_2) | instskip(NEXT) | instid1(VALU_DEP_1)
	v_lshlrev_b64_e32 v[6:7], v3, v[90:91]
	v_and_b32_e32 v3, 3, v6
.LBB6_21826:                            ;   in Loop: Header=BB6_19757 Depth=3
	s_or_b32 exec_lo, exec_lo, s74
	v_lshlrev_b32_e32 v5, 24, v90
                                        ; implicit-def: $vgpr90
	s_delay_alu instid0(VALU_DEP_1) | instskip(NEXT) | instid1(VALU_DEP_1)
	v_and_b32_e32 v5, 0x80000000, v5
	v_lshl_add_u32 v2, v2, 23, v5
	s_delay_alu instid0(VALU_DEP_1) | instskip(NEXT) | instid1(VALU_DEP_1)
	v_lshl_or_b32 v2, v3, 21, v2
                                        ; implicit-def: $vgpr3
	v_add_nc_u32_e32 v2, 0x38000000, v2
.LBB6_21827:                            ;   in Loop: Header=BB6_19757 Depth=3
	s_and_not1_saveexec_b32 s74, s13
; %bb.21828:                            ;   in Loop: Header=BB6_19757 Depth=3
	v_bfe_i32 v2, v90, 0, 8
	v_cmp_eq_u32_e32 vcc_lo, 0, v3
	s_delay_alu instid0(VALU_DEP_2) | instskip(SKIP_1) | instid1(VALU_DEP_1)
	v_cmp_lt_i16_e64 s13, -1, v2
	v_mov_b32_e32 v2, 0x7f800000
	v_cndmask_b32_e64 v2, 0xff800000, v2, s13
	s_delay_alu instid0(VALU_DEP_1)
	v_cndmask_b32_e32 v2, 0x7f800001, v2, vcc_lo
; %bb.21829:                            ;   in Loop: Header=BB6_19757 Depth=3
	s_or_b32 exec_lo, exec_lo, s74
.LBB6_21830:                            ;   in Loop: Header=BB6_19757 Depth=3
	s_delay_alu instid0(SALU_CYCLE_1)
	s_or_b32 exec_lo, exec_lo, s15
.LBB6_21831:                            ;   in Loop: Header=BB6_19757 Depth=3
	s_delay_alu instid0(SALU_CYCLE_1) | instskip(NEXT) | instid1(SALU_CYCLE_1)
	s_or_b32 exec_lo, exec_lo, s14
	s_mov_b32 s14, exec_lo
	s_wait_loadcnt_dscnt 0x909
	v_cmpx_ne_u16_e32 0, v96
	s_cbranch_execz .LBB6_21841
; %bb.21832:                            ;   in Loop: Header=BB6_19757 Depth=3
	v_bfrev_b32_e32 v1, 1
	s_mov_b32 s15, exec_lo
	v_cmpx_ne_u16_e32 0xff80, v96
	s_cbranch_execz .LBB6_21840
; %bb.21833:                            ;   in Loop: Header=BB6_19757 Depth=3
	v_and_b32_e32 v1, 0x7c, v96
	v_and_b32_e32 v3, 3, v96
	s_delay_alu instid0(VALU_DEP_2) | instskip(SKIP_1) | instid1(SALU_CYCLE_1)
	v_cmp_ne_u32_e32 vcc_lo, 0x7c, v1
                                        ; implicit-def: $vgpr1
	s_and_saveexec_b32 s13, vcc_lo
	s_xor_b32 s13, exec_lo, s13
	s_cbranch_execz .LBB6_21837
; %bb.21834:                            ;   in Loop: Header=BB6_19757 Depth=3
	v_and_b32_e32 v1, 0xff, v96
	s_mov_b32 s74, exec_lo
	s_delay_alu instid0(VALU_DEP_1) | instskip(NEXT) | instid1(VALU_DEP_1)
	v_bfe_u32 v1, v1, 2, 5
	v_cmpx_eq_u32_e32 0, v1
	s_cbranch_execz .LBB6_21836
; %bb.21835:                            ;   in Loop: Header=BB6_19757 Depth=3
	v_clz_i32_u32_e32 v1, v3
	s_delay_alu instid0(VALU_DEP_1) | instskip(SKIP_1) | instid1(VALU_DEP_2)
	v_min_u32_e32 v1, 32, v1
	v_mov_b32_e32 v97, v113
	v_subrev_nc_u32_e32 v3, 29, v1
	v_sub_nc_u32_e32 v1, 30, v1
	s_delay_alu instid0(VALU_DEP_2) | instskip(NEXT) | instid1(VALU_DEP_1)
	v_lshlrev_b64_e32 v[6:7], v3, v[96:97]
	v_and_b32_e32 v3, 3, v6
.LBB6_21836:                            ;   in Loop: Header=BB6_19757 Depth=3
	s_or_b32 exec_lo, exec_lo, s74
	v_bfe_i32 v5, v96, 0, 16
                                        ; implicit-def: $vgpr96
	s_delay_alu instid0(VALU_DEP_1) | instskip(NEXT) | instid1(VALU_DEP_1)
	v_and_b32_e32 v5, 0x80000000, v5
	v_lshl_add_u32 v1, v1, 23, v5
	s_delay_alu instid0(VALU_DEP_1) | instskip(NEXT) | instid1(VALU_DEP_1)
	v_lshl_or_b32 v1, v3, 21, v1
                                        ; implicit-def: $vgpr3
	v_add_nc_u32_e32 v1, 0x38000000, v1
.LBB6_21837:                            ;   in Loop: Header=BB6_19757 Depth=3
	s_and_not1_saveexec_b32 s74, s13
; %bb.21838:                            ;   in Loop: Header=BB6_19757 Depth=3
	v_cmp_lt_i16_e64 s13, -1, v96
	v_mov_b32_e32 v1, 0x7f800000
	v_cmp_eq_u32_e32 vcc_lo, 0, v3
	s_delay_alu instid0(VALU_DEP_2) | instskip(NEXT) | instid1(VALU_DEP_1)
	v_cndmask_b32_e64 v1, 0xff800000, v1, s13
	v_cndmask_b32_e32 v1, 0x7f800001, v1, vcc_lo
; %bb.21839:                            ;   in Loop: Header=BB6_19757 Depth=3
	s_or_b32 exec_lo, exec_lo, s74
.LBB6_21840:                            ;   in Loop: Header=BB6_19757 Depth=3
	s_delay_alu instid0(SALU_CYCLE_1)
	s_or_b32 exec_lo, exec_lo, s15
.LBB6_21841:                            ;   in Loop: Header=BB6_19757 Depth=3
	s_delay_alu instid0(SALU_CYCLE_1) | instskip(NEXT) | instid1(VALU_DEP_1)
	s_or_b32 exec_lo, exec_lo, s14
	v_dual_add_f32 v5, v2, v1 :: v_dual_mov_b32 v3, v113
                                        ; implicit-def: $vgpr6
	s_delay_alu instid0(VALU_DEP_1) | instskip(NEXT) | instid1(VALU_DEP_1)
	v_and_b32_e32 v2, 0x7f800000, v5
	v_cmp_ne_u64_e32 vcc_lo, 0x7f800000, v[2:3]
	v_and_b32_e32 v2, 0x7fffff, v5
	s_and_saveexec_b32 s13, vcc_lo
	s_delay_alu instid0(SALU_CYCLE_1)
	s_xor_b32 s14, exec_lo, s13
	s_cbranch_execz .LBB6_21859
; %bb.21842:                            ;   in Loop: Header=BB6_19757 Depth=3
	v_and_b32_e32 v6, 0x7fffffff, v5
	v_dual_mov_b32 v7, v113 :: v_dual_lshrrev_b32 v1, 24, v5
	s_delay_alu instid0(VALU_DEP_1) | instskip(NEXT) | instid1(VALU_DEP_2)
	v_cmp_gt_u64_e32 vcc_lo, 0x47600001, v[6:7]
	v_and_b32_e32 v1, 0x80, v1
                                        ; implicit-def: $vgpr6
	s_and_saveexec_b32 s13, vcc_lo
	s_delay_alu instid0(SALU_CYCLE_1)
	s_xor_b32 s15, exec_lo, s13
	s_cbranch_execz .LBB6_21856
; %bb.21843:                            ;   in Loop: Header=BB6_19757 Depth=3
	v_mov_b32_e32 v6, 0
	s_mov_b32 s74, exec_lo
	v_cmpx_ne_u32_e32 0, v5
	s_cbranch_execz .LBB6_21855
; %bb.21844:                            ;   in Loop: Header=BB6_19757 Depth=3
	v_bfe_u32 v5, v5, 23, 8
	v_or_b32_e32 v7, 0x800000, v2
	s_delay_alu instid0(VALU_DEP_2) | instskip(SKIP_2) | instid1(VALU_DEP_2)
	v_cmp_gt_u32_e64 s13, 0x72, v5
	v_sub_nc_u32_e32 v6, 0x71, v5
	v_cmp_eq_u32_e32 vcc_lo, 0, v5
	v_cndmask_b32_e64 v6, 0, v6, s13
	s_delay_alu instid0(VALU_DEP_1) | instskip(NEXT) | instid1(VALU_DEP_1)
	v_cndmask_b32_e64 v19, v6, 0x70, vcc_lo
	v_dual_cndmask_b32 v2, v7, v2, vcc_lo :: v_dual_add_nc_u32 v6, 21, v19
	v_add_nc_u32_e32 v29, 20, v19
	s_delay_alu instid0(VALU_DEP_2) | instskip(NEXT) | instid1(VALU_DEP_2)
	v_lshlrev_b64_e64 v[6:7], v6, -1
	v_lshlrev_b64_e64 v[36:37], v29, 1
	s_delay_alu instid0(VALU_DEP_2) | instskip(SKIP_1) | instid1(VALU_DEP_4)
	v_bfi_b32 v6, v6, 0, v2
	v_lshrrev_b64 v[2:3], v19, v[2:3]
	v_bfi_b32 v7, v7, 0, 0
	s_delay_alu instid0(VALU_DEP_1) | instskip(NEXT) | instid1(VALU_DEP_3)
	v_cmp_eq_u64_e64 s13, v[6:7], v[36:37]
	v_mov_b64_e32 v[6:7], v[2:3]
	s_and_saveexec_b32 s75, s13
; %bb.21845:                            ;   in Loop: Header=BB6_19757 Depth=3
	v_bfe_u32 v6, v2, 21, 1
	v_mov_b32_e32 v7, v113
	s_delay_alu instid0(VALU_DEP_1) | instskip(NEXT) | instid1(VALU_DEP_1)
	v_add_nc_u64_e32 v[6:7], v[2:3], v[6:7]
	v_add_nc_u64_e32 v[6:7], -1, v[6:7]
; %bb.21846:                            ;   in Loop: Header=BB6_19757 Depth=3
	s_or_b32 exec_lo, exec_lo, s75
	v_add_nc_u32_e32 v3, 0xffffff81, v5
	v_lshrrev_b32_e32 v5, 23, v2
	s_mov_b32 s13, exec_lo
	s_delay_alu instid0(VALU_DEP_2) | instskip(NEXT) | instid1(VALU_DEP_1)
	v_cndmask_b32_e64 v3, v3, 0xffffff82, vcc_lo
	v_add3_u32 v7, v19, v3, v5
	v_and_b32_e32 v3, 0x1fffff, v6
                                        ; implicit-def: $vgpr5
	s_delay_alu instid0(VALU_DEP_1) | instskip(SKIP_1) | instid1(VALU_DEP_2)
	v_dual_add_nc_u32 v6, 14, v7 :: v_dual_add_nc_u32 v2, v3, v2
	v_mov_b32_e32 v3, v113
	v_cmpx_ne_u32_e32 0, v6
	s_xor_b32 s13, exec_lo, s13
; %bb.21847:                            ;   in Loop: Header=BB6_19757 Depth=3
	s_delay_alu instid0(VALU_DEP_2) | instskip(SKIP_1) | instid1(VALU_DEP_1)
	v_cmp_lt_u64_e32 vcc_lo, 0xffffff, v[2:3]
	v_add_nc_u32_e32 v5, 15, v7
	v_cndmask_b32_e32 v5, v6, v5, vcc_lo
	v_cndmask_b32_e64 v6, 0, 1, vcc_lo
	s_delay_alu instid0(VALU_DEP_1)
	v_lshrrev_b64 v[2:3], v6, v[2:3]
; %bb.21848:                            ;   in Loop: Header=BB6_19757 Depth=3
	s_and_not1_saveexec_b32 s13, s13
; %bb.21849:                            ;   in Loop: Header=BB6_19757 Depth=3
	s_delay_alu instid0(VALU_DEP_1)
	v_bfe_u32 v5, v2, 23, 1
; %bb.21850:                            ;   in Loop: Header=BB6_19757 Depth=3
	s_or_b32 exec_lo, exec_lo, s13
	s_delay_alu instid0(VALU_DEP_2) | instskip(NEXT) | instid1(VALU_DEP_2)
	v_lshrrev_b64 v[2:3], 21, v[2:3]
	v_cmp_gt_i32_e32 vcc_lo, 32, v5
	v_cmp_ne_u32_e64 s13, 0, v5
                                        ; implicit-def: $vgpr6
	s_delay_alu instid0(VALU_DEP_3) | instskip(NEXT) | instid1(VALU_DEP_1)
	v_dual_cndmask_b32 v3, 0, v3 :: v_dual_cndmask_b32 v2, 3, v2
	v_cmp_ne_u64_e32 vcc_lo, 0, v[2:3]
	s_or_b32 s13, s13, vcc_lo
	s_delay_alu instid0(SALU_CYCLE_1) | instskip(NEXT) | instid1(SALU_CYCLE_1)
	s_and_saveexec_b32 s75, s13
	s_xor_b32 s13, exec_lo, s75
; %bb.21851:                            ;   in Loop: Header=BB6_19757 Depth=3
	v_min_i32_e32 v3, 31, v5
	s_delay_alu instid0(VALU_DEP_1) | instskip(NEXT) | instid1(VALU_DEP_1)
	v_lshl_or_b32 v1, v3, 2, v1
	v_and_or_b32 v6, v2, 3, v1
                                        ; implicit-def: $vgpr1
; %bb.21852:                            ;   in Loop: Header=BB6_19757 Depth=3
	s_and_not1_saveexec_b32 s13, s13
; %bb.21853:                            ;   in Loop: Header=BB6_19757 Depth=3
	v_mov_b32_e32 v6, v1
; %bb.21854:                            ;   in Loop: Header=BB6_19757 Depth=3
	s_or_b32 exec_lo, exec_lo, s13
.LBB6_21855:                            ;   in Loop: Header=BB6_19757 Depth=3
	s_delay_alu instid0(SALU_CYCLE_1)
	s_or_b32 exec_lo, exec_lo, s74
                                        ; implicit-def: $vgpr1
.LBB6_21856:                            ;   in Loop: Header=BB6_19757 Depth=3
	s_and_not1_saveexec_b32 s13, s15
; %bb.21857:                            ;   in Loop: Header=BB6_19757 Depth=3
	v_or_b32_e32 v6, 0x7b, v1
; %bb.21858:                            ;   in Loop: Header=BB6_19757 Depth=3
	s_or_b32 exec_lo, exec_lo, s13
                                        ; implicit-def: $vgpr5
                                        ; implicit-def: $vgpr2_vgpr3
.LBB6_21859:                            ;   in Loop: Header=BB6_19757 Depth=3
	s_and_not1_saveexec_b32 s13, s14
	s_cbranch_execz .LBB6_21865
; %bb.21860:                            ;   in Loop: Header=BB6_19757 Depth=3
	s_mov_b32 s14, exec_lo
                                        ; implicit-def: $vgpr6
	v_cmpx_ne_u64_e32 0, v[2:3]
	s_xor_b32 s14, exec_lo, s14
; %bb.21861:                            ;   in Loop: Header=BB6_19757 Depth=3
	v_lshrrev_b32_e32 v1, 24, v5
                                        ; implicit-def: $vgpr5
	s_delay_alu instid0(VALU_DEP_1)
	v_or_b32_e32 v6, 0x7f, v1
; %bb.21862:                            ;   in Loop: Header=BB6_19757 Depth=3
	s_and_not1_saveexec_b32 s14, s14
; %bb.21863:                            ;   in Loop: Header=BB6_19757 Depth=3
	v_cmp_lt_i32_e32 vcc_lo, -1, v5
	v_cndmask_b32_e64 v6, -4, 0x7c, vcc_lo
; %bb.21864:                            ;   in Loop: Header=BB6_19757 Depth=3
	s_or_b32 exec_lo, exec_lo, s14
.LBB6_21865:                            ;   in Loop: Header=BB6_19757 Depth=3
	s_delay_alu instid0(SALU_CYCLE_1) | instskip(SKIP_3) | instid1(VALU_DEP_2)
	s_or_b32 exec_lo, exec_lo, s13
	v_and_b32_e32 v5, 0xff, v88
	v_dual_mov_b32 v1, 0 :: v_dual_mov_b32 v2, 0
	s_mov_b32 s14, exec_lo
	v_cmpx_ne_u16_e32 0, v5
	s_cbranch_execz .LBB6_21875
; %bb.21866:                            ;   in Loop: Header=BB6_19757 Depth=3
	v_bfrev_b32_e32 v2, 1
	s_mov_b32 s15, exec_lo
	v_cmpx_ne_u16_e32 0x80, v5
	s_cbranch_execz .LBB6_21874
; %bb.21867:                            ;   in Loop: Header=BB6_19757 Depth=3
	v_and_b32_e32 v2, 0x7c, v88
	v_and_b32_e32 v3, 3, v88
	s_delay_alu instid0(VALU_DEP_2) | instskip(SKIP_1) | instid1(SALU_CYCLE_1)
	v_cmp_ne_u32_e32 vcc_lo, 0x7c, v2
                                        ; implicit-def: $vgpr2
	s_and_saveexec_b32 s13, vcc_lo
	s_xor_b32 s13, exec_lo, s13
	s_cbranch_execz .LBB6_21871
; %bb.21868:                            ;   in Loop: Header=BB6_19757 Depth=3
	v_bfe_u32 v2, v5, 2, 5
	s_mov_b32 s74, exec_lo
	s_delay_alu instid0(VALU_DEP_1)
	v_cmpx_eq_u32_e32 0, v2
	s_cbranch_execz .LBB6_21870
; %bb.21869:                            ;   in Loop: Header=BB6_19757 Depth=3
	v_clz_i32_u32_e32 v2, v3
	s_delay_alu instid0(VALU_DEP_1) | instskip(SKIP_1) | instid1(VALU_DEP_2)
	v_min_u32_e32 v2, 32, v2
	v_mov_b32_e32 v89, v113
	v_subrev_nc_u32_e32 v3, 29, v2
	v_sub_nc_u32_e32 v2, 30, v2
	s_delay_alu instid0(VALU_DEP_2) | instskip(NEXT) | instid1(VALU_DEP_1)
	v_lshlrev_b64_e32 v[36:37], v3, v[88:89]
	v_and_b32_e32 v3, 3, v36
.LBB6_21870:                            ;   in Loop: Header=BB6_19757 Depth=3
	s_or_b32 exec_lo, exec_lo, s74
	v_lshlrev_b32_e32 v5, 24, v88
                                        ; implicit-def: $vgpr88
	s_delay_alu instid0(VALU_DEP_1) | instskip(NEXT) | instid1(VALU_DEP_1)
	v_and_b32_e32 v5, 0x80000000, v5
	v_lshl_add_u32 v2, v2, 23, v5
	s_delay_alu instid0(VALU_DEP_1) | instskip(NEXT) | instid1(VALU_DEP_1)
	v_lshl_or_b32 v2, v3, 21, v2
                                        ; implicit-def: $vgpr3
	v_add_nc_u32_e32 v2, 0x38000000, v2
.LBB6_21871:                            ;   in Loop: Header=BB6_19757 Depth=3
	s_and_not1_saveexec_b32 s74, s13
; %bb.21872:                            ;   in Loop: Header=BB6_19757 Depth=3
	v_bfe_i32 v2, v88, 0, 8
	v_cmp_eq_u32_e32 vcc_lo, 0, v3
	s_delay_alu instid0(VALU_DEP_2) | instskip(SKIP_1) | instid1(VALU_DEP_1)
	v_cmp_lt_i16_e64 s13, -1, v2
	v_mov_b32_e32 v2, 0x7f800000
	v_cndmask_b32_e64 v2, 0xff800000, v2, s13
	s_delay_alu instid0(VALU_DEP_1)
	v_cndmask_b32_e32 v2, 0x7f800001, v2, vcc_lo
; %bb.21873:                            ;   in Loop: Header=BB6_19757 Depth=3
	s_or_b32 exec_lo, exec_lo, s74
.LBB6_21874:                            ;   in Loop: Header=BB6_19757 Depth=3
	s_delay_alu instid0(SALU_CYCLE_1)
	s_or_b32 exec_lo, exec_lo, s15
.LBB6_21875:                            ;   in Loop: Header=BB6_19757 Depth=3
	s_delay_alu instid0(SALU_CYCLE_1) | instskip(NEXT) | instid1(SALU_CYCLE_1)
	s_or_b32 exec_lo, exec_lo, s14
	s_mov_b32 s14, exec_lo
	s_wait_loadcnt_dscnt 0x808
	v_cmpx_ne_u16_e32 0, v0
	s_cbranch_execz .LBB6_21885
; %bb.21876:                            ;   in Loop: Header=BB6_19757 Depth=3
	v_bfrev_b32_e32 v1, 1
	s_mov_b32 s15, exec_lo
	v_cmpx_ne_u16_e32 0xff80, v0
	s_cbranch_execz .LBB6_21884
; %bb.21877:                            ;   in Loop: Header=BB6_19757 Depth=3
	v_and_b32_e32 v1, 0x7c, v0
	v_and_b32_e32 v3, 3, v0
	s_delay_alu instid0(VALU_DEP_2) | instskip(SKIP_1) | instid1(SALU_CYCLE_1)
	v_cmp_ne_u32_e32 vcc_lo, 0x7c, v1
                                        ; implicit-def: $vgpr1
	s_and_saveexec_b32 s13, vcc_lo
	s_xor_b32 s13, exec_lo, s13
	s_cbranch_execz .LBB6_21881
; %bb.21878:                            ;   in Loop: Header=BB6_19757 Depth=3
	v_and_b32_e32 v1, 0xff, v0
	s_mov_b32 s74, exec_lo
	s_delay_alu instid0(VALU_DEP_1) | instskip(NEXT) | instid1(VALU_DEP_1)
	v_bfe_u32 v1, v1, 2, 5
	v_cmpx_eq_u32_e32 0, v1
; %bb.21879:                            ;   in Loop: Header=BB6_19757 Depth=3
	v_clz_i32_u32_e32 v1, v3
	s_delay_alu instid0(VALU_DEP_1) | instskip(SKIP_1) | instid1(VALU_DEP_2)
	v_min_u32_e32 v3, 32, v1
	v_mov_b32_e32 v1, v113
	v_subrev_nc_u32_e32 v5, 29, v3
	s_delay_alu instid0(VALU_DEP_1) | instskip(NEXT) | instid1(VALU_DEP_1)
	v_lshlrev_b64_e32 v[36:37], v5, v[0:1]
	v_dual_sub_nc_u32 v1, 30, v3 :: v_dual_bitop2_b32 v3, 3, v36 bitop3:0x40
; %bb.21880:                            ;   in Loop: Header=BB6_19757 Depth=3
	s_or_b32 exec_lo, exec_lo, s74
	v_bfe_i32 v0, v0, 0, 16
	s_delay_alu instid0(VALU_DEP_1) | instskip(NEXT) | instid1(VALU_DEP_1)
	v_and_b32_e32 v0, 0x80000000, v0
	v_lshl_add_u32 v0, v1, 23, v0
	s_delay_alu instid0(VALU_DEP_1) | instskip(NEXT) | instid1(VALU_DEP_1)
	v_lshl_or_b32 v0, v3, 21, v0
                                        ; implicit-def: $vgpr3
	v_add_nc_u32_e32 v1, 0x38000000, v0
                                        ; implicit-def: $vgpr0
.LBB6_21881:                            ;   in Loop: Header=BB6_19757 Depth=3
	s_and_not1_saveexec_b32 s74, s13
; %bb.21882:                            ;   in Loop: Header=BB6_19757 Depth=3
	v_cmp_lt_i16_e64 s13, -1, v0
	v_mov_b32_e32 v0, 0x7f800000
	v_cmp_eq_u32_e32 vcc_lo, 0, v3
	s_delay_alu instid0(VALU_DEP_2) | instskip(NEXT) | instid1(VALU_DEP_1)
	v_cndmask_b32_e64 v0, 0xff800000, v0, s13
	v_cndmask_b32_e32 v1, 0x7f800001, v0, vcc_lo
; %bb.21883:                            ;   in Loop: Header=BB6_19757 Depth=3
	s_or_b32 exec_lo, exec_lo, s74
.LBB6_21884:                            ;   in Loop: Header=BB6_19757 Depth=3
	s_delay_alu instid0(SALU_CYCLE_1)
	s_or_b32 exec_lo, exec_lo, s15
.LBB6_21885:                            ;   in Loop: Header=BB6_19757 Depth=3
	s_delay_alu instid0(SALU_CYCLE_1) | instskip(NEXT) | instid1(VALU_DEP_1)
	s_or_b32 exec_lo, exec_lo, s14
	v_dual_add_f32 v2, v2, v1 :: v_dual_mov_b32 v1, v113
                                        ; implicit-def: $vgpr7
	s_delay_alu instid0(VALU_DEP_1) | instskip(NEXT) | instid1(VALU_DEP_1)
	v_and_b32_e32 v0, 0x7f800000, v2
	v_cmp_ne_u64_e32 vcc_lo, 0x7f800000, v[0:1]
	v_and_b32_e32 v0, 0x7fffff, v2
	s_and_saveexec_b32 s13, vcc_lo
	s_delay_alu instid0(SALU_CYCLE_1)
	s_xor_b32 s14, exec_lo, s13
	s_cbranch_execz .LBB6_21903
; %bb.21886:                            ;   in Loop: Header=BB6_19757 Depth=3
	v_dual_mov_b32 v37, v113 :: v_dual_lshrrev_b32 v3, 24, v2
	v_and_b32_e32 v36, 0x7fffffff, v2
                                        ; implicit-def: $vgpr7
	s_mov_b32 s13, exec_lo
	s_delay_alu instid0(VALU_DEP_2) | instskip(NEXT) | instid1(VALU_DEP_2)
	v_and_b32_e32 v5, 0x80, v3
	v_cmpx_gt_u64_e32 0x47600001, v[36:37]
	s_xor_b32 s15, exec_lo, s13
	s_cbranch_execz .LBB6_21900
; %bb.21887:                            ;   in Loop: Header=BB6_19757 Depth=3
	v_mov_b32_e32 v7, 0
	s_mov_b32 s74, exec_lo
	v_cmpx_ne_u32_e32 0, v2
	s_cbranch_execz .LBB6_21899
; %bb.21888:                            ;   in Loop: Header=BB6_19757 Depth=3
	v_bfe_u32 v7, v2, 23, 8
	v_or_b32_e32 v3, 0x800000, v0
	s_delay_alu instid0(VALU_DEP_2) | instskip(SKIP_2) | instid1(VALU_DEP_2)
	v_cmp_gt_u32_e64 s13, 0x72, v7
	v_sub_nc_u32_e32 v2, 0x71, v7
	v_cmp_eq_u32_e32 vcc_lo, 0, v7
	v_dual_cndmask_b32 v2, 0, v2, s13 :: v_dual_cndmask_b32 v0, v3, v0, vcc_lo
	s_delay_alu instid0(VALU_DEP_1) | instskip(NEXT) | instid1(VALU_DEP_1)
	v_cndmask_b32_e64 v19, v2, 0x70, vcc_lo
	v_dual_add_nc_u32 v2, 21, v19 :: v_dual_add_nc_u32 v29, 20, v19
	s_delay_alu instid0(VALU_DEP_1) | instskip(NEXT) | instid1(VALU_DEP_2)
	v_lshlrev_b64_e64 v[2:3], v2, -1
	v_lshlrev_b64_e64 v[36:37], v29, 1
	s_delay_alu instid0(VALU_DEP_2) | instskip(SKIP_1) | instid1(VALU_DEP_4)
	v_bfi_b32 v2, v2, 0, v0
	v_lshrrev_b64 v[0:1], v19, v[0:1]
	v_bfi_b32 v3, v3, 0, 0
	s_delay_alu instid0(VALU_DEP_1) | instskip(NEXT) | instid1(VALU_DEP_3)
	v_cmp_eq_u64_e64 s13, v[2:3], v[36:37]
	v_mov_b64_e32 v[2:3], v[0:1]
	s_and_saveexec_b32 s75, s13
; %bb.21889:                            ;   in Loop: Header=BB6_19757 Depth=3
	v_bfe_u32 v2, v0, 21, 1
	v_mov_b32_e32 v3, v113
	s_delay_alu instid0(VALU_DEP_1) | instskip(NEXT) | instid1(VALU_DEP_1)
	v_add_nc_u64_e32 v[2:3], v[0:1], v[2:3]
	v_add_nc_u64_e32 v[2:3], -1, v[2:3]
; %bb.21890:                            ;   in Loop: Header=BB6_19757 Depth=3
	s_or_b32 exec_lo, exec_lo, s75
	v_add_nc_u32_e32 v1, 0xffffff81, v7
	v_lshrrev_b32_e32 v3, 23, v0
	s_mov_b32 s13, exec_lo
	s_delay_alu instid0(VALU_DEP_2) | instskip(NEXT) | instid1(VALU_DEP_1)
	v_cndmask_b32_e64 v1, v1, 0xffffff82, vcc_lo
	v_add3_u32 v7, v19, v1, v3
	v_and_b32_e32 v1, 0x1fffff, v2
                                        ; implicit-def: $vgpr2
	s_delay_alu instid0(VALU_DEP_1) | instskip(SKIP_1) | instid1(VALU_DEP_2)
	v_dual_add_nc_u32 v3, 14, v7 :: v_dual_add_nc_u32 v0, v1, v0
	v_mov_b32_e32 v1, v113
	v_cmpx_ne_u32_e32 0, v3
	s_xor_b32 s13, exec_lo, s13
; %bb.21891:                            ;   in Loop: Header=BB6_19757 Depth=3
	s_delay_alu instid0(VALU_DEP_2) | instskip(SKIP_1) | instid1(VALU_DEP_1)
	v_cmp_lt_u64_e32 vcc_lo, 0xffffff, v[0:1]
	v_add_nc_u32_e32 v2, 15, v7
	v_cndmask_b32_e32 v2, v3, v2, vcc_lo
	v_cndmask_b32_e64 v3, 0, 1, vcc_lo
	s_delay_alu instid0(VALU_DEP_1)
	v_lshrrev_b64 v[0:1], v3, v[0:1]
; %bb.21892:                            ;   in Loop: Header=BB6_19757 Depth=3
	s_and_not1_saveexec_b32 s13, s13
; %bb.21893:                            ;   in Loop: Header=BB6_19757 Depth=3
	s_delay_alu instid0(VALU_DEP_1)
	v_bfe_u32 v2, v0, 23, 1
; %bb.21894:                            ;   in Loop: Header=BB6_19757 Depth=3
	s_or_b32 exec_lo, exec_lo, s13
	s_delay_alu instid0(VALU_DEP_2) | instskip(NEXT) | instid1(VALU_DEP_2)
	v_lshrrev_b64 v[0:1], 21, v[0:1]
	v_cmp_gt_i32_e32 vcc_lo, 32, v2
	v_cmp_ne_u32_e64 s13, 0, v2
                                        ; implicit-def: $vgpr7
	s_delay_alu instid0(VALU_DEP_3) | instskip(NEXT) | instid1(VALU_DEP_1)
	v_dual_cndmask_b32 v1, 0, v1 :: v_dual_cndmask_b32 v0, 3, v0
	v_cmp_ne_u64_e32 vcc_lo, 0, v[0:1]
	s_or_b32 s13, s13, vcc_lo
	s_delay_alu instid0(SALU_CYCLE_1) | instskip(NEXT) | instid1(SALU_CYCLE_1)
	s_and_saveexec_b32 s75, s13
	s_xor_b32 s13, exec_lo, s75
; %bb.21895:                            ;   in Loop: Header=BB6_19757 Depth=3
	v_min_i32_e32 v1, 31, v2
	s_delay_alu instid0(VALU_DEP_1) | instskip(NEXT) | instid1(VALU_DEP_1)
	v_lshl_or_b32 v1, v1, 2, v5
                                        ; implicit-def: $vgpr5
	v_and_or_b32 v7, v0, 3, v1
; %bb.21896:                            ;   in Loop: Header=BB6_19757 Depth=3
	s_and_not1_saveexec_b32 s13, s13
; %bb.21897:                            ;   in Loop: Header=BB6_19757 Depth=3
	v_mov_b32_e32 v7, v5
; %bb.21898:                            ;   in Loop: Header=BB6_19757 Depth=3
	s_or_b32 exec_lo, exec_lo, s13
.LBB6_21899:                            ;   in Loop: Header=BB6_19757 Depth=3
	s_delay_alu instid0(SALU_CYCLE_1)
	s_or_b32 exec_lo, exec_lo, s74
                                        ; implicit-def: $vgpr5
.LBB6_21900:                            ;   in Loop: Header=BB6_19757 Depth=3
	s_and_not1_saveexec_b32 s13, s15
; %bb.21901:                            ;   in Loop: Header=BB6_19757 Depth=3
	v_or_b32_e32 v7, 0x7b, v5
; %bb.21902:                            ;   in Loop: Header=BB6_19757 Depth=3
	s_or_b32 exec_lo, exec_lo, s13
                                        ; implicit-def: $vgpr2
                                        ; implicit-def: $vgpr0_vgpr1
.LBB6_21903:                            ;   in Loop: Header=BB6_19757 Depth=3
	s_and_not1_saveexec_b32 s13, s14
	s_cbranch_execz .LBB6_21909
; %bb.21904:                            ;   in Loop: Header=BB6_19757 Depth=3
	s_mov_b32 s14, exec_lo
                                        ; implicit-def: $vgpr7
	v_cmpx_ne_u64_e32 0, v[0:1]
	s_xor_b32 s14, exec_lo, s14
; %bb.21905:                            ;   in Loop: Header=BB6_19757 Depth=3
	v_lshrrev_b32_e32 v0, 24, v2
                                        ; implicit-def: $vgpr2
	s_delay_alu instid0(VALU_DEP_1)
	v_or_b32_e32 v7, 0x7f, v0
; %bb.21906:                            ;   in Loop: Header=BB6_19757 Depth=3
	s_and_not1_saveexec_b32 s14, s14
; %bb.21907:                            ;   in Loop: Header=BB6_19757 Depth=3
	v_cmp_lt_i32_e32 vcc_lo, -1, v2
	v_cndmask_b32_e64 v7, -4, 0x7c, vcc_lo
; %bb.21908:                            ;   in Loop: Header=BB6_19757 Depth=3
	s_or_b32 exec_lo, exec_lo, s14
.LBB6_21909:                            ;   in Loop: Header=BB6_19757 Depth=3
	s_delay_alu instid0(SALU_CYCLE_1)
	s_or_b32 exec_lo, exec_lo, s13
	scratch_load_b64 v[0:1], off, s33 offset:344 ; 8-byte Folded Reload
	s_mov_b32 s14, exec_lo
	s_wait_loadcnt 0x0
	v_mov_b32_e32 v1, 0
	v_and_b32_e32 v3, 0xff, v0
	v_mov_b32_e32 v0, 0
	s_wait_xcnt 0x0
	s_delay_alu instid0(VALU_DEP_2)
	v_cmpx_ne_u16_e32 0, v3
	s_cbranch_execz .LBB6_21919
; %bb.21910:                            ;   in Loop: Header=BB6_19757 Depth=3
	v_bfrev_b32_e32 v1, 1
	s_mov_b32 s15, exec_lo
	v_cmpx_ne_u16_e32 0x80, v3
	s_cbranch_execz .LBB6_21918
; %bb.21911:                            ;   in Loop: Header=BB6_19757 Depth=3
	scratch_load_b64 v[36:37], off, s33 offset:344 ; 8-byte Folded Reload
	s_wait_loadcnt 0x0
	v_mov_b32_e32 v2, v36
	s_delay_alu instid0(VALU_DEP_1) | instskip(SKIP_1) | instid1(VALU_DEP_2)
	v_and_b32_e32 v1, 0x7c, v2
	v_and_b32_e32 v2, 3, v2
	v_cmp_ne_u32_e32 vcc_lo, 0x7c, v1
                                        ; implicit-def: $vgpr1
	s_wait_xcnt 0x0
	s_and_saveexec_b32 s13, vcc_lo
	s_delay_alu instid0(SALU_CYCLE_1)
	s_xor_b32 s13, exec_lo, s13
	s_cbranch_execz .LBB6_21915
; %bb.21912:                            ;   in Loop: Header=BB6_19757 Depth=3
	v_bfe_u32 v1, v3, 2, 5
	s_mov_b32 s74, exec_lo
	s_delay_alu instid0(VALU_DEP_1)
	v_cmpx_eq_u32_e32 0, v1
	s_cbranch_execz .LBB6_21914
; %bb.21913:                            ;   in Loop: Header=BB6_19757 Depth=3
	scratch_load_b64 v[36:37], off, s33 offset:344 th:TH_LOAD_LU ; 8-byte Folded Reload
	v_clz_i32_u32_e32 v1, v2
	s_wait_loadcnt 0x0
	v_mov_b32_e32 v37, v113
	s_delay_alu instid0(VALU_DEP_2) | instskip(NEXT) | instid1(VALU_DEP_1)
	v_min_u32_e32 v1, 32, v1
	v_subrev_nc_u32_e32 v2, 29, v1
	v_mov_b32_e32 v38, v36
	s_delay_alu instid0(VALU_DEP_2)
	v_lshlrev_b64_e32 v[2:3], v2, v[36:37]
	v_sub_nc_u32_e32 v1, 30, v1
	scratch_store_b64 off, v[38:39], s33 offset:344 ; 8-byte Folded Spill
	v_and_b32_e32 v2, 3, v2
.LBB6_21914:                            ;   in Loop: Header=BB6_19757 Depth=3
	s_wait_xcnt 0x0
	s_or_b32 exec_lo, exec_lo, s74
	scratch_load_b64 v[36:37], off, s33 offset:344 th:TH_LOAD_LU ; 8-byte Folded Reload
	s_wait_loadcnt 0x0
	v_lshlrev_b32_e32 v3, 24, v36
                                        ; implicit-def: $vgpr36
	scratch_store_b64 off, v[36:37], s33 offset:344 ; 8-byte Folded Spill
	v_and_b32_e32 v3, 0x80000000, v3
	s_delay_alu instid0(VALU_DEP_1) | instskip(NEXT) | instid1(VALU_DEP_1)
	v_lshl_add_u32 v1, v1, 23, v3
	v_lshl_or_b32 v1, v2, 21, v1
                                        ; implicit-def: $vgpr2
	s_delay_alu instid0(VALU_DEP_1)
	v_add_nc_u32_e32 v1, 0x38000000, v1
.LBB6_21915:                            ;   in Loop: Header=BB6_19757 Depth=3
	s_wait_xcnt 0x0
	s_and_not1_saveexec_b32 s74, s13
	s_cbranch_execz .LBB6_21917
; %bb.21916:                            ;   in Loop: Header=BB6_19757 Depth=3
	v_cmp_eq_u32_e32 vcc_lo, 0, v2
	scratch_load_b64 v[2:3], off, s33 offset:344 th:TH_LOAD_LU ; 8-byte Folded Reload
	s_wait_loadcnt 0x0
	v_bfe_i32 v1, v2, 0, 8
	s_delay_alu instid0(VALU_DEP_1) | instskip(SKIP_1) | instid1(VALU_DEP_1)
	v_cmp_lt_i16_e64 s13, -1, v1
	v_mov_b32_e32 v1, 0x7f800000
	v_cndmask_b32_e64 v1, 0xff800000, v1, s13
	s_delay_alu instid0(VALU_DEP_1)
	v_cndmask_b32_e32 v1, 0x7f800001, v1, vcc_lo
.LBB6_21917:                            ;   in Loop: Header=BB6_19757 Depth=3
	s_wait_xcnt 0x0
	s_or_b32 exec_lo, exec_lo, s74
.LBB6_21918:                            ;   in Loop: Header=BB6_19757 Depth=3
	s_delay_alu instid0(SALU_CYCLE_1)
	s_or_b32 exec_lo, exec_lo, s15
.LBB6_21919:                            ;   in Loop: Header=BB6_19757 Depth=3
	s_delay_alu instid0(SALU_CYCLE_1) | instskip(NEXT) | instid1(SALU_CYCLE_1)
	s_or_b32 exec_lo, exec_lo, s14
	s_mov_b32 s14, exec_lo
	s_wait_dscnt 0x7
	v_cmpx_ne_u16_e32 0, v84
	s_cbranch_execz .LBB6_21929
; %bb.21920:                            ;   in Loop: Header=BB6_19757 Depth=3
	v_bfrev_b32_e32 v0, 1
	s_mov_b32 s15, exec_lo
	v_cmpx_ne_u16_e32 0xff80, v84
	s_cbranch_execz .LBB6_21928
; %bb.21921:                            ;   in Loop: Header=BB6_19757 Depth=3
	v_and_b32_e32 v0, 0x7c, v84
	v_and_b32_e32 v2, 3, v84
	s_delay_alu instid0(VALU_DEP_2) | instskip(SKIP_1) | instid1(SALU_CYCLE_1)
	v_cmp_ne_u32_e32 vcc_lo, 0x7c, v0
                                        ; implicit-def: $vgpr0
	s_and_saveexec_b32 s13, vcc_lo
	s_xor_b32 s13, exec_lo, s13
	s_cbranch_execz .LBB6_21925
; %bb.21922:                            ;   in Loop: Header=BB6_19757 Depth=3
	v_and_b32_e32 v0, 0xff, v84
	s_mov_b32 s74, exec_lo
	s_delay_alu instid0(VALU_DEP_1) | instskip(NEXT) | instid1(VALU_DEP_1)
	v_bfe_u32 v0, v0, 2, 5
	v_cmpx_eq_u32_e32 0, v0
	s_cbranch_execz .LBB6_21924
; %bb.21923:                            ;   in Loop: Header=BB6_19757 Depth=3
	v_clz_i32_u32_e32 v0, v2
	s_delay_alu instid0(VALU_DEP_1) | instskip(SKIP_1) | instid1(VALU_DEP_2)
	v_min_u32_e32 v0, 32, v0
	v_mov_b32_e32 v85, v113
	v_subrev_nc_u32_e32 v2, 29, v0
	v_sub_nc_u32_e32 v0, 30, v0
	s_delay_alu instid0(VALU_DEP_2) | instskip(NEXT) | instid1(VALU_DEP_1)
	v_lshlrev_b64_e32 v[2:3], v2, v[84:85]
	v_and_b32_e32 v2, 3, v2
.LBB6_21924:                            ;   in Loop: Header=BB6_19757 Depth=3
	s_or_b32 exec_lo, exec_lo, s74
	v_bfe_i32 v3, v84, 0, 16
                                        ; implicit-def: $vgpr84
	s_delay_alu instid0(VALU_DEP_1) | instskip(NEXT) | instid1(VALU_DEP_1)
	v_and_b32_e32 v3, 0x80000000, v3
	v_lshl_add_u32 v0, v0, 23, v3
	s_delay_alu instid0(VALU_DEP_1) | instskip(NEXT) | instid1(VALU_DEP_1)
	v_lshl_or_b32 v0, v2, 21, v0
                                        ; implicit-def: $vgpr2
	v_add_nc_u32_e32 v0, 0x38000000, v0
.LBB6_21925:                            ;   in Loop: Header=BB6_19757 Depth=3
	s_and_not1_saveexec_b32 s74, s13
; %bb.21926:                            ;   in Loop: Header=BB6_19757 Depth=3
	v_cmp_lt_i16_e64 s13, -1, v84
	v_mov_b32_e32 v0, 0x7f800000
	v_cmp_eq_u32_e32 vcc_lo, 0, v2
	s_delay_alu instid0(VALU_DEP_2) | instskip(NEXT) | instid1(VALU_DEP_1)
	v_cndmask_b32_e64 v0, 0xff800000, v0, s13
	v_cndmask_b32_e32 v0, 0x7f800001, v0, vcc_lo
; %bb.21927:                            ;   in Loop: Header=BB6_19757 Depth=3
	s_or_b32 exec_lo, exec_lo, s74
.LBB6_21928:                            ;   in Loop: Header=BB6_19757 Depth=3
	s_delay_alu instid0(SALU_CYCLE_1)
	s_or_b32 exec_lo, exec_lo, s15
.LBB6_21929:                            ;   in Loop: Header=BB6_19757 Depth=3
	s_delay_alu instid0(SALU_CYCLE_1) | instskip(NEXT) | instid1(VALU_DEP_1)
	s_or_b32 exec_lo, exec_lo, s14
	v_add_f32_e32 v2, v1, v0
	v_mov_b32_e32 v1, v113
                                        ; implicit-def: $vgpr36
	s_delay_alu instid0(VALU_DEP_2) | instskip(NEXT) | instid1(VALU_DEP_1)
	v_and_b32_e32 v0, 0x7f800000, v2
	v_cmp_ne_u64_e32 vcc_lo, 0x7f800000, v[0:1]
	v_and_b32_e32 v0, 0x7fffff, v2
	s_and_saveexec_b32 s13, vcc_lo
	s_delay_alu instid0(SALU_CYCLE_1)
	s_xor_b32 s14, exec_lo, s13
	s_cbranch_execz .LBB6_21947
; %bb.21930:                            ;   in Loop: Header=BB6_19757 Depth=3
	v_and_b32_e32 v36, 0x7fffffff, v2
	v_dual_mov_b32 v37, v113 :: v_dual_lshrrev_b32 v3, 24, v2
	s_delay_alu instid0(VALU_DEP_1) | instskip(NEXT) | instid1(VALU_DEP_2)
	v_cmp_gt_u64_e32 vcc_lo, 0x47600001, v[36:37]
	v_and_b32_e32 v5, 0x80, v3
                                        ; implicit-def: $vgpr36
	s_and_saveexec_b32 s13, vcc_lo
	s_delay_alu instid0(SALU_CYCLE_1)
	s_xor_b32 s15, exec_lo, s13
	s_cbranch_execz .LBB6_21944
; %bb.21931:                            ;   in Loop: Header=BB6_19757 Depth=3
	v_mov_b32_e32 v36, 0
	s_mov_b32 s74, exec_lo
	v_cmpx_ne_u32_e32 0, v2
	s_cbranch_execz .LBB6_21943
; %bb.21932:                            ;   in Loop: Header=BB6_19757 Depth=3
	v_bfe_u32 v19, v2, 23, 8
	v_or_b32_e32 v3, 0x800000, v0
	s_delay_alu instid0(VALU_DEP_2) | instskip(SKIP_2) | instid1(VALU_DEP_2)
	v_cmp_gt_u32_e64 s13, 0x72, v19
	v_sub_nc_u32_e32 v2, 0x71, v19
	v_cmp_eq_u32_e32 vcc_lo, 0, v19
	v_dual_cndmask_b32 v2, 0, v2, s13 :: v_dual_cndmask_b32 v0, v3, v0, vcc_lo
	s_delay_alu instid0(VALU_DEP_1) | instskip(NEXT) | instid1(VALU_DEP_1)
	v_cndmask_b32_e64 v29, v2, 0x70, vcc_lo
	v_dual_add_nc_u32 v2, 21, v29 :: v_dual_add_nc_u32 v36, 20, v29
	s_delay_alu instid0(VALU_DEP_1) | instskip(NEXT) | instid1(VALU_DEP_2)
	v_lshlrev_b64_e64 v[2:3], v2, -1
	v_lshlrev_b64_e64 v[36:37], v36, 1
	s_delay_alu instid0(VALU_DEP_2) | instskip(SKIP_1) | instid1(VALU_DEP_4)
	v_bfi_b32 v2, v2, 0, v0
	v_lshrrev_b64 v[0:1], v29, v[0:1]
	v_bfi_b32 v3, v3, 0, 0
	s_delay_alu instid0(VALU_DEP_1) | instskip(NEXT) | instid1(VALU_DEP_3)
	v_cmp_eq_u64_e64 s13, v[2:3], v[36:37]
	v_mov_b64_e32 v[2:3], v[0:1]
	s_and_saveexec_b32 s75, s13
; %bb.21933:                            ;   in Loop: Header=BB6_19757 Depth=3
	v_bfe_u32 v2, v0, 21, 1
	v_mov_b32_e32 v3, v113
	s_delay_alu instid0(VALU_DEP_1) | instskip(NEXT) | instid1(VALU_DEP_1)
	v_add_nc_u64_e32 v[2:3], v[0:1], v[2:3]
	v_add_nc_u64_e32 v[2:3], -1, v[2:3]
; %bb.21934:                            ;   in Loop: Header=BB6_19757 Depth=3
	s_or_b32 exec_lo, exec_lo, s75
	v_add_nc_u32_e32 v1, 0xffffff81, v19
	v_lshrrev_b32_e32 v3, 23, v0
	s_mov_b32 s13, exec_lo
	s_delay_alu instid0(VALU_DEP_2) | instskip(NEXT) | instid1(VALU_DEP_1)
	v_cndmask_b32_e64 v1, v1, 0xffffff82, vcc_lo
	v_add3_u32 v19, v29, v1, v3
	v_and_b32_e32 v1, 0x1fffff, v2
                                        ; implicit-def: $vgpr2
	s_delay_alu instid0(VALU_DEP_1) | instskip(SKIP_1) | instid1(VALU_DEP_2)
	v_dual_add_nc_u32 v3, 14, v19 :: v_dual_add_nc_u32 v0, v1, v0
	v_mov_b32_e32 v1, v113
	v_cmpx_ne_u32_e32 0, v3
	s_xor_b32 s13, exec_lo, s13
; %bb.21935:                            ;   in Loop: Header=BB6_19757 Depth=3
	s_delay_alu instid0(VALU_DEP_2) | instskip(SKIP_1) | instid1(VALU_DEP_1)
	v_cmp_lt_u64_e32 vcc_lo, 0xffffff, v[0:1]
	v_add_nc_u32_e32 v2, 15, v19
	v_cndmask_b32_e32 v2, v3, v2, vcc_lo
	v_cndmask_b32_e64 v3, 0, 1, vcc_lo
	s_delay_alu instid0(VALU_DEP_1)
	v_lshrrev_b64 v[0:1], v3, v[0:1]
; %bb.21936:                            ;   in Loop: Header=BB6_19757 Depth=3
	s_and_not1_saveexec_b32 s13, s13
; %bb.21937:                            ;   in Loop: Header=BB6_19757 Depth=3
	s_delay_alu instid0(VALU_DEP_1)
	v_bfe_u32 v2, v0, 23, 1
; %bb.21938:                            ;   in Loop: Header=BB6_19757 Depth=3
	s_or_b32 exec_lo, exec_lo, s13
	s_delay_alu instid0(VALU_DEP_2) | instskip(NEXT) | instid1(VALU_DEP_2)
	v_lshrrev_b64 v[0:1], 21, v[0:1]
	v_cmp_gt_i32_e32 vcc_lo, 32, v2
	v_cmp_ne_u32_e64 s13, 0, v2
                                        ; implicit-def: $vgpr36
	s_delay_alu instid0(VALU_DEP_3) | instskip(NEXT) | instid1(VALU_DEP_1)
	v_dual_cndmask_b32 v1, 0, v1 :: v_dual_cndmask_b32 v0, 3, v0
	v_cmp_ne_u64_e32 vcc_lo, 0, v[0:1]
	s_or_b32 s13, s13, vcc_lo
	s_delay_alu instid0(SALU_CYCLE_1) | instskip(NEXT) | instid1(SALU_CYCLE_1)
	s_and_saveexec_b32 s75, s13
	s_xor_b32 s13, exec_lo, s75
; %bb.21939:                            ;   in Loop: Header=BB6_19757 Depth=3
	v_min_i32_e32 v1, 31, v2
	s_delay_alu instid0(VALU_DEP_1) | instskip(NEXT) | instid1(VALU_DEP_1)
	v_lshl_or_b32 v1, v1, 2, v5
                                        ; implicit-def: $vgpr5
	v_and_or_b32 v36, v0, 3, v1
; %bb.21940:                            ;   in Loop: Header=BB6_19757 Depth=3
	s_and_not1_saveexec_b32 s13, s13
; %bb.21941:                            ;   in Loop: Header=BB6_19757 Depth=3
	v_mov_b32_e32 v36, v5
; %bb.21942:                            ;   in Loop: Header=BB6_19757 Depth=3
	s_or_b32 exec_lo, exec_lo, s13
.LBB6_21943:                            ;   in Loop: Header=BB6_19757 Depth=3
	s_delay_alu instid0(SALU_CYCLE_1)
	s_or_b32 exec_lo, exec_lo, s74
                                        ; implicit-def: $vgpr5
.LBB6_21944:                            ;   in Loop: Header=BB6_19757 Depth=3
	s_and_not1_saveexec_b32 s13, s15
; %bb.21945:                            ;   in Loop: Header=BB6_19757 Depth=3
	v_or_b32_e32 v36, 0x7b, v5
; %bb.21946:                            ;   in Loop: Header=BB6_19757 Depth=3
	s_or_b32 exec_lo, exec_lo, s13
                                        ; implicit-def: $vgpr2
                                        ; implicit-def: $vgpr0_vgpr1
.LBB6_21947:                            ;   in Loop: Header=BB6_19757 Depth=3
	s_and_not1_saveexec_b32 s13, s14
	s_cbranch_execz .LBB6_21953
; %bb.21948:                            ;   in Loop: Header=BB6_19757 Depth=3
	s_mov_b32 s14, exec_lo
                                        ; implicit-def: $vgpr36
	v_cmpx_ne_u64_e32 0, v[0:1]
	s_xor_b32 s14, exec_lo, s14
; %bb.21949:                            ;   in Loop: Header=BB6_19757 Depth=3
	v_lshrrev_b32_e32 v0, 24, v2
                                        ; implicit-def: $vgpr2
	s_delay_alu instid0(VALU_DEP_1)
	v_or_b32_e32 v36, 0x7f, v0
; %bb.21950:                            ;   in Loop: Header=BB6_19757 Depth=3
	s_and_not1_saveexec_b32 s14, s14
; %bb.21951:                            ;   in Loop: Header=BB6_19757 Depth=3
	v_cmp_lt_i32_e32 vcc_lo, -1, v2
	v_cndmask_b32_e64 v36, -4, 0x7c, vcc_lo
; %bb.21952:                            ;   in Loop: Header=BB6_19757 Depth=3
	s_or_b32 exec_lo, exec_lo, s14
.LBB6_21953:                            ;   in Loop: Header=BB6_19757 Depth=3
	s_delay_alu instid0(SALU_CYCLE_1)
	s_or_b32 exec_lo, exec_lo, s13
	scratch_load_b64 v[0:1], off, s33 offset:256 ; 8-byte Folded Reload
	s_mov_b32 s14, exec_lo
	s_wait_loadcnt 0x0
	v_mov_b32_e32 v1, 0
	v_and_b32_e32 v3, 0xff, v0
	v_mov_b32_e32 v0, 0
	s_wait_xcnt 0x0
	s_delay_alu instid0(VALU_DEP_2)
	v_cmpx_ne_u16_e32 0, v3
	s_cbranch_execz .LBB6_21963
; %bb.21954:                            ;   in Loop: Header=BB6_19757 Depth=3
	v_bfrev_b32_e32 v1, 1
	s_mov_b32 s15, exec_lo
	v_cmpx_ne_u16_e32 0x80, v3
	s_cbranch_execz .LBB6_21962
; %bb.21955:                            ;   in Loop: Header=BB6_19757 Depth=3
	scratch_load_b64 v[38:39], off, s33 offset:256 ; 8-byte Folded Reload
	s_wait_loadcnt 0x0
	v_mov_b32_e32 v2, v38
	s_delay_alu instid0(VALU_DEP_1) | instskip(SKIP_1) | instid1(VALU_DEP_2)
	v_and_b32_e32 v1, 0x7c, v2
	v_and_b32_e32 v2, 3, v2
	v_cmp_ne_u32_e32 vcc_lo, 0x7c, v1
                                        ; implicit-def: $vgpr1
	s_wait_xcnt 0x0
	s_and_saveexec_b32 s13, vcc_lo
	s_delay_alu instid0(SALU_CYCLE_1)
	s_xor_b32 s13, exec_lo, s13
	s_cbranch_execz .LBB6_21959
; %bb.21956:                            ;   in Loop: Header=BB6_19757 Depth=3
	v_bfe_u32 v1, v3, 2, 5
	s_mov_b32 s74, exec_lo
	s_delay_alu instid0(VALU_DEP_1)
	v_cmpx_eq_u32_e32 0, v1
	s_cbranch_execz .LBB6_21958
; %bb.21957:                            ;   in Loop: Header=BB6_19757 Depth=3
	scratch_load_b64 v[38:39], off, s33 offset:256 th:TH_LOAD_LU ; 8-byte Folded Reload
	v_clz_i32_u32_e32 v1, v2
	s_wait_loadcnt 0x0
	v_mov_b32_e32 v39, v113
	s_delay_alu instid0(VALU_DEP_2) | instskip(NEXT) | instid1(VALU_DEP_1)
	v_min_u32_e32 v1, 32, v1
	v_subrev_nc_u32_e32 v2, 29, v1
	v_mov_b32_e32 v52, v38
	s_delay_alu instid0(VALU_DEP_2)
	v_lshlrev_b64_e32 v[2:3], v2, v[38:39]
	v_sub_nc_u32_e32 v1, 30, v1
	scratch_store_b64 off, v[52:53], s33 offset:256 ; 8-byte Folded Spill
	v_and_b32_e32 v2, 3, v2
.LBB6_21958:                            ;   in Loop: Header=BB6_19757 Depth=3
	s_wait_xcnt 0x0
	s_or_b32 exec_lo, exec_lo, s74
	scratch_load_b64 v[38:39], off, s33 offset:256 th:TH_LOAD_LU ; 8-byte Folded Reload
	s_wait_loadcnt 0x0
	v_lshlrev_b32_e32 v3, 24, v38
                                        ; implicit-def: $vgpr38
	scratch_store_b64 off, v[38:39], s33 offset:256 ; 8-byte Folded Spill
	v_and_b32_e32 v3, 0x80000000, v3
	s_delay_alu instid0(VALU_DEP_1) | instskip(NEXT) | instid1(VALU_DEP_1)
	v_lshl_add_u32 v1, v1, 23, v3
	v_lshl_or_b32 v1, v2, 21, v1
                                        ; implicit-def: $vgpr2
	s_delay_alu instid0(VALU_DEP_1)
	v_add_nc_u32_e32 v1, 0x38000000, v1
.LBB6_21959:                            ;   in Loop: Header=BB6_19757 Depth=3
	s_wait_xcnt 0x0
	s_and_not1_saveexec_b32 s74, s13
	s_cbranch_execz .LBB6_21961
; %bb.21960:                            ;   in Loop: Header=BB6_19757 Depth=3
	v_cmp_eq_u32_e32 vcc_lo, 0, v2
	scratch_load_b64 v[2:3], off, s33 offset:256 th:TH_LOAD_LU ; 8-byte Folded Reload
	s_wait_loadcnt 0x0
	v_bfe_i32 v1, v2, 0, 8
	s_delay_alu instid0(VALU_DEP_1) | instskip(SKIP_1) | instid1(VALU_DEP_1)
	v_cmp_lt_i16_e64 s13, -1, v1
	v_mov_b32_e32 v1, 0x7f800000
	v_cndmask_b32_e64 v1, 0xff800000, v1, s13
	s_delay_alu instid0(VALU_DEP_1)
	v_cndmask_b32_e32 v1, 0x7f800001, v1, vcc_lo
.LBB6_21961:                            ;   in Loop: Header=BB6_19757 Depth=3
	s_wait_xcnt 0x0
	s_or_b32 exec_lo, exec_lo, s74
.LBB6_21962:                            ;   in Loop: Header=BB6_19757 Depth=3
	s_delay_alu instid0(SALU_CYCLE_1)
	s_or_b32 exec_lo, exec_lo, s15
.LBB6_21963:                            ;   in Loop: Header=BB6_19757 Depth=3
	s_delay_alu instid0(SALU_CYCLE_1) | instskip(NEXT) | instid1(SALU_CYCLE_1)
	s_or_b32 exec_lo, exec_lo, s14
	s_mov_b32 s14, exec_lo
	s_wait_dscnt 0x6
	v_cmpx_ne_u16_e32 0, v64
	s_cbranch_execz .LBB6_21973
; %bb.21964:                            ;   in Loop: Header=BB6_19757 Depth=3
	v_bfrev_b32_e32 v0, 1
	s_mov_b32 s15, exec_lo
	v_cmpx_ne_u16_e32 0xff80, v64
	s_cbranch_execz .LBB6_21972
; %bb.21965:                            ;   in Loop: Header=BB6_19757 Depth=3
	v_and_b32_e32 v0, 0x7c, v64
	v_and_b32_e32 v2, 3, v64
	s_delay_alu instid0(VALU_DEP_2) | instskip(SKIP_1) | instid1(SALU_CYCLE_1)
	v_cmp_ne_u32_e32 vcc_lo, 0x7c, v0
                                        ; implicit-def: $vgpr0
	s_and_saveexec_b32 s13, vcc_lo
	s_xor_b32 s13, exec_lo, s13
	s_cbranch_execz .LBB6_21969
; %bb.21966:                            ;   in Loop: Header=BB6_19757 Depth=3
	v_and_b32_e32 v0, 0xff, v64
	s_mov_b32 s74, exec_lo
	s_delay_alu instid0(VALU_DEP_1) | instskip(NEXT) | instid1(VALU_DEP_1)
	v_bfe_u32 v0, v0, 2, 5
	v_cmpx_eq_u32_e32 0, v0
	s_cbranch_execz .LBB6_21968
; %bb.21967:                            ;   in Loop: Header=BB6_19757 Depth=3
	v_clz_i32_u32_e32 v0, v2
	s_delay_alu instid0(VALU_DEP_1) | instskip(SKIP_1) | instid1(VALU_DEP_2)
	v_min_u32_e32 v0, 32, v0
	v_mov_b32_e32 v65, v113
	v_subrev_nc_u32_e32 v2, 29, v0
	v_sub_nc_u32_e32 v0, 30, v0
	s_delay_alu instid0(VALU_DEP_2) | instskip(NEXT) | instid1(VALU_DEP_1)
	v_lshlrev_b64_e32 v[2:3], v2, v[64:65]
	v_and_b32_e32 v2, 3, v2
.LBB6_21968:                            ;   in Loop: Header=BB6_19757 Depth=3
	s_or_b32 exec_lo, exec_lo, s74
	v_bfe_i32 v3, v64, 0, 16
                                        ; implicit-def: $vgpr64
	s_delay_alu instid0(VALU_DEP_1) | instskip(NEXT) | instid1(VALU_DEP_1)
	v_and_b32_e32 v3, 0x80000000, v3
	v_lshl_add_u32 v0, v0, 23, v3
	s_delay_alu instid0(VALU_DEP_1) | instskip(NEXT) | instid1(VALU_DEP_1)
	v_lshl_or_b32 v0, v2, 21, v0
                                        ; implicit-def: $vgpr2
	v_add_nc_u32_e32 v0, 0x38000000, v0
.LBB6_21969:                            ;   in Loop: Header=BB6_19757 Depth=3
	s_and_not1_saveexec_b32 s74, s13
; %bb.21970:                            ;   in Loop: Header=BB6_19757 Depth=3
	v_cmp_lt_i16_e64 s13, -1, v64
	v_mov_b32_e32 v0, 0x7f800000
	v_cmp_eq_u32_e32 vcc_lo, 0, v2
	s_delay_alu instid0(VALU_DEP_2) | instskip(NEXT) | instid1(VALU_DEP_1)
	v_cndmask_b32_e64 v0, 0xff800000, v0, s13
	v_cndmask_b32_e32 v0, 0x7f800001, v0, vcc_lo
; %bb.21971:                            ;   in Loop: Header=BB6_19757 Depth=3
	s_or_b32 exec_lo, exec_lo, s74
.LBB6_21972:                            ;   in Loop: Header=BB6_19757 Depth=3
	s_delay_alu instid0(SALU_CYCLE_1)
	s_or_b32 exec_lo, exec_lo, s15
.LBB6_21973:                            ;   in Loop: Header=BB6_19757 Depth=3
	s_delay_alu instid0(SALU_CYCLE_1) | instskip(NEXT) | instid1(VALU_DEP_1)
	s_or_b32 exec_lo, exec_lo, s14
	v_add_f32_e32 v2, v1, v0
	v_mov_b32_e32 v1, v113
                                        ; implicit-def: $vgpr37
	s_delay_alu instid0(VALU_DEP_2) | instskip(NEXT) | instid1(VALU_DEP_1)
	v_and_b32_e32 v0, 0x7f800000, v2
	v_cmp_ne_u64_e32 vcc_lo, 0x7f800000, v[0:1]
	v_and_b32_e32 v0, 0x7fffff, v2
	s_and_saveexec_b32 s13, vcc_lo
	s_delay_alu instid0(SALU_CYCLE_1)
	s_xor_b32 s14, exec_lo, s13
	s_cbranch_execz .LBB6_21991
; %bb.21974:                            ;   in Loop: Header=BB6_19757 Depth=3
	v_dual_mov_b32 v39, v113 :: v_dual_lshrrev_b32 v3, 24, v2
	v_and_b32_e32 v38, 0x7fffffff, v2
                                        ; implicit-def: $vgpr37
	s_mov_b32 s13, exec_lo
	s_delay_alu instid0(VALU_DEP_2) | instskip(NEXT) | instid1(VALU_DEP_2)
	v_and_b32_e32 v5, 0x80, v3
	v_cmpx_gt_u64_e32 0x47600001, v[38:39]
	s_xor_b32 s15, exec_lo, s13
	s_cbranch_execz .LBB6_21988
; %bb.21975:                            ;   in Loop: Header=BB6_19757 Depth=3
	v_mov_b32_e32 v37, 0
	s_mov_b32 s74, exec_lo
	v_cmpx_ne_u32_e32 0, v2
	s_cbranch_execz .LBB6_21987
; %bb.21976:                            ;   in Loop: Header=BB6_19757 Depth=3
	v_bfe_u32 v19, v2, 23, 8
	v_or_b32_e32 v3, 0x800000, v0
	s_delay_alu instid0(VALU_DEP_2) | instskip(SKIP_2) | instid1(VALU_DEP_2)
	v_cmp_gt_u32_e64 s13, 0x72, v19
	v_sub_nc_u32_e32 v2, 0x71, v19
	v_cmp_eq_u32_e32 vcc_lo, 0, v19
	v_dual_cndmask_b32 v2, 0, v2, s13 :: v_dual_cndmask_b32 v0, v3, v0, vcc_lo
	s_delay_alu instid0(VALU_DEP_1) | instskip(NEXT) | instid1(VALU_DEP_1)
	v_cndmask_b32_e64 v29, v2, 0x70, vcc_lo
	v_dual_add_nc_u32 v2, 21, v29 :: v_dual_add_nc_u32 v37, 20, v29
	s_delay_alu instid0(VALU_DEP_1) | instskip(NEXT) | instid1(VALU_DEP_2)
	v_lshlrev_b64_e64 v[2:3], v2, -1
	v_lshlrev_b64_e64 v[38:39], v37, 1
	s_delay_alu instid0(VALU_DEP_2) | instskip(SKIP_1) | instid1(VALU_DEP_4)
	v_bfi_b32 v2, v2, 0, v0
	v_lshrrev_b64 v[0:1], v29, v[0:1]
	v_bfi_b32 v3, v3, 0, 0
	s_delay_alu instid0(VALU_DEP_1) | instskip(NEXT) | instid1(VALU_DEP_3)
	v_cmp_eq_u64_e64 s13, v[2:3], v[38:39]
	v_mov_b64_e32 v[2:3], v[0:1]
	s_and_saveexec_b32 s75, s13
; %bb.21977:                            ;   in Loop: Header=BB6_19757 Depth=3
	v_bfe_u32 v2, v0, 21, 1
	v_mov_b32_e32 v3, v113
	s_delay_alu instid0(VALU_DEP_1) | instskip(NEXT) | instid1(VALU_DEP_1)
	v_add_nc_u64_e32 v[2:3], v[0:1], v[2:3]
	v_add_nc_u64_e32 v[2:3], -1, v[2:3]
; %bb.21978:                            ;   in Loop: Header=BB6_19757 Depth=3
	s_or_b32 exec_lo, exec_lo, s75
	v_add_nc_u32_e32 v1, 0xffffff81, v19
	v_lshrrev_b32_e32 v3, 23, v0
	s_mov_b32 s13, exec_lo
	s_delay_alu instid0(VALU_DEP_2) | instskip(NEXT) | instid1(VALU_DEP_1)
	v_cndmask_b32_e64 v1, v1, 0xffffff82, vcc_lo
	v_add3_u32 v19, v29, v1, v3
	v_and_b32_e32 v1, 0x1fffff, v2
                                        ; implicit-def: $vgpr2
	s_delay_alu instid0(VALU_DEP_1) | instskip(SKIP_1) | instid1(VALU_DEP_2)
	v_dual_add_nc_u32 v3, 14, v19 :: v_dual_add_nc_u32 v0, v1, v0
	v_mov_b32_e32 v1, v113
	v_cmpx_ne_u32_e32 0, v3
	s_xor_b32 s13, exec_lo, s13
; %bb.21979:                            ;   in Loop: Header=BB6_19757 Depth=3
	s_delay_alu instid0(VALU_DEP_2) | instskip(SKIP_1) | instid1(VALU_DEP_1)
	v_cmp_lt_u64_e32 vcc_lo, 0xffffff, v[0:1]
	v_add_nc_u32_e32 v2, 15, v19
	v_cndmask_b32_e32 v2, v3, v2, vcc_lo
	v_cndmask_b32_e64 v3, 0, 1, vcc_lo
	s_delay_alu instid0(VALU_DEP_1)
	v_lshrrev_b64 v[0:1], v3, v[0:1]
; %bb.21980:                            ;   in Loop: Header=BB6_19757 Depth=3
	s_and_not1_saveexec_b32 s13, s13
; %bb.21981:                            ;   in Loop: Header=BB6_19757 Depth=3
	s_delay_alu instid0(VALU_DEP_1)
	v_bfe_u32 v2, v0, 23, 1
; %bb.21982:                            ;   in Loop: Header=BB6_19757 Depth=3
	s_or_b32 exec_lo, exec_lo, s13
	s_delay_alu instid0(VALU_DEP_2) | instskip(NEXT) | instid1(VALU_DEP_2)
	v_lshrrev_b64 v[0:1], 21, v[0:1]
	v_cmp_gt_i32_e32 vcc_lo, 32, v2
	v_cmp_ne_u32_e64 s13, 0, v2
                                        ; implicit-def: $vgpr37
	s_delay_alu instid0(VALU_DEP_3) | instskip(NEXT) | instid1(VALU_DEP_1)
	v_dual_cndmask_b32 v1, 0, v1 :: v_dual_cndmask_b32 v0, 3, v0
	v_cmp_ne_u64_e32 vcc_lo, 0, v[0:1]
	s_or_b32 s13, s13, vcc_lo
	s_delay_alu instid0(SALU_CYCLE_1) | instskip(NEXT) | instid1(SALU_CYCLE_1)
	s_and_saveexec_b32 s75, s13
	s_xor_b32 s13, exec_lo, s75
; %bb.21983:                            ;   in Loop: Header=BB6_19757 Depth=3
	v_min_i32_e32 v1, 31, v2
	s_delay_alu instid0(VALU_DEP_1) | instskip(NEXT) | instid1(VALU_DEP_1)
	v_lshl_or_b32 v1, v1, 2, v5
                                        ; implicit-def: $vgpr5
	v_and_or_b32 v37, v0, 3, v1
; %bb.21984:                            ;   in Loop: Header=BB6_19757 Depth=3
	s_and_not1_saveexec_b32 s13, s13
; %bb.21985:                            ;   in Loop: Header=BB6_19757 Depth=3
	v_mov_b32_e32 v37, v5
; %bb.21986:                            ;   in Loop: Header=BB6_19757 Depth=3
	s_or_b32 exec_lo, exec_lo, s13
.LBB6_21987:                            ;   in Loop: Header=BB6_19757 Depth=3
	s_delay_alu instid0(SALU_CYCLE_1)
	s_or_b32 exec_lo, exec_lo, s74
                                        ; implicit-def: $vgpr5
.LBB6_21988:                            ;   in Loop: Header=BB6_19757 Depth=3
	s_and_not1_saveexec_b32 s13, s15
; %bb.21989:                            ;   in Loop: Header=BB6_19757 Depth=3
	v_or_b32_e32 v37, 0x7b, v5
; %bb.21990:                            ;   in Loop: Header=BB6_19757 Depth=3
	s_or_b32 exec_lo, exec_lo, s13
                                        ; implicit-def: $vgpr2
                                        ; implicit-def: $vgpr0_vgpr1
.LBB6_21991:                            ;   in Loop: Header=BB6_19757 Depth=3
	s_and_not1_saveexec_b32 s13, s14
	s_cbranch_execz .LBB6_21997
; %bb.21992:                            ;   in Loop: Header=BB6_19757 Depth=3
	s_mov_b32 s14, exec_lo
                                        ; implicit-def: $vgpr37
	v_cmpx_ne_u64_e32 0, v[0:1]
	s_xor_b32 s14, exec_lo, s14
; %bb.21993:                            ;   in Loop: Header=BB6_19757 Depth=3
	v_lshrrev_b32_e32 v0, 24, v2
                                        ; implicit-def: $vgpr2
	s_delay_alu instid0(VALU_DEP_1)
	v_or_b32_e32 v37, 0x7f, v0
; %bb.21994:                            ;   in Loop: Header=BB6_19757 Depth=3
	s_and_not1_saveexec_b32 s14, s14
; %bb.21995:                            ;   in Loop: Header=BB6_19757 Depth=3
	v_cmp_lt_i32_e32 vcc_lo, -1, v2
	v_cndmask_b32_e64 v37, -4, 0x7c, vcc_lo
; %bb.21996:                            ;   in Loop: Header=BB6_19757 Depth=3
	s_or_b32 exec_lo, exec_lo, s14
.LBB6_21997:                            ;   in Loop: Header=BB6_19757 Depth=3
	s_delay_alu instid0(SALU_CYCLE_1)
	s_or_b32 exec_lo, exec_lo, s13
	scratch_load_b64 v[0:1], off, s33 offset:248 ; 8-byte Folded Reload
	s_mov_b32 s14, exec_lo
	s_wait_loadcnt 0x0
	v_mov_b32_e32 v1, 0
	v_and_b32_e32 v3, 0xff, v0
	v_mov_b32_e32 v0, 0
	s_wait_xcnt 0x0
	s_delay_alu instid0(VALU_DEP_2)
	v_cmpx_ne_u16_e32 0, v3
	s_cbranch_execz .LBB6_22007
; %bb.21998:                            ;   in Loop: Header=BB6_19757 Depth=3
	v_bfrev_b32_e32 v1, 1
	s_mov_b32 s15, exec_lo
	v_cmpx_ne_u16_e32 0x80, v3
	s_cbranch_execz .LBB6_22006
; %bb.21999:                            ;   in Loop: Header=BB6_19757 Depth=3
	scratch_load_b64 v[38:39], off, s33 offset:248 ; 8-byte Folded Reload
	s_wait_loadcnt 0x0
	v_mov_b32_e32 v2, v38
	s_delay_alu instid0(VALU_DEP_1) | instskip(SKIP_1) | instid1(VALU_DEP_2)
	v_and_b32_e32 v1, 0x7c, v2
	v_and_b32_e32 v2, 3, v2
	v_cmp_ne_u32_e32 vcc_lo, 0x7c, v1
                                        ; implicit-def: $vgpr1
	s_wait_xcnt 0x0
	s_and_saveexec_b32 s13, vcc_lo
	s_delay_alu instid0(SALU_CYCLE_1)
	s_xor_b32 s13, exec_lo, s13
	s_cbranch_execz .LBB6_22003
; %bb.22000:                            ;   in Loop: Header=BB6_19757 Depth=3
	v_bfe_u32 v1, v3, 2, 5
	s_mov_b32 s74, exec_lo
	s_delay_alu instid0(VALU_DEP_1)
	v_cmpx_eq_u32_e32 0, v1
	s_cbranch_execz .LBB6_22002
; %bb.22001:                            ;   in Loop: Header=BB6_19757 Depth=3
	scratch_load_b64 v[38:39], off, s33 offset:248 th:TH_LOAD_LU ; 8-byte Folded Reload
	v_clz_i32_u32_e32 v1, v2
	s_wait_loadcnt 0x0
	v_mov_b32_e32 v39, v113
	s_delay_alu instid0(VALU_DEP_2) | instskip(NEXT) | instid1(VALU_DEP_1)
	v_min_u32_e32 v1, 32, v1
	v_subrev_nc_u32_e32 v2, 29, v1
	v_mov_b32_e32 v52, v38
	s_delay_alu instid0(VALU_DEP_2)
	v_lshlrev_b64_e32 v[2:3], v2, v[38:39]
	v_sub_nc_u32_e32 v1, 30, v1
	scratch_store_b64 off, v[52:53], s33 offset:248 ; 8-byte Folded Spill
	v_and_b32_e32 v2, 3, v2
.LBB6_22002:                            ;   in Loop: Header=BB6_19757 Depth=3
	s_wait_xcnt 0x0
	s_or_b32 exec_lo, exec_lo, s74
	scratch_load_b64 v[38:39], off, s33 offset:248 th:TH_LOAD_LU ; 8-byte Folded Reload
	s_wait_loadcnt 0x0
	v_lshlrev_b32_e32 v3, 24, v38
                                        ; implicit-def: $vgpr38
	scratch_store_b64 off, v[38:39], s33 offset:248 ; 8-byte Folded Spill
	v_and_b32_e32 v3, 0x80000000, v3
	s_delay_alu instid0(VALU_DEP_1) | instskip(NEXT) | instid1(VALU_DEP_1)
	v_lshl_add_u32 v1, v1, 23, v3
	v_lshl_or_b32 v1, v2, 21, v1
                                        ; implicit-def: $vgpr2
	s_delay_alu instid0(VALU_DEP_1)
	v_add_nc_u32_e32 v1, 0x38000000, v1
.LBB6_22003:                            ;   in Loop: Header=BB6_19757 Depth=3
	s_wait_xcnt 0x0
	s_and_not1_saveexec_b32 s74, s13
	s_cbranch_execz .LBB6_22005
; %bb.22004:                            ;   in Loop: Header=BB6_19757 Depth=3
	v_cmp_eq_u32_e32 vcc_lo, 0, v2
	scratch_load_b64 v[2:3], off, s33 offset:248 th:TH_LOAD_LU ; 8-byte Folded Reload
	s_wait_loadcnt 0x0
	v_bfe_i32 v1, v2, 0, 8
	s_delay_alu instid0(VALU_DEP_1) | instskip(SKIP_1) | instid1(VALU_DEP_1)
	v_cmp_lt_i16_e64 s13, -1, v1
	v_mov_b32_e32 v1, 0x7f800000
	v_cndmask_b32_e64 v1, 0xff800000, v1, s13
	s_delay_alu instid0(VALU_DEP_1)
	v_cndmask_b32_e32 v1, 0x7f800001, v1, vcc_lo
.LBB6_22005:                            ;   in Loop: Header=BB6_19757 Depth=3
	s_wait_xcnt 0x0
	s_or_b32 exec_lo, exec_lo, s74
.LBB6_22006:                            ;   in Loop: Header=BB6_19757 Depth=3
	s_delay_alu instid0(SALU_CYCLE_1)
	s_or_b32 exec_lo, exec_lo, s15
.LBB6_22007:                            ;   in Loop: Header=BB6_19757 Depth=3
	s_delay_alu instid0(SALU_CYCLE_1) | instskip(NEXT) | instid1(SALU_CYCLE_1)
	s_or_b32 exec_lo, exec_lo, s14
	s_mov_b32 s14, exec_lo
	s_wait_dscnt 0x5
	v_cmpx_ne_u16_e32 0, v4
	s_cbranch_execz .LBB6_22017
; %bb.22008:                            ;   in Loop: Header=BB6_19757 Depth=3
	v_bfrev_b32_e32 v0, 1
	s_mov_b32 s15, exec_lo
	v_cmpx_ne_u16_e32 0xff80, v4
	s_cbranch_execz .LBB6_22016
; %bb.22009:                            ;   in Loop: Header=BB6_19757 Depth=3
	v_and_b32_e32 v0, 0x7c, v4
	v_and_b32_e32 v2, 3, v4
	s_delay_alu instid0(VALU_DEP_2) | instskip(SKIP_1) | instid1(SALU_CYCLE_1)
	v_cmp_ne_u32_e32 vcc_lo, 0x7c, v0
                                        ; implicit-def: $vgpr0
	s_and_saveexec_b32 s13, vcc_lo
	s_xor_b32 s13, exec_lo, s13
	s_cbranch_execz .LBB6_22013
; %bb.22010:                            ;   in Loop: Header=BB6_19757 Depth=3
	v_and_b32_e32 v0, 0xff, v4
	s_mov_b32 s74, exec_lo
	s_delay_alu instid0(VALU_DEP_1) | instskip(NEXT) | instid1(VALU_DEP_1)
	v_bfe_u32 v0, v0, 2, 5
	v_cmpx_eq_u32_e32 0, v0
	s_cbranch_execz .LBB6_22012
; %bb.22011:                            ;   in Loop: Header=BB6_19757 Depth=3
	v_clz_i32_u32_e32 v0, v2
	s_delay_alu instid0(VALU_DEP_1) | instskip(SKIP_1) | instid1(VALU_DEP_2)
	v_min_u32_e32 v0, 32, v0
	v_mov_b32_e32 v5, v113
	v_subrev_nc_u32_e32 v2, 29, v0
	v_sub_nc_u32_e32 v0, 30, v0
	s_delay_alu instid0(VALU_DEP_2) | instskip(NEXT) | instid1(VALU_DEP_1)
	v_lshlrev_b64_e32 v[2:3], v2, v[4:5]
	v_and_b32_e32 v2, 3, v2
.LBB6_22012:                            ;   in Loop: Header=BB6_19757 Depth=3
	s_or_b32 exec_lo, exec_lo, s74
	v_bfe_i32 v3, v4, 0, 16
                                        ; implicit-def: $vgpr4
	s_delay_alu instid0(VALU_DEP_1) | instskip(NEXT) | instid1(VALU_DEP_1)
	v_and_b32_e32 v3, 0x80000000, v3
	v_lshl_add_u32 v0, v0, 23, v3
	s_delay_alu instid0(VALU_DEP_1) | instskip(NEXT) | instid1(VALU_DEP_1)
	v_lshl_or_b32 v0, v2, 21, v0
                                        ; implicit-def: $vgpr2
	v_add_nc_u32_e32 v0, 0x38000000, v0
.LBB6_22013:                            ;   in Loop: Header=BB6_19757 Depth=3
	s_and_not1_saveexec_b32 s74, s13
; %bb.22014:                            ;   in Loop: Header=BB6_19757 Depth=3
	v_cmp_lt_i16_e64 s13, -1, v4
	v_mov_b32_e32 v0, 0x7f800000
	v_cmp_eq_u32_e32 vcc_lo, 0, v2
	s_delay_alu instid0(VALU_DEP_2) | instskip(NEXT) | instid1(VALU_DEP_1)
	v_cndmask_b32_e64 v0, 0xff800000, v0, s13
	v_cndmask_b32_e32 v0, 0x7f800001, v0, vcc_lo
; %bb.22015:                            ;   in Loop: Header=BB6_19757 Depth=3
	s_or_b32 exec_lo, exec_lo, s74
.LBB6_22016:                            ;   in Loop: Header=BB6_19757 Depth=3
	s_delay_alu instid0(SALU_CYCLE_1)
	s_or_b32 exec_lo, exec_lo, s15
.LBB6_22017:                            ;   in Loop: Header=BB6_19757 Depth=3
	s_delay_alu instid0(SALU_CYCLE_1) | instskip(NEXT) | instid1(VALU_DEP_1)
	s_or_b32 exec_lo, exec_lo, s14
	v_add_f32_e32 v2, v1, v0
	v_mov_b32_e32 v1, v113
                                        ; implicit-def: $vgpr4
	s_delay_alu instid0(VALU_DEP_2) | instskip(NEXT) | instid1(VALU_DEP_1)
	v_and_b32_e32 v0, 0x7f800000, v2
	v_cmp_ne_u64_e32 vcc_lo, 0x7f800000, v[0:1]
	v_and_b32_e32 v0, 0x7fffff, v2
	s_and_saveexec_b32 s13, vcc_lo
	s_delay_alu instid0(SALU_CYCLE_1)
	s_xor_b32 s14, exec_lo, s13
	s_cbranch_execz .LBB6_22035
; %bb.22018:                            ;   in Loop: Header=BB6_19757 Depth=3
	v_and_b32_e32 v4, 0x7fffffff, v2
	v_dual_mov_b32 v5, v113 :: v_dual_lshrrev_b32 v3, 24, v2
	s_delay_alu instid0(VALU_DEP_1) | instskip(NEXT) | instid1(VALU_DEP_2)
	v_cmp_gt_u64_e32 vcc_lo, 0x47600001, v[4:5]
	v_and_b32_e32 v5, 0x80, v3
                                        ; implicit-def: $vgpr4
	s_and_saveexec_b32 s13, vcc_lo
	s_delay_alu instid0(SALU_CYCLE_1)
	s_xor_b32 s15, exec_lo, s13
	s_cbranch_execz .LBB6_22032
; %bb.22019:                            ;   in Loop: Header=BB6_19757 Depth=3
	v_mov_b32_e32 v4, 0
	s_mov_b32 s74, exec_lo
	v_cmpx_ne_u32_e32 0, v2
	s_cbranch_execz .LBB6_22031
; %bb.22020:                            ;   in Loop: Header=BB6_19757 Depth=3
	v_bfe_u32 v4, v2, 23, 8
	v_or_b32_e32 v3, 0x800000, v0
	s_delay_alu instid0(VALU_DEP_2) | instskip(SKIP_2) | instid1(VALU_DEP_2)
	v_cmp_gt_u32_e64 s13, 0x72, v4
	v_sub_nc_u32_e32 v2, 0x71, v4
	v_cmp_eq_u32_e32 vcc_lo, 0, v4
	v_dual_cndmask_b32 v2, 0, v2, s13 :: v_dual_cndmask_b32 v0, v3, v0, vcc_lo
	s_delay_alu instid0(VALU_DEP_1) | instskip(NEXT) | instid1(VALU_DEP_1)
	v_cndmask_b32_e64 v19, v2, 0x70, vcc_lo
	v_dual_add_nc_u32 v2, 21, v19 :: v_dual_add_nc_u32 v29, 20, v19
	s_delay_alu instid0(VALU_DEP_1) | instskip(NEXT) | instid1(VALU_DEP_2)
	v_lshlrev_b64_e64 v[2:3], v2, -1
	v_lshlrev_b64_e64 v[38:39], v29, 1
	s_delay_alu instid0(VALU_DEP_2) | instskip(SKIP_1) | instid1(VALU_DEP_4)
	v_bfi_b32 v2, v2, 0, v0
	v_lshrrev_b64 v[0:1], v19, v[0:1]
	v_bfi_b32 v3, v3, 0, 0
	s_delay_alu instid0(VALU_DEP_1) | instskip(NEXT) | instid1(VALU_DEP_3)
	v_cmp_eq_u64_e64 s13, v[2:3], v[38:39]
	v_mov_b64_e32 v[2:3], v[0:1]
	s_and_saveexec_b32 s75, s13
; %bb.22021:                            ;   in Loop: Header=BB6_19757 Depth=3
	v_bfe_u32 v2, v0, 21, 1
	v_mov_b32_e32 v3, v113
	s_delay_alu instid0(VALU_DEP_1) | instskip(NEXT) | instid1(VALU_DEP_1)
	v_add_nc_u64_e32 v[2:3], v[0:1], v[2:3]
	v_add_nc_u64_e32 v[2:3], -1, v[2:3]
; %bb.22022:                            ;   in Loop: Header=BB6_19757 Depth=3
	s_or_b32 exec_lo, exec_lo, s75
	v_add_nc_u32_e32 v1, 0xffffff81, v4
	v_lshrrev_b32_e32 v3, 23, v0
	s_mov_b32 s13, exec_lo
	s_delay_alu instid0(VALU_DEP_2) | instskip(NEXT) | instid1(VALU_DEP_1)
	v_cndmask_b32_e64 v1, v1, 0xffffff82, vcc_lo
	v_add3_u32 v4, v19, v1, v3
	v_and_b32_e32 v1, 0x1fffff, v2
                                        ; implicit-def: $vgpr2
	s_delay_alu instid0(VALU_DEP_2) | instskip(NEXT) | instid1(VALU_DEP_2)
	v_add_nc_u32_e32 v3, 14, v4
	v_add_nc_u32_e32 v0, v1, v0
	v_mov_b32_e32 v1, v113
	s_delay_alu instid0(VALU_DEP_3)
	v_cmpx_ne_u32_e32 0, v3
	s_xor_b32 s13, exec_lo, s13
; %bb.22023:                            ;   in Loop: Header=BB6_19757 Depth=3
	s_delay_alu instid0(VALU_DEP_2) | instskip(SKIP_1) | instid1(VALU_DEP_1)
	v_cmp_lt_u64_e32 vcc_lo, 0xffffff, v[0:1]
	v_add_nc_u32_e32 v2, 15, v4
	v_cndmask_b32_e32 v2, v3, v2, vcc_lo
	v_cndmask_b32_e64 v3, 0, 1, vcc_lo
	s_delay_alu instid0(VALU_DEP_1)
	v_lshrrev_b64 v[0:1], v3, v[0:1]
; %bb.22024:                            ;   in Loop: Header=BB6_19757 Depth=3
	s_and_not1_saveexec_b32 s13, s13
; %bb.22025:                            ;   in Loop: Header=BB6_19757 Depth=3
	s_delay_alu instid0(VALU_DEP_1)
	v_bfe_u32 v2, v0, 23, 1
; %bb.22026:                            ;   in Loop: Header=BB6_19757 Depth=3
	s_or_b32 exec_lo, exec_lo, s13
	s_delay_alu instid0(VALU_DEP_2) | instskip(NEXT) | instid1(VALU_DEP_2)
	v_lshrrev_b64 v[0:1], 21, v[0:1]
	v_cmp_gt_i32_e32 vcc_lo, 32, v2
	v_cmp_ne_u32_e64 s13, 0, v2
                                        ; implicit-def: $vgpr4
	s_delay_alu instid0(VALU_DEP_3) | instskip(NEXT) | instid1(VALU_DEP_1)
	v_dual_cndmask_b32 v1, 0, v1 :: v_dual_cndmask_b32 v0, 3, v0
	v_cmp_ne_u64_e32 vcc_lo, 0, v[0:1]
	s_or_b32 s13, s13, vcc_lo
	s_delay_alu instid0(SALU_CYCLE_1) | instskip(NEXT) | instid1(SALU_CYCLE_1)
	s_and_saveexec_b32 s75, s13
	s_xor_b32 s13, exec_lo, s75
; %bb.22027:                            ;   in Loop: Header=BB6_19757 Depth=3
	v_min_i32_e32 v1, 31, v2
	s_delay_alu instid0(VALU_DEP_1) | instskip(NEXT) | instid1(VALU_DEP_1)
	v_lshl_or_b32 v1, v1, 2, v5
                                        ; implicit-def: $vgpr5
	v_and_or_b32 v4, v0, 3, v1
; %bb.22028:                            ;   in Loop: Header=BB6_19757 Depth=3
	s_and_not1_saveexec_b32 s13, s13
; %bb.22029:                            ;   in Loop: Header=BB6_19757 Depth=3
	v_mov_b32_e32 v4, v5
; %bb.22030:                            ;   in Loop: Header=BB6_19757 Depth=3
	s_or_b32 exec_lo, exec_lo, s13
.LBB6_22031:                            ;   in Loop: Header=BB6_19757 Depth=3
	s_delay_alu instid0(SALU_CYCLE_1)
	s_or_b32 exec_lo, exec_lo, s74
                                        ; implicit-def: $vgpr5
.LBB6_22032:                            ;   in Loop: Header=BB6_19757 Depth=3
	s_and_not1_saveexec_b32 s13, s15
; %bb.22033:                            ;   in Loop: Header=BB6_19757 Depth=3
	v_or_b32_e32 v4, 0x7b, v5
; %bb.22034:                            ;   in Loop: Header=BB6_19757 Depth=3
	s_or_b32 exec_lo, exec_lo, s13
                                        ; implicit-def: $vgpr2
                                        ; implicit-def: $vgpr0_vgpr1
.LBB6_22035:                            ;   in Loop: Header=BB6_19757 Depth=3
	s_and_not1_saveexec_b32 s13, s14
	s_cbranch_execz .LBB6_22041
; %bb.22036:                            ;   in Loop: Header=BB6_19757 Depth=3
	s_mov_b32 s14, exec_lo
                                        ; implicit-def: $vgpr4
	v_cmpx_ne_u64_e32 0, v[0:1]
	s_xor_b32 s14, exec_lo, s14
; %bb.22037:                            ;   in Loop: Header=BB6_19757 Depth=3
	v_lshrrev_b32_e32 v0, 24, v2
                                        ; implicit-def: $vgpr2
	s_delay_alu instid0(VALU_DEP_1)
	v_or_b32_e32 v4, 0x7f, v0
; %bb.22038:                            ;   in Loop: Header=BB6_19757 Depth=3
	s_and_not1_saveexec_b32 s14, s14
; %bb.22039:                            ;   in Loop: Header=BB6_19757 Depth=3
	v_cmp_lt_i32_e32 vcc_lo, -1, v2
	v_cndmask_b32_e64 v4, -4, 0x7c, vcc_lo
; %bb.22040:                            ;   in Loop: Header=BB6_19757 Depth=3
	s_or_b32 exec_lo, exec_lo, s14
.LBB6_22041:                            ;   in Loop: Header=BB6_19757 Depth=3
	s_delay_alu instid0(SALU_CYCLE_1)
	s_or_b32 exec_lo, exec_lo, s13
	scratch_load_b64 v[0:1], off, s33 offset:240 ; 8-byte Folded Reload
	s_mov_b32 s14, exec_lo
	s_wait_loadcnt 0x0
	v_mov_b32_e32 v1, 0
	v_and_b32_e32 v3, 0xff, v0
	v_mov_b32_e32 v0, 0
	s_wait_xcnt 0x0
	s_delay_alu instid0(VALU_DEP_2)
	v_cmpx_ne_u16_e32 0, v3
	s_cbranch_execz .LBB6_22051
; %bb.22042:                            ;   in Loop: Header=BB6_19757 Depth=3
	v_bfrev_b32_e32 v1, 1
	s_mov_b32 s15, exec_lo
	v_cmpx_ne_u16_e32 0x80, v3
	s_cbranch_execz .LBB6_22050
; %bb.22043:                            ;   in Loop: Header=BB6_19757 Depth=3
	scratch_load_b64 v[38:39], off, s33 offset:240 ; 8-byte Folded Reload
	s_wait_loadcnt 0x0
	v_mov_b32_e32 v2, v38
	s_delay_alu instid0(VALU_DEP_1) | instskip(SKIP_1) | instid1(VALU_DEP_2)
	v_and_b32_e32 v1, 0x7c, v2
	v_and_b32_e32 v2, 3, v2
	v_cmp_ne_u32_e32 vcc_lo, 0x7c, v1
                                        ; implicit-def: $vgpr1
	s_wait_xcnt 0x0
	s_and_saveexec_b32 s13, vcc_lo
	s_delay_alu instid0(SALU_CYCLE_1)
	s_xor_b32 s13, exec_lo, s13
	s_cbranch_execz .LBB6_22047
; %bb.22044:                            ;   in Loop: Header=BB6_19757 Depth=3
	v_bfe_u32 v1, v3, 2, 5
	s_mov_b32 s74, exec_lo
	s_delay_alu instid0(VALU_DEP_1)
	v_cmpx_eq_u32_e32 0, v1
	s_cbranch_execz .LBB6_22046
; %bb.22045:                            ;   in Loop: Header=BB6_19757 Depth=3
	scratch_load_b64 v[38:39], off, s33 offset:240 th:TH_LOAD_LU ; 8-byte Folded Reload
	v_clz_i32_u32_e32 v1, v2
	s_wait_loadcnt 0x0
	v_mov_b32_e32 v39, v113
	s_delay_alu instid0(VALU_DEP_2) | instskip(NEXT) | instid1(VALU_DEP_1)
	v_min_u32_e32 v1, 32, v1
	v_subrev_nc_u32_e32 v2, 29, v1
	v_mov_b32_e32 v52, v38
	s_delay_alu instid0(VALU_DEP_2)
	v_lshlrev_b64_e32 v[2:3], v2, v[38:39]
	v_sub_nc_u32_e32 v1, 30, v1
	scratch_store_b64 off, v[52:53], s33 offset:240 ; 8-byte Folded Spill
	v_and_b32_e32 v2, 3, v2
.LBB6_22046:                            ;   in Loop: Header=BB6_19757 Depth=3
	s_wait_xcnt 0x0
	s_or_b32 exec_lo, exec_lo, s74
	scratch_load_b64 v[38:39], off, s33 offset:240 th:TH_LOAD_LU ; 8-byte Folded Reload
	s_wait_loadcnt 0x0
	v_lshlrev_b32_e32 v3, 24, v38
                                        ; implicit-def: $vgpr38
	scratch_store_b64 off, v[38:39], s33 offset:240 ; 8-byte Folded Spill
	v_and_b32_e32 v3, 0x80000000, v3
	s_delay_alu instid0(VALU_DEP_1) | instskip(NEXT) | instid1(VALU_DEP_1)
	v_lshl_add_u32 v1, v1, 23, v3
	v_lshl_or_b32 v1, v2, 21, v1
                                        ; implicit-def: $vgpr2
	s_delay_alu instid0(VALU_DEP_1)
	v_add_nc_u32_e32 v1, 0x38000000, v1
.LBB6_22047:                            ;   in Loop: Header=BB6_19757 Depth=3
	s_wait_xcnt 0x0
	s_and_not1_saveexec_b32 s74, s13
	s_cbranch_execz .LBB6_22049
; %bb.22048:                            ;   in Loop: Header=BB6_19757 Depth=3
	v_cmp_eq_u32_e32 vcc_lo, 0, v2
	scratch_load_b64 v[2:3], off, s33 offset:240 th:TH_LOAD_LU ; 8-byte Folded Reload
	s_wait_loadcnt 0x0
	v_bfe_i32 v1, v2, 0, 8
	s_delay_alu instid0(VALU_DEP_1) | instskip(SKIP_1) | instid1(VALU_DEP_1)
	v_cmp_lt_i16_e64 s13, -1, v1
	v_mov_b32_e32 v1, 0x7f800000
	v_cndmask_b32_e64 v1, 0xff800000, v1, s13
	s_delay_alu instid0(VALU_DEP_1)
	v_cndmask_b32_e32 v1, 0x7f800001, v1, vcc_lo
.LBB6_22049:                            ;   in Loop: Header=BB6_19757 Depth=3
	s_wait_xcnt 0x0
	s_or_b32 exec_lo, exec_lo, s74
.LBB6_22050:                            ;   in Loop: Header=BB6_19757 Depth=3
	s_delay_alu instid0(SALU_CYCLE_1)
	s_or_b32 exec_lo, exec_lo, s15
.LBB6_22051:                            ;   in Loop: Header=BB6_19757 Depth=3
	s_delay_alu instid0(SALU_CYCLE_1) | instskip(NEXT) | instid1(SALU_CYCLE_1)
	s_or_b32 exec_lo, exec_lo, s14
	s_mov_b32 s14, exec_lo
	s_wait_dscnt 0x4
	v_cmpx_ne_u16_e32 0, v28
	s_cbranch_execz .LBB6_22061
; %bb.22052:                            ;   in Loop: Header=BB6_19757 Depth=3
	v_bfrev_b32_e32 v0, 1
	s_mov_b32 s15, exec_lo
	v_cmpx_ne_u16_e32 0xff80, v28
	s_cbranch_execz .LBB6_22060
; %bb.22053:                            ;   in Loop: Header=BB6_19757 Depth=3
	v_and_b32_e32 v0, 0x7c, v28
	v_and_b32_e32 v2, 3, v28
	s_delay_alu instid0(VALU_DEP_2) | instskip(SKIP_1) | instid1(SALU_CYCLE_1)
	v_cmp_ne_u32_e32 vcc_lo, 0x7c, v0
                                        ; implicit-def: $vgpr0
	s_and_saveexec_b32 s13, vcc_lo
	s_xor_b32 s13, exec_lo, s13
	s_cbranch_execz .LBB6_22057
; %bb.22054:                            ;   in Loop: Header=BB6_19757 Depth=3
	v_and_b32_e32 v0, 0xff, v28
	s_mov_b32 s74, exec_lo
	s_delay_alu instid0(VALU_DEP_1) | instskip(NEXT) | instid1(VALU_DEP_1)
	v_bfe_u32 v0, v0, 2, 5
	v_cmpx_eq_u32_e32 0, v0
	s_cbranch_execz .LBB6_22056
; %bb.22055:                            ;   in Loop: Header=BB6_19757 Depth=3
	v_clz_i32_u32_e32 v0, v2
	s_delay_alu instid0(VALU_DEP_1) | instskip(SKIP_1) | instid1(VALU_DEP_2)
	v_min_u32_e32 v0, 32, v0
	v_mov_b32_e32 v29, v113
	v_subrev_nc_u32_e32 v2, 29, v0
	v_sub_nc_u32_e32 v0, 30, v0
	s_delay_alu instid0(VALU_DEP_2) | instskip(NEXT) | instid1(VALU_DEP_1)
	v_lshlrev_b64_e32 v[2:3], v2, v[28:29]
	v_and_b32_e32 v2, 3, v2
.LBB6_22056:                            ;   in Loop: Header=BB6_19757 Depth=3
	s_or_b32 exec_lo, exec_lo, s74
	v_bfe_i32 v3, v28, 0, 16
                                        ; implicit-def: $vgpr28
	s_delay_alu instid0(VALU_DEP_1) | instskip(NEXT) | instid1(VALU_DEP_1)
	v_and_b32_e32 v3, 0x80000000, v3
	v_lshl_add_u32 v0, v0, 23, v3
	s_delay_alu instid0(VALU_DEP_1) | instskip(NEXT) | instid1(VALU_DEP_1)
	v_lshl_or_b32 v0, v2, 21, v0
                                        ; implicit-def: $vgpr2
	v_add_nc_u32_e32 v0, 0x38000000, v0
.LBB6_22057:                            ;   in Loop: Header=BB6_19757 Depth=3
	s_and_not1_saveexec_b32 s74, s13
; %bb.22058:                            ;   in Loop: Header=BB6_19757 Depth=3
	v_cmp_lt_i16_e64 s13, -1, v28
	v_mov_b32_e32 v0, 0x7f800000
	v_cmp_eq_u32_e32 vcc_lo, 0, v2
	s_delay_alu instid0(VALU_DEP_2) | instskip(NEXT) | instid1(VALU_DEP_1)
	v_cndmask_b32_e64 v0, 0xff800000, v0, s13
	v_cndmask_b32_e32 v0, 0x7f800001, v0, vcc_lo
; %bb.22059:                            ;   in Loop: Header=BB6_19757 Depth=3
	s_or_b32 exec_lo, exec_lo, s74
.LBB6_22060:                            ;   in Loop: Header=BB6_19757 Depth=3
	s_delay_alu instid0(SALU_CYCLE_1)
	s_or_b32 exec_lo, exec_lo, s15
.LBB6_22061:                            ;   in Loop: Header=BB6_19757 Depth=3
	s_delay_alu instid0(SALU_CYCLE_1) | instskip(NEXT) | instid1(VALU_DEP_1)
	s_or_b32 exec_lo, exec_lo, s14
	v_add_f32_e32 v2, v1, v0
	v_mov_b32_e32 v1, v113
                                        ; implicit-def: $vgpr5
	s_delay_alu instid0(VALU_DEP_2) | instskip(NEXT) | instid1(VALU_DEP_1)
	v_and_b32_e32 v0, 0x7f800000, v2
	v_cmp_ne_u64_e32 vcc_lo, 0x7f800000, v[0:1]
	v_and_b32_e32 v0, 0x7fffff, v2
	s_and_saveexec_b32 s13, vcc_lo
	s_delay_alu instid0(SALU_CYCLE_1)
	s_xor_b32 s14, exec_lo, s13
	s_cbranch_execz .LBB6_22079
; %bb.22062:                            ;   in Loop: Header=BB6_19757 Depth=3
	v_dual_mov_b32 v29, v113 :: v_dual_lshrrev_b32 v3, 24, v2
	v_and_b32_e32 v28, 0x7fffffff, v2
                                        ; implicit-def: $vgpr5
	s_mov_b32 s13, exec_lo
	s_delay_alu instid0(VALU_DEP_2) | instskip(NEXT) | instid1(VALU_DEP_2)
	v_and_b32_e32 v19, 0x80, v3
	v_cmpx_gt_u64_e32 0x47600001, v[28:29]
	s_xor_b32 s15, exec_lo, s13
	s_cbranch_execz .LBB6_22076
; %bb.22063:                            ;   in Loop: Header=BB6_19757 Depth=3
	v_mov_b32_e32 v5, 0
	s_mov_b32 s74, exec_lo
	v_cmpx_ne_u32_e32 0, v2
	s_cbranch_execz .LBB6_22075
; %bb.22064:                            ;   in Loop: Header=BB6_19757 Depth=3
	v_bfe_u32 v5, v2, 23, 8
	v_or_b32_e32 v3, 0x800000, v0
	s_delay_alu instid0(VALU_DEP_2) | instskip(SKIP_2) | instid1(VALU_DEP_2)
	v_cmp_gt_u32_e64 s13, 0x72, v5
	v_sub_nc_u32_e32 v2, 0x71, v5
	v_cmp_eq_u32_e32 vcc_lo, 0, v5
	v_dual_cndmask_b32 v2, 0, v2, s13 :: v_dual_cndmask_b32 v0, v3, v0, vcc_lo
	s_delay_alu instid0(VALU_DEP_1) | instskip(NEXT) | instid1(VALU_DEP_1)
	v_cndmask_b32_e64 v28, v2, 0x70, vcc_lo
	v_dual_add_nc_u32 v2, 21, v28 :: v_dual_add_nc_u32 v29, 20, v28
	s_delay_alu instid0(VALU_DEP_1) | instskip(NEXT) | instid1(VALU_DEP_2)
	v_lshlrev_b64_e64 v[2:3], v2, -1
	v_lshlrev_b64_e64 v[38:39], v29, 1
	s_delay_alu instid0(VALU_DEP_2) | instskip(SKIP_1) | instid1(VALU_DEP_4)
	v_bfi_b32 v2, v2, 0, v0
	v_lshrrev_b64 v[0:1], v28, v[0:1]
	v_bfi_b32 v3, v3, 0, 0
	s_delay_alu instid0(VALU_DEP_1) | instskip(NEXT) | instid1(VALU_DEP_3)
	v_cmp_eq_u64_e64 s13, v[2:3], v[38:39]
	v_mov_b64_e32 v[2:3], v[0:1]
	s_and_saveexec_b32 s75, s13
; %bb.22065:                            ;   in Loop: Header=BB6_19757 Depth=3
	v_bfe_u32 v2, v0, 21, 1
	v_mov_b32_e32 v3, v113
	s_delay_alu instid0(VALU_DEP_1) | instskip(NEXT) | instid1(VALU_DEP_1)
	v_add_nc_u64_e32 v[2:3], v[0:1], v[2:3]
	v_add_nc_u64_e32 v[2:3], -1, v[2:3]
; %bb.22066:                            ;   in Loop: Header=BB6_19757 Depth=3
	s_or_b32 exec_lo, exec_lo, s75
	v_add_nc_u32_e32 v1, 0xffffff81, v5
	v_lshrrev_b32_e32 v3, 23, v0
	s_mov_b32 s13, exec_lo
	s_delay_alu instid0(VALU_DEP_2) | instskip(NEXT) | instid1(VALU_DEP_1)
	v_cndmask_b32_e64 v1, v1, 0xffffff82, vcc_lo
	v_add3_u32 v5, v28, v1, v3
	v_and_b32_e32 v1, 0x1fffff, v2
                                        ; implicit-def: $vgpr2
	s_delay_alu instid0(VALU_DEP_1) | instskip(SKIP_1) | instid1(VALU_DEP_2)
	v_dual_add_nc_u32 v3, 14, v5 :: v_dual_add_nc_u32 v0, v1, v0
	v_mov_b32_e32 v1, v113
	v_cmpx_ne_u32_e32 0, v3
	s_xor_b32 s13, exec_lo, s13
; %bb.22067:                            ;   in Loop: Header=BB6_19757 Depth=3
	s_delay_alu instid0(VALU_DEP_2) | instskip(SKIP_1) | instid1(VALU_DEP_1)
	v_cmp_lt_u64_e32 vcc_lo, 0xffffff, v[0:1]
	v_add_nc_u32_e32 v2, 15, v5
	v_cndmask_b32_e32 v2, v3, v2, vcc_lo
	v_cndmask_b32_e64 v3, 0, 1, vcc_lo
	s_delay_alu instid0(VALU_DEP_1)
	v_lshrrev_b64 v[0:1], v3, v[0:1]
; %bb.22068:                            ;   in Loop: Header=BB6_19757 Depth=3
	s_and_not1_saveexec_b32 s13, s13
; %bb.22069:                            ;   in Loop: Header=BB6_19757 Depth=3
	s_delay_alu instid0(VALU_DEP_1)
	v_bfe_u32 v2, v0, 23, 1
; %bb.22070:                            ;   in Loop: Header=BB6_19757 Depth=3
	s_or_b32 exec_lo, exec_lo, s13
	s_delay_alu instid0(VALU_DEP_2) | instskip(NEXT) | instid1(VALU_DEP_2)
	v_lshrrev_b64 v[0:1], 21, v[0:1]
	v_cmp_gt_i32_e32 vcc_lo, 32, v2
	v_cmp_ne_u32_e64 s13, 0, v2
                                        ; implicit-def: $vgpr5
	s_delay_alu instid0(VALU_DEP_3) | instskip(NEXT) | instid1(VALU_DEP_1)
	v_dual_cndmask_b32 v1, 0, v1 :: v_dual_cndmask_b32 v0, 3, v0
	v_cmp_ne_u64_e32 vcc_lo, 0, v[0:1]
	s_or_b32 s13, s13, vcc_lo
	s_delay_alu instid0(SALU_CYCLE_1) | instskip(NEXT) | instid1(SALU_CYCLE_1)
	s_and_saveexec_b32 s75, s13
	s_xor_b32 s13, exec_lo, s75
; %bb.22071:                            ;   in Loop: Header=BB6_19757 Depth=3
	v_min_i32_e32 v1, 31, v2
	s_delay_alu instid0(VALU_DEP_1) | instskip(NEXT) | instid1(VALU_DEP_1)
	v_lshl_or_b32 v1, v1, 2, v19
                                        ; implicit-def: $vgpr19
	v_and_or_b32 v5, v0, 3, v1
; %bb.22072:                            ;   in Loop: Header=BB6_19757 Depth=3
	s_and_not1_saveexec_b32 s13, s13
; %bb.22073:                            ;   in Loop: Header=BB6_19757 Depth=3
	v_mov_b32_e32 v5, v19
; %bb.22074:                            ;   in Loop: Header=BB6_19757 Depth=3
	s_or_b32 exec_lo, exec_lo, s13
.LBB6_22075:                            ;   in Loop: Header=BB6_19757 Depth=3
	s_delay_alu instid0(SALU_CYCLE_1)
	s_or_b32 exec_lo, exec_lo, s74
                                        ; implicit-def: $vgpr19
.LBB6_22076:                            ;   in Loop: Header=BB6_19757 Depth=3
	s_and_not1_saveexec_b32 s13, s15
; %bb.22077:                            ;   in Loop: Header=BB6_19757 Depth=3
	v_or_b32_e32 v5, 0x7b, v19
; %bb.22078:                            ;   in Loop: Header=BB6_19757 Depth=3
	s_or_b32 exec_lo, exec_lo, s13
                                        ; implicit-def: $vgpr2
                                        ; implicit-def: $vgpr0_vgpr1
.LBB6_22079:                            ;   in Loop: Header=BB6_19757 Depth=3
	s_and_not1_saveexec_b32 s13, s14
	s_cbranch_execz .LBB6_22085
; %bb.22080:                            ;   in Loop: Header=BB6_19757 Depth=3
	s_mov_b32 s14, exec_lo
                                        ; implicit-def: $vgpr5
	v_cmpx_ne_u64_e32 0, v[0:1]
	s_xor_b32 s14, exec_lo, s14
; %bb.22081:                            ;   in Loop: Header=BB6_19757 Depth=3
	v_lshrrev_b32_e32 v0, 24, v2
                                        ; implicit-def: $vgpr2
	s_delay_alu instid0(VALU_DEP_1)
	v_or_b32_e32 v5, 0x7f, v0
; %bb.22082:                            ;   in Loop: Header=BB6_19757 Depth=3
	s_and_not1_saveexec_b32 s14, s14
; %bb.22083:                            ;   in Loop: Header=BB6_19757 Depth=3
	v_cmp_lt_i32_e32 vcc_lo, -1, v2
	v_cndmask_b32_e64 v5, -4, 0x7c, vcc_lo
; %bb.22084:                            ;   in Loop: Header=BB6_19757 Depth=3
	s_or_b32 exec_lo, exec_lo, s14
.LBB6_22085:                            ;   in Loop: Header=BB6_19757 Depth=3
	s_delay_alu instid0(SALU_CYCLE_1)
	s_or_b32 exec_lo, exec_lo, s13
	scratch_load_b64 v[0:1], off, s33 offset:232 ; 8-byte Folded Reload
	s_mov_b32 s14, exec_lo
	s_wait_loadcnt 0x0
	v_mov_b32_e32 v1, 0
	v_and_b32_e32 v3, 0xff, v0
	v_mov_b32_e32 v0, 0
	s_wait_xcnt 0x0
	s_delay_alu instid0(VALU_DEP_2)
	v_cmpx_ne_u16_e32 0, v3
	s_cbranch_execz .LBB6_22095
; %bb.22086:                            ;   in Loop: Header=BB6_19757 Depth=3
	v_bfrev_b32_e32 v1, 1
	s_mov_b32 s15, exec_lo
	v_cmpx_ne_u16_e32 0x80, v3
	s_cbranch_execz .LBB6_22094
; %bb.22087:                            ;   in Loop: Header=BB6_19757 Depth=3
	scratch_load_b64 v[28:29], off, s33 offset:232 ; 8-byte Folded Reload
	s_wait_loadcnt 0x0
	v_mov_b32_e32 v2, v28
	s_delay_alu instid0(VALU_DEP_1) | instskip(SKIP_1) | instid1(VALU_DEP_2)
	v_and_b32_e32 v1, 0x7c, v2
	v_and_b32_e32 v2, 3, v2
	v_cmp_ne_u32_e32 vcc_lo, 0x7c, v1
                                        ; implicit-def: $vgpr1
	s_wait_xcnt 0x0
	s_and_saveexec_b32 s13, vcc_lo
	s_delay_alu instid0(SALU_CYCLE_1)
	s_xor_b32 s13, exec_lo, s13
	s_cbranch_execz .LBB6_22091
; %bb.22088:                            ;   in Loop: Header=BB6_19757 Depth=3
	v_bfe_u32 v1, v3, 2, 5
	s_mov_b32 s74, exec_lo
	s_delay_alu instid0(VALU_DEP_1)
	v_cmpx_eq_u32_e32 0, v1
	s_cbranch_execz .LBB6_22090
; %bb.22089:                            ;   in Loop: Header=BB6_19757 Depth=3
	scratch_load_b64 v[28:29], off, s33 offset:232 th:TH_LOAD_LU ; 8-byte Folded Reload
	v_clz_i32_u32_e32 v1, v2
	s_wait_loadcnt 0x0
	v_mov_b32_e32 v29, v113
	s_delay_alu instid0(VALU_DEP_2) | instskip(NEXT) | instid1(VALU_DEP_1)
	v_min_u32_e32 v1, 32, v1
	v_subrev_nc_u32_e32 v2, 29, v1
	v_mov_b32_e32 v38, v28
	s_delay_alu instid0(VALU_DEP_2)
	v_lshlrev_b64_e32 v[2:3], v2, v[28:29]
	v_sub_nc_u32_e32 v1, 30, v1
	scratch_store_b64 off, v[38:39], s33 offset:232 ; 8-byte Folded Spill
	v_and_b32_e32 v2, 3, v2
.LBB6_22090:                            ;   in Loop: Header=BB6_19757 Depth=3
	s_wait_xcnt 0x0
	s_or_b32 exec_lo, exec_lo, s74
	scratch_load_b64 v[28:29], off, s33 offset:232 th:TH_LOAD_LU ; 8-byte Folded Reload
	s_wait_loadcnt 0x0
	v_lshlrev_b32_e32 v3, 24, v28
                                        ; implicit-def: $vgpr28
	scratch_store_b64 off, v[28:29], s33 offset:232 ; 8-byte Folded Spill
	v_and_b32_e32 v3, 0x80000000, v3
	s_delay_alu instid0(VALU_DEP_1) | instskip(NEXT) | instid1(VALU_DEP_1)
	v_lshl_add_u32 v1, v1, 23, v3
	v_lshl_or_b32 v1, v2, 21, v1
                                        ; implicit-def: $vgpr2
	s_delay_alu instid0(VALU_DEP_1)
	v_add_nc_u32_e32 v1, 0x38000000, v1
.LBB6_22091:                            ;   in Loop: Header=BB6_19757 Depth=3
	s_wait_xcnt 0x0
	s_and_not1_saveexec_b32 s74, s13
	s_cbranch_execz .LBB6_22093
; %bb.22092:                            ;   in Loop: Header=BB6_19757 Depth=3
	v_cmp_eq_u32_e32 vcc_lo, 0, v2
	scratch_load_b64 v[2:3], off, s33 offset:232 th:TH_LOAD_LU ; 8-byte Folded Reload
	s_wait_loadcnt 0x0
	v_bfe_i32 v1, v2, 0, 8
	s_delay_alu instid0(VALU_DEP_1) | instskip(SKIP_1) | instid1(VALU_DEP_1)
	v_cmp_lt_i16_e64 s13, -1, v1
	v_mov_b32_e32 v1, 0x7f800000
	v_cndmask_b32_e64 v1, 0xff800000, v1, s13
	s_delay_alu instid0(VALU_DEP_1)
	v_cndmask_b32_e32 v1, 0x7f800001, v1, vcc_lo
.LBB6_22093:                            ;   in Loop: Header=BB6_19757 Depth=3
	s_wait_xcnt 0x0
	s_or_b32 exec_lo, exec_lo, s74
.LBB6_22094:                            ;   in Loop: Header=BB6_19757 Depth=3
	s_delay_alu instid0(SALU_CYCLE_1)
	s_or_b32 exec_lo, exec_lo, s15
.LBB6_22095:                            ;   in Loop: Header=BB6_19757 Depth=3
	s_delay_alu instid0(SALU_CYCLE_1) | instskip(NEXT) | instid1(SALU_CYCLE_1)
	s_or_b32 exec_lo, exec_lo, s14
	s_mov_b32 s14, exec_lo
	s_wait_dscnt 0x3
	v_cmpx_ne_u16_e32 0, v110
	s_cbranch_execz .LBB6_22105
; %bb.22096:                            ;   in Loop: Header=BB6_19757 Depth=3
	v_bfrev_b32_e32 v0, 1
	s_mov_b32 s15, exec_lo
	v_cmpx_ne_u16_e32 0xff80, v110
	s_cbranch_execz .LBB6_22104
; %bb.22097:                            ;   in Loop: Header=BB6_19757 Depth=3
	v_and_b32_e32 v0, 0x7c, v110
	v_and_b32_e32 v2, 3, v110
	s_delay_alu instid0(VALU_DEP_2) | instskip(SKIP_1) | instid1(SALU_CYCLE_1)
	v_cmp_ne_u32_e32 vcc_lo, 0x7c, v0
                                        ; implicit-def: $vgpr0
	s_and_saveexec_b32 s13, vcc_lo
	s_xor_b32 s13, exec_lo, s13
	s_cbranch_execz .LBB6_22101
; %bb.22098:                            ;   in Loop: Header=BB6_19757 Depth=3
	v_and_b32_e32 v0, 0xff, v110
	s_mov_b32 s74, exec_lo
	s_delay_alu instid0(VALU_DEP_1) | instskip(NEXT) | instid1(VALU_DEP_1)
	v_bfe_u32 v0, v0, 2, 5
	v_cmpx_eq_u32_e32 0, v0
	s_cbranch_execz .LBB6_22100
; %bb.22099:                            ;   in Loop: Header=BB6_19757 Depth=3
	v_clz_i32_u32_e32 v0, v2
	s_delay_alu instid0(VALU_DEP_1) | instskip(SKIP_1) | instid1(VALU_DEP_2)
	v_min_u32_e32 v0, 32, v0
	v_mov_b32_e32 v111, v113
	v_subrev_nc_u32_e32 v2, 29, v0
	v_sub_nc_u32_e32 v0, 30, v0
	s_delay_alu instid0(VALU_DEP_2) | instskip(NEXT) | instid1(VALU_DEP_1)
	v_lshlrev_b64_e32 v[2:3], v2, v[110:111]
	v_and_b32_e32 v2, 3, v2
.LBB6_22100:                            ;   in Loop: Header=BB6_19757 Depth=3
	s_or_b32 exec_lo, exec_lo, s74
	v_bfe_i32 v3, v110, 0, 16
                                        ; implicit-def: $vgpr110
	s_delay_alu instid0(VALU_DEP_1) | instskip(NEXT) | instid1(VALU_DEP_1)
	v_and_b32_e32 v3, 0x80000000, v3
	v_lshl_add_u32 v0, v0, 23, v3
	s_delay_alu instid0(VALU_DEP_1) | instskip(NEXT) | instid1(VALU_DEP_1)
	v_lshl_or_b32 v0, v2, 21, v0
                                        ; implicit-def: $vgpr2
	v_add_nc_u32_e32 v0, 0x38000000, v0
.LBB6_22101:                            ;   in Loop: Header=BB6_19757 Depth=3
	s_and_not1_saveexec_b32 s74, s13
; %bb.22102:                            ;   in Loop: Header=BB6_19757 Depth=3
	v_cmp_lt_i16_e64 s13, -1, v110
	v_mov_b32_e32 v0, 0x7f800000
	v_cmp_eq_u32_e32 vcc_lo, 0, v2
	s_delay_alu instid0(VALU_DEP_2) | instskip(NEXT) | instid1(VALU_DEP_1)
	v_cndmask_b32_e64 v0, 0xff800000, v0, s13
	v_cndmask_b32_e32 v0, 0x7f800001, v0, vcc_lo
; %bb.22103:                            ;   in Loop: Header=BB6_19757 Depth=3
	s_or_b32 exec_lo, exec_lo, s74
.LBB6_22104:                            ;   in Loop: Header=BB6_19757 Depth=3
	s_delay_alu instid0(SALU_CYCLE_1)
	s_or_b32 exec_lo, exec_lo, s15
.LBB6_22105:                            ;   in Loop: Header=BB6_19757 Depth=3
	s_delay_alu instid0(SALU_CYCLE_1) | instskip(NEXT) | instid1(VALU_DEP_1)
	s_or_b32 exec_lo, exec_lo, s14
	v_add_f32_e32 v2, v1, v0
	v_mov_b32_e32 v1, v113
                                        ; implicit-def: $vgpr28
	s_delay_alu instid0(VALU_DEP_2) | instskip(NEXT) | instid1(VALU_DEP_1)
	v_and_b32_e32 v0, 0x7f800000, v2
	v_cmp_ne_u64_e32 vcc_lo, 0x7f800000, v[0:1]
	v_and_b32_e32 v0, 0x7fffff, v2
	s_and_saveexec_b32 s13, vcc_lo
	s_delay_alu instid0(SALU_CYCLE_1)
	s_xor_b32 s14, exec_lo, s13
	s_cbranch_execz .LBB6_22123
; %bb.22106:                            ;   in Loop: Header=BB6_19757 Depth=3
	v_and_b32_e32 v28, 0x7fffffff, v2
	v_dual_mov_b32 v29, v113 :: v_dual_lshrrev_b32 v3, 24, v2
	s_delay_alu instid0(VALU_DEP_1) | instskip(NEXT) | instid1(VALU_DEP_2)
	v_cmp_gt_u64_e32 vcc_lo, 0x47600001, v[28:29]
	v_and_b32_e32 v19, 0x80, v3
                                        ; implicit-def: $vgpr28
	s_and_saveexec_b32 s13, vcc_lo
	s_delay_alu instid0(SALU_CYCLE_1)
	s_xor_b32 s15, exec_lo, s13
	s_cbranch_execz .LBB6_22120
; %bb.22107:                            ;   in Loop: Header=BB6_19757 Depth=3
	v_mov_b32_e32 v28, 0
	s_mov_b32 s74, exec_lo
	v_cmpx_ne_u32_e32 0, v2
	s_cbranch_execz .LBB6_22119
; %bb.22108:                            ;   in Loop: Header=BB6_19757 Depth=3
	v_bfe_u32 v28, v2, 23, 8
	v_or_b32_e32 v3, 0x800000, v0
	s_delay_alu instid0(VALU_DEP_2) | instskip(SKIP_2) | instid1(VALU_DEP_2)
	v_cmp_gt_u32_e64 s13, 0x72, v28
	v_sub_nc_u32_e32 v2, 0x71, v28
	v_cmp_eq_u32_e32 vcc_lo, 0, v28
	v_dual_cndmask_b32 v2, 0, v2, s13 :: v_dual_cndmask_b32 v0, v3, v0, vcc_lo
	s_delay_alu instid0(VALU_DEP_1) | instskip(NEXT) | instid1(VALU_DEP_1)
	v_cndmask_b32_e64 v29, v2, 0x70, vcc_lo
	v_dual_add_nc_u32 v2, 21, v29 :: v_dual_add_nc_u32 v38, 20, v29
	s_delay_alu instid0(VALU_DEP_1) | instskip(NEXT) | instid1(VALU_DEP_2)
	v_lshlrev_b64_e64 v[2:3], v2, -1
	v_lshlrev_b64_e64 v[38:39], v38, 1
	s_delay_alu instid0(VALU_DEP_2) | instskip(SKIP_1) | instid1(VALU_DEP_4)
	v_bfi_b32 v2, v2, 0, v0
	v_lshrrev_b64 v[0:1], v29, v[0:1]
	v_bfi_b32 v3, v3, 0, 0
	s_delay_alu instid0(VALU_DEP_1) | instskip(NEXT) | instid1(VALU_DEP_3)
	v_cmp_eq_u64_e64 s13, v[2:3], v[38:39]
	v_mov_b64_e32 v[2:3], v[0:1]
	s_and_saveexec_b32 s75, s13
; %bb.22109:                            ;   in Loop: Header=BB6_19757 Depth=3
	v_bfe_u32 v2, v0, 21, 1
	v_mov_b32_e32 v3, v113
	s_delay_alu instid0(VALU_DEP_1) | instskip(NEXT) | instid1(VALU_DEP_1)
	v_add_nc_u64_e32 v[2:3], v[0:1], v[2:3]
	v_add_nc_u64_e32 v[2:3], -1, v[2:3]
; %bb.22110:                            ;   in Loop: Header=BB6_19757 Depth=3
	s_or_b32 exec_lo, exec_lo, s75
	v_add_nc_u32_e32 v1, 0xffffff81, v28
	v_lshrrev_b32_e32 v3, 23, v0
	s_mov_b32 s13, exec_lo
	s_delay_alu instid0(VALU_DEP_2) | instskip(NEXT) | instid1(VALU_DEP_1)
	v_cndmask_b32_e64 v1, v1, 0xffffff82, vcc_lo
	v_add3_u32 v28, v29, v1, v3
	v_and_b32_e32 v1, 0x1fffff, v2
                                        ; implicit-def: $vgpr2
	s_delay_alu instid0(VALU_DEP_2) | instskip(NEXT) | instid1(VALU_DEP_2)
	v_add_nc_u32_e32 v3, 14, v28
	v_add_nc_u32_e32 v0, v1, v0
	v_mov_b32_e32 v1, v113
	s_delay_alu instid0(VALU_DEP_3)
	v_cmpx_ne_u32_e32 0, v3
	s_xor_b32 s13, exec_lo, s13
; %bb.22111:                            ;   in Loop: Header=BB6_19757 Depth=3
	s_delay_alu instid0(VALU_DEP_2) | instskip(SKIP_1) | instid1(VALU_DEP_1)
	v_cmp_lt_u64_e32 vcc_lo, 0xffffff, v[0:1]
	v_add_nc_u32_e32 v2, 15, v28
	v_cndmask_b32_e32 v2, v3, v2, vcc_lo
	v_cndmask_b32_e64 v3, 0, 1, vcc_lo
	s_delay_alu instid0(VALU_DEP_1)
	v_lshrrev_b64 v[0:1], v3, v[0:1]
; %bb.22112:                            ;   in Loop: Header=BB6_19757 Depth=3
	s_and_not1_saveexec_b32 s13, s13
; %bb.22113:                            ;   in Loop: Header=BB6_19757 Depth=3
	s_delay_alu instid0(VALU_DEP_1)
	v_bfe_u32 v2, v0, 23, 1
; %bb.22114:                            ;   in Loop: Header=BB6_19757 Depth=3
	s_or_b32 exec_lo, exec_lo, s13
	s_delay_alu instid0(VALU_DEP_2) | instskip(NEXT) | instid1(VALU_DEP_2)
	v_lshrrev_b64 v[0:1], 21, v[0:1]
	v_cmp_gt_i32_e32 vcc_lo, 32, v2
	v_cmp_ne_u32_e64 s13, 0, v2
                                        ; implicit-def: $vgpr28
	s_delay_alu instid0(VALU_DEP_3) | instskip(NEXT) | instid1(VALU_DEP_1)
	v_dual_cndmask_b32 v1, 0, v1 :: v_dual_cndmask_b32 v0, 3, v0
	v_cmp_ne_u64_e32 vcc_lo, 0, v[0:1]
	s_or_b32 s13, s13, vcc_lo
	s_delay_alu instid0(SALU_CYCLE_1) | instskip(NEXT) | instid1(SALU_CYCLE_1)
	s_and_saveexec_b32 s75, s13
	s_xor_b32 s13, exec_lo, s75
; %bb.22115:                            ;   in Loop: Header=BB6_19757 Depth=3
	v_min_i32_e32 v1, 31, v2
	s_delay_alu instid0(VALU_DEP_1) | instskip(NEXT) | instid1(VALU_DEP_1)
	v_lshl_or_b32 v1, v1, 2, v19
                                        ; implicit-def: $vgpr19
	v_and_or_b32 v28, v0, 3, v1
; %bb.22116:                            ;   in Loop: Header=BB6_19757 Depth=3
	s_and_not1_saveexec_b32 s13, s13
; %bb.22117:                            ;   in Loop: Header=BB6_19757 Depth=3
	v_mov_b32_e32 v28, v19
; %bb.22118:                            ;   in Loop: Header=BB6_19757 Depth=3
	s_or_b32 exec_lo, exec_lo, s13
.LBB6_22119:                            ;   in Loop: Header=BB6_19757 Depth=3
	s_delay_alu instid0(SALU_CYCLE_1)
	s_or_b32 exec_lo, exec_lo, s74
                                        ; implicit-def: $vgpr19
.LBB6_22120:                            ;   in Loop: Header=BB6_19757 Depth=3
	s_and_not1_saveexec_b32 s13, s15
; %bb.22121:                            ;   in Loop: Header=BB6_19757 Depth=3
	v_or_b32_e32 v28, 0x7b, v19
; %bb.22122:                            ;   in Loop: Header=BB6_19757 Depth=3
	s_or_b32 exec_lo, exec_lo, s13
                                        ; implicit-def: $vgpr2
                                        ; implicit-def: $vgpr0_vgpr1
.LBB6_22123:                            ;   in Loop: Header=BB6_19757 Depth=3
	s_and_not1_saveexec_b32 s13, s14
	s_cbranch_execz .LBB6_22129
; %bb.22124:                            ;   in Loop: Header=BB6_19757 Depth=3
	s_mov_b32 s14, exec_lo
                                        ; implicit-def: $vgpr28
	v_cmpx_ne_u64_e32 0, v[0:1]
	s_xor_b32 s14, exec_lo, s14
; %bb.22125:                            ;   in Loop: Header=BB6_19757 Depth=3
	v_lshrrev_b32_e32 v0, 24, v2
                                        ; implicit-def: $vgpr2
	s_delay_alu instid0(VALU_DEP_1)
	v_or_b32_e32 v28, 0x7f, v0
; %bb.22126:                            ;   in Loop: Header=BB6_19757 Depth=3
	s_and_not1_saveexec_b32 s14, s14
; %bb.22127:                            ;   in Loop: Header=BB6_19757 Depth=3
	v_cmp_lt_i32_e32 vcc_lo, -1, v2
	v_cndmask_b32_e64 v28, -4, 0x7c, vcc_lo
; %bb.22128:                            ;   in Loop: Header=BB6_19757 Depth=3
	s_or_b32 exec_lo, exec_lo, s14
.LBB6_22129:                            ;   in Loop: Header=BB6_19757 Depth=3
	s_delay_alu instid0(SALU_CYCLE_1)
	s_or_b32 exec_lo, exec_lo, s13
	scratch_load_b64 v[0:1], off, s33 offset:224 ; 8-byte Folded Reload
	s_mov_b32 s14, exec_lo
	s_wait_loadcnt 0x0
	v_mov_b32_e32 v1, 0
	v_and_b32_e32 v3, 0xff, v0
	v_mov_b32_e32 v0, 0
	s_wait_xcnt 0x0
	s_delay_alu instid0(VALU_DEP_2)
	v_cmpx_ne_u16_e32 0, v3
	s_cbranch_execz .LBB6_22139
; %bb.22130:                            ;   in Loop: Header=BB6_19757 Depth=3
	v_bfrev_b32_e32 v1, 1
	s_mov_b32 s15, exec_lo
	v_cmpx_ne_u16_e32 0x80, v3
	s_cbranch_execz .LBB6_22138
; %bb.22131:                            ;   in Loop: Header=BB6_19757 Depth=3
	scratch_load_b64 v[38:39], off, s33 offset:224 ; 8-byte Folded Reload
	s_wait_loadcnt 0x0
	v_mov_b32_e32 v2, v38
	s_delay_alu instid0(VALU_DEP_1) | instskip(SKIP_1) | instid1(VALU_DEP_2)
	v_and_b32_e32 v1, 0x7c, v2
	v_and_b32_e32 v2, 3, v2
	v_cmp_ne_u32_e32 vcc_lo, 0x7c, v1
                                        ; implicit-def: $vgpr1
	s_wait_xcnt 0x0
	s_and_saveexec_b32 s13, vcc_lo
	s_delay_alu instid0(SALU_CYCLE_1)
	s_xor_b32 s13, exec_lo, s13
	s_cbranch_execz .LBB6_22135
; %bb.22132:                            ;   in Loop: Header=BB6_19757 Depth=3
	v_bfe_u32 v1, v3, 2, 5
	s_mov_b32 s74, exec_lo
	s_delay_alu instid0(VALU_DEP_1)
	v_cmpx_eq_u32_e32 0, v1
	s_cbranch_execz .LBB6_22134
; %bb.22133:                            ;   in Loop: Header=BB6_19757 Depth=3
	scratch_load_b64 v[38:39], off, s33 offset:224 th:TH_LOAD_LU ; 8-byte Folded Reload
	v_clz_i32_u32_e32 v1, v2
	s_wait_loadcnt 0x0
	v_mov_b32_e32 v39, v113
	s_delay_alu instid0(VALU_DEP_2) | instskip(NEXT) | instid1(VALU_DEP_1)
	v_min_u32_e32 v1, 32, v1
	v_subrev_nc_u32_e32 v2, 29, v1
	v_mov_b32_e32 v52, v38
	s_delay_alu instid0(VALU_DEP_2)
	v_lshlrev_b64_e32 v[2:3], v2, v[38:39]
	v_sub_nc_u32_e32 v1, 30, v1
	scratch_store_b64 off, v[52:53], s33 offset:224 ; 8-byte Folded Spill
	v_and_b32_e32 v2, 3, v2
.LBB6_22134:                            ;   in Loop: Header=BB6_19757 Depth=3
	s_wait_xcnt 0x0
	s_or_b32 exec_lo, exec_lo, s74
	scratch_load_b64 v[38:39], off, s33 offset:224 th:TH_LOAD_LU ; 8-byte Folded Reload
	s_wait_loadcnt 0x0
	v_lshlrev_b32_e32 v3, 24, v38
                                        ; implicit-def: $vgpr38
	scratch_store_b64 off, v[38:39], s33 offset:224 ; 8-byte Folded Spill
	v_and_b32_e32 v3, 0x80000000, v3
	s_delay_alu instid0(VALU_DEP_1) | instskip(NEXT) | instid1(VALU_DEP_1)
	v_lshl_add_u32 v1, v1, 23, v3
	v_lshl_or_b32 v1, v2, 21, v1
                                        ; implicit-def: $vgpr2
	s_delay_alu instid0(VALU_DEP_1)
	v_add_nc_u32_e32 v1, 0x38000000, v1
.LBB6_22135:                            ;   in Loop: Header=BB6_19757 Depth=3
	s_wait_xcnt 0x0
	s_and_not1_saveexec_b32 s74, s13
	s_cbranch_execz .LBB6_22137
; %bb.22136:                            ;   in Loop: Header=BB6_19757 Depth=3
	v_cmp_eq_u32_e32 vcc_lo, 0, v2
	scratch_load_b64 v[2:3], off, s33 offset:224 th:TH_LOAD_LU ; 8-byte Folded Reload
	s_wait_loadcnt 0x0
	v_bfe_i32 v1, v2, 0, 8
	s_delay_alu instid0(VALU_DEP_1) | instskip(SKIP_1) | instid1(VALU_DEP_1)
	v_cmp_lt_i16_e64 s13, -1, v1
	v_mov_b32_e32 v1, 0x7f800000
	v_cndmask_b32_e64 v1, 0xff800000, v1, s13
	s_delay_alu instid0(VALU_DEP_1)
	v_cndmask_b32_e32 v1, 0x7f800001, v1, vcc_lo
.LBB6_22137:                            ;   in Loop: Header=BB6_19757 Depth=3
	s_wait_xcnt 0x0
	s_or_b32 exec_lo, exec_lo, s74
.LBB6_22138:                            ;   in Loop: Header=BB6_19757 Depth=3
	s_delay_alu instid0(SALU_CYCLE_1)
	s_or_b32 exec_lo, exec_lo, s15
.LBB6_22139:                            ;   in Loop: Header=BB6_19757 Depth=3
	s_delay_alu instid0(SALU_CYCLE_1) | instskip(NEXT) | instid1(SALU_CYCLE_1)
	s_or_b32 exec_lo, exec_lo, s14
	s_mov_b32 s14, exec_lo
	s_wait_dscnt 0x2
	v_cmpx_ne_u16_e32 0, v92
	s_cbranch_execz .LBB6_22149
; %bb.22140:                            ;   in Loop: Header=BB6_19757 Depth=3
	v_bfrev_b32_e32 v0, 1
	s_mov_b32 s15, exec_lo
	v_cmpx_ne_u16_e32 0xff80, v92
	s_cbranch_execz .LBB6_22148
; %bb.22141:                            ;   in Loop: Header=BB6_19757 Depth=3
	v_and_b32_e32 v0, 0x7c, v92
	v_and_b32_e32 v2, 3, v92
	s_delay_alu instid0(VALU_DEP_2) | instskip(SKIP_1) | instid1(SALU_CYCLE_1)
	v_cmp_ne_u32_e32 vcc_lo, 0x7c, v0
                                        ; implicit-def: $vgpr0
	s_and_saveexec_b32 s13, vcc_lo
	s_xor_b32 s13, exec_lo, s13
	s_cbranch_execz .LBB6_22145
; %bb.22142:                            ;   in Loop: Header=BB6_19757 Depth=3
	v_and_b32_e32 v0, 0xff, v92
	s_mov_b32 s74, exec_lo
	s_delay_alu instid0(VALU_DEP_1) | instskip(NEXT) | instid1(VALU_DEP_1)
	v_bfe_u32 v0, v0, 2, 5
	v_cmpx_eq_u32_e32 0, v0
	s_cbranch_execz .LBB6_22144
; %bb.22143:                            ;   in Loop: Header=BB6_19757 Depth=3
	v_clz_i32_u32_e32 v0, v2
	s_delay_alu instid0(VALU_DEP_1) | instskip(SKIP_1) | instid1(VALU_DEP_2)
	v_min_u32_e32 v0, 32, v0
	v_mov_b32_e32 v93, v113
	v_subrev_nc_u32_e32 v2, 29, v0
	v_sub_nc_u32_e32 v0, 30, v0
	s_delay_alu instid0(VALU_DEP_2) | instskip(NEXT) | instid1(VALU_DEP_1)
	v_lshlrev_b64_e32 v[2:3], v2, v[92:93]
	v_and_b32_e32 v2, 3, v2
.LBB6_22144:                            ;   in Loop: Header=BB6_19757 Depth=3
	s_or_b32 exec_lo, exec_lo, s74
	v_bfe_i32 v3, v92, 0, 16
                                        ; implicit-def: $vgpr92
	s_delay_alu instid0(VALU_DEP_1) | instskip(NEXT) | instid1(VALU_DEP_1)
	v_and_b32_e32 v3, 0x80000000, v3
	v_lshl_add_u32 v0, v0, 23, v3
	s_delay_alu instid0(VALU_DEP_1) | instskip(NEXT) | instid1(VALU_DEP_1)
	v_lshl_or_b32 v0, v2, 21, v0
                                        ; implicit-def: $vgpr2
	v_add_nc_u32_e32 v0, 0x38000000, v0
.LBB6_22145:                            ;   in Loop: Header=BB6_19757 Depth=3
	s_and_not1_saveexec_b32 s74, s13
; %bb.22146:                            ;   in Loop: Header=BB6_19757 Depth=3
	v_cmp_lt_i16_e64 s13, -1, v92
	v_mov_b32_e32 v0, 0x7f800000
	v_cmp_eq_u32_e32 vcc_lo, 0, v2
	s_delay_alu instid0(VALU_DEP_2) | instskip(NEXT) | instid1(VALU_DEP_1)
	v_cndmask_b32_e64 v0, 0xff800000, v0, s13
	v_cndmask_b32_e32 v0, 0x7f800001, v0, vcc_lo
; %bb.22147:                            ;   in Loop: Header=BB6_19757 Depth=3
	s_or_b32 exec_lo, exec_lo, s74
.LBB6_22148:                            ;   in Loop: Header=BB6_19757 Depth=3
	s_delay_alu instid0(SALU_CYCLE_1)
	s_or_b32 exec_lo, exec_lo, s15
.LBB6_22149:                            ;   in Loop: Header=BB6_19757 Depth=3
	s_delay_alu instid0(SALU_CYCLE_1) | instskip(NEXT) | instid1(VALU_DEP_1)
	s_or_b32 exec_lo, exec_lo, s14
	v_add_f32_e32 v2, v1, v0
	v_mov_b32_e32 v1, v113
                                        ; implicit-def: $vgpr29
	s_delay_alu instid0(VALU_DEP_2) | instskip(NEXT) | instid1(VALU_DEP_1)
	v_and_b32_e32 v0, 0x7f800000, v2
	v_cmp_ne_u64_e32 vcc_lo, 0x7f800000, v[0:1]
	v_and_b32_e32 v0, 0x7fffff, v2
	s_and_saveexec_b32 s13, vcc_lo
	s_delay_alu instid0(SALU_CYCLE_1)
	s_xor_b32 s14, exec_lo, s13
	s_cbranch_execz .LBB6_22167
; %bb.22150:                            ;   in Loop: Header=BB6_19757 Depth=3
	v_dual_mov_b32 v39, v113 :: v_dual_lshrrev_b32 v3, 24, v2
	v_and_b32_e32 v38, 0x7fffffff, v2
                                        ; implicit-def: $vgpr29
	s_mov_b32 s13, exec_lo
	s_delay_alu instid0(VALU_DEP_2) | instskip(NEXT) | instid1(VALU_DEP_2)
	v_and_b32_e32 v19, 0x80, v3
	v_cmpx_gt_u64_e32 0x47600001, v[38:39]
	s_xor_b32 s15, exec_lo, s13
	s_cbranch_execz .LBB6_22164
; %bb.22151:                            ;   in Loop: Header=BB6_19757 Depth=3
	v_mov_b32_e32 v29, 0
	s_mov_b32 s74, exec_lo
	v_cmpx_ne_u32_e32 0, v2
	s_cbranch_execz .LBB6_22163
; %bb.22152:                            ;   in Loop: Header=BB6_19757 Depth=3
	v_bfe_u32 v29, v2, 23, 8
	v_or_b32_e32 v3, 0x800000, v0
	s_delay_alu instid0(VALU_DEP_2) | instskip(SKIP_2) | instid1(VALU_DEP_2)
	v_cmp_gt_u32_e64 s13, 0x72, v29
	v_sub_nc_u32_e32 v2, 0x71, v29
	v_cmp_eq_u32_e32 vcc_lo, 0, v29
	v_dual_cndmask_b32 v2, 0, v2, s13 :: v_dual_cndmask_b32 v0, v3, v0, vcc_lo
	s_delay_alu instid0(VALU_DEP_1) | instskip(NEXT) | instid1(VALU_DEP_1)
	v_cndmask_b32_e64 v38, v2, 0x70, vcc_lo
	v_dual_add_nc_u32 v2, 21, v38 :: v_dual_add_nc_u32 v39, 20, v38
	s_delay_alu instid0(VALU_DEP_1) | instskip(NEXT) | instid1(VALU_DEP_2)
	v_lshlrev_b64_e64 v[2:3], v2, -1
	v_lshlrev_b64_e64 v[52:53], v39, 1
	s_delay_alu instid0(VALU_DEP_2) | instskip(SKIP_1) | instid1(VALU_DEP_4)
	v_bfi_b32 v2, v2, 0, v0
	v_lshrrev_b64 v[0:1], v38, v[0:1]
	v_bfi_b32 v3, v3, 0, 0
	s_delay_alu instid0(VALU_DEP_1) | instskip(NEXT) | instid1(VALU_DEP_3)
	v_cmp_eq_u64_e64 s13, v[2:3], v[52:53]
	v_mov_b64_e32 v[2:3], v[0:1]
	s_and_saveexec_b32 s75, s13
; %bb.22153:                            ;   in Loop: Header=BB6_19757 Depth=3
	v_bfe_u32 v2, v0, 21, 1
	v_mov_b32_e32 v3, v113
	s_delay_alu instid0(VALU_DEP_1) | instskip(NEXT) | instid1(VALU_DEP_1)
	v_add_nc_u64_e32 v[2:3], v[0:1], v[2:3]
	v_add_nc_u64_e32 v[2:3], -1, v[2:3]
; %bb.22154:                            ;   in Loop: Header=BB6_19757 Depth=3
	s_or_b32 exec_lo, exec_lo, s75
	v_add_nc_u32_e32 v1, 0xffffff81, v29
	v_lshrrev_b32_e32 v3, 23, v0
	s_mov_b32 s13, exec_lo
	s_delay_alu instid0(VALU_DEP_2) | instskip(NEXT) | instid1(VALU_DEP_1)
	v_cndmask_b32_e64 v1, v1, 0xffffff82, vcc_lo
	v_add3_u32 v29, v38, v1, v3
	v_and_b32_e32 v1, 0x1fffff, v2
                                        ; implicit-def: $vgpr2
	s_delay_alu instid0(VALU_DEP_1) | instskip(SKIP_1) | instid1(VALU_DEP_2)
	v_dual_add_nc_u32 v3, 14, v29 :: v_dual_add_nc_u32 v0, v1, v0
	v_mov_b32_e32 v1, v113
	v_cmpx_ne_u32_e32 0, v3
	s_xor_b32 s13, exec_lo, s13
; %bb.22155:                            ;   in Loop: Header=BB6_19757 Depth=3
	s_delay_alu instid0(VALU_DEP_2) | instskip(SKIP_1) | instid1(VALU_DEP_1)
	v_cmp_lt_u64_e32 vcc_lo, 0xffffff, v[0:1]
	v_add_nc_u32_e32 v2, 15, v29
	v_cndmask_b32_e32 v2, v3, v2, vcc_lo
	v_cndmask_b32_e64 v3, 0, 1, vcc_lo
	s_delay_alu instid0(VALU_DEP_1)
	v_lshrrev_b64 v[0:1], v3, v[0:1]
; %bb.22156:                            ;   in Loop: Header=BB6_19757 Depth=3
	s_and_not1_saveexec_b32 s13, s13
; %bb.22157:                            ;   in Loop: Header=BB6_19757 Depth=3
	s_delay_alu instid0(VALU_DEP_1)
	v_bfe_u32 v2, v0, 23, 1
; %bb.22158:                            ;   in Loop: Header=BB6_19757 Depth=3
	s_or_b32 exec_lo, exec_lo, s13
	s_delay_alu instid0(VALU_DEP_2) | instskip(NEXT) | instid1(VALU_DEP_2)
	v_lshrrev_b64 v[0:1], 21, v[0:1]
	v_cmp_gt_i32_e32 vcc_lo, 32, v2
	v_cmp_ne_u32_e64 s13, 0, v2
                                        ; implicit-def: $vgpr29
	s_delay_alu instid0(VALU_DEP_3) | instskip(NEXT) | instid1(VALU_DEP_1)
	v_dual_cndmask_b32 v1, 0, v1 :: v_dual_cndmask_b32 v0, 3, v0
	v_cmp_ne_u64_e32 vcc_lo, 0, v[0:1]
	s_or_b32 s13, s13, vcc_lo
	s_delay_alu instid0(SALU_CYCLE_1) | instskip(NEXT) | instid1(SALU_CYCLE_1)
	s_and_saveexec_b32 s75, s13
	s_xor_b32 s13, exec_lo, s75
; %bb.22159:                            ;   in Loop: Header=BB6_19757 Depth=3
	v_min_i32_e32 v1, 31, v2
	s_delay_alu instid0(VALU_DEP_1) | instskip(NEXT) | instid1(VALU_DEP_1)
	v_lshl_or_b32 v1, v1, 2, v19
                                        ; implicit-def: $vgpr19
	v_and_or_b32 v29, v0, 3, v1
; %bb.22160:                            ;   in Loop: Header=BB6_19757 Depth=3
	s_and_not1_saveexec_b32 s13, s13
; %bb.22161:                            ;   in Loop: Header=BB6_19757 Depth=3
	v_mov_b32_e32 v29, v19
; %bb.22162:                            ;   in Loop: Header=BB6_19757 Depth=3
	s_or_b32 exec_lo, exec_lo, s13
.LBB6_22163:                            ;   in Loop: Header=BB6_19757 Depth=3
	s_delay_alu instid0(SALU_CYCLE_1)
	s_or_b32 exec_lo, exec_lo, s74
                                        ; implicit-def: $vgpr19
.LBB6_22164:                            ;   in Loop: Header=BB6_19757 Depth=3
	s_and_not1_saveexec_b32 s13, s15
; %bb.22165:                            ;   in Loop: Header=BB6_19757 Depth=3
	v_or_b32_e32 v29, 0x7b, v19
; %bb.22166:                            ;   in Loop: Header=BB6_19757 Depth=3
	s_or_b32 exec_lo, exec_lo, s13
                                        ; implicit-def: $vgpr2
                                        ; implicit-def: $vgpr0_vgpr1
.LBB6_22167:                            ;   in Loop: Header=BB6_19757 Depth=3
	s_and_not1_saveexec_b32 s13, s14
	s_cbranch_execz .LBB6_22173
; %bb.22168:                            ;   in Loop: Header=BB6_19757 Depth=3
	s_mov_b32 s14, exec_lo
                                        ; implicit-def: $vgpr29
	v_cmpx_ne_u64_e32 0, v[0:1]
	s_xor_b32 s14, exec_lo, s14
; %bb.22169:                            ;   in Loop: Header=BB6_19757 Depth=3
	v_lshrrev_b32_e32 v0, 24, v2
                                        ; implicit-def: $vgpr2
	s_delay_alu instid0(VALU_DEP_1)
	v_or_b32_e32 v29, 0x7f, v0
; %bb.22170:                            ;   in Loop: Header=BB6_19757 Depth=3
	s_and_not1_saveexec_b32 s14, s14
; %bb.22171:                            ;   in Loop: Header=BB6_19757 Depth=3
	v_cmp_lt_i32_e32 vcc_lo, -1, v2
	v_cndmask_b32_e64 v29, -4, 0x7c, vcc_lo
; %bb.22172:                            ;   in Loop: Header=BB6_19757 Depth=3
	s_or_b32 exec_lo, exec_lo, s14
.LBB6_22173:                            ;   in Loop: Header=BB6_19757 Depth=3
	s_delay_alu instid0(SALU_CYCLE_1)
	s_or_b32 exec_lo, exec_lo, s13
	scratch_load_b64 v[0:1], off, s33 offset:216 ; 8-byte Folded Reload
	s_mov_b32 s14, exec_lo
	s_wait_loadcnt 0x0
	v_mov_b32_e32 v1, 0
	v_and_b32_e32 v3, 0xff, v0
	v_mov_b32_e32 v0, 0
	s_wait_xcnt 0x0
	s_delay_alu instid0(VALU_DEP_2)
	v_cmpx_ne_u16_e32 0, v3
	s_cbranch_execz .LBB6_22183
; %bb.22174:                            ;   in Loop: Header=BB6_19757 Depth=3
	v_bfrev_b32_e32 v1, 1
	s_mov_b32 s15, exec_lo
	v_cmpx_ne_u16_e32 0x80, v3
	s_cbranch_execz .LBB6_22182
; %bb.22175:                            ;   in Loop: Header=BB6_19757 Depth=3
	scratch_load_b64 v[38:39], off, s33 offset:216 ; 8-byte Folded Reload
	s_wait_loadcnt 0x0
	v_mov_b32_e32 v2, v38
	s_delay_alu instid0(VALU_DEP_1) | instskip(SKIP_1) | instid1(VALU_DEP_2)
	v_and_b32_e32 v1, 0x7c, v2
	v_and_b32_e32 v2, 3, v2
	v_cmp_ne_u32_e32 vcc_lo, 0x7c, v1
                                        ; implicit-def: $vgpr1
	s_wait_xcnt 0x0
	s_and_saveexec_b32 s13, vcc_lo
	s_delay_alu instid0(SALU_CYCLE_1)
	s_xor_b32 s13, exec_lo, s13
	s_cbranch_execz .LBB6_22179
; %bb.22176:                            ;   in Loop: Header=BB6_19757 Depth=3
	v_bfe_u32 v1, v3, 2, 5
	s_mov_b32 s74, exec_lo
	s_delay_alu instid0(VALU_DEP_1)
	v_cmpx_eq_u32_e32 0, v1
	s_cbranch_execz .LBB6_22178
; %bb.22177:                            ;   in Loop: Header=BB6_19757 Depth=3
	scratch_load_b64 v[38:39], off, s33 offset:216 th:TH_LOAD_LU ; 8-byte Folded Reload
	v_clz_i32_u32_e32 v1, v2
	s_wait_loadcnt 0x0
	v_mov_b32_e32 v39, v113
	s_delay_alu instid0(VALU_DEP_2) | instskip(NEXT) | instid1(VALU_DEP_1)
	v_min_u32_e32 v1, 32, v1
	v_subrev_nc_u32_e32 v2, 29, v1
	v_mov_b32_e32 v52, v38
	s_delay_alu instid0(VALU_DEP_2)
	v_lshlrev_b64_e32 v[2:3], v2, v[38:39]
	v_sub_nc_u32_e32 v1, 30, v1
	scratch_store_b64 off, v[52:53], s33 offset:216 ; 8-byte Folded Spill
	v_and_b32_e32 v2, 3, v2
.LBB6_22178:                            ;   in Loop: Header=BB6_19757 Depth=3
	s_wait_xcnt 0x0
	s_or_b32 exec_lo, exec_lo, s74
	scratch_load_b64 v[38:39], off, s33 offset:216 th:TH_LOAD_LU ; 8-byte Folded Reload
	s_wait_loadcnt 0x0
	v_lshlrev_b32_e32 v3, 24, v38
                                        ; implicit-def: $vgpr38
	scratch_store_b64 off, v[38:39], s33 offset:216 ; 8-byte Folded Spill
	v_and_b32_e32 v3, 0x80000000, v3
	s_delay_alu instid0(VALU_DEP_1) | instskip(NEXT) | instid1(VALU_DEP_1)
	v_lshl_add_u32 v1, v1, 23, v3
	v_lshl_or_b32 v1, v2, 21, v1
                                        ; implicit-def: $vgpr2
	s_delay_alu instid0(VALU_DEP_1)
	v_add_nc_u32_e32 v1, 0x38000000, v1
.LBB6_22179:                            ;   in Loop: Header=BB6_19757 Depth=3
	s_wait_xcnt 0x0
	s_and_not1_saveexec_b32 s74, s13
	s_cbranch_execz .LBB6_22181
; %bb.22180:                            ;   in Loop: Header=BB6_19757 Depth=3
	v_cmp_eq_u32_e32 vcc_lo, 0, v2
	scratch_load_b64 v[2:3], off, s33 offset:216 th:TH_LOAD_LU ; 8-byte Folded Reload
	s_wait_loadcnt 0x0
	v_bfe_i32 v1, v2, 0, 8
	s_delay_alu instid0(VALU_DEP_1) | instskip(SKIP_1) | instid1(VALU_DEP_1)
	v_cmp_lt_i16_e64 s13, -1, v1
	v_mov_b32_e32 v1, 0x7f800000
	v_cndmask_b32_e64 v1, 0xff800000, v1, s13
	s_delay_alu instid0(VALU_DEP_1)
	v_cndmask_b32_e32 v1, 0x7f800001, v1, vcc_lo
.LBB6_22181:                            ;   in Loop: Header=BB6_19757 Depth=3
	s_wait_xcnt 0x0
	s_or_b32 exec_lo, exec_lo, s74
.LBB6_22182:                            ;   in Loop: Header=BB6_19757 Depth=3
	s_delay_alu instid0(SALU_CYCLE_1)
	s_or_b32 exec_lo, exec_lo, s15
.LBB6_22183:                            ;   in Loop: Header=BB6_19757 Depth=3
	s_delay_alu instid0(SALU_CYCLE_1) | instskip(NEXT) | instid1(SALU_CYCLE_1)
	s_or_b32 exec_lo, exec_lo, s14
	s_mov_b32 s14, exec_lo
	s_wait_dscnt 0x1
	v_cmpx_ne_u16_e32 0, v74
	s_cbranch_execz .LBB6_22193
; %bb.22184:                            ;   in Loop: Header=BB6_19757 Depth=3
	v_bfrev_b32_e32 v0, 1
	s_mov_b32 s15, exec_lo
	v_cmpx_ne_u16_e32 0xff80, v74
	s_cbranch_execz .LBB6_22192
; %bb.22185:                            ;   in Loop: Header=BB6_19757 Depth=3
	v_and_b32_e32 v0, 0x7c, v74
	v_and_b32_e32 v2, 3, v74
	s_delay_alu instid0(VALU_DEP_2) | instskip(SKIP_1) | instid1(SALU_CYCLE_1)
	v_cmp_ne_u32_e32 vcc_lo, 0x7c, v0
                                        ; implicit-def: $vgpr0
	s_and_saveexec_b32 s13, vcc_lo
	s_xor_b32 s13, exec_lo, s13
	s_cbranch_execz .LBB6_22189
; %bb.22186:                            ;   in Loop: Header=BB6_19757 Depth=3
	v_and_b32_e32 v0, 0xff, v74
	s_mov_b32 s74, exec_lo
	s_delay_alu instid0(VALU_DEP_1) | instskip(NEXT) | instid1(VALU_DEP_1)
	v_bfe_u32 v0, v0, 2, 5
	v_cmpx_eq_u32_e32 0, v0
	s_cbranch_execz .LBB6_22188
; %bb.22187:                            ;   in Loop: Header=BB6_19757 Depth=3
	v_clz_i32_u32_e32 v0, v2
	s_delay_alu instid0(VALU_DEP_1) | instskip(SKIP_1) | instid1(VALU_DEP_2)
	v_min_u32_e32 v0, 32, v0
	v_mov_b32_e32 v75, v113
	v_subrev_nc_u32_e32 v2, 29, v0
	v_sub_nc_u32_e32 v0, 30, v0
	s_delay_alu instid0(VALU_DEP_2) | instskip(NEXT) | instid1(VALU_DEP_1)
	v_lshlrev_b64_e32 v[2:3], v2, v[74:75]
	v_and_b32_e32 v2, 3, v2
.LBB6_22188:                            ;   in Loop: Header=BB6_19757 Depth=3
	s_or_b32 exec_lo, exec_lo, s74
	v_bfe_i32 v3, v74, 0, 16
                                        ; implicit-def: $vgpr74
	s_delay_alu instid0(VALU_DEP_1) | instskip(NEXT) | instid1(VALU_DEP_1)
	v_and_b32_e32 v3, 0x80000000, v3
	v_lshl_add_u32 v0, v0, 23, v3
	s_delay_alu instid0(VALU_DEP_1) | instskip(NEXT) | instid1(VALU_DEP_1)
	v_lshl_or_b32 v0, v2, 21, v0
                                        ; implicit-def: $vgpr2
	v_add_nc_u32_e32 v0, 0x38000000, v0
.LBB6_22189:                            ;   in Loop: Header=BB6_19757 Depth=3
	s_and_not1_saveexec_b32 s74, s13
; %bb.22190:                            ;   in Loop: Header=BB6_19757 Depth=3
	v_cmp_lt_i16_e64 s13, -1, v74
	v_mov_b32_e32 v0, 0x7f800000
	v_cmp_eq_u32_e32 vcc_lo, 0, v2
	s_delay_alu instid0(VALU_DEP_2) | instskip(NEXT) | instid1(VALU_DEP_1)
	v_cndmask_b32_e64 v0, 0xff800000, v0, s13
	v_cndmask_b32_e32 v0, 0x7f800001, v0, vcc_lo
; %bb.22191:                            ;   in Loop: Header=BB6_19757 Depth=3
	s_or_b32 exec_lo, exec_lo, s74
.LBB6_22192:                            ;   in Loop: Header=BB6_19757 Depth=3
	s_delay_alu instid0(SALU_CYCLE_1)
	s_or_b32 exec_lo, exec_lo, s15
.LBB6_22193:                            ;   in Loop: Header=BB6_19757 Depth=3
	s_delay_alu instid0(SALU_CYCLE_1) | instskip(NEXT) | instid1(VALU_DEP_1)
	s_or_b32 exec_lo, exec_lo, s14
	v_add_f32_e32 v2, v1, v0
	v_mov_b32_e32 v1, v113
                                        ; implicit-def: $vgpr38
	s_delay_alu instid0(VALU_DEP_2) | instskip(NEXT) | instid1(VALU_DEP_1)
	v_and_b32_e32 v0, 0x7f800000, v2
	v_cmp_ne_u64_e32 vcc_lo, 0x7f800000, v[0:1]
	v_and_b32_e32 v0, 0x7fffff, v2
	s_and_saveexec_b32 s13, vcc_lo
	s_delay_alu instid0(SALU_CYCLE_1)
	s_xor_b32 s14, exec_lo, s13
	s_cbranch_execz .LBB6_22211
; %bb.22194:                            ;   in Loop: Header=BB6_19757 Depth=3
	v_and_b32_e32 v38, 0x7fffffff, v2
	v_dual_mov_b32 v39, v113 :: v_dual_lshrrev_b32 v3, 24, v2
	s_delay_alu instid0(VALU_DEP_1) | instskip(NEXT) | instid1(VALU_DEP_2)
	v_cmp_gt_u64_e32 vcc_lo, 0x47600001, v[38:39]
	v_and_b32_e32 v19, 0x80, v3
                                        ; implicit-def: $vgpr38
	s_and_saveexec_b32 s13, vcc_lo
	s_delay_alu instid0(SALU_CYCLE_1)
	s_xor_b32 s15, exec_lo, s13
	s_cbranch_execz .LBB6_22208
; %bb.22195:                            ;   in Loop: Header=BB6_19757 Depth=3
	v_mov_b32_e32 v38, 0
	s_mov_b32 s74, exec_lo
	v_cmpx_ne_u32_e32 0, v2
	s_cbranch_execz .LBB6_22207
; %bb.22196:                            ;   in Loop: Header=BB6_19757 Depth=3
	v_bfe_u32 v38, v2, 23, 8
	v_or_b32_e32 v3, 0x800000, v0
	s_delay_alu instid0(VALU_DEP_2) | instskip(SKIP_2) | instid1(VALU_DEP_2)
	v_cmp_gt_u32_e64 s13, 0x72, v38
	v_sub_nc_u32_e32 v2, 0x71, v38
	v_cmp_eq_u32_e32 vcc_lo, 0, v38
	v_dual_cndmask_b32 v2, 0, v2, s13 :: v_dual_cndmask_b32 v0, v3, v0, vcc_lo
	s_delay_alu instid0(VALU_DEP_1) | instskip(NEXT) | instid1(VALU_DEP_1)
	v_cndmask_b32_e64 v39, v2, 0x70, vcc_lo
	v_dual_add_nc_u32 v2, 21, v39 :: v_dual_add_nc_u32 v51, 20, v39
	s_delay_alu instid0(VALU_DEP_1) | instskip(NEXT) | instid1(VALU_DEP_2)
	v_lshlrev_b64_e64 v[2:3], v2, -1
	v_lshlrev_b64_e64 v[52:53], v51, 1
	s_delay_alu instid0(VALU_DEP_2) | instskip(SKIP_1) | instid1(VALU_DEP_4)
	v_bfi_b32 v2, v2, 0, v0
	v_lshrrev_b64 v[0:1], v39, v[0:1]
	v_bfi_b32 v3, v3, 0, 0
	s_delay_alu instid0(VALU_DEP_1) | instskip(NEXT) | instid1(VALU_DEP_3)
	v_cmp_eq_u64_e64 s13, v[2:3], v[52:53]
	v_mov_b64_e32 v[2:3], v[0:1]
	s_and_saveexec_b32 s75, s13
; %bb.22197:                            ;   in Loop: Header=BB6_19757 Depth=3
	v_bfe_u32 v2, v0, 21, 1
	v_mov_b32_e32 v3, v113
	s_delay_alu instid0(VALU_DEP_1) | instskip(NEXT) | instid1(VALU_DEP_1)
	v_add_nc_u64_e32 v[2:3], v[0:1], v[2:3]
	v_add_nc_u64_e32 v[2:3], -1, v[2:3]
; %bb.22198:                            ;   in Loop: Header=BB6_19757 Depth=3
	s_or_b32 exec_lo, exec_lo, s75
	v_add_nc_u32_e32 v1, 0xffffff81, v38
	v_lshrrev_b32_e32 v3, 23, v0
	s_mov_b32 s13, exec_lo
	s_delay_alu instid0(VALU_DEP_2) | instskip(NEXT) | instid1(VALU_DEP_1)
	v_cndmask_b32_e64 v1, v1, 0xffffff82, vcc_lo
	v_add3_u32 v38, v39, v1, v3
	v_and_b32_e32 v1, 0x1fffff, v2
                                        ; implicit-def: $vgpr2
	s_delay_alu instid0(VALU_DEP_1) | instskip(SKIP_1) | instid1(VALU_DEP_2)
	v_dual_add_nc_u32 v3, 14, v38 :: v_dual_add_nc_u32 v0, v1, v0
	v_mov_b32_e32 v1, v113
	v_cmpx_ne_u32_e32 0, v3
	s_xor_b32 s13, exec_lo, s13
; %bb.22199:                            ;   in Loop: Header=BB6_19757 Depth=3
	s_delay_alu instid0(VALU_DEP_2) | instskip(SKIP_1) | instid1(VALU_DEP_1)
	v_cmp_lt_u64_e32 vcc_lo, 0xffffff, v[0:1]
	v_add_nc_u32_e32 v2, 15, v38
	v_cndmask_b32_e32 v2, v3, v2, vcc_lo
	v_cndmask_b32_e64 v3, 0, 1, vcc_lo
	s_delay_alu instid0(VALU_DEP_1)
	v_lshrrev_b64 v[0:1], v3, v[0:1]
; %bb.22200:                            ;   in Loop: Header=BB6_19757 Depth=3
	s_and_not1_saveexec_b32 s13, s13
; %bb.22201:                            ;   in Loop: Header=BB6_19757 Depth=3
	s_delay_alu instid0(VALU_DEP_1)
	v_bfe_u32 v2, v0, 23, 1
; %bb.22202:                            ;   in Loop: Header=BB6_19757 Depth=3
	s_or_b32 exec_lo, exec_lo, s13
	s_delay_alu instid0(VALU_DEP_2) | instskip(NEXT) | instid1(VALU_DEP_2)
	v_lshrrev_b64 v[0:1], 21, v[0:1]
	v_cmp_gt_i32_e32 vcc_lo, 32, v2
	v_cmp_ne_u32_e64 s13, 0, v2
                                        ; implicit-def: $vgpr38
	s_delay_alu instid0(VALU_DEP_3) | instskip(NEXT) | instid1(VALU_DEP_1)
	v_dual_cndmask_b32 v1, 0, v1 :: v_dual_cndmask_b32 v0, 3, v0
	v_cmp_ne_u64_e32 vcc_lo, 0, v[0:1]
	s_or_b32 s13, s13, vcc_lo
	s_delay_alu instid0(SALU_CYCLE_1) | instskip(NEXT) | instid1(SALU_CYCLE_1)
	s_and_saveexec_b32 s75, s13
	s_xor_b32 s13, exec_lo, s75
; %bb.22203:                            ;   in Loop: Header=BB6_19757 Depth=3
	v_min_i32_e32 v1, 31, v2
	s_delay_alu instid0(VALU_DEP_1) | instskip(NEXT) | instid1(VALU_DEP_1)
	v_lshl_or_b32 v1, v1, 2, v19
                                        ; implicit-def: $vgpr19
	v_and_or_b32 v38, v0, 3, v1
; %bb.22204:                            ;   in Loop: Header=BB6_19757 Depth=3
	s_and_not1_saveexec_b32 s13, s13
; %bb.22205:                            ;   in Loop: Header=BB6_19757 Depth=3
	v_mov_b32_e32 v38, v19
; %bb.22206:                            ;   in Loop: Header=BB6_19757 Depth=3
	s_or_b32 exec_lo, exec_lo, s13
.LBB6_22207:                            ;   in Loop: Header=BB6_19757 Depth=3
	s_delay_alu instid0(SALU_CYCLE_1)
	s_or_b32 exec_lo, exec_lo, s74
                                        ; implicit-def: $vgpr19
.LBB6_22208:                            ;   in Loop: Header=BB6_19757 Depth=3
	s_and_not1_saveexec_b32 s13, s15
; %bb.22209:                            ;   in Loop: Header=BB6_19757 Depth=3
	v_or_b32_e32 v38, 0x7b, v19
; %bb.22210:                            ;   in Loop: Header=BB6_19757 Depth=3
	s_or_b32 exec_lo, exec_lo, s13
                                        ; implicit-def: $vgpr2
                                        ; implicit-def: $vgpr0_vgpr1
.LBB6_22211:                            ;   in Loop: Header=BB6_19757 Depth=3
	s_and_not1_saveexec_b32 s13, s14
	s_cbranch_execz .LBB6_22217
; %bb.22212:                            ;   in Loop: Header=BB6_19757 Depth=3
	s_mov_b32 s14, exec_lo
                                        ; implicit-def: $vgpr38
	v_cmpx_ne_u64_e32 0, v[0:1]
	s_xor_b32 s14, exec_lo, s14
; %bb.22213:                            ;   in Loop: Header=BB6_19757 Depth=3
	v_lshrrev_b32_e32 v0, 24, v2
                                        ; implicit-def: $vgpr2
	s_delay_alu instid0(VALU_DEP_1)
	v_or_b32_e32 v38, 0x7f, v0
; %bb.22214:                            ;   in Loop: Header=BB6_19757 Depth=3
	s_and_not1_saveexec_b32 s14, s14
; %bb.22215:                            ;   in Loop: Header=BB6_19757 Depth=3
	v_cmp_lt_i32_e32 vcc_lo, -1, v2
	v_cndmask_b32_e64 v38, -4, 0x7c, vcc_lo
; %bb.22216:                            ;   in Loop: Header=BB6_19757 Depth=3
	s_or_b32 exec_lo, exec_lo, s14
.LBB6_22217:                            ;   in Loop: Header=BB6_19757 Depth=3
	s_delay_alu instid0(SALU_CYCLE_1) | instskip(SKIP_3) | instid1(VALU_DEP_2)
	s_or_b32 exec_lo, exec_lo, s13
	v_and_b32_e32 v3, 0xff, v78
	v_dual_mov_b32 v0, 0 :: v_dual_mov_b32 v1, 0
	s_mov_b32 s14, exec_lo
	v_cmpx_ne_u16_e32 0, v3
	s_cbranch_execz .LBB6_22227
; %bb.22218:                            ;   in Loop: Header=BB6_19757 Depth=3
	v_bfrev_b32_e32 v1, 1
	s_mov_b32 s15, exec_lo
	v_cmpx_ne_u16_e32 0x80, v3
	s_cbranch_execz .LBB6_22226
; %bb.22219:                            ;   in Loop: Header=BB6_19757 Depth=3
	v_and_b32_e32 v1, 0x7c, v78
	v_and_b32_e32 v2, 3, v78
	s_delay_alu instid0(VALU_DEP_2) | instskip(SKIP_1) | instid1(SALU_CYCLE_1)
	v_cmp_ne_u32_e32 vcc_lo, 0x7c, v1
                                        ; implicit-def: $vgpr1
	s_and_saveexec_b32 s13, vcc_lo
	s_xor_b32 s13, exec_lo, s13
	s_cbranch_execz .LBB6_22223
; %bb.22220:                            ;   in Loop: Header=BB6_19757 Depth=3
	v_bfe_u32 v1, v3, 2, 5
	s_mov_b32 s74, exec_lo
	s_delay_alu instid0(VALU_DEP_1)
	v_cmpx_eq_u32_e32 0, v1
	s_cbranch_execz .LBB6_22222
; %bb.22221:                            ;   in Loop: Header=BB6_19757 Depth=3
	v_clz_i32_u32_e32 v1, v2
	s_delay_alu instid0(VALU_DEP_1) | instskip(SKIP_1) | instid1(VALU_DEP_2)
	v_min_u32_e32 v1, 32, v1
	v_mov_b32_e32 v79, v113
	v_subrev_nc_u32_e32 v2, 29, v1
	v_sub_nc_u32_e32 v1, 30, v1
	s_delay_alu instid0(VALU_DEP_2) | instskip(NEXT) | instid1(VALU_DEP_1)
	v_lshlrev_b64_e32 v[2:3], v2, v[78:79]
	v_and_b32_e32 v2, 3, v2
.LBB6_22222:                            ;   in Loop: Header=BB6_19757 Depth=3
	s_or_b32 exec_lo, exec_lo, s74
	v_lshlrev_b32_e32 v3, 24, v78
                                        ; implicit-def: $vgpr78
	s_delay_alu instid0(VALU_DEP_1) | instskip(NEXT) | instid1(VALU_DEP_1)
	v_and_b32_e32 v3, 0x80000000, v3
	v_lshl_add_u32 v1, v1, 23, v3
	s_delay_alu instid0(VALU_DEP_1) | instskip(NEXT) | instid1(VALU_DEP_1)
	v_lshl_or_b32 v1, v2, 21, v1
                                        ; implicit-def: $vgpr2
	v_add_nc_u32_e32 v1, 0x38000000, v1
.LBB6_22223:                            ;   in Loop: Header=BB6_19757 Depth=3
	s_and_not1_saveexec_b32 s74, s13
; %bb.22224:                            ;   in Loop: Header=BB6_19757 Depth=3
	v_bfe_i32 v1, v78, 0, 8
	v_cmp_eq_u32_e32 vcc_lo, 0, v2
	s_delay_alu instid0(VALU_DEP_2) | instskip(SKIP_1) | instid1(VALU_DEP_1)
	v_cmp_lt_i16_e64 s13, -1, v1
	v_mov_b32_e32 v1, 0x7f800000
	v_cndmask_b32_e64 v1, 0xff800000, v1, s13
	s_delay_alu instid0(VALU_DEP_1)
	v_cndmask_b32_e32 v1, 0x7f800001, v1, vcc_lo
; %bb.22225:                            ;   in Loop: Header=BB6_19757 Depth=3
	s_or_b32 exec_lo, exec_lo, s74
.LBB6_22226:                            ;   in Loop: Header=BB6_19757 Depth=3
	s_delay_alu instid0(SALU_CYCLE_1)
	s_or_b32 exec_lo, exec_lo, s15
.LBB6_22227:                            ;   in Loop: Header=BB6_19757 Depth=3
	s_delay_alu instid0(SALU_CYCLE_1) | instskip(NEXT) | instid1(SALU_CYCLE_1)
	s_or_b32 exec_lo, exec_lo, s14
	s_mov_b32 s14, exec_lo
	s_wait_dscnt 0x0
	v_cmpx_ne_u16_e32 0, v18
	s_cbranch_execz .LBB6_22237
; %bb.22228:                            ;   in Loop: Header=BB6_19757 Depth=3
	v_bfrev_b32_e32 v0, 1
	s_mov_b32 s15, exec_lo
	v_cmpx_ne_u16_e32 0xff80, v18
	s_cbranch_execz .LBB6_22236
; %bb.22229:                            ;   in Loop: Header=BB6_19757 Depth=3
	v_and_b32_e32 v0, 0x7c, v18
	v_and_b32_e32 v2, 3, v18
	s_delay_alu instid0(VALU_DEP_2) | instskip(SKIP_1) | instid1(SALU_CYCLE_1)
	v_cmp_ne_u32_e32 vcc_lo, 0x7c, v0
                                        ; implicit-def: $vgpr0
	s_and_saveexec_b32 s13, vcc_lo
	s_xor_b32 s13, exec_lo, s13
	s_cbranch_execz .LBB6_22233
; %bb.22230:                            ;   in Loop: Header=BB6_19757 Depth=3
	v_and_b32_e32 v0, 0xff, v18
	s_mov_b32 s74, exec_lo
	s_delay_alu instid0(VALU_DEP_1) | instskip(NEXT) | instid1(VALU_DEP_1)
	v_bfe_u32 v0, v0, 2, 5
	v_cmpx_eq_u32_e32 0, v0
	s_cbranch_execz .LBB6_22232
; %bb.22231:                            ;   in Loop: Header=BB6_19757 Depth=3
	v_clz_i32_u32_e32 v0, v2
	s_delay_alu instid0(VALU_DEP_1) | instskip(SKIP_1) | instid1(VALU_DEP_2)
	v_min_u32_e32 v0, 32, v0
	v_mov_b32_e32 v19, v113
	v_subrev_nc_u32_e32 v2, 29, v0
	v_sub_nc_u32_e32 v0, 30, v0
	s_delay_alu instid0(VALU_DEP_2) | instskip(NEXT) | instid1(VALU_DEP_1)
	v_lshlrev_b64_e32 v[2:3], v2, v[18:19]
	v_and_b32_e32 v2, 3, v2
.LBB6_22232:                            ;   in Loop: Header=BB6_19757 Depth=3
	s_or_b32 exec_lo, exec_lo, s74
	v_bfe_i32 v3, v18, 0, 16
                                        ; implicit-def: $vgpr18
	s_delay_alu instid0(VALU_DEP_1) | instskip(NEXT) | instid1(VALU_DEP_1)
	v_and_b32_e32 v3, 0x80000000, v3
	v_lshl_add_u32 v0, v0, 23, v3
	s_delay_alu instid0(VALU_DEP_1) | instskip(NEXT) | instid1(VALU_DEP_1)
	v_lshl_or_b32 v0, v2, 21, v0
                                        ; implicit-def: $vgpr2
	v_add_nc_u32_e32 v0, 0x38000000, v0
.LBB6_22233:                            ;   in Loop: Header=BB6_19757 Depth=3
	s_and_not1_saveexec_b32 s74, s13
; %bb.22234:                            ;   in Loop: Header=BB6_19757 Depth=3
	v_cmp_lt_i16_e64 s13, -1, v18
	v_mov_b32_e32 v0, 0x7f800000
	v_cmp_eq_u32_e32 vcc_lo, 0, v2
	s_delay_alu instid0(VALU_DEP_2) | instskip(NEXT) | instid1(VALU_DEP_1)
	v_cndmask_b32_e64 v0, 0xff800000, v0, s13
	v_cndmask_b32_e32 v0, 0x7f800001, v0, vcc_lo
; %bb.22235:                            ;   in Loop: Header=BB6_19757 Depth=3
	s_or_b32 exec_lo, exec_lo, s74
.LBB6_22236:                            ;   in Loop: Header=BB6_19757 Depth=3
	s_delay_alu instid0(SALU_CYCLE_1)
	s_or_b32 exec_lo, exec_lo, s15
.LBB6_22237:                            ;   in Loop: Header=BB6_19757 Depth=3
	s_delay_alu instid0(SALU_CYCLE_1) | instskip(NEXT) | instid1(VALU_DEP_1)
	s_or_b32 exec_lo, exec_lo, s14
	v_add_f32_e32 v3, v1, v0
	v_mov_b32_e32 v1, v113
                                        ; implicit-def: $vgpr2
	s_delay_alu instid0(VALU_DEP_2) | instskip(NEXT) | instid1(VALU_DEP_1)
	v_and_b32_e32 v0, 0x7f800000, v3
	v_cmp_ne_u64_e32 vcc_lo, 0x7f800000, v[0:1]
	v_and_b32_e32 v0, 0x7fffff, v3
	s_and_saveexec_b32 s13, vcc_lo
	s_delay_alu instid0(SALU_CYCLE_1)
	s_xor_b32 s14, exec_lo, s13
	s_cbranch_execz .LBB6_22255
; %bb.22238:                            ;   in Loop: Header=BB6_19757 Depth=3
	v_and_b32_e32 v18, 0x7fffffff, v3
	v_dual_mov_b32 v19, v113 :: v_dual_lshrrev_b32 v2, 24, v3
	s_delay_alu instid0(VALU_DEP_1) | instskip(NEXT) | instid1(VALU_DEP_2)
	v_cmp_gt_u64_e32 vcc_lo, 0x47600001, v[18:19]
	v_and_b32_e32 v18, 0x80, v2
                                        ; implicit-def: $vgpr2
	s_and_saveexec_b32 s13, vcc_lo
	s_delay_alu instid0(SALU_CYCLE_1)
	s_xor_b32 s15, exec_lo, s13
	s_cbranch_execz .LBB6_22252
; %bb.22239:                            ;   in Loop: Header=BB6_19757 Depth=3
	v_mov_b32_e32 v2, 0
	s_mov_b32 s74, exec_lo
	v_cmpx_ne_u32_e32 0, v3
	s_cbranch_execz .LBB6_22251
; %bb.22240:                            ;   in Loop: Header=BB6_19757 Depth=3
	v_bfe_u32 v19, v3, 23, 8
	v_or_b32_e32 v3, 0x800000, v0
	s_delay_alu instid0(VALU_DEP_2) | instskip(SKIP_2) | instid1(VALU_DEP_2)
	v_cmp_gt_u32_e64 s13, 0x72, v19
	v_sub_nc_u32_e32 v2, 0x71, v19
	v_cmp_eq_u32_e32 vcc_lo, 0, v19
	v_dual_cndmask_b32 v2, 0, v2, s13 :: v_dual_cndmask_b32 v0, v3, v0, vcc_lo
	s_delay_alu instid0(VALU_DEP_1) | instskip(NEXT) | instid1(VALU_DEP_1)
	v_cndmask_b32_e64 v39, v2, 0x70, vcc_lo
	v_dual_add_nc_u32 v2, 21, v39 :: v_dual_add_nc_u32 v51, 20, v39
	s_delay_alu instid0(VALU_DEP_1) | instskip(NEXT) | instid1(VALU_DEP_2)
	v_lshlrev_b64_e64 v[2:3], v2, -1
	v_lshlrev_b64_e64 v[52:53], v51, 1
	s_delay_alu instid0(VALU_DEP_2) | instskip(SKIP_1) | instid1(VALU_DEP_4)
	v_bfi_b32 v2, v2, 0, v0
	v_lshrrev_b64 v[0:1], v39, v[0:1]
	v_bfi_b32 v3, v3, 0, 0
	s_delay_alu instid0(VALU_DEP_1) | instskip(NEXT) | instid1(VALU_DEP_3)
	v_cmp_eq_u64_e64 s13, v[2:3], v[52:53]
	v_mov_b64_e32 v[2:3], v[0:1]
	s_and_saveexec_b32 s75, s13
; %bb.22241:                            ;   in Loop: Header=BB6_19757 Depth=3
	v_bfe_u32 v2, v0, 21, 1
	v_mov_b32_e32 v3, v113
	s_delay_alu instid0(VALU_DEP_1) | instskip(NEXT) | instid1(VALU_DEP_1)
	v_add_nc_u64_e32 v[2:3], v[0:1], v[2:3]
	v_add_nc_u64_e32 v[2:3], -1, v[2:3]
; %bb.22242:                            ;   in Loop: Header=BB6_19757 Depth=3
	s_or_b32 exec_lo, exec_lo, s75
	v_add_nc_u32_e32 v1, 0xffffff81, v19
	v_lshrrev_b32_e32 v3, 23, v0
	s_mov_b32 s13, exec_lo
	s_delay_alu instid0(VALU_DEP_2) | instskip(NEXT) | instid1(VALU_DEP_1)
	v_cndmask_b32_e64 v1, v1, 0xffffff82, vcc_lo
	v_add3_u32 v19, v39, v1, v3
	v_and_b32_e32 v1, 0x1fffff, v2
                                        ; implicit-def: $vgpr3
	s_delay_alu instid0(VALU_DEP_1) | instskip(SKIP_1) | instid1(VALU_DEP_2)
	v_dual_add_nc_u32 v2, 14, v19 :: v_dual_add_nc_u32 v0, v1, v0
	v_mov_b32_e32 v1, v113
	v_cmpx_ne_u32_e32 0, v2
	s_xor_b32 s13, exec_lo, s13
; %bb.22243:                            ;   in Loop: Header=BB6_19757 Depth=3
	s_delay_alu instid0(VALU_DEP_2) | instskip(SKIP_1) | instid1(VALU_DEP_1)
	v_cmp_lt_u64_e32 vcc_lo, 0xffffff, v[0:1]
	v_add_nc_u32_e32 v3, 15, v19
	v_cndmask_b32_e32 v3, v2, v3, vcc_lo
	v_cndmask_b32_e64 v2, 0, 1, vcc_lo
	s_delay_alu instid0(VALU_DEP_1)
	v_lshrrev_b64 v[0:1], v2, v[0:1]
; %bb.22244:                            ;   in Loop: Header=BB6_19757 Depth=3
	s_and_not1_saveexec_b32 s13, s13
; %bb.22245:                            ;   in Loop: Header=BB6_19757 Depth=3
	s_delay_alu instid0(VALU_DEP_1)
	v_bfe_u32 v3, v0, 23, 1
; %bb.22246:                            ;   in Loop: Header=BB6_19757 Depth=3
	s_or_b32 exec_lo, exec_lo, s13
	s_delay_alu instid0(VALU_DEP_2) | instskip(NEXT) | instid1(VALU_DEP_2)
	v_lshrrev_b64 v[0:1], 21, v[0:1]
	v_cmp_gt_i32_e32 vcc_lo, 32, v3
	v_cmp_ne_u32_e64 s13, 0, v3
                                        ; implicit-def: $vgpr2
	s_delay_alu instid0(VALU_DEP_3) | instskip(NEXT) | instid1(VALU_DEP_1)
	v_dual_cndmask_b32 v1, 0, v1 :: v_dual_cndmask_b32 v0, 3, v0
	v_cmp_ne_u64_e32 vcc_lo, 0, v[0:1]
	s_or_b32 s13, s13, vcc_lo
	s_delay_alu instid0(SALU_CYCLE_1) | instskip(NEXT) | instid1(SALU_CYCLE_1)
	s_and_saveexec_b32 s75, s13
	s_xor_b32 s13, exec_lo, s75
; %bb.22247:                            ;   in Loop: Header=BB6_19757 Depth=3
	v_min_i32_e32 v1, 31, v3
	s_delay_alu instid0(VALU_DEP_1) | instskip(NEXT) | instid1(VALU_DEP_1)
	v_lshl_or_b32 v1, v1, 2, v18
                                        ; implicit-def: $vgpr18
	v_and_or_b32 v2, v0, 3, v1
; %bb.22248:                            ;   in Loop: Header=BB6_19757 Depth=3
	s_and_not1_saveexec_b32 s13, s13
; %bb.22249:                            ;   in Loop: Header=BB6_19757 Depth=3
	v_mov_b32_e32 v2, v18
; %bb.22250:                            ;   in Loop: Header=BB6_19757 Depth=3
	s_or_b32 exec_lo, exec_lo, s13
.LBB6_22251:                            ;   in Loop: Header=BB6_19757 Depth=3
	s_delay_alu instid0(SALU_CYCLE_1)
	s_or_b32 exec_lo, exec_lo, s74
                                        ; implicit-def: $vgpr18
.LBB6_22252:                            ;   in Loop: Header=BB6_19757 Depth=3
	s_and_not1_saveexec_b32 s13, s15
; %bb.22253:                            ;   in Loop: Header=BB6_19757 Depth=3
	v_or_b32_e32 v2, 0x7b, v18
; %bb.22254:                            ;   in Loop: Header=BB6_19757 Depth=3
	s_or_b32 exec_lo, exec_lo, s13
                                        ; implicit-def: $vgpr3
                                        ; implicit-def: $vgpr0_vgpr1
.LBB6_22255:                            ;   in Loop: Header=BB6_19757 Depth=3
	s_and_not1_saveexec_b32 s13, s14
	s_cbranch_execz .LBB6_19756
; %bb.22256:                            ;   in Loop: Header=BB6_19757 Depth=3
	s_mov_b32 s14, exec_lo
                                        ; implicit-def: $vgpr2
	v_cmpx_ne_u64_e32 0, v[0:1]
	s_xor_b32 s14, exec_lo, s14
; %bb.22257:                            ;   in Loop: Header=BB6_19757 Depth=3
	v_lshrrev_b32_e32 v0, 24, v3
                                        ; implicit-def: $vgpr3
	s_delay_alu instid0(VALU_DEP_1)
	v_or_b32_e32 v2, 0x7f, v0
; %bb.22258:                            ;   in Loop: Header=BB6_19757 Depth=3
	s_and_not1_saveexec_b32 s14, s14
	s_cbranch_execz .LBB6_19755
; %bb.22259:                            ;   in Loop: Header=BB6_19757 Depth=3
	v_cmp_lt_i32_e32 vcc_lo, -1, v3
	v_cndmask_b32_e64 v2, -4, 0x7c, vcc_lo
	s_branch .LBB6_19755
.LBB6_22260:                            ;   in Loop: Header=BB6_14108 Depth=2
	s_or_b32 exec_lo, exec_lo, s43
	s_clause 0x3
	scratch_load_b32 v7, off, s33 offset:464
	scratch_load_b32 v4, off, s33 offset:468
	;; [unrolled: 1-line block ×4, first 2 shown]
.LBB6_22261:                            ;   in Loop: Header=BB6_14108 Depth=2
	s_wait_xcnt 0x0
	s_or_b32 exec_lo, exec_lo, s42
	s_wait_loadcnt 0x0
	v_lshlrev_b32_e32 v0, 10, v1
	s_delay_alu instid0(VALU_DEP_1)
	v_cmp_ne_u32_e32 vcc_lo, v112, v0
	s_and_b32 exec_lo, exec_lo, vcc_lo
	s_cbranch_execz .LBB6_22353
; %bb.22262:                            ;   in Loop: Header=BB6_14108 Depth=2
	v_dual_lshlrev_b32 v1, 5, v3 :: v_dual_lshlrev_b32 v2, 5, v126
	s_delay_alu instid0(VALU_DEP_1) | instskip(NEXT) | instid1(VALU_DEP_1)
	v_sub_nc_u32_e32 v1, v4, v1
	v_sub_nc_u32_e32 v1, v1, v2
	s_delay_alu instid0(VALU_DEP_1) | instskip(NEXT) | instid1(VALU_DEP_1)
	v_add_nc_u32_e32 v0, v0, v1
	v_sub_nc_u32_e32 v12, v112, v0
	s_delay_alu instid0(VALU_DEP_1)
	v_cmp_lt_i32_e32 vcc_lo, 0, v12
	s_and_b32 exec_lo, exec_lo, vcc_lo
	s_cbranch_execz .LBB6_22353
; %bb.22263:                            ;   in Loop: Header=BB6_14108 Depth=2
	s_trap 2
	ds_load_b128 v[2:5], v0
	v_add_nc_u32_e32 v6, v0, v7
	s_mov_b32 s74, 0
	s_delay_alu instid0(VALU_DEP_1) | instskip(SKIP_1) | instid1(VALU_DEP_1)
	v_ashrrev_i32_e32 v7, 31, v6
	s_wait_dscnt 0x0
	v_add_nc_u64_e32 v[0:1], v[2:3], v[6:7]
	v_add_nc_u64_e32 v[2:3], v[4:5], v[6:7]
	s_delay_alu instid0(VALU_DEP_2) | instskip(NEXT) | instid1(VALU_DEP_2)
	v_mov_b64_e32 v[4:5], v[0:1]
	v_mov_b64_e32 v[6:7], v[2:3]
.LBB6_22264:                            ;   Parent Loop BB6_47 Depth=1
                                        ;     Parent Loop BB6_14108 Depth=2
                                        ; =>    This Loop Header: Depth=3
                                        ;         Child Loop BB6_22351 Depth 4
	s_trap 2
	ds_load_b64 v[8:9], v0
	s_mov_b32 s13, 0
	s_wait_dscnt 0x0
	v_and_b32_e32 v10, 0xff, v8
	v_readfirstlane_b32 s14, v8
	v_readfirstlane_b32 s15, v9
	s_delay_alu instid0(VALU_DEP_3)
	v_cmp_eq_u32_e32 vcc_lo, 0, v10
	s_cbranch_vccnz .LBB6_22272
; %bb.22265:                            ;   in Loop: Header=BB6_22264 Depth=3
	s_bfe_i32 s43, s14, 0x80000
	s_delay_alu instid0(SALU_CYCLE_1) | instskip(NEXT) | instid1(SALU_CYCLE_1)
	s_and_b32 s13, 0xffff, s43
	s_cmp_eq_u32 s13, 0xff80
	s_brev_b32 s13, 1
	s_cbranch_scc1 .LBB6_22272
; %bb.22266:                            ;   in Loop: Header=BB6_22264 Depth=3
	s_and_b32 s13, s14, 0x7c
	s_and_b32 s42, s14, 3
	s_mov_b32 s75, -1
	s_cmp_lg_u32 s13, 0x7c
	s_sext_i32_i16 s43, s43
                                        ; implicit-def: $sgpr13
	s_cbranch_scc0 .LBB6_22270
; %bb.22267:                            ;   in Loop: Header=BB6_22264 Depth=3
	s_bfe_u32 s13, s14, 0x50002
	s_mov_b32 s75, s42
	s_cmp_lg_u32 s13, 0
	s_cbranch_scc1 .LBB6_22269
; %bb.22268:                            ;   in Loop: Header=BB6_22264 Depth=3
	s_clz_i32_u32 s13, s42
	s_delay_alu instid0(SALU_CYCLE_1) | instskip(NEXT) | instid1(SALU_CYCLE_1)
	s_min_u32 s13, s13, 32
	s_sub_co_i32 s75, s13, 29
	s_sub_co_i32 s13, 30, s13
	s_lshl_b64 s[14:15], s[14:15], s75
	s_delay_alu instid0(SALU_CYCLE_1)
	s_and_b32 s75, s14, 3
.LBB6_22269:                            ;   in Loop: Header=BB6_22264 Depth=3
	s_and_b32 s14, s43, 0x80000000
	s_lshl_b32 s13, s13, 23
	s_lshl_b32 s15, s75, 21
	s_add_co_i32 s13, s13, s14
	s_mov_b32 s75, 0
	s_or_b32 s13, s13, s15
	s_delay_alu instid0(SALU_CYCLE_1)
	s_add_co_i32 s13, s13, 0x38000000
.LBB6_22270:                            ;   in Loop: Header=BB6_22264 Depth=3
	s_and_b32 vcc_lo, exec_lo, s75
	s_cbranch_vccz .LBB6_22272
; %bb.22271:                            ;   in Loop: Header=BB6_22264 Depth=3
	s_cmp_gt_i32 s43, -1
	s_cselect_b32 s13, s47, 0xff800000
	s_cmp_eq_u32 s42, 0
	s_cselect_b32 s13, s13, 0x7f800001
.LBB6_22272:                            ;   in Loop: Header=BB6_22264 Depth=3
	flat_load_i8 v8, v[4:5] th:TH_LOAD_NT
	v_mov_b32_e32 v10, 0
	s_mov_b32 s14, exec_lo
	s_wait_loadcnt_dscnt 0x0
	s_wait_xcnt 0x0
	v_cmpx_ne_u16_e32 0, v8
	s_cbranch_execz .LBB6_22282
; %bb.22273:                            ;   in Loop: Header=BB6_22264 Depth=3
	v_bfrev_b32_e32 v10, 1
	s_mov_b32 s15, exec_lo
	v_cmpx_ne_u16_e32 0xff80, v8
	s_cbranch_execz .LBB6_22281
; %bb.22274:                            ;   in Loop: Header=BB6_22264 Depth=3
	v_and_b32_e32 v10, 0x7c, v8
	v_and_b32_e32 v9, 3, v8
	s_delay_alu instid0(VALU_DEP_2) | instskip(SKIP_1) | instid1(SALU_CYCLE_1)
	v_cmp_ne_u32_e32 vcc_lo, 0x7c, v10
                                        ; implicit-def: $vgpr10
	s_and_saveexec_b32 s42, vcc_lo
	s_xor_b32 s42, exec_lo, s42
	s_cbranch_execz .LBB6_22278
; %bb.22275:                            ;   in Loop: Header=BB6_22264 Depth=3
	v_and_b32_e32 v10, 0xff, v8
	s_mov_b32 s43, exec_lo
	s_delay_alu instid0(VALU_DEP_1) | instskip(NEXT) | instid1(VALU_DEP_1)
	v_bfe_u32 v10, v10, 2, 5
	v_cmpx_eq_u32_e32 0, v10
	s_cbranch_execz .LBB6_22277
; %bb.22276:                            ;   in Loop: Header=BB6_22264 Depth=3
	v_clz_i32_u32_e32 v9, v9
	s_delay_alu instid0(VALU_DEP_1) | instskip(SKIP_1) | instid1(VALU_DEP_2)
	v_min_u32_e32 v10, 32, v9
	v_mov_b32_e32 v9, v113
	v_subrev_nc_u32_e32 v11, 29, v10
	v_sub_nc_u32_e32 v10, 30, v10
	s_delay_alu instid0(VALU_DEP_2) | instskip(NEXT) | instid1(VALU_DEP_1)
	v_lshlrev_b64_e32 v[14:15], v11, v[8:9]
	v_and_b32_e32 v9, 3, v14
.LBB6_22277:                            ;   in Loop: Header=BB6_22264 Depth=3
	s_or_b32 exec_lo, exec_lo, s43
	v_bfe_i32 v8, v8, 0, 16
	s_delay_alu instid0(VALU_DEP_1) | instskip(NEXT) | instid1(VALU_DEP_1)
	v_and_b32_e32 v8, 0x80000000, v8
	v_lshl_add_u32 v8, v10, 23, v8
	s_delay_alu instid0(VALU_DEP_1) | instskip(NEXT) | instid1(VALU_DEP_1)
	v_lshl_or_b32 v8, v9, 21, v8
                                        ; implicit-def: $vgpr9
	v_add_nc_u32_e32 v10, 0x38000000, v8
                                        ; implicit-def: $vgpr8
.LBB6_22278:                            ;   in Loop: Header=BB6_22264 Depth=3
	s_and_not1_saveexec_b32 s42, s42
; %bb.22279:                            ;   in Loop: Header=BB6_22264 Depth=3
	v_cmp_lt_i16_e32 vcc_lo, -1, v8
	v_mov_b32_e32 v8, 0x7f800000
	s_delay_alu instid0(VALU_DEP_1) | instskip(SKIP_1) | instid1(VALU_DEP_2)
	v_cndmask_b32_e32 v8, 0xff800000, v8, vcc_lo
	v_cmp_eq_u32_e32 vcc_lo, 0, v9
	v_cndmask_b32_e32 v10, 0x7f800001, v8, vcc_lo
; %bb.22280:                            ;   in Loop: Header=BB6_22264 Depth=3
	s_or_b32 exec_lo, exec_lo, s42
.LBB6_22281:                            ;   in Loop: Header=BB6_22264 Depth=3
	s_delay_alu instid0(SALU_CYCLE_1)
	s_or_b32 exec_lo, exec_lo, s15
.LBB6_22282:                            ;   in Loop: Header=BB6_22264 Depth=3
	s_delay_alu instid0(SALU_CYCLE_1) | instskip(NEXT) | instid1(VALU_DEP_1)
	s_or_b32 exec_lo, exec_lo, s14
	v_dual_mul_f32 v9, s13, v10 :: v_dual_mov_b32 v11, v113
                                        ; implicit-def: $vgpr8
	s_delay_alu instid0(VALU_DEP_1) | instskip(NEXT) | instid1(VALU_DEP_1)
	v_and_b32_e32 v10, 0x7f800000, v9
	v_cmp_ne_u64_e32 vcc_lo, 0x7f800000, v[10:11]
	v_and_b32_e32 v10, 0x7fffff, v9
	s_and_saveexec_b32 s13, vcc_lo
	s_delay_alu instid0(SALU_CYCLE_1)
	s_xor_b32 s14, exec_lo, s13
	s_cbranch_execz .LBB6_22300
; %bb.22283:                            ;   in Loop: Header=BB6_22264 Depth=3
	v_dual_mov_b32 v15, v113 :: v_dual_lshrrev_b32 v8, 24, v9
	v_and_b32_e32 v14, 0x7fffffff, v9
	s_mov_b32 s13, exec_lo
	s_delay_alu instid0(VALU_DEP_2) | instskip(NEXT) | instid1(VALU_DEP_2)
	v_and_b32_e32 v13, 0x80, v8
                                        ; implicit-def: $vgpr8
	v_cmpx_gt_u64_e32 0x47600001, v[14:15]
	s_xor_b32 s15, exec_lo, s13
	s_cbranch_execz .LBB6_22297
; %bb.22284:                            ;   in Loop: Header=BB6_22264 Depth=3
	v_mov_b32_e32 v8, 0
	s_mov_b32 s42, exec_lo
	v_cmpx_ne_u32_e32 0, v9
	s_cbranch_execz .LBB6_22296
; %bb.22285:                            ;   in Loop: Header=BB6_22264 Depth=3
	v_bfe_u32 v14, v9, 23, 8
	v_or_b32_e32 v16, 0x800000, v10
	s_mov_b32 s43, exec_lo
	s_delay_alu instid0(VALU_DEP_2) | instskip(SKIP_1) | instid1(VALU_DEP_2)
	v_sub_nc_u32_e32 v8, 0x71, v14
	v_cmp_gt_u32_e32 vcc_lo, 0x72, v14
	v_cndmask_b32_e32 v8, 0, v8, vcc_lo
	v_cmp_eq_u32_e32 vcc_lo, 0, v14
	s_delay_alu instid0(VALU_DEP_2) | instskip(NEXT) | instid1(VALU_DEP_1)
	v_cndmask_b32_e64 v15, v8, 0x70, vcc_lo
	v_dual_cndmask_b32 v10, v16, v10, vcc_lo :: v_dual_add_nc_u32 v8, 21, v15
	v_add_nc_u32_e32 v17, 20, v15
	s_delay_alu instid0(VALU_DEP_2) | instskip(NEXT) | instid1(VALU_DEP_2)
	v_lshlrev_b64_e64 v[8:9], v8, -1
	v_lshlrev_b64_e64 v[16:17], v17, 1
	s_delay_alu instid0(VALU_DEP_2) | instskip(NEXT) | instid1(VALU_DEP_3)
	v_bfi_b32 v19, v9, 0, 0
	v_bfi_b32 v18, v8, 0, v10
	v_lshrrev_b64 v[8:9], v15, v[10:11]
	s_delay_alu instid0(VALU_DEP_1) | instskip(NEXT) | instid1(VALU_DEP_3)
	v_mov_b64_e32 v[10:11], v[8:9]
	v_cmpx_eq_u64_e64 v[18:19], v[16:17]
; %bb.22286:                            ;   in Loop: Header=BB6_22264 Depth=3
	v_bfe_u32 v10, v8, 21, 1
	v_mov_b32_e32 v11, v113
	s_delay_alu instid0(VALU_DEP_1) | instskip(NEXT) | instid1(VALU_DEP_1)
	v_add_nc_u64_e32 v[10:11], v[8:9], v[10:11]
	v_add_nc_u64_e32 v[10:11], -1, v[10:11]
; %bb.22287:                            ;   in Loop: Header=BB6_22264 Depth=3
	s_or_b32 exec_lo, exec_lo, s43
	v_add_nc_u32_e32 v9, 0xffffff81, v14
	v_lshrrev_b32_e32 v11, 23, v8
	s_mov_b32 s13, exec_lo
                                        ; implicit-def: $vgpr14
	s_delay_alu instid0(VALU_DEP_2) | instskip(NEXT) | instid1(VALU_DEP_1)
	v_cndmask_b32_e64 v9, v9, 0xffffff82, vcc_lo
	v_add3_u32 v11, v15, v9, v11
	v_and_b32_e32 v9, 0x1fffff, v10
	s_delay_alu instid0(VALU_DEP_1) | instskip(SKIP_1) | instid1(VALU_DEP_2)
	v_dual_add_nc_u32 v10, 14, v11 :: v_dual_add_nc_u32 v8, v9, v8
	v_mov_b32_e32 v9, v113
	v_cmpx_ne_u32_e32 0, v10
	s_xor_b32 s13, exec_lo, s13
; %bb.22288:                            ;   in Loop: Header=BB6_22264 Depth=3
	s_delay_alu instid0(VALU_DEP_2) | instskip(SKIP_1) | instid1(VALU_DEP_1)
	v_cmp_lt_u64_e32 vcc_lo, 0xffffff, v[8:9]
	v_add_nc_u32_e32 v11, 15, v11
	v_cndmask_b32_e32 v14, v10, v11, vcc_lo
	v_cndmask_b32_e64 v10, 0, 1, vcc_lo
	s_delay_alu instid0(VALU_DEP_1)
	v_lshrrev_b64 v[8:9], v10, v[8:9]
; %bb.22289:                            ;   in Loop: Header=BB6_22264 Depth=3
	s_and_not1_saveexec_b32 s13, s13
; %bb.22290:                            ;   in Loop: Header=BB6_22264 Depth=3
	s_delay_alu instid0(VALU_DEP_1)
	v_bfe_u32 v14, v8, 23, 1
; %bb.22291:                            ;   in Loop: Header=BB6_22264 Depth=3
	s_or_b32 exec_lo, exec_lo, s13
	s_delay_alu instid0(VALU_DEP_2) | instskip(NEXT) | instid1(VALU_DEP_2)
	v_lshrrev_b64 v[8:9], 21, v[8:9]
	v_cmp_gt_i32_e32 vcc_lo, 32, v14
	v_cmp_ne_u32_e64 s13, 0, v14
	s_delay_alu instid0(VALU_DEP_3) | instskip(NEXT) | instid1(VALU_DEP_1)
	v_dual_cndmask_b32 v11, 0, v9 :: v_dual_cndmask_b32 v10, 3, v8
                                        ; implicit-def: $vgpr8
	v_cmp_ne_u64_e32 vcc_lo, 0, v[10:11]
	s_or_b32 s13, s13, vcc_lo
	s_delay_alu instid0(SALU_CYCLE_1) | instskip(NEXT) | instid1(SALU_CYCLE_1)
	s_and_saveexec_b32 s43, s13
	s_xor_b32 s13, exec_lo, s43
; %bb.22292:                            ;   in Loop: Header=BB6_22264 Depth=3
	v_min_i32_e32 v8, 31, v14
	s_delay_alu instid0(VALU_DEP_1) | instskip(NEXT) | instid1(VALU_DEP_1)
	v_lshl_or_b32 v8, v8, 2, v13
                                        ; implicit-def: $vgpr13
	v_and_or_b32 v8, v10, 3, v8
; %bb.22293:                            ;   in Loop: Header=BB6_22264 Depth=3
	s_and_not1_saveexec_b32 s13, s13
; %bb.22294:                            ;   in Loop: Header=BB6_22264 Depth=3
	v_mov_b32_e32 v8, v13
; %bb.22295:                            ;   in Loop: Header=BB6_22264 Depth=3
	s_or_b32 exec_lo, exec_lo, s13
.LBB6_22296:                            ;   in Loop: Header=BB6_22264 Depth=3
	s_delay_alu instid0(SALU_CYCLE_1)
	s_or_b32 exec_lo, exec_lo, s42
                                        ; implicit-def: $vgpr13
.LBB6_22297:                            ;   in Loop: Header=BB6_22264 Depth=3
	s_and_not1_saveexec_b32 s13, s15
; %bb.22298:                            ;   in Loop: Header=BB6_22264 Depth=3
	v_or_b32_e32 v8, 0x7b, v13
; %bb.22299:                            ;   in Loop: Header=BB6_22264 Depth=3
	s_or_b32 exec_lo, exec_lo, s13
                                        ; implicit-def: $vgpr9
                                        ; implicit-def: $vgpr10_vgpr11
.LBB6_22300:                            ;   in Loop: Header=BB6_22264 Depth=3
	s_and_not1_saveexec_b32 s13, s14
	s_cbranch_execz .LBB6_22306
; %bb.22301:                            ;   in Loop: Header=BB6_22264 Depth=3
	s_mov_b32 s14, exec_lo
                                        ; implicit-def: $vgpr8
	v_cmpx_ne_u64_e32 0, v[10:11]
	s_xor_b32 s14, exec_lo, s14
; %bb.22302:                            ;   in Loop: Header=BB6_22264 Depth=3
	v_lshrrev_b32_e32 v8, 24, v9
                                        ; implicit-def: $vgpr9
	s_delay_alu instid0(VALU_DEP_1)
	v_or_b32_e32 v8, 0x7f, v8
; %bb.22303:                            ;   in Loop: Header=BB6_22264 Depth=3
	s_and_not1_saveexec_b32 s14, s14
; %bb.22304:                            ;   in Loop: Header=BB6_22264 Depth=3
	v_cmp_lt_i32_e32 vcc_lo, -1, v9
	v_cndmask_b32_e64 v8, -4, 0x7c, vcc_lo
; %bb.22305:                            ;   in Loop: Header=BB6_22264 Depth=3
	s_or_b32 exec_lo, exec_lo, s14
.LBB6_22306:                            ;   in Loop: Header=BB6_22264 Depth=3
	s_delay_alu instid0(SALU_CYCLE_1)
	s_or_b32 exec_lo, exec_lo, s13
	flat_load_i8 v10, v[6:7] th:TH_LOAD_NT
	v_and_b32_e32 v14, 0xff, v8
	v_dual_mov_b32 v11, 0 :: v_dual_mov_b32 v9, 0
	s_mov_b32 s13, exec_lo
	s_wait_xcnt 0x0
	s_delay_alu instid0(VALU_DEP_2)
	v_cmpx_ne_u16_e32 0, v14
	s_cbranch_execz .LBB6_22316
; %bb.22307:                            ;   in Loop: Header=BB6_22264 Depth=3
	v_bfrev_b32_e32 v9, 1
	s_mov_b32 s14, exec_lo
	v_cmpx_ne_u16_e32 0x80, v14
	s_cbranch_execz .LBB6_22315
; %bb.22308:                            ;   in Loop: Header=BB6_22264 Depth=3
	v_and_b32_e32 v9, 0x7c, v8
	v_and_b32_e32 v13, 3, v8
	s_delay_alu instid0(VALU_DEP_2) | instskip(SKIP_1) | instid1(SALU_CYCLE_1)
	v_cmp_ne_u32_e32 vcc_lo, 0x7c, v9
                                        ; implicit-def: $vgpr9
	s_and_saveexec_b32 s15, vcc_lo
	s_xor_b32 s15, exec_lo, s15
	s_cbranch_execz .LBB6_22312
; %bb.22309:                            ;   in Loop: Header=BB6_22264 Depth=3
	v_bfe_u32 v9, v14, 2, 5
	s_mov_b32 s42, exec_lo
	s_delay_alu instid0(VALU_DEP_1)
	v_cmpx_eq_u32_e32 0, v9
; %bb.22310:                            ;   in Loop: Header=BB6_22264 Depth=3
	v_clz_i32_u32_e32 v9, v13
	s_delay_alu instid0(VALU_DEP_1) | instskip(SKIP_1) | instid1(VALU_DEP_2)
	v_min_u32_e32 v13, 32, v9
	v_mov_b32_e32 v9, v113
	v_subrev_nc_u32_e32 v14, 29, v13
	s_delay_alu instid0(VALU_DEP_1) | instskip(NEXT) | instid1(VALU_DEP_1)
	v_lshlrev_b64_e32 v[14:15], v14, v[8:9]
	v_dual_sub_nc_u32 v9, 30, v13 :: v_dual_bitop2_b32 v13, 3, v14 bitop3:0x40
; %bb.22311:                            ;   in Loop: Header=BB6_22264 Depth=3
	s_or_b32 exec_lo, exec_lo, s42
	v_lshlrev_b32_e32 v8, 24, v8
	s_delay_alu instid0(VALU_DEP_1) | instskip(NEXT) | instid1(VALU_DEP_1)
	v_and_b32_e32 v8, 0x80000000, v8
	v_lshl_add_u32 v8, v9, 23, v8
	s_delay_alu instid0(VALU_DEP_1) | instskip(NEXT) | instid1(VALU_DEP_1)
	v_lshl_or_b32 v8, v13, 21, v8
                                        ; implicit-def: $vgpr13
	v_add_nc_u32_e32 v9, 0x38000000, v8
                                        ; implicit-def: $vgpr8
.LBB6_22312:                            ;   in Loop: Header=BB6_22264 Depth=3
	s_and_not1_saveexec_b32 s15, s15
; %bb.22313:                            ;   in Loop: Header=BB6_22264 Depth=3
	v_bfe_i32 v8, v8, 0, 8
	s_delay_alu instid0(VALU_DEP_1) | instskip(SKIP_1) | instid1(VALU_DEP_1)
	v_cmp_lt_i16_e32 vcc_lo, -1, v8
	v_mov_b32_e32 v8, 0x7f800000
	v_cndmask_b32_e32 v8, 0xff800000, v8, vcc_lo
	v_cmp_eq_u32_e32 vcc_lo, 0, v13
	s_delay_alu instid0(VALU_DEP_2)
	v_cndmask_b32_e32 v9, 0x7f800001, v8, vcc_lo
; %bb.22314:                            ;   in Loop: Header=BB6_22264 Depth=3
	s_or_b32 exec_lo, exec_lo, s15
.LBB6_22315:                            ;   in Loop: Header=BB6_22264 Depth=3
	s_delay_alu instid0(SALU_CYCLE_1)
	s_or_b32 exec_lo, exec_lo, s14
.LBB6_22316:                            ;   in Loop: Header=BB6_22264 Depth=3
	s_delay_alu instid0(SALU_CYCLE_1) | instskip(NEXT) | instid1(SALU_CYCLE_1)
	s_or_b32 exec_lo, exec_lo, s13
	s_mov_b32 s13, exec_lo
	s_wait_loadcnt_dscnt 0x0
	v_cmpx_ne_u16_e32 0, v10
	s_cbranch_execz .LBB6_22326
; %bb.22317:                            ;   in Loop: Header=BB6_22264 Depth=3
	v_bfrev_b32_e32 v11, 1
	s_mov_b32 s14, exec_lo
	v_cmpx_ne_u16_e32 0xff80, v10
	s_cbranch_execz .LBB6_22325
; %bb.22318:                            ;   in Loop: Header=BB6_22264 Depth=3
	v_and_b32_e32 v11, 0x7c, v10
	v_and_b32_e32 v8, 3, v10
	s_delay_alu instid0(VALU_DEP_2) | instskip(SKIP_1) | instid1(SALU_CYCLE_1)
	v_cmp_ne_u32_e32 vcc_lo, 0x7c, v11
                                        ; implicit-def: $vgpr11
	s_and_saveexec_b32 s15, vcc_lo
	s_xor_b32 s15, exec_lo, s15
	s_cbranch_execz .LBB6_22322
; %bb.22319:                            ;   in Loop: Header=BB6_22264 Depth=3
	v_and_b32_e32 v11, 0xff, v10
	s_mov_b32 s42, exec_lo
	s_delay_alu instid0(VALU_DEP_1) | instskip(NEXT) | instid1(VALU_DEP_1)
	v_bfe_u32 v11, v11, 2, 5
	v_cmpx_eq_u32_e32 0, v11
; %bb.22320:                            ;   in Loop: Header=BB6_22264 Depth=3
	v_clz_i32_u32_e32 v8, v8
	v_mov_b32_e32 v11, v113
	s_delay_alu instid0(VALU_DEP_2) | instskip(NEXT) | instid1(VALU_DEP_1)
	v_min_u32_e32 v8, 32, v8
	v_subrev_nc_u32_e32 v13, 29, v8
	s_delay_alu instid0(VALU_DEP_1) | instskip(NEXT) | instid1(VALU_DEP_1)
	v_lshlrev_b64_e32 v[14:15], v13, v[10:11]
	v_dual_sub_nc_u32 v11, 30, v8 :: v_dual_bitop2_b32 v8, 3, v14 bitop3:0x40
; %bb.22321:                            ;   in Loop: Header=BB6_22264 Depth=3
	s_or_b32 exec_lo, exec_lo, s42
	v_bfe_i32 v10, v10, 0, 16
	s_delay_alu instid0(VALU_DEP_1) | instskip(NEXT) | instid1(VALU_DEP_1)
	v_and_b32_e32 v10, 0x80000000, v10
	v_lshl_add_u32 v10, v11, 23, v10
	s_delay_alu instid0(VALU_DEP_1) | instskip(NEXT) | instid1(VALU_DEP_1)
	v_lshl_or_b32 v8, v8, 21, v10
                                        ; implicit-def: $vgpr10
	v_add_nc_u32_e32 v11, 0x38000000, v8
                                        ; implicit-def: $vgpr8
.LBB6_22322:                            ;   in Loop: Header=BB6_22264 Depth=3
	s_and_not1_saveexec_b32 s15, s15
; %bb.22323:                            ;   in Loop: Header=BB6_22264 Depth=3
	v_cmp_lt_i16_e32 vcc_lo, -1, v10
	v_mov_b32_e32 v10, 0x7f800000
	s_delay_alu instid0(VALU_DEP_1) | instskip(SKIP_1) | instid1(VALU_DEP_2)
	v_cndmask_b32_e32 v10, 0xff800000, v10, vcc_lo
	v_cmp_eq_u32_e32 vcc_lo, 0, v8
	v_cndmask_b32_e32 v11, 0x7f800001, v10, vcc_lo
; %bb.22324:                            ;   in Loop: Header=BB6_22264 Depth=3
	s_or_b32 exec_lo, exec_lo, s15
.LBB6_22325:                            ;   in Loop: Header=BB6_22264 Depth=3
	s_delay_alu instid0(SALU_CYCLE_1)
	s_or_b32 exec_lo, exec_lo, s14
.LBB6_22326:                            ;   in Loop: Header=BB6_22264 Depth=3
	s_delay_alu instid0(SALU_CYCLE_1) | instskip(NEXT) | instid1(VALU_DEP_1)
	s_or_b32 exec_lo, exec_lo, s13
	v_add_f32_e32 v11, v9, v11
	v_mov_b32_e32 v9, v113
                                        ; implicit-def: $vgpr10
	s_delay_alu instid0(VALU_DEP_2) | instskip(NEXT) | instid1(VALU_DEP_1)
	v_and_b32_e32 v8, 0x7f800000, v11
	v_cmp_ne_u64_e32 vcc_lo, 0x7f800000, v[8:9]
	v_and_b32_e32 v8, 0x7fffff, v11
	s_and_saveexec_b32 s13, vcc_lo
	s_delay_alu instid0(SALU_CYCLE_1)
	s_xor_b32 s14, exec_lo, s13
	s_cbranch_execz .LBB6_22344
; %bb.22327:                            ;   in Loop: Header=BB6_22264 Depth=3
	v_dual_mov_b32 v15, v113 :: v_dual_lshrrev_b32 v10, 24, v11
	v_and_b32_e32 v14, 0x7fffffff, v11
	s_mov_b32 s13, exec_lo
	s_delay_alu instid0(VALU_DEP_2) | instskip(NEXT) | instid1(VALU_DEP_2)
	v_and_b32_e32 v13, 0x80, v10
                                        ; implicit-def: $vgpr10
	v_cmpx_gt_u64_e32 0x47600001, v[14:15]
	s_xor_b32 s15, exec_lo, s13
	s_cbranch_execz .LBB6_22341
; %bb.22328:                            ;   in Loop: Header=BB6_22264 Depth=3
	v_mov_b32_e32 v10, 0
	s_mov_b32 s42, exec_lo
	v_cmpx_ne_u32_e32 0, v11
	s_cbranch_execz .LBB6_22340
; %bb.22329:                            ;   in Loop: Header=BB6_22264 Depth=3
	v_bfe_u32 v14, v11, 23, 8
	v_or_b32_e32 v16, 0x800000, v8
	s_delay_alu instid0(VALU_DEP_2) | instskip(SKIP_1) | instid1(VALU_DEP_2)
	v_sub_nc_u32_e32 v10, 0x71, v14
	v_cmp_gt_u32_e32 vcc_lo, 0x72, v14
	v_cndmask_b32_e32 v10, 0, v10, vcc_lo
	v_cmp_eq_u32_e32 vcc_lo, 0, v14
	s_delay_alu instid0(VALU_DEP_2) | instskip(NEXT) | instid1(VALU_DEP_1)
	v_cndmask_b32_e64 v15, v10, 0x70, vcc_lo
	v_dual_cndmask_b32 v8, v16, v8, vcc_lo :: v_dual_add_nc_u32 v10, 21, v15
	v_add_nc_u32_e32 v17, 20, v15
	s_delay_alu instid0(VALU_DEP_2) | instskip(NEXT) | instid1(VALU_DEP_2)
	v_lshlrev_b64_e64 v[10:11], v10, -1
	v_lshlrev_b64_e64 v[16:17], v17, 1
	s_delay_alu instid0(VALU_DEP_2) | instskip(SKIP_1) | instid1(VALU_DEP_4)
	v_bfi_b32 v10, v10, 0, v8
	v_lshrrev_b64 v[8:9], v15, v[8:9]
	v_bfi_b32 v11, v11, 0, 0
	s_delay_alu instid0(VALU_DEP_1) | instskip(NEXT) | instid1(VALU_DEP_3)
	v_cmp_eq_u64_e64 s13, v[10:11], v[16:17]
	v_mov_b64_e32 v[10:11], v[8:9]
	s_and_saveexec_b32 s43, s13
; %bb.22330:                            ;   in Loop: Header=BB6_22264 Depth=3
	v_bfe_u32 v10, v8, 21, 1
	v_mov_b32_e32 v11, v113
	s_delay_alu instid0(VALU_DEP_1) | instskip(NEXT) | instid1(VALU_DEP_1)
	v_add_nc_u64_e32 v[10:11], v[8:9], v[10:11]
	v_add_nc_u64_e32 v[10:11], -1, v[10:11]
; %bb.22331:                            ;   in Loop: Header=BB6_22264 Depth=3
	s_or_b32 exec_lo, exec_lo, s43
	v_add_nc_u32_e32 v9, 0xffffff81, v14
	v_lshrrev_b32_e32 v11, 23, v8
	s_mov_b32 s13, exec_lo
	s_delay_alu instid0(VALU_DEP_2) | instskip(NEXT) | instid1(VALU_DEP_1)
	v_cndmask_b32_e64 v9, v9, 0xffffff82, vcc_lo
	v_add3_u32 v14, v15, v9, v11
	v_and_b32_e32 v9, 0x1fffff, v10
                                        ; implicit-def: $vgpr11
	s_delay_alu instid0(VALU_DEP_1) | instskip(SKIP_1) | instid1(VALU_DEP_2)
	v_dual_add_nc_u32 v10, 14, v14 :: v_dual_add_nc_u32 v8, v9, v8
	v_mov_b32_e32 v9, v113
	v_cmpx_ne_u32_e32 0, v10
	s_xor_b32 s13, exec_lo, s13
; %bb.22332:                            ;   in Loop: Header=BB6_22264 Depth=3
	s_delay_alu instid0(VALU_DEP_2) | instskip(SKIP_1) | instid1(VALU_DEP_1)
	v_cmp_lt_u64_e32 vcc_lo, 0xffffff, v[8:9]
	v_add_nc_u32_e32 v11, 15, v14
	v_cndmask_b32_e32 v11, v10, v11, vcc_lo
	v_cndmask_b32_e64 v10, 0, 1, vcc_lo
	s_delay_alu instid0(VALU_DEP_1)
	v_lshrrev_b64 v[8:9], v10, v[8:9]
; %bb.22333:                            ;   in Loop: Header=BB6_22264 Depth=3
	s_and_not1_saveexec_b32 s13, s13
; %bb.22334:                            ;   in Loop: Header=BB6_22264 Depth=3
	s_delay_alu instid0(VALU_DEP_1)
	v_bfe_u32 v11, v8, 23, 1
; %bb.22335:                            ;   in Loop: Header=BB6_22264 Depth=3
	s_or_b32 exec_lo, exec_lo, s13
	s_delay_alu instid0(VALU_DEP_2) | instskip(NEXT) | instid1(VALU_DEP_2)
	v_lshrrev_b64 v[8:9], 21, v[8:9]
	v_cmp_gt_i32_e32 vcc_lo, 32, v11
	v_cmp_ne_u32_e64 s13, 0, v11
                                        ; implicit-def: $vgpr10
	s_delay_alu instid0(VALU_DEP_3) | instskip(NEXT) | instid1(VALU_DEP_1)
	v_dual_cndmask_b32 v9, 0, v9 :: v_dual_cndmask_b32 v8, 3, v8
	v_cmp_ne_u64_e32 vcc_lo, 0, v[8:9]
	s_or_b32 s13, s13, vcc_lo
	s_delay_alu instid0(SALU_CYCLE_1) | instskip(NEXT) | instid1(SALU_CYCLE_1)
	s_and_saveexec_b32 s43, s13
	s_xor_b32 s13, exec_lo, s43
; %bb.22336:                            ;   in Loop: Header=BB6_22264 Depth=3
	v_min_i32_e32 v9, 31, v11
	s_delay_alu instid0(VALU_DEP_1) | instskip(NEXT) | instid1(VALU_DEP_1)
	v_lshl_or_b32 v9, v9, 2, v13
                                        ; implicit-def: $vgpr13
	v_and_or_b32 v10, v8, 3, v9
; %bb.22337:                            ;   in Loop: Header=BB6_22264 Depth=3
	s_and_not1_saveexec_b32 s13, s13
; %bb.22338:                            ;   in Loop: Header=BB6_22264 Depth=3
	v_mov_b32_e32 v10, v13
; %bb.22339:                            ;   in Loop: Header=BB6_22264 Depth=3
	s_or_b32 exec_lo, exec_lo, s13
.LBB6_22340:                            ;   in Loop: Header=BB6_22264 Depth=3
	s_delay_alu instid0(SALU_CYCLE_1)
	s_or_b32 exec_lo, exec_lo, s42
                                        ; implicit-def: $vgpr13
.LBB6_22341:                            ;   in Loop: Header=BB6_22264 Depth=3
	s_and_not1_saveexec_b32 s13, s15
; %bb.22342:                            ;   in Loop: Header=BB6_22264 Depth=3
	v_or_b32_e32 v10, 0x7b, v13
; %bb.22343:                            ;   in Loop: Header=BB6_22264 Depth=3
	s_or_b32 exec_lo, exec_lo, s13
                                        ; implicit-def: $vgpr11
                                        ; implicit-def: $vgpr8_vgpr9
.LBB6_22344:                            ;   in Loop: Header=BB6_22264 Depth=3
	s_and_not1_saveexec_b32 s13, s14
	s_cbranch_execz .LBB6_22350
; %bb.22345:                            ;   in Loop: Header=BB6_22264 Depth=3
	s_mov_b32 s14, exec_lo
                                        ; implicit-def: $vgpr10
	v_cmpx_ne_u64_e32 0, v[8:9]
	s_xor_b32 s14, exec_lo, s14
; %bb.22346:                            ;   in Loop: Header=BB6_22264 Depth=3
	v_lshrrev_b32_e32 v8, 24, v11
                                        ; implicit-def: $vgpr11
	s_delay_alu instid0(VALU_DEP_1)
	v_or_b32_e32 v10, 0x7f, v8
; %bb.22347:                            ;   in Loop: Header=BB6_22264 Depth=3
	s_and_not1_saveexec_b32 s14, s14
; %bb.22348:                            ;   in Loop: Header=BB6_22264 Depth=3
	v_cmp_lt_i32_e32 vcc_lo, -1, v11
	v_cndmask_b32_e64 v10, -4, 0x7c, vcc_lo
; %bb.22349:                            ;   in Loop: Header=BB6_22264 Depth=3
	s_or_b32 exec_lo, exec_lo, s14
.LBB6_22350:                            ;   in Loop: Header=BB6_22264 Depth=3
	s_delay_alu instid0(SALU_CYCLE_1)
	s_or_b32 exec_lo, exec_lo, s13
	s_mov_b64 s[42:43], 0
	s_mov_b32 s15, -1
.LBB6_22351:                            ;   Parent Loop BB6_47 Depth=1
                                        ;     Parent Loop BB6_14108 Depth=2
                                        ;       Parent Loop BB6_22264 Depth=3
                                        ; =>      This Inner Loop Header: Depth=4
	s_cmp_eq_u32 s42, 1
	s_cselect_b32 vcc_lo, -1, 0
	s_cmp_eq_u32 s42, 0
	s_wait_xcnt 0x0
	v_dual_cndmask_b32 v9, v1, v3 :: v_dual_cndmask_b32 v8, v0, v2
	s_cselect_b32 s13, -1, 0
	s_and_b32 s14, exec_lo, s15
	s_mov_b64 s[42:43], 1
	s_mov_b32 s15, 0
	v_add_nc_u64_e32 v[14:15], 32, v[8:9]
	flat_store_b8 v[8:9], v10 th:TH_STORE_NT
	v_dual_cndmask_b32 v3, v3, v15 :: v_dual_cndmask_b32 v2, v2, v14
	v_dual_cndmask_b32 v1, v1, v15, s13 :: v_dual_cndmask_b32 v0, v0, v14, s13
	s_mov_b32 vcc_lo, s14
	s_cbranch_vccnz .LBB6_22351
; %bb.22352:                            ;   in Loop: Header=BB6_22264 Depth=3
	scratch_load_b64 v[8:9], off, s33 offset:288 ; 8-byte Folded Reload
	s_wait_loadcnt 0x0
	v_sub_nc_u32_e32 v12, v12, v8
	scratch_load_b64 v[8:9], off, s33 offset:376 ; 8-byte Folded Reload
	v_cmp_gt_i32_e32 vcc_lo, 1, v12
	s_or_b32 s74, vcc_lo, s74
	s_wait_loadcnt 0x0
	v_add_nc_u64_e32 v[4:5], v[4:5], v[8:9]
	v_add_nc_u64_e32 v[6:7], v[6:7], v[8:9]
	scratch_load_b64 v[8:9], off, s33 offset:368 ; 8-byte Folded Reload
	s_wait_loadcnt 0x0
	v_add_nc_u64_e32 v[0:1], v[0:1], v[8:9]
	v_add_nc_u64_e32 v[2:3], v[2:3], v[8:9]
	s_wait_xcnt 0x0
	s_and_not1_b32 exec_lo, exec_lo, s74
	s_cbranch_execnz .LBB6_22264
.LBB6_22353:                            ;   in Loop: Header=BB6_14108 Depth=2
	s_or_b32 exec_lo, exec_lo, s73
	scratch_load_b64 v[50:51], off, s33 offset:444 ; 8-byte Folded Reload
	s_mov_b32 s13, 0
.LBB6_22354:                            ;   in Loop: Header=BB6_14108 Depth=2
	scratch_load_b32 v61, off, s33 offset:452 ; 4-byte Folded Reload
	s_and_b32 vcc_lo, exec_lo, s13
	s_cbranch_vccnz .LBB6_22355
; %bb.31234:                            ;   in Loop: Header=BB6_14108 Depth=2
	s_add_pc_i64 .LBB6_30523-.Lpost_addpc87
.Lpost_addpc87:
.LBB6_22355:                            ;   in Loop: Header=BB6_14108 Depth=2
	s_mov_b32 s13, -1
	s_wait_xcnt 0x0
	s_and_saveexec_b32 s14, s11
	s_cbranch_execz .LBB6_22357
; %bb.22356:                            ;   in Loop: Header=BB6_14108 Depth=2
	ds_load_b32 v0, v0 offset:720
	s_wait_dscnt 0x0
	v_and_b32_e32 v0, 15, v0
	s_delay_alu instid0(VALU_DEP_1)
	v_cmp_eq_u32_e32 vcc_lo, 0, v0
	s_or_not1_b32 s13, vcc_lo, exec_lo
.LBB6_22357:                            ;   in Loop: Header=BB6_14108 Depth=2
	s_or_b32 exec_lo, exec_lo, s14
	s_and_saveexec_b32 s14, s7
	s_cbranch_execz .LBB6_22359
; %bb.22358:                            ;   in Loop: Header=BB6_14108 Depth=2
	ds_load_b32 v0, v0 offset:784
	s_wait_dscnt 0x0
	v_and_b32_e32 v0, 15, v0
	s_delay_alu instid0(VALU_DEP_1) | instskip(SKIP_3) | instid1(SALU_CYCLE_1)
	v_cmp_eq_u32_e32 vcc_lo, 0, v0
	s_and_b32 s15, s13, vcc_lo
	s_and_not1_b32 s13, s13, exec_lo
	s_and_b32 s15, s15, exec_lo
	s_or_b32 s13, s13, s15
.LBB6_22359:                            ;   in Loop: Header=BB6_14108 Depth=2
	s_or_b32 exec_lo, exec_lo, s14
	scratch_load_b32 v126, off, s33 offset:432 ; 4-byte Folded Reload
	s_wait_loadcnt 0x3
	scratch_load_b32 v4, off, s33 offset:384 ; 4-byte Folded Reload
	s_xor_b32 s13, s13, -1
	v_mov_b32_e32 v8, 0
	v_cndmask_b32_e64 v0, 0, 1, s13
	s_mov_b32 s13, -1
	s_delay_alu instid0(VALU_DEP_1)
	v_cmp_ne_u32_e32 vcc_lo, 0, v0
	s_cbranch_vccz .LBB6_22361
; %bb.22360:                            ;   in Loop: Header=BB6_14108 Depth=2
	s_wait_xcnt 0x0
	s_and_saveexec_b32 s42, s13
	s_cbranch_execz .LBB6_31162
; %bb.31236:                            ;   in Loop: Header=BB6_14108 Depth=2
	s_add_pc_i64 .LBB6_27924-.Lpost_addpc88
.Lpost_addpc88:
.LBB6_31162:                            ;   in Loop: Header=BB6_14108 Depth=2
	s_add_pc_i64 .LBB6_30522-.Lpost_addpc51
.Lpost_addpc51:
.LBB6_22361:                            ;   in Loop: Header=BB6_14108 Depth=2
	scratch_load_b32 v1, off, s33 offset:432 ; 4-byte Folded Reload
	s_mov_b32 s14, exec_lo
	s_wait_loadcnt 0x0
	v_ashrrev_i32_e32 v0, 31, v1
	s_delay_alu instid0(VALU_DEP_1) | instskip(NEXT) | instid1(VALU_DEP_1)
	v_lshrrev_b32_e32 v0, 21, v0
	v_add_nc_u32_e32 v0, v1, v0
	s_delay_alu instid0(VALU_DEP_1) | instskip(SKIP_4) | instid1(VALU_DEP_1)
	v_ashrrev_i32_e32 v7, 11, v0
	scratch_load_b32 v0, off, s33 offset:420 ; 4-byte Folded Reload
	s_wait_loadcnt 0x0
	v_sub_nc_u32_e32 v6, v7, v0
	s_wait_xcnt 0x0
	v_cmpx_lt_i32_e32 0, v6
	s_cbranch_execnz .LBB6_22362
; %bb.31238:                            ;   in Loop: Header=BB6_14108 Depth=2
	s_add_pc_i64 .LBB6_26853-.Lpost_addpc89
.Lpost_addpc89:
.LBB6_22362:                            ;   in Loop: Header=BB6_14108 Depth=2
	s_trap 2
	s_clause 0x1
	scratch_load_b64 v[2:3], off, s33 offset:524
	scratch_load_b64 v[4:5], off, s33 offset:436
	ds_load_b64 v[0:1], v0
	v_mov_b64_e32 v[74:75], v[50:51]
	s_wait_dscnt 0x0
	v_readfirstlane_b32 s42, v0
	v_readfirstlane_b32 s43, v1
	s_and_b32 s15, s42, 3
	s_bfe_i32 s13, s42, 0x80000
	s_clz_i32_u32 s75, s15
	s_bfe_u32 s73, s42, 0x50002
	s_min_u32 s75, s75, 32
	s_and_b32 s74, s42, 0x7c
	s_sub_co_i32 s78, s75, 29
	s_lshl_b32 s76, s42, 24
	s_sext_i32_i8 s77, s42
	s_lshl_b64 s[42:43], s[42:43], s78
	s_and_b32 s76, s76, 0x80000000
	s_sub_co_i32 s43, 30, s75
	s_and_b32 s42, s42, 3
	s_cmp_gt_i32 s77, -1
	s_cselect_b32 s75, s47, 0xff800000
	s_cmp_eq_u32 s15, 0
	s_cselect_b32 s75, s75, 0x7f800001
	s_cmp_eq_u32 s73, 0
	s_cselect_b32 s43, s43, s73
	s_cselect_b32 s15, s42, s15
	s_lshl_b32 s42, s43, 23
	s_lshl_b32 s15, s15, 21
	s_add_co_i32 s42, s42, s76
	s_delay_alu instid0(SALU_CYCLE_1) | instskip(NEXT) | instid1(SALU_CYCLE_1)
	s_or_b32 s15, s42, s15
	s_add_co_i32 s42, s15, 0x38000000
	s_cmp_eq_u32 s74, 0x7c
	s_mov_b32 s15, 0
	s_cselect_b32 s42, s75, s42
	s_and_b32 s43, s13, 0xff
	s_wait_loadcnt 0x1
	v_add_nc_u64_e32 v[60:61], v[50:51], v[2:3]
	s_wait_loadcnt 0x0
	v_add_nc_u64_e32 v[62:63], v[4:5], v[2:3]
	v_add_nc_u64_e32 v[72:73], v[0:1], v[2:3]
	s_branch .LBB6_22365
.LBB6_22363:                            ;   in Loop: Header=BB6_22365 Depth=3
	s_or_b32 exec_lo, exec_lo, s73
.LBB6_22364:                            ;   in Loop: Header=BB6_22365 Depth=3
	s_delay_alu instid0(SALU_CYCLE_1)
	s_or_b32 exec_lo, exec_lo, s13
	v_lshl_or_b32 v0, v80, 8, v65
	v_dual_lshlrev_b32 v1, 16, v83 :: v_dual_lshlrev_b32 v3, 24, v12
	v_lshl_or_b32 v5, v70, 8, v19
	v_dual_lshlrev_b32 v10, 16, v84 :: v_dual_lshlrev_b32 v12, 24, v71
	v_lshl_or_b32 v19, v54, 8, v39
	s_delay_alu instid0(VALU_DEP_4)
	v_or3_b32 v11, v0, v1, v3
	v_lshlrev_b32_e32 v0, 24, v86
	v_lshl_or_b32 v1, v52, 8, v13
	v_dual_lshlrev_b32 v3, 16, v67 :: v_dual_lshlrev_b32 v13, 24, v14
	v_lshlrev_b32_e32 v14, 16, v66
	v_lshl_or_b32 v31, v114, 8, v101
	v_dual_lshlrev_b32 v34, 16, v117 :: v_dual_lshlrev_b32 v16, 24, v16
	v_lshl_or_b32 v23, v115, 8, v23
	v_dual_lshlrev_b32 v38, 16, v119 :: v_dual_lshlrev_b32 v39, 24, v42
	v_or3_b32 v10, v5, v10, v0
	v_or3_b32 v12, v1, v3, v12
	v_lshl_or_b32 v0, v87, 8, v17
	v_dual_lshlrev_b32 v1, 16, v100 :: v_dual_lshlrev_b32 v3, 24, v103
	v_or3_b32 v13, v19, v14, v13
	v_or3_b32 v65, v31, v34, v16
	;; [unrolled: 1-line block ×3, first 2 shown]
	v_dual_lshlrev_b32 v5, 24, v18 :: v_dual_lshlrev_b32 v18, 16, v68
	v_dual_lshlrev_b32 v14, 16, v98 :: v_dual_lshlrev_b32 v19, 24, v20
	v_lshl_or_b32 v16, v96, 8, v82
	v_lshl_or_b32 v17, v55, 8, v50
	;; [unrolled: 1-line block ×3, first 2 shown]
	v_dual_lshlrev_b32 v23, 16, v29 :: v_dual_lshlrev_b32 v26, 16, v112
	v_dual_lshlrev_b32 v24, 24, v33 :: v_dual_lshlrev_b32 v29, 24, v118
	v_lshl_or_b32 v21, v99, 8, v21
	v_or3_b32 v66, v0, v1, v3
	v_dual_lshlrev_b32 v0, 24, v22 :: v_dual_lshlrev_b32 v1, 16, v45
	v_lshl_or_b32 v3, v43, 8, v41
	v_or3_b32 v67, v16, v14, v5
	v_or3_b32 v17, v17, v18, v19
	;; [unrolled: 1-line block ×5, first 2 shown]
	v_lshl_or_b32 v5, v37, 8, v30
	v_dual_lshlrev_b32 v14, 16, v48 :: v_dual_lshlrev_b32 v20, 16, v49
	v_dual_lshlrev_b32 v8, 24, v8 :: v_dual_lshlrev_b32 v21, 24, v53
	v_lshl_or_b32 v15, v35, 8, v15
	v_lshl_or_b32 v9, v27, 8, v9
	v_dual_lshlrev_b32 v22, 16, v32 :: v_dual_lshlrev_b32 v24, 24, v2
	v_lshlrev_b32_e32 v23, 24, v36
	v_lshlrev_b32_e32 v4, 16, v4
	v_lshl_or_b32 v25, v28, 8, v25
	s_clause 0x1
	global_store_b128 v[62:63], v[16:19], off th:TH_STORE_NT
	global_store_b128 v[62:63], v[64:67], off offset:512 th:TH_STORE_NT
	v_or3_b32 v1, v5, v14, v8
	v_or3_b32 v0, v15, v20, v21
	v_or3_b32 v2, v9, v22, v23
	v_or3_b32 v3, v25, v4, v24
	scratch_load_b64 v[4:5], off, s33 offset:272 ; 8-byte Folded Reload
	s_clause 0x1
	global_store_b128 v[62:63], v[10:13], off offset:1024 th:TH_STORE_NT
	global_store_b128 v[62:63], v[0:3], off offset:1536 th:TH_STORE_NT
	scratch_load_b64 v[0:1], off, s33 offset:296 ; 8-byte Folded Reload
	s_wait_loadcnt 0x1
	v_sub_nc_u32_e32 v6, v6, v4
	s_wait_loadcnt 0x0
	v_add_nc_u64_e32 v[60:61], v[60:61], v[0:1]
	v_add_nc_u64_e32 v[72:73], v[72:73], v[0:1]
	s_delay_alu instid0(VALU_DEP_3)
	v_cmp_gt_i32_e32 vcc_lo, 1, v6
	v_add_nc_u64_e32 v[62:63], v[62:63], v[0:1]
	s_or_b32 s15, vcc_lo, s15
	s_wait_xcnt 0x0
	s_and_not1_b32 exec_lo, exec_lo, s15
	s_cbranch_execz .LBB6_26852
.LBB6_22365:                            ;   Parent Loop BB6_47 Depth=1
                                        ;     Parent Loop BB6_14108 Depth=2
                                        ; =>    This Inner Loop Header: Depth=3
	s_cmp_lt_i32 s43, 0x80
	s_cbranch_scc1 .LBB6_22369
; %bb.22366:                            ;   in Loop: Header=BB6_22365 Depth=3
	s_and_b32 s13, 0xffff, s43
	s_delay_alu instid0(SALU_CYCLE_1)
	s_cmp_eq_u32 s13, 0x80
	s_mov_b32 s13, -1
	s_cbranch_scc0 .LBB6_22368
; %bb.22367:                            ;   in Loop: Header=BB6_22365 Depth=3
	s_mov_b32 s13, 0
.LBB6_22368:                            ;   in Loop: Header=BB6_22365 Depth=3
	s_brev_b32 s73, 1
	s_branch .LBB6_22371
.LBB6_22369:                            ;   in Loop: Header=BB6_22365 Depth=3
	s_mov_b32 s13, 0
	s_brev_b32 s73, 1
	s_cbranch_execz .LBB6_22371
; %bb.22370:                            ;   in Loop: Header=BB6_22365 Depth=3
	s_and_b32 s13, 0xffff, s43
	s_mov_b32 s73, 0
	s_cmp_lg_u32 s13, 0
	s_cselect_b32 s13, -1, 0
.LBB6_22371:                            ;   in Loop: Header=BB6_22365 Depth=3
	s_delay_alu instid0(SALU_CYCLE_1)
	s_and_not1_b32 vcc_lo, exec_lo, s13
	s_cbranch_vccnz .LBB6_22373
; %bb.22372:                            ;   in Loop: Header=BB6_22365 Depth=3
	s_mov_b32 s73, s42
.LBB6_22373:                            ;   in Loop: Header=BB6_22365 Depth=3
	global_load_b128 v[8:11], v[60:61], off th:TH_LOAD_NT
	s_wait_loadcnt 0x0
	v_and_b32_e32 v0, 0xff, v8
	s_delay_alu instid0(VALU_DEP_1)
	v_cmp_ne_u16_e32 vcc_lo, 0, v0
	v_mov_b32_e32 v0, 0
	s_wait_xcnt 0x0
	s_and_saveexec_b32 s13, vcc_lo
	s_cbranch_execz .LBB6_22383
; %bb.22374:                            ;   in Loop: Header=BB6_22365 Depth=3
	v_bfe_i32 v2, v8, 0, 8
	v_bfrev_b32_e32 v0, 1
	s_mov_b32 s74, exec_lo
	s_delay_alu instid0(VALU_DEP_2)
	v_cmpx_ne_u16_e32 0xff80, v2
	s_cbranch_execz .LBB6_22382
; %bb.22375:                            ;   in Loop: Header=BB6_22365 Depth=3
	v_and_b32_e32 v0, 0x7c, v8
	v_and_b32_e32 v1, 3, v8
	s_delay_alu instid0(VALU_DEP_2) | instskip(SKIP_1) | instid1(SALU_CYCLE_1)
	v_cmp_ne_u32_e32 vcc_lo, 0x7c, v0
                                        ; implicit-def: $vgpr0
	s_and_saveexec_b32 s75, vcc_lo
	s_xor_b32 s75, exec_lo, s75
	s_cbranch_execz .LBB6_22379
; %bb.22376:                            ;   in Loop: Header=BB6_22365 Depth=3
	v_bfe_u32 v0, v8, 2, 5
	s_mov_b32 s76, exec_lo
	s_delay_alu instid0(VALU_DEP_1)
	v_cmpx_eq_u32_e32 0, v0
; %bb.22377:                            ;   in Loop: Header=BB6_22365 Depth=3
	v_clz_i32_u32_e32 v0, v1
	s_delay_alu instid0(VALU_DEP_1) | instskip(NEXT) | instid1(VALU_DEP_1)
	v_min_u32_e32 v0, 32, v0
	v_subrev_nc_u32_e32 v1, 29, v0
	s_delay_alu instid0(VALU_DEP_1) | instskip(NEXT) | instid1(VALU_DEP_1)
	v_lshlrev_b64_e32 v[2:3], v1, v[8:9]
	v_dual_sub_nc_u32 v0, 30, v0 :: v_dual_bitop2_b32 v1, 3, v2 bitop3:0x40
; %bb.22378:                            ;   in Loop: Header=BB6_22365 Depth=3
	s_or_b32 exec_lo, exec_lo, s76
	v_lshlrev_b32_e32 v2, 24, v8
	s_delay_alu instid0(VALU_DEP_1) | instskip(NEXT) | instid1(VALU_DEP_1)
	v_and_b32_e32 v2, 0x80000000, v2
	v_lshl_add_u32 v0, v0, 23, v2
                                        ; implicit-def: $vgpr2
	s_delay_alu instid0(VALU_DEP_1) | instskip(NEXT) | instid1(VALU_DEP_1)
	v_lshl_or_b32 v0, v1, 21, v0
                                        ; implicit-def: $vgpr1
	v_add_nc_u32_e32 v0, 0x38000000, v0
.LBB6_22379:                            ;   in Loop: Header=BB6_22365 Depth=3
	s_and_not1_saveexec_b32 s75, s75
; %bb.22380:                            ;   in Loop: Header=BB6_22365 Depth=3
	v_cmp_lt_i16_e32 vcc_lo, -1, v2
	v_mov_b32_e32 v0, 0x7f800000
	s_delay_alu instid0(VALU_DEP_1) | instskip(SKIP_1) | instid1(VALU_DEP_2)
	v_cndmask_b32_e32 v0, 0xff800000, v0, vcc_lo
	v_cmp_eq_u32_e32 vcc_lo, 0, v1
	v_cndmask_b32_e32 v0, 0x7f800001, v0, vcc_lo
; %bb.22381:                            ;   in Loop: Header=BB6_22365 Depth=3
	s_or_b32 exec_lo, exec_lo, s75
.LBB6_22382:                            ;   in Loop: Header=BB6_22365 Depth=3
	s_delay_alu instid0(SALU_CYCLE_1)
	s_or_b32 exec_lo, exec_lo, s74
.LBB6_22383:                            ;   in Loop: Header=BB6_22365 Depth=3
	s_delay_alu instid0(SALU_CYCLE_1) | instskip(NEXT) | instid1(VALU_DEP_1)
	s_or_b32 exec_lo, exec_lo, s13
	v_dual_mul_f32 v2, s73, v0 :: v_dual_mov_b32 v5, v113
	v_mov_b32_e32 v1, v113
                                        ; implicit-def: $vgpr24
	s_mov_b32 s13, exec_lo
	s_delay_alu instid0(VALU_DEP_2) | instskip(SKIP_2) | instid1(VALU_DEP_3)
	v_and_b32_e32 v4, 0x7f800000, v2
	v_and_b32_e32 v0, 0x7fffff, v2
	v_lshrrev_b32_e32 v3, 24, v2
	v_cmpx_ne_u64_e32 0x7f800000, v[4:5]
	s_xor_b32 s74, exec_lo, s13
	s_cbranch_execz .LBB6_22397
; %bb.22384:                            ;   in Loop: Header=BB6_22365 Depth=3
	v_and_b32_e32 v4, 0x7fffffff, v2
	v_mov_b32_e32 v5, v113
                                        ; implicit-def: $vgpr24
	s_delay_alu instid0(VALU_DEP_1) | instskip(SKIP_2) | instid1(SALU_CYCLE_1)
	v_cmp_gt_u64_e32 vcc_lo, 0x47600001, v[4:5]
	v_and_b32_e32 v4, 0x80, v3
	s_and_saveexec_b32 s13, vcc_lo
	s_xor_b32 s75, exec_lo, s13
	s_cbranch_execz .LBB6_22394
; %bb.22385:                            ;   in Loop: Header=BB6_22365 Depth=3
	v_mov_b32_e32 v24, 0
	s_mov_b32 s76, exec_lo
	v_cmpx_ne_u32_e32 0, v2
	s_cbranch_execz .LBB6_22393
; %bb.22386:                            ;   in Loop: Header=BB6_22365 Depth=3
	v_bfe_u32 v5, v2, 23, 8
	v_or_b32_e32 v13, 0x800000, v0
	s_delay_alu instid0(VALU_DEP_2) | instskip(SKIP_1) | instid1(VALU_DEP_2)
	v_sub_nc_u32_e32 v2, 0x71, v5
	v_cmp_gt_u32_e32 vcc_lo, 0x72, v5
	v_cndmask_b32_e32 v2, 0, v2, vcc_lo
	v_cmp_eq_u32_e32 vcc_lo, 0, v5
	s_delay_alu instid0(VALU_DEP_2) | instskip(SKIP_1) | instid1(VALU_DEP_2)
	v_cndmask_b32_e64 v12, v2, 0x70, vcc_lo
	v_cndmask_b32_e32 v0, v13, v0, vcc_lo
	v_dual_add_nc_u32 v2, 21, v12 :: v_dual_add_nc_u32 v14, 20, v12
	s_delay_alu instid0(VALU_DEP_1) | instskip(NEXT) | instid1(VALU_DEP_2)
	v_lshlrev_b64_e64 v[2:3], v2, -1
	v_lshlrev_b64_e64 v[14:15], v14, 1
	s_delay_alu instid0(VALU_DEP_2) | instskip(SKIP_1) | instid1(VALU_DEP_4)
	v_bfi_b32 v2, v2, 0, v0
	v_lshrrev_b64 v[0:1], v12, v[0:1]
	v_bfi_b32 v3, v3, 0, 0
	s_delay_alu instid0(VALU_DEP_1) | instskip(NEXT) | instid1(VALU_DEP_3)
	v_cmp_eq_u64_e64 s13, v[2:3], v[14:15]
	v_mov_b64_e32 v[2:3], v[0:1]
	s_and_saveexec_b32 s77, s13
; %bb.22387:                            ;   in Loop: Header=BB6_22365 Depth=3
	v_bfe_u32 v2, v0, 21, 1
	v_mov_b32_e32 v3, v113
	s_delay_alu instid0(VALU_DEP_1) | instskip(NEXT) | instid1(VALU_DEP_1)
	v_add_nc_u64_e32 v[2:3], v[0:1], v[2:3]
	v_add_nc_u64_e32 v[2:3], -1, v[2:3]
; %bb.22388:                            ;   in Loop: Header=BB6_22365 Depth=3
	s_or_b32 exec_lo, exec_lo, s77
	v_add_nc_u32_e32 v1, 0xffffff81, v5
	v_lshrrev_b32_e32 v3, 23, v0
	s_mov_b32 s13, exec_lo
	s_delay_alu instid0(VALU_DEP_2) | instskip(NEXT) | instid1(VALU_DEP_1)
	v_cndmask_b32_e64 v1, v1, 0xffffff82, vcc_lo
	v_add3_u32 v3, v12, v1, v3
	v_and_b32_e32 v1, 0x1fffff, v2
                                        ; implicit-def: $vgpr2
	s_delay_alu instid0(VALU_DEP_1) | instskip(SKIP_1) | instid1(VALU_DEP_2)
	v_dual_add_nc_u32 v5, 14, v3 :: v_dual_add_nc_u32 v0, v1, v0
	v_mov_b32_e32 v1, v113
	v_cmpx_ne_u32_e32 0, v5
	s_xor_b32 s13, exec_lo, s13
; %bb.22389:                            ;   in Loop: Header=BB6_22365 Depth=3
	s_delay_alu instid0(VALU_DEP_2) | instskip(SKIP_2) | instid1(VALU_DEP_2)
	v_cmp_lt_u64_e32 vcc_lo, 0xffffff, v[0:1]
	v_add_nc_u32_e32 v2, 15, v3
	v_cndmask_b32_e64 v3, 0, 1, vcc_lo
	v_cndmask_b32_e32 v2, v5, v2, vcc_lo
	s_delay_alu instid0(VALU_DEP_2)
	v_lshrrev_b64 v[0:1], v3, v[0:1]
; %bb.22390:                            ;   in Loop: Header=BB6_22365 Depth=3
	s_and_not1_saveexec_b32 s13, s13
; %bb.22391:                            ;   in Loop: Header=BB6_22365 Depth=3
	s_delay_alu instid0(VALU_DEP_1)
	v_bfe_u32 v2, v0, 23, 1
; %bb.22392:                            ;   in Loop: Header=BB6_22365 Depth=3
	s_or_b32 exec_lo, exec_lo, s13
	s_delay_alu instid0(VALU_DEP_2) | instskip(NEXT) | instid1(VALU_DEP_2)
	v_lshrrev_b64 v[0:1], 21, v[0:1]
	v_cmp_gt_i32_e32 vcc_lo, 32, v2
	v_min_i32_e32 v3, 31, v2
	v_cmp_eq_u32_e64 s13, 0, v2
	s_delay_alu instid0(VALU_DEP_2) | instskip(SKIP_1) | instid1(VALU_DEP_2)
	v_dual_cndmask_b32 v1, 0, v1, vcc_lo :: v_dual_lshlrev_b32 v3, 2, v3
	v_cndmask_b32_e32 v0, 3, v0, vcc_lo
	v_and_b32_e32 v3, 0xfc, v3
	s_delay_alu instid0(VALU_DEP_2) | instskip(NEXT) | instid1(VALU_DEP_2)
	v_cmp_eq_u64_e32 vcc_lo, 0, v[0:1]
	v_and_or_b32 v0, v0, 3, v3
	s_and_b32 s13, s13, vcc_lo
	s_delay_alu instid0(VALU_DEP_1) | instid1(SALU_CYCLE_1)
	v_cndmask_b32_e64 v0, v0, 0, s13
	s_delay_alu instid0(VALU_DEP_1)
	v_or_b32_e32 v24, v0, v4
.LBB6_22393:                            ;   in Loop: Header=BB6_22365 Depth=3
	s_or_b32 exec_lo, exec_lo, s76
                                        ; implicit-def: $vgpr4
.LBB6_22394:                            ;   in Loop: Header=BB6_22365 Depth=3
	s_and_not1_saveexec_b32 s13, s75
; %bb.22395:                            ;   in Loop: Header=BB6_22365 Depth=3
	v_or_b32_e32 v24, 0x7b, v4
; %bb.22396:                            ;   in Loop: Header=BB6_22365 Depth=3
	s_or_b32 exec_lo, exec_lo, s13
                                        ; implicit-def: $vgpr2
                                        ; implicit-def: $vgpr0_vgpr1
                                        ; implicit-def: $vgpr3
.LBB6_22397:                            ;   in Loop: Header=BB6_22365 Depth=3
	s_and_not1_saveexec_b32 s13, s74
	s_cbranch_execz .LBB6_22403
; %bb.22398:                            ;   in Loop: Header=BB6_22365 Depth=3
	s_mov_b32 s74, exec_lo
                                        ; implicit-def: $vgpr24
	v_cmpx_ne_u64_e32 0, v[0:1]
	s_xor_b32 s74, exec_lo, s74
; %bb.22399:                            ;   in Loop: Header=BB6_22365 Depth=3
	v_or_b32_e32 v24, 0x7f, v3
                                        ; implicit-def: $vgpr2
; %bb.22400:                            ;   in Loop: Header=BB6_22365 Depth=3
	s_and_not1_saveexec_b32 s74, s74
; %bb.22401:                            ;   in Loop: Header=BB6_22365 Depth=3
	v_cmp_lt_i32_e32 vcc_lo, -1, v2
	v_mov_b32_e32 v0, 0x7c
	s_delay_alu instid0(VALU_DEP_1)
	v_cndmask_b32_e32 v24, 0xfc, v0, vcc_lo
; %bb.22402:                            ;   in Loop: Header=BB6_22365 Depth=3
	s_or_b32 exec_lo, exec_lo, s74
.LBB6_22403:                            ;   in Loop: Header=BB6_22365 Depth=3
	s_delay_alu instid0(SALU_CYCLE_1) | instskip(SKIP_3) | instid1(VALU_DEP_2)
	s_or_b32 exec_lo, exec_lo, s13
	v_lshrrev_b16 v0, 8, v8
	v_mov_b32_e32 v2, 0
	s_mov_b32 s13, exec_lo
	v_cmpx_ne_u16_e32 0, v0
	s_cbranch_execz .LBB6_22413
; %bb.22404:                            ;   in Loop: Header=BB6_22365 Depth=3
	v_bfrev_b32_e32 v2, 1
	s_mov_b32 s74, exec_lo
	v_cmpx_ne_u16_e32 0x80, v0
	s_cbranch_execz .LBB6_22412
; %bb.22405:                            ;   in Loop: Header=BB6_22365 Depth=3
	v_and_b32_e32 v3, 0xffff, v0
	s_delay_alu instid0(VALU_DEP_1) | instskip(SKIP_1) | instid1(VALU_DEP_2)
	v_and_b32_e32 v2, 0x7c, v3
	v_and_b32_e32 v1, 3, v3
	v_cmp_ne_u32_e32 vcc_lo, 0x7c, v2
                                        ; implicit-def: $vgpr2
	s_and_saveexec_b32 s75, vcc_lo
	s_delay_alu instid0(SALU_CYCLE_1)
	s_xor_b32 s75, exec_lo, s75
	s_cbranch_execz .LBB6_22409
; %bb.22406:                            ;   in Loop: Header=BB6_22365 Depth=3
	v_bfe_u32 v2, v3, 2, 5
	s_mov_b32 s76, exec_lo
	s_delay_alu instid0(VALU_DEP_1)
	v_cmpx_eq_u32_e32 0, v2
	s_cbranch_execz .LBB6_22408
; %bb.22407:                            ;   in Loop: Header=BB6_22365 Depth=3
	v_clz_i32_u32_e32 v1, v1
	s_delay_alu instid0(VALU_DEP_1) | instskip(SKIP_1) | instid1(VALU_DEP_2)
	v_min_u32_e32 v2, 32, v1
	v_mov_b32_e32 v1, v113
	v_subrev_nc_u32_e32 v3, 29, v2
	v_sub_nc_u32_e32 v2, 30, v2
	s_delay_alu instid0(VALU_DEP_2) | instskip(NEXT) | instid1(VALU_DEP_1)
	v_lshlrev_b64_e32 v[0:1], v3, v[0:1]
	v_and_b32_e32 v1, 3, v0
.LBB6_22408:                            ;   in Loop: Header=BB6_22365 Depth=3
	s_or_b32 exec_lo, exec_lo, s76
	v_lshlrev_b32_e32 v0, 16, v8
	s_delay_alu instid0(VALU_DEP_1) | instskip(NEXT) | instid1(VALU_DEP_1)
	v_and_b32_e32 v0, 0x80000000, v0
	v_lshl_add_u32 v0, v2, 23, v0
	s_delay_alu instid0(VALU_DEP_1) | instskip(NEXT) | instid1(VALU_DEP_1)
	v_lshl_or_b32 v0, v1, 21, v0
                                        ; implicit-def: $vgpr1
	v_add_nc_u32_e32 v2, 0x38000000, v0
.LBB6_22409:                            ;   in Loop: Header=BB6_22365 Depth=3
	s_and_not1_saveexec_b32 s75, s75
; %bb.22410:                            ;   in Loop: Header=BB6_22365 Depth=3
	v_cmp_lt_i16_e32 vcc_lo, -1, v8
	v_mov_b32_e32 v0, 0x7f800000
	s_delay_alu instid0(VALU_DEP_1) | instskip(SKIP_1) | instid1(VALU_DEP_2)
	v_cndmask_b32_e32 v0, 0xff800000, v0, vcc_lo
	v_cmp_eq_u32_e32 vcc_lo, 0, v1
	v_cndmask_b32_e32 v2, 0x7f800001, v0, vcc_lo
; %bb.22411:                            ;   in Loop: Header=BB6_22365 Depth=3
	s_or_b32 exec_lo, exec_lo, s75
.LBB6_22412:                            ;   in Loop: Header=BB6_22365 Depth=3
	s_delay_alu instid0(SALU_CYCLE_1)
	s_or_b32 exec_lo, exec_lo, s74
.LBB6_22413:                            ;   in Loop: Header=BB6_22365 Depth=3
	s_delay_alu instid0(SALU_CYCLE_1) | instskip(NEXT) | instid1(VALU_DEP_1)
	s_or_b32 exec_lo, exec_lo, s13
	v_dual_mul_f32 v2, s73, v2 :: v_dual_mov_b32 v5, v113
	v_mov_b32_e32 v1, v113
                                        ; implicit-def: $vgpr26
	s_mov_b32 s13, exec_lo
	s_delay_alu instid0(VALU_DEP_2) | instskip(SKIP_2) | instid1(VALU_DEP_3)
	v_and_b32_e32 v4, 0x7f800000, v2
	v_and_b32_e32 v0, 0x7fffff, v2
	v_lshrrev_b32_e32 v3, 24, v2
	v_cmpx_ne_u64_e32 0x7f800000, v[4:5]
	s_xor_b32 s74, exec_lo, s13
	s_cbranch_execz .LBB6_22427
; %bb.22414:                            ;   in Loop: Header=BB6_22365 Depth=3
	v_and_b32_e32 v4, 0x7fffffff, v2
	v_mov_b32_e32 v5, v113
                                        ; implicit-def: $vgpr26
	s_delay_alu instid0(VALU_DEP_1) | instskip(SKIP_2) | instid1(SALU_CYCLE_1)
	v_cmp_gt_u64_e32 vcc_lo, 0x47600001, v[4:5]
	v_and_b32_e32 v4, 0x80, v3
	s_and_saveexec_b32 s13, vcc_lo
	s_xor_b32 s75, exec_lo, s13
	s_cbranch_execz .LBB6_22424
; %bb.22415:                            ;   in Loop: Header=BB6_22365 Depth=3
	v_mov_b32_e32 v26, 0
	s_mov_b32 s76, exec_lo
	v_cmpx_ne_u32_e32 0, v2
	s_cbranch_execz .LBB6_22423
; %bb.22416:                            ;   in Loop: Header=BB6_22365 Depth=3
	v_bfe_u32 v5, v2, 23, 8
	v_or_b32_e32 v13, 0x800000, v0
	s_delay_alu instid0(VALU_DEP_2) | instskip(SKIP_1) | instid1(VALU_DEP_2)
	v_sub_nc_u32_e32 v2, 0x71, v5
	v_cmp_gt_u32_e32 vcc_lo, 0x72, v5
	v_cndmask_b32_e32 v2, 0, v2, vcc_lo
	v_cmp_eq_u32_e32 vcc_lo, 0, v5
	s_delay_alu instid0(VALU_DEP_2) | instskip(SKIP_1) | instid1(VALU_DEP_2)
	v_cndmask_b32_e64 v12, v2, 0x70, vcc_lo
	v_cndmask_b32_e32 v0, v13, v0, vcc_lo
	v_dual_add_nc_u32 v2, 21, v12 :: v_dual_add_nc_u32 v14, 20, v12
	s_delay_alu instid0(VALU_DEP_1) | instskip(NEXT) | instid1(VALU_DEP_2)
	v_lshlrev_b64_e64 v[2:3], v2, -1
	v_lshlrev_b64_e64 v[14:15], v14, 1
	s_delay_alu instid0(VALU_DEP_2) | instskip(SKIP_1) | instid1(VALU_DEP_4)
	v_bfi_b32 v2, v2, 0, v0
	v_lshrrev_b64 v[0:1], v12, v[0:1]
	v_bfi_b32 v3, v3, 0, 0
	s_delay_alu instid0(VALU_DEP_1) | instskip(NEXT) | instid1(VALU_DEP_3)
	v_cmp_eq_u64_e64 s13, v[2:3], v[14:15]
	v_mov_b64_e32 v[2:3], v[0:1]
	s_and_saveexec_b32 s77, s13
; %bb.22417:                            ;   in Loop: Header=BB6_22365 Depth=3
	v_bfe_u32 v2, v0, 21, 1
	v_mov_b32_e32 v3, v113
	s_delay_alu instid0(VALU_DEP_1) | instskip(NEXT) | instid1(VALU_DEP_1)
	v_add_nc_u64_e32 v[2:3], v[0:1], v[2:3]
	v_add_nc_u64_e32 v[2:3], -1, v[2:3]
; %bb.22418:                            ;   in Loop: Header=BB6_22365 Depth=3
	s_or_b32 exec_lo, exec_lo, s77
	v_add_nc_u32_e32 v1, 0xffffff81, v5
	v_lshrrev_b32_e32 v3, 23, v0
	s_mov_b32 s13, exec_lo
	s_delay_alu instid0(VALU_DEP_2) | instskip(NEXT) | instid1(VALU_DEP_1)
	v_cndmask_b32_e64 v1, v1, 0xffffff82, vcc_lo
	v_add3_u32 v3, v12, v1, v3
	v_and_b32_e32 v1, 0x1fffff, v2
                                        ; implicit-def: $vgpr2
	s_delay_alu instid0(VALU_DEP_1) | instskip(SKIP_1) | instid1(VALU_DEP_2)
	v_dual_add_nc_u32 v5, 14, v3 :: v_dual_add_nc_u32 v0, v1, v0
	v_mov_b32_e32 v1, v113
	v_cmpx_ne_u32_e32 0, v5
	s_xor_b32 s13, exec_lo, s13
; %bb.22419:                            ;   in Loop: Header=BB6_22365 Depth=3
	s_delay_alu instid0(VALU_DEP_2) | instskip(SKIP_2) | instid1(VALU_DEP_2)
	v_cmp_lt_u64_e32 vcc_lo, 0xffffff, v[0:1]
	v_add_nc_u32_e32 v2, 15, v3
	v_cndmask_b32_e64 v3, 0, 1, vcc_lo
	v_cndmask_b32_e32 v2, v5, v2, vcc_lo
	s_delay_alu instid0(VALU_DEP_2)
	v_lshrrev_b64 v[0:1], v3, v[0:1]
; %bb.22420:                            ;   in Loop: Header=BB6_22365 Depth=3
	s_and_not1_saveexec_b32 s13, s13
; %bb.22421:                            ;   in Loop: Header=BB6_22365 Depth=3
	s_delay_alu instid0(VALU_DEP_1)
	v_bfe_u32 v2, v0, 23, 1
; %bb.22422:                            ;   in Loop: Header=BB6_22365 Depth=3
	s_or_b32 exec_lo, exec_lo, s13
	s_delay_alu instid0(VALU_DEP_2) | instskip(NEXT) | instid1(VALU_DEP_2)
	v_lshrrev_b64 v[0:1], 21, v[0:1]
	v_cmp_gt_i32_e32 vcc_lo, 32, v2
	v_min_i32_e32 v3, 31, v2
	v_cmp_eq_u32_e64 s13, 0, v2
	s_delay_alu instid0(VALU_DEP_2) | instskip(SKIP_1) | instid1(VALU_DEP_2)
	v_dual_cndmask_b32 v1, 0, v1, vcc_lo :: v_dual_lshlrev_b32 v3, 2, v3
	v_cndmask_b32_e32 v0, 3, v0, vcc_lo
	v_and_b32_e32 v3, 0xfc, v3
	s_delay_alu instid0(VALU_DEP_2) | instskip(NEXT) | instid1(VALU_DEP_2)
	v_cmp_eq_u64_e32 vcc_lo, 0, v[0:1]
	v_and_or_b32 v0, v0, 3, v3
	s_and_b32 s13, s13, vcc_lo
	s_delay_alu instid0(VALU_DEP_1) | instid1(SALU_CYCLE_1)
	v_cndmask_b32_e64 v0, v0, 0, s13
	s_delay_alu instid0(VALU_DEP_1)
	v_or_b32_e32 v26, v0, v4
.LBB6_22423:                            ;   in Loop: Header=BB6_22365 Depth=3
	s_or_b32 exec_lo, exec_lo, s76
                                        ; implicit-def: $vgpr4
.LBB6_22424:                            ;   in Loop: Header=BB6_22365 Depth=3
	s_and_not1_saveexec_b32 s13, s75
; %bb.22425:                            ;   in Loop: Header=BB6_22365 Depth=3
	v_or_b32_e32 v26, 0x7b, v4
; %bb.22426:                            ;   in Loop: Header=BB6_22365 Depth=3
	s_or_b32 exec_lo, exec_lo, s13
                                        ; implicit-def: $vgpr2
                                        ; implicit-def: $vgpr0_vgpr1
                                        ; implicit-def: $vgpr3
.LBB6_22427:                            ;   in Loop: Header=BB6_22365 Depth=3
	s_and_not1_saveexec_b32 s13, s74
	s_cbranch_execz .LBB6_22433
; %bb.22428:                            ;   in Loop: Header=BB6_22365 Depth=3
	s_mov_b32 s74, exec_lo
                                        ; implicit-def: $vgpr26
	v_cmpx_ne_u64_e32 0, v[0:1]
	s_xor_b32 s74, exec_lo, s74
; %bb.22429:                            ;   in Loop: Header=BB6_22365 Depth=3
	v_or_b32_e32 v26, 0x7f, v3
                                        ; implicit-def: $vgpr2
; %bb.22430:                            ;   in Loop: Header=BB6_22365 Depth=3
	s_and_not1_saveexec_b32 s74, s74
; %bb.22431:                            ;   in Loop: Header=BB6_22365 Depth=3
	v_cmp_lt_i32_e32 vcc_lo, -1, v2
	v_mov_b32_e32 v0, 0x7c
	s_delay_alu instid0(VALU_DEP_1)
	v_cndmask_b32_e32 v26, 0xfc, v0, vcc_lo
; %bb.22432:                            ;   in Loop: Header=BB6_22365 Depth=3
	s_or_b32 exec_lo, exec_lo, s74
.LBB6_22433:                            ;   in Loop: Header=BB6_22365 Depth=3
	s_delay_alu instid0(SALU_CYCLE_1) | instskip(SKIP_2) | instid1(VALU_DEP_1)
	s_or_b32 exec_lo, exec_lo, s13
	v_dual_mov_b32 v1, 0 :: v_dual_lshrrev_b32 v0, 16, v8
	s_mov_b32 s13, exec_lo
	v_and_b32_e32 v2, 0xff, v0
	s_delay_alu instid0(VALU_DEP_1)
	v_cmpx_ne_u16_e32 0, v2
	s_cbranch_execz .LBB6_22443
; %bb.22434:                            ;   in Loop: Header=BB6_22365 Depth=3
	v_bfrev_b32_e32 v1, 1
	s_mov_b32 s74, exec_lo
	v_cmpx_ne_u16_e32 0x80, v2
	s_cbranch_execz .LBB6_22442
; %bb.22435:                            ;   in Loop: Header=BB6_22365 Depth=3
	v_and_b32_e32 v1, 0x7c0000, v8
	v_bfe_u32 v2, v8, 16, 2
	s_delay_alu instid0(VALU_DEP_2) | instskip(SKIP_1) | instid1(SALU_CYCLE_1)
	v_cmp_ne_u32_e32 vcc_lo, 0x7c0000, v1
                                        ; implicit-def: $vgpr1
	s_and_saveexec_b32 s75, vcc_lo
	s_xor_b32 s75, exec_lo, s75
	s_cbranch_execz .LBB6_22439
; %bb.22436:                            ;   in Loop: Header=BB6_22365 Depth=3
	v_bfe_u32 v1, v8, 18, 5
	s_mov_b32 s76, exec_lo
	s_delay_alu instid0(VALU_DEP_1)
	v_cmpx_eq_u32_e32 0, v1
; %bb.22437:                            ;   in Loop: Header=BB6_22365 Depth=3
	v_clz_i32_u32_e32 v1, v2
	s_delay_alu instid0(VALU_DEP_1) | instskip(NEXT) | instid1(VALU_DEP_1)
	v_min_u32_e32 v1, 32, v1
	v_subrev_nc_u32_e32 v2, 29, v1
	s_delay_alu instid0(VALU_DEP_1) | instskip(NEXT) | instid1(VALU_DEP_1)
	v_lshlrev_b64_e32 v[2:3], v2, v[0:1]
	v_dual_sub_nc_u32 v1, 30, v1 :: v_dual_bitop2_b32 v2, 3, v2 bitop3:0x40
; %bb.22438:                            ;   in Loop: Header=BB6_22365 Depth=3
	s_or_b32 exec_lo, exec_lo, s76
	v_lshlrev_b32_e32 v0, 24, v0
	s_delay_alu instid0(VALU_DEP_1) | instskip(NEXT) | instid1(VALU_DEP_1)
	v_and_b32_e32 v0, 0x80000000, v0
	v_lshl_add_u32 v0, v1, 23, v0
	s_delay_alu instid0(VALU_DEP_1) | instskip(NEXT) | instid1(VALU_DEP_1)
	v_lshl_or_b32 v0, v2, 21, v0
                                        ; implicit-def: $vgpr2
	v_add_nc_u32_e32 v1, 0x38000000, v0
                                        ; implicit-def: $vgpr0
.LBB6_22439:                            ;   in Loop: Header=BB6_22365 Depth=3
	s_and_not1_saveexec_b32 s75, s75
; %bb.22440:                            ;   in Loop: Header=BB6_22365 Depth=3
	v_bfe_i32 v0, v0, 0, 8
	s_delay_alu instid0(VALU_DEP_1) | instskip(SKIP_1) | instid1(VALU_DEP_1)
	v_cmp_lt_i16_e32 vcc_lo, -1, v0
	v_mov_b32_e32 v0, 0x7f800000
	v_cndmask_b32_e32 v0, 0xff800000, v0, vcc_lo
	v_cmp_eq_u32_e32 vcc_lo, 0, v2
	s_delay_alu instid0(VALU_DEP_2)
	v_cndmask_b32_e32 v1, 0x7f800001, v0, vcc_lo
; %bb.22441:                            ;   in Loop: Header=BB6_22365 Depth=3
	s_or_b32 exec_lo, exec_lo, s75
.LBB6_22442:                            ;   in Loop: Header=BB6_22365 Depth=3
	s_delay_alu instid0(SALU_CYCLE_1)
	s_or_b32 exec_lo, exec_lo, s74
.LBB6_22443:                            ;   in Loop: Header=BB6_22365 Depth=3
	s_delay_alu instid0(SALU_CYCLE_1) | instskip(NEXT) | instid1(VALU_DEP_1)
	s_or_b32 exec_lo, exec_lo, s13
	v_dual_mul_f32 v2, s73, v1 :: v_dual_mov_b32 v5, v113
	v_mov_b32_e32 v1, v113
                                        ; implicit-def: $vgpr29
	s_mov_b32 s13, exec_lo
	s_delay_alu instid0(VALU_DEP_2) | instskip(SKIP_2) | instid1(VALU_DEP_3)
	v_and_b32_e32 v4, 0x7f800000, v2
	v_and_b32_e32 v0, 0x7fffff, v2
	v_lshrrev_b32_e32 v3, 24, v2
	v_cmpx_ne_u64_e32 0x7f800000, v[4:5]
	s_xor_b32 s74, exec_lo, s13
	s_cbranch_execz .LBB6_22457
; %bb.22444:                            ;   in Loop: Header=BB6_22365 Depth=3
	v_and_b32_e32 v4, 0x7fffffff, v2
	v_mov_b32_e32 v5, v113
                                        ; implicit-def: $vgpr29
	s_delay_alu instid0(VALU_DEP_1) | instskip(SKIP_2) | instid1(SALU_CYCLE_1)
	v_cmp_gt_u64_e32 vcc_lo, 0x47600001, v[4:5]
	v_and_b32_e32 v4, 0x80, v3
	s_and_saveexec_b32 s13, vcc_lo
	s_xor_b32 s75, exec_lo, s13
	s_cbranch_execz .LBB6_22454
; %bb.22445:                            ;   in Loop: Header=BB6_22365 Depth=3
	v_mov_b32_e32 v29, 0
	s_mov_b32 s76, exec_lo
	v_cmpx_ne_u32_e32 0, v2
	s_cbranch_execz .LBB6_22453
; %bb.22446:                            ;   in Loop: Header=BB6_22365 Depth=3
	v_bfe_u32 v5, v2, 23, 8
	v_or_b32_e32 v13, 0x800000, v0
	s_delay_alu instid0(VALU_DEP_2) | instskip(SKIP_1) | instid1(VALU_DEP_2)
	v_sub_nc_u32_e32 v2, 0x71, v5
	v_cmp_gt_u32_e32 vcc_lo, 0x72, v5
	v_cndmask_b32_e32 v2, 0, v2, vcc_lo
	v_cmp_eq_u32_e32 vcc_lo, 0, v5
	s_delay_alu instid0(VALU_DEP_2) | instskip(SKIP_1) | instid1(VALU_DEP_2)
	v_cndmask_b32_e64 v12, v2, 0x70, vcc_lo
	v_cndmask_b32_e32 v0, v13, v0, vcc_lo
	v_dual_add_nc_u32 v2, 21, v12 :: v_dual_add_nc_u32 v14, 20, v12
	s_delay_alu instid0(VALU_DEP_1) | instskip(NEXT) | instid1(VALU_DEP_2)
	v_lshlrev_b64_e64 v[2:3], v2, -1
	v_lshlrev_b64_e64 v[14:15], v14, 1
	s_delay_alu instid0(VALU_DEP_2) | instskip(SKIP_1) | instid1(VALU_DEP_4)
	v_bfi_b32 v2, v2, 0, v0
	v_lshrrev_b64 v[0:1], v12, v[0:1]
	v_bfi_b32 v3, v3, 0, 0
	s_delay_alu instid0(VALU_DEP_1) | instskip(NEXT) | instid1(VALU_DEP_3)
	v_cmp_eq_u64_e64 s13, v[2:3], v[14:15]
	v_mov_b64_e32 v[2:3], v[0:1]
	s_and_saveexec_b32 s77, s13
; %bb.22447:                            ;   in Loop: Header=BB6_22365 Depth=3
	v_bfe_u32 v2, v0, 21, 1
	v_mov_b32_e32 v3, v113
	s_delay_alu instid0(VALU_DEP_1) | instskip(NEXT) | instid1(VALU_DEP_1)
	v_add_nc_u64_e32 v[2:3], v[0:1], v[2:3]
	v_add_nc_u64_e32 v[2:3], -1, v[2:3]
; %bb.22448:                            ;   in Loop: Header=BB6_22365 Depth=3
	s_or_b32 exec_lo, exec_lo, s77
	v_add_nc_u32_e32 v1, 0xffffff81, v5
	v_lshrrev_b32_e32 v3, 23, v0
	s_mov_b32 s13, exec_lo
	s_delay_alu instid0(VALU_DEP_2) | instskip(NEXT) | instid1(VALU_DEP_1)
	v_cndmask_b32_e64 v1, v1, 0xffffff82, vcc_lo
	v_add3_u32 v3, v12, v1, v3
	v_and_b32_e32 v1, 0x1fffff, v2
                                        ; implicit-def: $vgpr2
	s_delay_alu instid0(VALU_DEP_1) | instskip(SKIP_1) | instid1(VALU_DEP_2)
	v_dual_add_nc_u32 v5, 14, v3 :: v_dual_add_nc_u32 v0, v1, v0
	v_mov_b32_e32 v1, v113
	v_cmpx_ne_u32_e32 0, v5
	s_xor_b32 s13, exec_lo, s13
; %bb.22449:                            ;   in Loop: Header=BB6_22365 Depth=3
	s_delay_alu instid0(VALU_DEP_2) | instskip(SKIP_2) | instid1(VALU_DEP_2)
	v_cmp_lt_u64_e32 vcc_lo, 0xffffff, v[0:1]
	v_add_nc_u32_e32 v2, 15, v3
	v_cndmask_b32_e64 v3, 0, 1, vcc_lo
	v_cndmask_b32_e32 v2, v5, v2, vcc_lo
	s_delay_alu instid0(VALU_DEP_2)
	v_lshrrev_b64 v[0:1], v3, v[0:1]
; %bb.22450:                            ;   in Loop: Header=BB6_22365 Depth=3
	s_and_not1_saveexec_b32 s13, s13
; %bb.22451:                            ;   in Loop: Header=BB6_22365 Depth=3
	s_delay_alu instid0(VALU_DEP_1)
	v_bfe_u32 v2, v0, 23, 1
; %bb.22452:                            ;   in Loop: Header=BB6_22365 Depth=3
	s_or_b32 exec_lo, exec_lo, s13
	s_delay_alu instid0(VALU_DEP_2) | instskip(NEXT) | instid1(VALU_DEP_2)
	v_lshrrev_b64 v[0:1], 21, v[0:1]
	v_cmp_gt_i32_e32 vcc_lo, 32, v2
	v_min_i32_e32 v3, 31, v2
	v_cmp_eq_u32_e64 s13, 0, v2
	s_delay_alu instid0(VALU_DEP_2) | instskip(SKIP_1) | instid1(VALU_DEP_2)
	v_dual_cndmask_b32 v1, 0, v1, vcc_lo :: v_dual_lshlrev_b32 v3, 2, v3
	v_cndmask_b32_e32 v0, 3, v0, vcc_lo
	v_and_b32_e32 v3, 0xfc, v3
	s_delay_alu instid0(VALU_DEP_2) | instskip(NEXT) | instid1(VALU_DEP_2)
	v_cmp_eq_u64_e32 vcc_lo, 0, v[0:1]
	v_and_or_b32 v0, v0, 3, v3
	s_and_b32 s13, s13, vcc_lo
	s_delay_alu instid0(VALU_DEP_1) | instid1(SALU_CYCLE_1)
	v_cndmask_b32_e64 v0, v0, 0, s13
	s_delay_alu instid0(VALU_DEP_1)
	v_or_b32_e32 v29, v0, v4
.LBB6_22453:                            ;   in Loop: Header=BB6_22365 Depth=3
	s_or_b32 exec_lo, exec_lo, s76
                                        ; implicit-def: $vgpr4
.LBB6_22454:                            ;   in Loop: Header=BB6_22365 Depth=3
	s_and_not1_saveexec_b32 s13, s75
; %bb.22455:                            ;   in Loop: Header=BB6_22365 Depth=3
	v_or_b32_e32 v29, 0x7b, v4
; %bb.22456:                            ;   in Loop: Header=BB6_22365 Depth=3
	s_or_b32 exec_lo, exec_lo, s13
                                        ; implicit-def: $vgpr2
                                        ; implicit-def: $vgpr0_vgpr1
                                        ; implicit-def: $vgpr3
.LBB6_22457:                            ;   in Loop: Header=BB6_22365 Depth=3
	s_and_not1_saveexec_b32 s13, s74
	s_cbranch_execz .LBB6_22463
; %bb.22458:                            ;   in Loop: Header=BB6_22365 Depth=3
	s_mov_b32 s74, exec_lo
                                        ; implicit-def: $vgpr29
	v_cmpx_ne_u64_e32 0, v[0:1]
	s_xor_b32 s74, exec_lo, s74
; %bb.22459:                            ;   in Loop: Header=BB6_22365 Depth=3
	v_or_b32_e32 v29, 0x7f, v3
                                        ; implicit-def: $vgpr2
; %bb.22460:                            ;   in Loop: Header=BB6_22365 Depth=3
	s_and_not1_saveexec_b32 s74, s74
; %bb.22461:                            ;   in Loop: Header=BB6_22365 Depth=3
	v_cmp_lt_i32_e32 vcc_lo, -1, v2
	v_mov_b32_e32 v0, 0x7c
	s_delay_alu instid0(VALU_DEP_1)
	v_cndmask_b32_e32 v29, 0xfc, v0, vcc_lo
; %bb.22462:                            ;   in Loop: Header=BB6_22365 Depth=3
	s_or_b32 exec_lo, exec_lo, s74
.LBB6_22463:                            ;   in Loop: Header=BB6_22365 Depth=3
	s_delay_alu instid0(SALU_CYCLE_1)
	s_or_b32 exec_lo, exec_lo, s13
	v_mov_b32_e32 v1, 0
	s_mov_b32 s13, exec_lo
	v_cmpx_lt_u32_e32 0xffffff, v8
	s_cbranch_execz .LBB6_22473
; %bb.22464:                            ;   in Loop: Header=BB6_22365 Depth=3
	v_lshrrev_b32_e32 v0, 24, v8
	v_bfrev_b32_e32 v1, 1
	s_mov_b32 s74, exec_lo
	s_delay_alu instid0(VALU_DEP_2)
	v_cmpx_ne_u32_e32 0x80, v0
	s_cbranch_execz .LBB6_22472
; %bb.22465:                            ;   in Loop: Header=BB6_22365 Depth=3
	v_and_b32_e32 v1, 0x7c000000, v8
	v_bfe_u32 v2, v8, 24, 2
	s_delay_alu instid0(VALU_DEP_2) | instskip(SKIP_1) | instid1(SALU_CYCLE_1)
	v_cmp_ne_u32_e32 vcc_lo, 0x7c000000, v1
                                        ; implicit-def: $vgpr1
	s_and_saveexec_b32 s75, vcc_lo
	s_xor_b32 s75, exec_lo, s75
	s_cbranch_execz .LBB6_22469
; %bb.22466:                            ;   in Loop: Header=BB6_22365 Depth=3
	v_bfe_u32 v1, v8, 26, 5
	s_mov_b32 s76, exec_lo
	s_delay_alu instid0(VALU_DEP_1)
	v_cmpx_eq_u32_e32 0, v1
; %bb.22467:                            ;   in Loop: Header=BB6_22365 Depth=3
	v_clz_i32_u32_e32 v1, v2
	s_delay_alu instid0(VALU_DEP_1) | instskip(NEXT) | instid1(VALU_DEP_1)
	v_min_u32_e32 v2, 32, v1
	v_subrev_nc_u32_e32 v1, 29, v2
	s_delay_alu instid0(VALU_DEP_1) | instskip(NEXT) | instid1(VALU_DEP_1)
	v_lshlrev_b64_e32 v[0:1], v1, v[0:1]
	v_dual_sub_nc_u32 v1, 30, v2 :: v_dual_bitop2_b32 v2, 3, v0 bitop3:0x40
; %bb.22468:                            ;   in Loop: Header=BB6_22365 Depth=3
	s_or_b32 exec_lo, exec_lo, s76
	v_and_b32_e32 v0, 0x80000000, v8
	s_delay_alu instid0(VALU_DEP_1) | instskip(NEXT) | instid1(VALU_DEP_1)
	v_lshl_add_u32 v0, v1, 23, v0
	v_lshl_or_b32 v0, v2, 21, v0
                                        ; implicit-def: $vgpr2
	s_delay_alu instid0(VALU_DEP_1)
	v_add_nc_u32_e32 v1, 0x38000000, v0
.LBB6_22469:                            ;   in Loop: Header=BB6_22365 Depth=3
	s_and_not1_saveexec_b32 s75, s75
; %bb.22470:                            ;   in Loop: Header=BB6_22365 Depth=3
	v_cmp_lt_i32_e32 vcc_lo, -1, v8
	v_mov_b32_e32 v0, 0x7f800000
	s_delay_alu instid0(VALU_DEP_1) | instskip(SKIP_1) | instid1(VALU_DEP_2)
	v_cndmask_b32_e32 v0, 0xff800000, v0, vcc_lo
	v_cmp_eq_u32_e32 vcc_lo, 0, v2
	v_cndmask_b32_e32 v1, 0x7f800001, v0, vcc_lo
; %bb.22471:                            ;   in Loop: Header=BB6_22365 Depth=3
	s_or_b32 exec_lo, exec_lo, s75
.LBB6_22472:                            ;   in Loop: Header=BB6_22365 Depth=3
	s_delay_alu instid0(SALU_CYCLE_1)
	s_or_b32 exec_lo, exec_lo, s74
.LBB6_22473:                            ;   in Loop: Header=BB6_22365 Depth=3
	s_delay_alu instid0(SALU_CYCLE_1) | instskip(NEXT) | instid1(VALU_DEP_1)
	s_or_b32 exec_lo, exec_lo, s13
	v_dual_mul_f32 v2, s73, v1 :: v_dual_mov_b32 v5, v113
	v_mov_b32_e32 v1, v113
                                        ; implicit-def: $vgpr33
	s_mov_b32 s13, exec_lo
	s_delay_alu instid0(VALU_DEP_2) | instskip(SKIP_2) | instid1(VALU_DEP_3)
	v_and_b32_e32 v4, 0x7f800000, v2
	v_and_b32_e32 v0, 0x7fffff, v2
	v_lshrrev_b32_e32 v3, 24, v2
	v_cmpx_ne_u64_e32 0x7f800000, v[4:5]
	s_xor_b32 s74, exec_lo, s13
	s_cbranch_execz .LBB6_22487
; %bb.22474:                            ;   in Loop: Header=BB6_22365 Depth=3
	v_and_b32_e32 v4, 0x7fffffff, v2
	v_mov_b32_e32 v5, v113
                                        ; implicit-def: $vgpr33
	s_delay_alu instid0(VALU_DEP_1) | instskip(SKIP_2) | instid1(SALU_CYCLE_1)
	v_cmp_gt_u64_e32 vcc_lo, 0x47600001, v[4:5]
	v_and_b32_e32 v4, 0x80, v3
	s_and_saveexec_b32 s13, vcc_lo
	s_xor_b32 s75, exec_lo, s13
	s_cbranch_execz .LBB6_22484
; %bb.22475:                            ;   in Loop: Header=BB6_22365 Depth=3
	v_mov_b32_e32 v33, 0
	s_mov_b32 s76, exec_lo
	v_cmpx_ne_u32_e32 0, v2
	s_cbranch_execz .LBB6_22483
; %bb.22476:                            ;   in Loop: Header=BB6_22365 Depth=3
	v_bfe_u32 v5, v2, 23, 8
	v_or_b32_e32 v13, 0x800000, v0
	s_delay_alu instid0(VALU_DEP_2) | instskip(SKIP_1) | instid1(VALU_DEP_2)
	v_sub_nc_u32_e32 v2, 0x71, v5
	v_cmp_gt_u32_e32 vcc_lo, 0x72, v5
	v_cndmask_b32_e32 v2, 0, v2, vcc_lo
	v_cmp_eq_u32_e32 vcc_lo, 0, v5
	s_delay_alu instid0(VALU_DEP_2) | instskip(SKIP_1) | instid1(VALU_DEP_2)
	v_cndmask_b32_e64 v12, v2, 0x70, vcc_lo
	v_cndmask_b32_e32 v0, v13, v0, vcc_lo
	v_dual_add_nc_u32 v2, 21, v12 :: v_dual_add_nc_u32 v14, 20, v12
	s_delay_alu instid0(VALU_DEP_1) | instskip(NEXT) | instid1(VALU_DEP_2)
	v_lshlrev_b64_e64 v[2:3], v2, -1
	v_lshlrev_b64_e64 v[14:15], v14, 1
	s_delay_alu instid0(VALU_DEP_2) | instskip(SKIP_1) | instid1(VALU_DEP_4)
	v_bfi_b32 v2, v2, 0, v0
	v_lshrrev_b64 v[0:1], v12, v[0:1]
	v_bfi_b32 v3, v3, 0, 0
	s_delay_alu instid0(VALU_DEP_1) | instskip(NEXT) | instid1(VALU_DEP_3)
	v_cmp_eq_u64_e64 s13, v[2:3], v[14:15]
	v_mov_b64_e32 v[2:3], v[0:1]
	s_and_saveexec_b32 s77, s13
; %bb.22477:                            ;   in Loop: Header=BB6_22365 Depth=3
	v_bfe_u32 v2, v0, 21, 1
	v_mov_b32_e32 v3, v113
	s_delay_alu instid0(VALU_DEP_1) | instskip(NEXT) | instid1(VALU_DEP_1)
	v_add_nc_u64_e32 v[2:3], v[0:1], v[2:3]
	v_add_nc_u64_e32 v[2:3], -1, v[2:3]
; %bb.22478:                            ;   in Loop: Header=BB6_22365 Depth=3
	s_or_b32 exec_lo, exec_lo, s77
	v_add_nc_u32_e32 v1, 0xffffff81, v5
	v_lshrrev_b32_e32 v3, 23, v0
	s_mov_b32 s13, exec_lo
	s_delay_alu instid0(VALU_DEP_2) | instskip(NEXT) | instid1(VALU_DEP_1)
	v_cndmask_b32_e64 v1, v1, 0xffffff82, vcc_lo
	v_add3_u32 v3, v12, v1, v3
	v_and_b32_e32 v1, 0x1fffff, v2
                                        ; implicit-def: $vgpr2
	s_delay_alu instid0(VALU_DEP_1) | instskip(SKIP_1) | instid1(VALU_DEP_2)
	v_dual_add_nc_u32 v5, 14, v3 :: v_dual_add_nc_u32 v0, v1, v0
	v_mov_b32_e32 v1, v113
	v_cmpx_ne_u32_e32 0, v5
	s_xor_b32 s13, exec_lo, s13
; %bb.22479:                            ;   in Loop: Header=BB6_22365 Depth=3
	s_delay_alu instid0(VALU_DEP_2) | instskip(SKIP_2) | instid1(VALU_DEP_2)
	v_cmp_lt_u64_e32 vcc_lo, 0xffffff, v[0:1]
	v_add_nc_u32_e32 v2, 15, v3
	v_cndmask_b32_e64 v3, 0, 1, vcc_lo
	v_cndmask_b32_e32 v2, v5, v2, vcc_lo
	s_delay_alu instid0(VALU_DEP_2)
	v_lshrrev_b64 v[0:1], v3, v[0:1]
; %bb.22480:                            ;   in Loop: Header=BB6_22365 Depth=3
	s_and_not1_saveexec_b32 s13, s13
; %bb.22481:                            ;   in Loop: Header=BB6_22365 Depth=3
	s_delay_alu instid0(VALU_DEP_1)
	v_bfe_u32 v2, v0, 23, 1
; %bb.22482:                            ;   in Loop: Header=BB6_22365 Depth=3
	s_or_b32 exec_lo, exec_lo, s13
	s_delay_alu instid0(VALU_DEP_2) | instskip(NEXT) | instid1(VALU_DEP_2)
	v_lshrrev_b64 v[0:1], 21, v[0:1]
	v_cmp_gt_i32_e32 vcc_lo, 32, v2
	v_min_i32_e32 v3, 31, v2
	v_cmp_eq_u32_e64 s13, 0, v2
	s_delay_alu instid0(VALU_DEP_2) | instskip(SKIP_1) | instid1(VALU_DEP_2)
	v_dual_cndmask_b32 v1, 0, v1, vcc_lo :: v_dual_lshlrev_b32 v3, 2, v3
	v_cndmask_b32_e32 v0, 3, v0, vcc_lo
	v_and_b32_e32 v3, 0xfc, v3
	s_delay_alu instid0(VALU_DEP_2) | instskip(NEXT) | instid1(VALU_DEP_2)
	v_cmp_eq_u64_e32 vcc_lo, 0, v[0:1]
	v_and_or_b32 v0, v0, 3, v3
	s_and_b32 s13, s13, vcc_lo
	s_delay_alu instid0(VALU_DEP_1) | instid1(SALU_CYCLE_1)
	v_cndmask_b32_e64 v0, v0, 0, s13
	s_delay_alu instid0(VALU_DEP_1)
	v_or_b32_e32 v33, v0, v4
.LBB6_22483:                            ;   in Loop: Header=BB6_22365 Depth=3
	s_or_b32 exec_lo, exec_lo, s76
                                        ; implicit-def: $vgpr4
.LBB6_22484:                            ;   in Loop: Header=BB6_22365 Depth=3
	s_and_not1_saveexec_b32 s13, s75
; %bb.22485:                            ;   in Loop: Header=BB6_22365 Depth=3
	v_or_b32_e32 v33, 0x7b, v4
; %bb.22486:                            ;   in Loop: Header=BB6_22365 Depth=3
	s_or_b32 exec_lo, exec_lo, s13
                                        ; implicit-def: $vgpr2
                                        ; implicit-def: $vgpr0_vgpr1
                                        ; implicit-def: $vgpr3
.LBB6_22487:                            ;   in Loop: Header=BB6_22365 Depth=3
	s_and_not1_saveexec_b32 s13, s74
	s_cbranch_execz .LBB6_22493
; %bb.22488:                            ;   in Loop: Header=BB6_22365 Depth=3
	s_mov_b32 s74, exec_lo
                                        ; implicit-def: $vgpr33
	v_cmpx_ne_u64_e32 0, v[0:1]
	s_xor_b32 s74, exec_lo, s74
; %bb.22489:                            ;   in Loop: Header=BB6_22365 Depth=3
	v_or_b32_e32 v33, 0x7f, v3
                                        ; implicit-def: $vgpr2
; %bb.22490:                            ;   in Loop: Header=BB6_22365 Depth=3
	s_and_not1_saveexec_b32 s74, s74
; %bb.22491:                            ;   in Loop: Header=BB6_22365 Depth=3
	v_cmp_lt_i32_e32 vcc_lo, -1, v2
	v_mov_b32_e32 v0, 0x7c
	s_delay_alu instid0(VALU_DEP_1)
	v_cndmask_b32_e32 v33, 0xfc, v0, vcc_lo
; %bb.22492:                            ;   in Loop: Header=BB6_22365 Depth=3
	s_or_b32 exec_lo, exec_lo, s74
.LBB6_22493:                            ;   in Loop: Header=BB6_22365 Depth=3
	s_delay_alu instid0(SALU_CYCLE_1) | instskip(SKIP_4) | instid1(VALU_DEP_3)
	s_or_b32 exec_lo, exec_lo, s13
	v_and_b32_e32 v3, 0xff, v9
	v_dual_mov_b32 v0, v9 :: v_dual_mov_b32 v1, v113
	v_mov_b32_e32 v2, 0
	s_mov_b32 s13, exec_lo
	v_cmpx_ne_u16_e32 0, v3
	s_cbranch_execz .LBB6_22503
; %bb.22494:                            ;   in Loop: Header=BB6_22365 Depth=3
	v_bfrev_b32_e32 v2, 1
	s_mov_b32 s74, exec_lo
	v_cmpx_ne_u16_e32 0x80, v3
	s_cbranch_execz .LBB6_22502
; %bb.22495:                            ;   in Loop: Header=BB6_22365 Depth=3
	v_and_b32_e32 v2, 0x7c, v9
	v_and_b32_e32 v3, 3, v9
	s_delay_alu instid0(VALU_DEP_2) | instskip(SKIP_1) | instid1(SALU_CYCLE_1)
	v_cmp_ne_u32_e32 vcc_lo, 0x7c, v2
                                        ; implicit-def: $vgpr2
	s_and_saveexec_b32 s75, vcc_lo
	s_xor_b32 s75, exec_lo, s75
	s_cbranch_execz .LBB6_22499
; %bb.22496:                            ;   in Loop: Header=BB6_22365 Depth=3
	v_bfe_u32 v2, v9, 2, 5
	s_mov_b32 s76, exec_lo
	s_delay_alu instid0(VALU_DEP_1)
	v_cmpx_eq_u32_e32 0, v2
; %bb.22497:                            ;   in Loop: Header=BB6_22365 Depth=3
	v_clz_i32_u32_e32 v2, v3
	s_delay_alu instid0(VALU_DEP_1) | instskip(NEXT) | instid1(VALU_DEP_1)
	v_min_u32_e32 v2, 32, v2
	v_subrev_nc_u32_e32 v3, 29, v2
	s_delay_alu instid0(VALU_DEP_1) | instskip(NEXT) | instid1(VALU_DEP_1)
	v_lshlrev_b64_e32 v[4:5], v3, v[0:1]
	v_dual_sub_nc_u32 v2, 30, v2 :: v_dual_bitop2_b32 v3, 3, v4 bitop3:0x40
; %bb.22498:                            ;   in Loop: Header=BB6_22365 Depth=3
	s_or_b32 exec_lo, exec_lo, s76
	v_lshlrev_b32_e32 v1, 24, v9
	s_delay_alu instid0(VALU_DEP_1) | instskip(NEXT) | instid1(VALU_DEP_1)
	v_and_b32_e32 v1, 0x80000000, v1
	v_lshl_add_u32 v1, v2, 23, v1
	s_delay_alu instid0(VALU_DEP_1) | instskip(NEXT) | instid1(VALU_DEP_1)
	v_lshl_or_b32 v1, v3, 21, v1
                                        ; implicit-def: $vgpr3
	v_add_nc_u32_e32 v2, 0x38000000, v1
.LBB6_22499:                            ;   in Loop: Header=BB6_22365 Depth=3
	s_and_not1_saveexec_b32 s75, s75
; %bb.22500:                            ;   in Loop: Header=BB6_22365 Depth=3
	v_bfe_i32 v1, v9, 0, 8
	s_delay_alu instid0(VALU_DEP_1) | instskip(SKIP_1) | instid1(VALU_DEP_1)
	v_cmp_lt_i16_e32 vcc_lo, -1, v1
	v_mov_b32_e32 v1, 0x7f800000
	v_cndmask_b32_e32 v1, 0xff800000, v1, vcc_lo
	v_cmp_eq_u32_e32 vcc_lo, 0, v3
	s_delay_alu instid0(VALU_DEP_2)
	v_cndmask_b32_e32 v2, 0x7f800001, v1, vcc_lo
; %bb.22501:                            ;   in Loop: Header=BB6_22365 Depth=3
	s_or_b32 exec_lo, exec_lo, s75
.LBB6_22502:                            ;   in Loop: Header=BB6_22365 Depth=3
	s_delay_alu instid0(SALU_CYCLE_1)
	s_or_b32 exec_lo, exec_lo, s74
.LBB6_22503:                            ;   in Loop: Header=BB6_22365 Depth=3
	s_delay_alu instid0(SALU_CYCLE_1) | instskip(NEXT) | instid1(VALU_DEP_1)
	s_or_b32 exec_lo, exec_lo, s13
	v_dual_mul_f32 v4, s73, v2 :: v_dual_mov_b32 v13, v113
	v_mov_b32_e32 v3, v113
                                        ; implicit-def: $vgpr50
	s_mov_b32 s13, exec_lo
	s_delay_alu instid0(VALU_DEP_2) | instskip(SKIP_2) | instid1(VALU_DEP_3)
	v_and_b32_e32 v12, 0x7f800000, v4
	v_and_b32_e32 v2, 0x7fffff, v4
	v_lshrrev_b32_e32 v1, 24, v4
	v_cmpx_ne_u64_e32 0x7f800000, v[12:13]
	s_xor_b32 s74, exec_lo, s13
	s_cbranch_execz .LBB6_22517
; %bb.22504:                            ;   in Loop: Header=BB6_22365 Depth=3
	v_and_b32_e32 v12, 0x7fffffff, v4
	v_mov_b32_e32 v13, v113
	v_and_b32_e32 v1, 0x80, v1
                                        ; implicit-def: $vgpr50
	s_mov_b32 s13, exec_lo
	s_delay_alu instid0(VALU_DEP_2)
	v_cmpx_gt_u64_e32 0x47600001, v[12:13]
	s_xor_b32 s75, exec_lo, s13
	s_cbranch_execz .LBB6_22514
; %bb.22505:                            ;   in Loop: Header=BB6_22365 Depth=3
	v_mov_b32_e32 v50, 0
	s_mov_b32 s76, exec_lo
	v_cmpx_ne_u32_e32 0, v4
	s_cbranch_execz .LBB6_22513
; %bb.22506:                            ;   in Loop: Header=BB6_22365 Depth=3
	v_bfe_u32 v12, v4, 23, 8
	v_or_b32_e32 v14, 0x800000, v2
	s_delay_alu instid0(VALU_DEP_2) | instskip(SKIP_1) | instid1(VALU_DEP_2)
	v_sub_nc_u32_e32 v4, 0x71, v12
	v_cmp_gt_u32_e32 vcc_lo, 0x72, v12
	v_cndmask_b32_e32 v4, 0, v4, vcc_lo
	v_cmp_eq_u32_e32 vcc_lo, 0, v12
	s_delay_alu instid0(VALU_DEP_2) | instskip(NEXT) | instid1(VALU_DEP_1)
	v_cndmask_b32_e64 v13, v4, 0x70, vcc_lo
	v_dual_cndmask_b32 v2, v14, v2, vcc_lo :: v_dual_add_nc_u32 v4, 21, v13
	v_add_nc_u32_e32 v15, 20, v13
	s_delay_alu instid0(VALU_DEP_2) | instskip(NEXT) | instid1(VALU_DEP_2)
	v_lshlrev_b64_e64 v[4:5], v4, -1
	v_lshlrev_b64_e64 v[14:15], v15, 1
	s_delay_alu instid0(VALU_DEP_2) | instskip(SKIP_1) | instid1(VALU_DEP_4)
	v_bfi_b32 v4, v4, 0, v2
	v_lshrrev_b64 v[2:3], v13, v[2:3]
	v_bfi_b32 v5, v5, 0, 0
	s_delay_alu instid0(VALU_DEP_1) | instskip(NEXT) | instid1(VALU_DEP_3)
	v_cmp_eq_u64_e64 s13, v[4:5], v[14:15]
	v_mov_b64_e32 v[4:5], v[2:3]
	s_and_saveexec_b32 s77, s13
; %bb.22507:                            ;   in Loop: Header=BB6_22365 Depth=3
	v_bfe_u32 v4, v2, 21, 1
	v_mov_b32_e32 v5, v113
	s_delay_alu instid0(VALU_DEP_1) | instskip(NEXT) | instid1(VALU_DEP_1)
	v_add_nc_u64_e32 v[4:5], v[2:3], v[4:5]
	v_add_nc_u64_e32 v[4:5], -1, v[4:5]
; %bb.22508:                            ;   in Loop: Header=BB6_22365 Depth=3
	s_or_b32 exec_lo, exec_lo, s77
	v_add_nc_u32_e32 v3, 0xffffff81, v12
	v_lshrrev_b32_e32 v5, 23, v2
	s_mov_b32 s13, exec_lo
	s_delay_alu instid0(VALU_DEP_2) | instskip(NEXT) | instid1(VALU_DEP_1)
	v_cndmask_b32_e64 v3, v3, 0xffffff82, vcc_lo
	v_add3_u32 v5, v13, v3, v5
	v_and_b32_e32 v3, 0x1fffff, v4
                                        ; implicit-def: $vgpr4
	s_delay_alu instid0(VALU_DEP_1) | instskip(SKIP_1) | instid1(VALU_DEP_2)
	v_dual_add_nc_u32 v12, 14, v5 :: v_dual_add_nc_u32 v2, v3, v2
	v_mov_b32_e32 v3, v113
	v_cmpx_ne_u32_e32 0, v12
	s_xor_b32 s13, exec_lo, s13
; %bb.22509:                            ;   in Loop: Header=BB6_22365 Depth=3
	s_delay_alu instid0(VALU_DEP_2) | instskip(SKIP_2) | instid1(VALU_DEP_2)
	v_cmp_lt_u64_e32 vcc_lo, 0xffffff, v[2:3]
	v_add_nc_u32_e32 v4, 15, v5
	v_cndmask_b32_e64 v5, 0, 1, vcc_lo
	v_cndmask_b32_e32 v4, v12, v4, vcc_lo
	s_delay_alu instid0(VALU_DEP_2)
	v_lshrrev_b64 v[2:3], v5, v[2:3]
; %bb.22510:                            ;   in Loop: Header=BB6_22365 Depth=3
	s_and_not1_saveexec_b32 s13, s13
; %bb.22511:                            ;   in Loop: Header=BB6_22365 Depth=3
	s_delay_alu instid0(VALU_DEP_1)
	v_bfe_u32 v4, v2, 23, 1
; %bb.22512:                            ;   in Loop: Header=BB6_22365 Depth=3
	s_or_b32 exec_lo, exec_lo, s13
	s_delay_alu instid0(VALU_DEP_2) | instskip(NEXT) | instid1(VALU_DEP_2)
	v_lshrrev_b64 v[2:3], 21, v[2:3]
	v_cmp_gt_i32_e32 vcc_lo, 32, v4
	v_min_i32_e32 v5, 31, v4
	v_cmp_eq_u32_e64 s13, 0, v4
	s_delay_alu instid0(VALU_DEP_2) | instskip(SKIP_1) | instid1(VALU_DEP_2)
	v_dual_cndmask_b32 v3, 0, v3, vcc_lo :: v_dual_lshlrev_b32 v5, 2, v5
	v_cndmask_b32_e32 v2, 3, v2, vcc_lo
	v_and_b32_e32 v5, 0xfc, v5
	s_delay_alu instid0(VALU_DEP_2) | instskip(NEXT) | instid1(VALU_DEP_2)
	v_cmp_eq_u64_e32 vcc_lo, 0, v[2:3]
	v_and_or_b32 v2, v2, 3, v5
	s_and_b32 s13, s13, vcc_lo
	s_delay_alu instid0(VALU_DEP_1) | instid1(SALU_CYCLE_1)
	v_cndmask_b32_e64 v2, v2, 0, s13
	s_delay_alu instid0(VALU_DEP_1)
	v_or_b32_e32 v50, v2, v1
.LBB6_22513:                            ;   in Loop: Header=BB6_22365 Depth=3
	s_or_b32 exec_lo, exec_lo, s76
                                        ; implicit-def: $vgpr1
.LBB6_22514:                            ;   in Loop: Header=BB6_22365 Depth=3
	s_and_not1_saveexec_b32 s13, s75
; %bb.22515:                            ;   in Loop: Header=BB6_22365 Depth=3
	v_or_b32_e32 v50, 0x7b, v1
; %bb.22516:                            ;   in Loop: Header=BB6_22365 Depth=3
	s_or_b32 exec_lo, exec_lo, s13
                                        ; implicit-def: $vgpr4
                                        ; implicit-def: $vgpr2_vgpr3
                                        ; implicit-def: $vgpr1
.LBB6_22517:                            ;   in Loop: Header=BB6_22365 Depth=3
	s_and_not1_saveexec_b32 s13, s74
	s_cbranch_execz .LBB6_22523
; %bb.22518:                            ;   in Loop: Header=BB6_22365 Depth=3
	s_mov_b32 s74, exec_lo
                                        ; implicit-def: $vgpr50
	v_cmpx_ne_u64_e32 0, v[2:3]
	s_xor_b32 s74, exec_lo, s74
; %bb.22519:                            ;   in Loop: Header=BB6_22365 Depth=3
	v_or_b32_e32 v50, 0x7f, v1
                                        ; implicit-def: $vgpr4
; %bb.22520:                            ;   in Loop: Header=BB6_22365 Depth=3
	s_and_not1_saveexec_b32 s74, s74
; %bb.22521:                            ;   in Loop: Header=BB6_22365 Depth=3
	v_cmp_lt_i32_e32 vcc_lo, -1, v4
	v_mov_b32_e32 v1, 0x7c
	s_delay_alu instid0(VALU_DEP_1)
	v_cndmask_b32_e32 v50, 0xfc, v1, vcc_lo
; %bb.22522:                            ;   in Loop: Header=BB6_22365 Depth=3
	s_or_b32 exec_lo, exec_lo, s74
.LBB6_22523:                            ;   in Loop: Header=BB6_22365 Depth=3
	s_delay_alu instid0(SALU_CYCLE_1) | instskip(SKIP_3) | instid1(VALU_DEP_2)
	s_or_b32 exec_lo, exec_lo, s13
	v_lshrrev_b16 v2, 8, v0
	v_mov_b32_e32 v4, 0
	s_mov_b32 s13, exec_lo
	v_cmpx_ne_u16_e32 0, v2
	s_cbranch_execz .LBB6_22533
; %bb.22524:                            ;   in Loop: Header=BB6_22365 Depth=3
	v_bfrev_b32_e32 v4, 1
	s_mov_b32 s74, exec_lo
	v_cmpx_ne_u16_e32 0x80, v2
	s_cbranch_execz .LBB6_22532
; %bb.22525:                            ;   in Loop: Header=BB6_22365 Depth=3
	v_and_b32_e32 v1, 0xffff, v2
	s_delay_alu instid0(VALU_DEP_1) | instskip(SKIP_1) | instid1(VALU_DEP_2)
	v_and_b32_e32 v4, 0x7c, v1
	v_and_b32_e32 v3, 3, v1
	v_cmp_ne_u32_e32 vcc_lo, 0x7c, v4
                                        ; implicit-def: $vgpr4
	s_and_saveexec_b32 s75, vcc_lo
	s_delay_alu instid0(SALU_CYCLE_1)
	s_xor_b32 s75, exec_lo, s75
	s_cbranch_execz .LBB6_22529
; %bb.22526:                            ;   in Loop: Header=BB6_22365 Depth=3
	v_bfe_u32 v1, v1, 2, 5
	s_mov_b32 s76, exec_lo
	s_delay_alu instid0(VALU_DEP_1)
	v_cmpx_eq_u32_e32 0, v1
	s_cbranch_execz .LBB6_22528
; %bb.22527:                            ;   in Loop: Header=BB6_22365 Depth=3
	v_clz_i32_u32_e32 v1, v3
	s_delay_alu instid0(VALU_DEP_1) | instskip(SKIP_1) | instid1(VALU_DEP_2)
	v_min_u32_e32 v1, 32, v1
	v_mov_b32_e32 v3, v113
	v_subrev_nc_u32_e32 v4, 29, v1
	v_sub_nc_u32_e32 v1, 30, v1
	s_delay_alu instid0(VALU_DEP_2) | instskip(NEXT) | instid1(VALU_DEP_1)
	v_lshlrev_b64_e32 v[2:3], v4, v[2:3]
	v_and_b32_e32 v3, 3, v2
.LBB6_22528:                            ;   in Loop: Header=BB6_22365 Depth=3
	s_or_b32 exec_lo, exec_lo, s76
	v_lshlrev_b32_e32 v0, 16, v0
	s_delay_alu instid0(VALU_DEP_1) | instskip(NEXT) | instid1(VALU_DEP_1)
	v_and_b32_e32 v0, 0x80000000, v0
	v_lshl_add_u32 v0, v1, 23, v0
	s_delay_alu instid0(VALU_DEP_1) | instskip(NEXT) | instid1(VALU_DEP_1)
	v_lshl_or_b32 v0, v3, 21, v0
                                        ; implicit-def: $vgpr3
	v_add_nc_u32_e32 v4, 0x38000000, v0
                                        ; implicit-def: $vgpr0_vgpr1
.LBB6_22529:                            ;   in Loop: Header=BB6_22365 Depth=3
	s_and_not1_saveexec_b32 s75, s75
; %bb.22530:                            ;   in Loop: Header=BB6_22365 Depth=3
	v_cmp_lt_i16_e32 vcc_lo, -1, v0
	v_mov_b32_e32 v0, 0x7f800000
	s_delay_alu instid0(VALU_DEP_1) | instskip(SKIP_1) | instid1(VALU_DEP_2)
	v_cndmask_b32_e32 v0, 0xff800000, v0, vcc_lo
	v_cmp_eq_u32_e32 vcc_lo, 0, v3
	v_cndmask_b32_e32 v4, 0x7f800001, v0, vcc_lo
; %bb.22531:                            ;   in Loop: Header=BB6_22365 Depth=3
	s_or_b32 exec_lo, exec_lo, s75
.LBB6_22532:                            ;   in Loop: Header=BB6_22365 Depth=3
	s_delay_alu instid0(SALU_CYCLE_1)
	s_or_b32 exec_lo, exec_lo, s74
.LBB6_22533:                            ;   in Loop: Header=BB6_22365 Depth=3
	s_delay_alu instid0(SALU_CYCLE_1) | instskip(NEXT) | instid1(VALU_DEP_1)
	s_or_b32 exec_lo, exec_lo, s13
	v_dual_mul_f32 v2, s73, v4 :: v_dual_mov_b32 v5, v113
	v_mov_b32_e32 v1, v113
                                        ; implicit-def: $vgpr55
	s_mov_b32 s13, exec_lo
	s_delay_alu instid0(VALU_DEP_2) | instskip(SKIP_2) | instid1(VALU_DEP_3)
	v_and_b32_e32 v4, 0x7f800000, v2
	v_and_b32_e32 v0, 0x7fffff, v2
	v_lshrrev_b32_e32 v3, 24, v2
	v_cmpx_ne_u64_e32 0x7f800000, v[4:5]
	s_xor_b32 s74, exec_lo, s13
	s_cbranch_execz .LBB6_22547
; %bb.22534:                            ;   in Loop: Header=BB6_22365 Depth=3
	v_and_b32_e32 v4, 0x7fffffff, v2
	v_mov_b32_e32 v5, v113
                                        ; implicit-def: $vgpr55
	s_delay_alu instid0(VALU_DEP_1) | instskip(SKIP_2) | instid1(SALU_CYCLE_1)
	v_cmp_gt_u64_e32 vcc_lo, 0x47600001, v[4:5]
	v_and_b32_e32 v4, 0x80, v3
	s_and_saveexec_b32 s13, vcc_lo
	s_xor_b32 s75, exec_lo, s13
	s_cbranch_execz .LBB6_22544
; %bb.22535:                            ;   in Loop: Header=BB6_22365 Depth=3
	v_mov_b32_e32 v55, 0
	s_mov_b32 s76, exec_lo
	v_cmpx_ne_u32_e32 0, v2
	s_cbranch_execz .LBB6_22543
; %bb.22536:                            ;   in Loop: Header=BB6_22365 Depth=3
	v_bfe_u32 v5, v2, 23, 8
	v_or_b32_e32 v13, 0x800000, v0
	s_delay_alu instid0(VALU_DEP_2) | instskip(SKIP_1) | instid1(VALU_DEP_2)
	v_sub_nc_u32_e32 v2, 0x71, v5
	v_cmp_gt_u32_e32 vcc_lo, 0x72, v5
	v_cndmask_b32_e32 v2, 0, v2, vcc_lo
	v_cmp_eq_u32_e32 vcc_lo, 0, v5
	s_delay_alu instid0(VALU_DEP_2) | instskip(SKIP_1) | instid1(VALU_DEP_2)
	v_cndmask_b32_e64 v12, v2, 0x70, vcc_lo
	v_cndmask_b32_e32 v0, v13, v0, vcc_lo
	v_dual_add_nc_u32 v2, 21, v12 :: v_dual_add_nc_u32 v14, 20, v12
	s_delay_alu instid0(VALU_DEP_1) | instskip(NEXT) | instid1(VALU_DEP_2)
	v_lshlrev_b64_e64 v[2:3], v2, -1
	v_lshlrev_b64_e64 v[14:15], v14, 1
	s_delay_alu instid0(VALU_DEP_2) | instskip(SKIP_1) | instid1(VALU_DEP_4)
	v_bfi_b32 v2, v2, 0, v0
	v_lshrrev_b64 v[0:1], v12, v[0:1]
	v_bfi_b32 v3, v3, 0, 0
	s_delay_alu instid0(VALU_DEP_1) | instskip(NEXT) | instid1(VALU_DEP_3)
	v_cmp_eq_u64_e64 s13, v[2:3], v[14:15]
	v_mov_b64_e32 v[2:3], v[0:1]
	s_and_saveexec_b32 s77, s13
; %bb.22537:                            ;   in Loop: Header=BB6_22365 Depth=3
	v_bfe_u32 v2, v0, 21, 1
	v_mov_b32_e32 v3, v113
	s_delay_alu instid0(VALU_DEP_1) | instskip(NEXT) | instid1(VALU_DEP_1)
	v_add_nc_u64_e32 v[2:3], v[0:1], v[2:3]
	v_add_nc_u64_e32 v[2:3], -1, v[2:3]
; %bb.22538:                            ;   in Loop: Header=BB6_22365 Depth=3
	s_or_b32 exec_lo, exec_lo, s77
	v_add_nc_u32_e32 v1, 0xffffff81, v5
	v_lshrrev_b32_e32 v3, 23, v0
	s_mov_b32 s13, exec_lo
	s_delay_alu instid0(VALU_DEP_2) | instskip(NEXT) | instid1(VALU_DEP_1)
	v_cndmask_b32_e64 v1, v1, 0xffffff82, vcc_lo
	v_add3_u32 v3, v12, v1, v3
	v_and_b32_e32 v1, 0x1fffff, v2
                                        ; implicit-def: $vgpr2
	s_delay_alu instid0(VALU_DEP_1) | instskip(SKIP_1) | instid1(VALU_DEP_2)
	v_dual_add_nc_u32 v5, 14, v3 :: v_dual_add_nc_u32 v0, v1, v0
	v_mov_b32_e32 v1, v113
	v_cmpx_ne_u32_e32 0, v5
	s_xor_b32 s13, exec_lo, s13
; %bb.22539:                            ;   in Loop: Header=BB6_22365 Depth=3
	s_delay_alu instid0(VALU_DEP_2) | instskip(SKIP_2) | instid1(VALU_DEP_2)
	v_cmp_lt_u64_e32 vcc_lo, 0xffffff, v[0:1]
	v_add_nc_u32_e32 v2, 15, v3
	v_cndmask_b32_e64 v3, 0, 1, vcc_lo
	v_cndmask_b32_e32 v2, v5, v2, vcc_lo
	s_delay_alu instid0(VALU_DEP_2)
	v_lshrrev_b64 v[0:1], v3, v[0:1]
; %bb.22540:                            ;   in Loop: Header=BB6_22365 Depth=3
	s_and_not1_saveexec_b32 s13, s13
; %bb.22541:                            ;   in Loop: Header=BB6_22365 Depth=3
	s_delay_alu instid0(VALU_DEP_1)
	v_bfe_u32 v2, v0, 23, 1
; %bb.22542:                            ;   in Loop: Header=BB6_22365 Depth=3
	s_or_b32 exec_lo, exec_lo, s13
	s_delay_alu instid0(VALU_DEP_2) | instskip(NEXT) | instid1(VALU_DEP_2)
	v_lshrrev_b64 v[0:1], 21, v[0:1]
	v_cmp_gt_i32_e32 vcc_lo, 32, v2
	v_min_i32_e32 v3, 31, v2
	v_cmp_eq_u32_e64 s13, 0, v2
	s_delay_alu instid0(VALU_DEP_2) | instskip(SKIP_1) | instid1(VALU_DEP_2)
	v_dual_cndmask_b32 v1, 0, v1, vcc_lo :: v_dual_lshlrev_b32 v3, 2, v3
	v_cndmask_b32_e32 v0, 3, v0, vcc_lo
	v_and_b32_e32 v3, 0xfc, v3
	s_delay_alu instid0(VALU_DEP_2) | instskip(NEXT) | instid1(VALU_DEP_2)
	v_cmp_eq_u64_e32 vcc_lo, 0, v[0:1]
	v_and_or_b32 v0, v0, 3, v3
	s_and_b32 s13, s13, vcc_lo
	s_delay_alu instid0(VALU_DEP_1) | instid1(SALU_CYCLE_1)
	v_cndmask_b32_e64 v0, v0, 0, s13
	s_delay_alu instid0(VALU_DEP_1)
	v_or_b32_e32 v55, v0, v4
.LBB6_22543:                            ;   in Loop: Header=BB6_22365 Depth=3
	s_or_b32 exec_lo, exec_lo, s76
                                        ; implicit-def: $vgpr4
.LBB6_22544:                            ;   in Loop: Header=BB6_22365 Depth=3
	s_and_not1_saveexec_b32 s13, s75
; %bb.22545:                            ;   in Loop: Header=BB6_22365 Depth=3
	v_or_b32_e32 v55, 0x7b, v4
; %bb.22546:                            ;   in Loop: Header=BB6_22365 Depth=3
	s_or_b32 exec_lo, exec_lo, s13
                                        ; implicit-def: $vgpr2
                                        ; implicit-def: $vgpr0_vgpr1
                                        ; implicit-def: $vgpr3
.LBB6_22547:                            ;   in Loop: Header=BB6_22365 Depth=3
	s_and_not1_saveexec_b32 s13, s74
	s_cbranch_execz .LBB6_22553
; %bb.22548:                            ;   in Loop: Header=BB6_22365 Depth=3
	s_mov_b32 s74, exec_lo
                                        ; implicit-def: $vgpr55
	v_cmpx_ne_u64_e32 0, v[0:1]
	s_xor_b32 s74, exec_lo, s74
; %bb.22549:                            ;   in Loop: Header=BB6_22365 Depth=3
	v_or_b32_e32 v55, 0x7f, v3
                                        ; implicit-def: $vgpr2
; %bb.22550:                            ;   in Loop: Header=BB6_22365 Depth=3
	s_and_not1_saveexec_b32 s74, s74
; %bb.22551:                            ;   in Loop: Header=BB6_22365 Depth=3
	v_cmp_lt_i32_e32 vcc_lo, -1, v2
	v_mov_b32_e32 v0, 0x7c
	s_delay_alu instid0(VALU_DEP_1)
	v_cndmask_b32_e32 v55, 0xfc, v0, vcc_lo
; %bb.22552:                            ;   in Loop: Header=BB6_22365 Depth=3
	s_or_b32 exec_lo, exec_lo, s74
.LBB6_22553:                            ;   in Loop: Header=BB6_22365 Depth=3
	s_delay_alu instid0(SALU_CYCLE_1) | instskip(SKIP_2) | instid1(VALU_DEP_1)
	s_or_b32 exec_lo, exec_lo, s13
	v_dual_mov_b32 v1, 0 :: v_dual_lshrrev_b32 v0, 16, v9
	s_mov_b32 s13, exec_lo
	v_and_b32_e32 v2, 0xff, v0
	s_delay_alu instid0(VALU_DEP_1)
	v_cmpx_ne_u16_e32 0, v2
	s_cbranch_execz .LBB6_22563
; %bb.22554:                            ;   in Loop: Header=BB6_22365 Depth=3
	v_bfrev_b32_e32 v1, 1
	s_mov_b32 s74, exec_lo
	v_cmpx_ne_u16_e32 0x80, v2
	s_cbranch_execz .LBB6_22562
; %bb.22555:                            ;   in Loop: Header=BB6_22365 Depth=3
	v_and_b32_e32 v1, 0x7c0000, v9
	v_bfe_u32 v2, v9, 16, 2
	s_delay_alu instid0(VALU_DEP_2) | instskip(SKIP_1) | instid1(SALU_CYCLE_1)
	v_cmp_ne_u32_e32 vcc_lo, 0x7c0000, v1
                                        ; implicit-def: $vgpr1
	s_and_saveexec_b32 s75, vcc_lo
	s_xor_b32 s75, exec_lo, s75
	s_cbranch_execz .LBB6_22559
; %bb.22556:                            ;   in Loop: Header=BB6_22365 Depth=3
	v_bfe_u32 v1, v9, 18, 5
	s_mov_b32 s76, exec_lo
	s_delay_alu instid0(VALU_DEP_1)
	v_cmpx_eq_u32_e32 0, v1
; %bb.22557:                            ;   in Loop: Header=BB6_22365 Depth=3
	v_clz_i32_u32_e32 v1, v2
	s_delay_alu instid0(VALU_DEP_1) | instskip(NEXT) | instid1(VALU_DEP_1)
	v_min_u32_e32 v1, 32, v1
	v_subrev_nc_u32_e32 v2, 29, v1
	s_delay_alu instid0(VALU_DEP_1) | instskip(NEXT) | instid1(VALU_DEP_1)
	v_lshlrev_b64_e32 v[2:3], v2, v[0:1]
	v_dual_sub_nc_u32 v1, 30, v1 :: v_dual_bitop2_b32 v2, 3, v2 bitop3:0x40
; %bb.22558:                            ;   in Loop: Header=BB6_22365 Depth=3
	s_or_b32 exec_lo, exec_lo, s76
	v_lshlrev_b32_e32 v0, 24, v0
	s_delay_alu instid0(VALU_DEP_1) | instskip(NEXT) | instid1(VALU_DEP_1)
	v_and_b32_e32 v0, 0x80000000, v0
	v_lshl_add_u32 v0, v1, 23, v0
	s_delay_alu instid0(VALU_DEP_1) | instskip(NEXT) | instid1(VALU_DEP_1)
	v_lshl_or_b32 v0, v2, 21, v0
                                        ; implicit-def: $vgpr2
	v_add_nc_u32_e32 v1, 0x38000000, v0
                                        ; implicit-def: $vgpr0
.LBB6_22559:                            ;   in Loop: Header=BB6_22365 Depth=3
	s_and_not1_saveexec_b32 s75, s75
; %bb.22560:                            ;   in Loop: Header=BB6_22365 Depth=3
	v_bfe_i32 v0, v0, 0, 8
	s_delay_alu instid0(VALU_DEP_1) | instskip(SKIP_1) | instid1(VALU_DEP_1)
	v_cmp_lt_i16_e32 vcc_lo, -1, v0
	v_mov_b32_e32 v0, 0x7f800000
	v_cndmask_b32_e32 v0, 0xff800000, v0, vcc_lo
	v_cmp_eq_u32_e32 vcc_lo, 0, v2
	s_delay_alu instid0(VALU_DEP_2)
	v_cndmask_b32_e32 v1, 0x7f800001, v0, vcc_lo
; %bb.22561:                            ;   in Loop: Header=BB6_22365 Depth=3
	s_or_b32 exec_lo, exec_lo, s75
.LBB6_22562:                            ;   in Loop: Header=BB6_22365 Depth=3
	s_delay_alu instid0(SALU_CYCLE_1)
	s_or_b32 exec_lo, exec_lo, s74
.LBB6_22563:                            ;   in Loop: Header=BB6_22365 Depth=3
	s_delay_alu instid0(SALU_CYCLE_1) | instskip(NEXT) | instid1(VALU_DEP_1)
	s_or_b32 exec_lo, exec_lo, s13
	v_dual_mul_f32 v2, s73, v1 :: v_dual_mov_b32 v5, v113
	v_mov_b32_e32 v1, v113
                                        ; implicit-def: $vgpr68
	s_mov_b32 s13, exec_lo
	s_delay_alu instid0(VALU_DEP_2) | instskip(SKIP_2) | instid1(VALU_DEP_3)
	v_and_b32_e32 v4, 0x7f800000, v2
	v_and_b32_e32 v0, 0x7fffff, v2
	v_lshrrev_b32_e32 v3, 24, v2
	v_cmpx_ne_u64_e32 0x7f800000, v[4:5]
	s_xor_b32 s74, exec_lo, s13
	s_cbranch_execz .LBB6_22577
; %bb.22564:                            ;   in Loop: Header=BB6_22365 Depth=3
	v_and_b32_e32 v4, 0x7fffffff, v2
	v_mov_b32_e32 v5, v113
                                        ; implicit-def: $vgpr68
	s_delay_alu instid0(VALU_DEP_1) | instskip(SKIP_2) | instid1(SALU_CYCLE_1)
	v_cmp_gt_u64_e32 vcc_lo, 0x47600001, v[4:5]
	v_and_b32_e32 v4, 0x80, v3
	s_and_saveexec_b32 s13, vcc_lo
	s_xor_b32 s75, exec_lo, s13
	s_cbranch_execz .LBB6_22574
; %bb.22565:                            ;   in Loop: Header=BB6_22365 Depth=3
	v_mov_b32_e32 v68, 0
	s_mov_b32 s76, exec_lo
	v_cmpx_ne_u32_e32 0, v2
	s_cbranch_execz .LBB6_22573
; %bb.22566:                            ;   in Loop: Header=BB6_22365 Depth=3
	v_bfe_u32 v5, v2, 23, 8
	v_or_b32_e32 v13, 0x800000, v0
	s_delay_alu instid0(VALU_DEP_2) | instskip(SKIP_1) | instid1(VALU_DEP_2)
	v_sub_nc_u32_e32 v2, 0x71, v5
	v_cmp_gt_u32_e32 vcc_lo, 0x72, v5
	v_cndmask_b32_e32 v2, 0, v2, vcc_lo
	v_cmp_eq_u32_e32 vcc_lo, 0, v5
	s_delay_alu instid0(VALU_DEP_2) | instskip(SKIP_1) | instid1(VALU_DEP_2)
	v_cndmask_b32_e64 v12, v2, 0x70, vcc_lo
	v_cndmask_b32_e32 v0, v13, v0, vcc_lo
	v_dual_add_nc_u32 v2, 21, v12 :: v_dual_add_nc_u32 v14, 20, v12
	s_delay_alu instid0(VALU_DEP_1) | instskip(NEXT) | instid1(VALU_DEP_2)
	v_lshlrev_b64_e64 v[2:3], v2, -1
	v_lshlrev_b64_e64 v[14:15], v14, 1
	s_delay_alu instid0(VALU_DEP_2) | instskip(SKIP_1) | instid1(VALU_DEP_4)
	v_bfi_b32 v2, v2, 0, v0
	v_lshrrev_b64 v[0:1], v12, v[0:1]
	v_bfi_b32 v3, v3, 0, 0
	s_delay_alu instid0(VALU_DEP_1) | instskip(NEXT) | instid1(VALU_DEP_3)
	v_cmp_eq_u64_e64 s13, v[2:3], v[14:15]
	v_mov_b64_e32 v[2:3], v[0:1]
	s_and_saveexec_b32 s77, s13
; %bb.22567:                            ;   in Loop: Header=BB6_22365 Depth=3
	v_bfe_u32 v2, v0, 21, 1
	v_mov_b32_e32 v3, v113
	s_delay_alu instid0(VALU_DEP_1) | instskip(NEXT) | instid1(VALU_DEP_1)
	v_add_nc_u64_e32 v[2:3], v[0:1], v[2:3]
	v_add_nc_u64_e32 v[2:3], -1, v[2:3]
; %bb.22568:                            ;   in Loop: Header=BB6_22365 Depth=3
	s_or_b32 exec_lo, exec_lo, s77
	v_add_nc_u32_e32 v1, 0xffffff81, v5
	v_lshrrev_b32_e32 v3, 23, v0
	s_mov_b32 s13, exec_lo
	s_delay_alu instid0(VALU_DEP_2) | instskip(NEXT) | instid1(VALU_DEP_1)
	v_cndmask_b32_e64 v1, v1, 0xffffff82, vcc_lo
	v_add3_u32 v3, v12, v1, v3
	v_and_b32_e32 v1, 0x1fffff, v2
                                        ; implicit-def: $vgpr2
	s_delay_alu instid0(VALU_DEP_1) | instskip(SKIP_1) | instid1(VALU_DEP_2)
	v_dual_add_nc_u32 v5, 14, v3 :: v_dual_add_nc_u32 v0, v1, v0
	v_mov_b32_e32 v1, v113
	v_cmpx_ne_u32_e32 0, v5
	s_xor_b32 s13, exec_lo, s13
; %bb.22569:                            ;   in Loop: Header=BB6_22365 Depth=3
	s_delay_alu instid0(VALU_DEP_2) | instskip(SKIP_2) | instid1(VALU_DEP_2)
	v_cmp_lt_u64_e32 vcc_lo, 0xffffff, v[0:1]
	v_add_nc_u32_e32 v2, 15, v3
	v_cndmask_b32_e64 v3, 0, 1, vcc_lo
	v_cndmask_b32_e32 v2, v5, v2, vcc_lo
	s_delay_alu instid0(VALU_DEP_2)
	v_lshrrev_b64 v[0:1], v3, v[0:1]
; %bb.22570:                            ;   in Loop: Header=BB6_22365 Depth=3
	s_and_not1_saveexec_b32 s13, s13
; %bb.22571:                            ;   in Loop: Header=BB6_22365 Depth=3
	s_delay_alu instid0(VALU_DEP_1)
	v_bfe_u32 v2, v0, 23, 1
; %bb.22572:                            ;   in Loop: Header=BB6_22365 Depth=3
	s_or_b32 exec_lo, exec_lo, s13
	s_delay_alu instid0(VALU_DEP_2) | instskip(NEXT) | instid1(VALU_DEP_2)
	v_lshrrev_b64 v[0:1], 21, v[0:1]
	v_cmp_gt_i32_e32 vcc_lo, 32, v2
	v_min_i32_e32 v3, 31, v2
	v_cmp_eq_u32_e64 s13, 0, v2
	s_delay_alu instid0(VALU_DEP_2) | instskip(SKIP_1) | instid1(VALU_DEP_2)
	v_dual_cndmask_b32 v1, 0, v1, vcc_lo :: v_dual_lshlrev_b32 v3, 2, v3
	v_cndmask_b32_e32 v0, 3, v0, vcc_lo
	v_and_b32_e32 v3, 0xfc, v3
	s_delay_alu instid0(VALU_DEP_2) | instskip(NEXT) | instid1(VALU_DEP_2)
	v_cmp_eq_u64_e32 vcc_lo, 0, v[0:1]
	v_and_or_b32 v0, v0, 3, v3
	s_and_b32 s13, s13, vcc_lo
	s_delay_alu instid0(VALU_DEP_1) | instid1(SALU_CYCLE_1)
	v_cndmask_b32_e64 v0, v0, 0, s13
	s_delay_alu instid0(VALU_DEP_1)
	v_or_b32_e32 v68, v0, v4
.LBB6_22573:                            ;   in Loop: Header=BB6_22365 Depth=3
	s_or_b32 exec_lo, exec_lo, s76
                                        ; implicit-def: $vgpr4
.LBB6_22574:                            ;   in Loop: Header=BB6_22365 Depth=3
	s_and_not1_saveexec_b32 s13, s75
; %bb.22575:                            ;   in Loop: Header=BB6_22365 Depth=3
	v_or_b32_e32 v68, 0x7b, v4
; %bb.22576:                            ;   in Loop: Header=BB6_22365 Depth=3
	s_or_b32 exec_lo, exec_lo, s13
                                        ; implicit-def: $vgpr2
                                        ; implicit-def: $vgpr0_vgpr1
                                        ; implicit-def: $vgpr3
.LBB6_22577:                            ;   in Loop: Header=BB6_22365 Depth=3
	s_and_not1_saveexec_b32 s13, s74
	s_cbranch_execz .LBB6_22583
; %bb.22578:                            ;   in Loop: Header=BB6_22365 Depth=3
	s_mov_b32 s74, exec_lo
                                        ; implicit-def: $vgpr68
	v_cmpx_ne_u64_e32 0, v[0:1]
	s_xor_b32 s74, exec_lo, s74
; %bb.22579:                            ;   in Loop: Header=BB6_22365 Depth=3
	v_or_b32_e32 v68, 0x7f, v3
                                        ; implicit-def: $vgpr2
; %bb.22580:                            ;   in Loop: Header=BB6_22365 Depth=3
	s_and_not1_saveexec_b32 s74, s74
; %bb.22581:                            ;   in Loop: Header=BB6_22365 Depth=3
	v_cmp_lt_i32_e32 vcc_lo, -1, v2
	v_mov_b32_e32 v0, 0x7c
	s_delay_alu instid0(VALU_DEP_1)
	v_cndmask_b32_e32 v68, 0xfc, v0, vcc_lo
; %bb.22582:                            ;   in Loop: Header=BB6_22365 Depth=3
	s_or_b32 exec_lo, exec_lo, s74
.LBB6_22583:                            ;   in Loop: Header=BB6_22365 Depth=3
	s_delay_alu instid0(SALU_CYCLE_1)
	s_or_b32 exec_lo, exec_lo, s13
	v_mov_b32_e32 v1, 0
	s_mov_b32 s13, exec_lo
	v_cmpx_lt_u64_e64 s[22:23], v[8:9]
	s_cbranch_execz .LBB6_22593
; %bb.22584:                            ;   in Loop: Header=BB6_22365 Depth=3
	v_lshrrev_b32_e32 v0, 24, v9
	v_bfrev_b32_e32 v1, 1
	s_mov_b32 s74, exec_lo
	s_delay_alu instid0(VALU_DEP_2)
	v_cmpx_ne_u32_e32 0x80, v0
	s_cbranch_execz .LBB6_22592
; %bb.22585:                            ;   in Loop: Header=BB6_22365 Depth=3
	v_and_b32_e32 v1, 0x7c000000, v9
	v_bfe_u32 v2, v9, 24, 2
	s_delay_alu instid0(VALU_DEP_2) | instskip(SKIP_1) | instid1(SALU_CYCLE_1)
	v_cmp_ne_u32_e32 vcc_lo, 0x7c000000, v1
                                        ; implicit-def: $vgpr1
	s_and_saveexec_b32 s75, vcc_lo
	s_xor_b32 s75, exec_lo, s75
	s_cbranch_execz .LBB6_22589
; %bb.22586:                            ;   in Loop: Header=BB6_22365 Depth=3
	v_bfe_u32 v1, v9, 26, 5
	s_mov_b32 s76, exec_lo
	s_delay_alu instid0(VALU_DEP_1)
	v_cmpx_eq_u32_e32 0, v1
; %bb.22587:                            ;   in Loop: Header=BB6_22365 Depth=3
	v_clz_i32_u32_e32 v1, v2
	s_delay_alu instid0(VALU_DEP_1) | instskip(NEXT) | instid1(VALU_DEP_1)
	v_min_u32_e32 v2, 32, v1
	v_subrev_nc_u32_e32 v1, 29, v2
	s_delay_alu instid0(VALU_DEP_1) | instskip(NEXT) | instid1(VALU_DEP_1)
	v_lshlrev_b64_e32 v[0:1], v1, v[0:1]
	v_dual_sub_nc_u32 v1, 30, v2 :: v_dual_bitop2_b32 v2, 3, v0 bitop3:0x40
; %bb.22588:                            ;   in Loop: Header=BB6_22365 Depth=3
	s_or_b32 exec_lo, exec_lo, s76
	v_and_b32_e32 v0, 0x80000000, v9
	s_delay_alu instid0(VALU_DEP_1) | instskip(NEXT) | instid1(VALU_DEP_1)
	v_lshl_add_u32 v0, v1, 23, v0
	v_lshl_or_b32 v0, v2, 21, v0
                                        ; implicit-def: $vgpr2
	s_delay_alu instid0(VALU_DEP_1)
	v_add_nc_u32_e32 v1, 0x38000000, v0
.LBB6_22589:                            ;   in Loop: Header=BB6_22365 Depth=3
	s_and_not1_saveexec_b32 s75, s75
; %bb.22590:                            ;   in Loop: Header=BB6_22365 Depth=3
	v_cmp_lt_i64_e32 vcc_lo, -1, v[8:9]
	v_mov_b32_e32 v0, 0x7f800000
	s_delay_alu instid0(VALU_DEP_1) | instskip(SKIP_1) | instid1(VALU_DEP_2)
	v_cndmask_b32_e32 v0, 0xff800000, v0, vcc_lo
	v_cmp_eq_u32_e32 vcc_lo, 0, v2
	v_cndmask_b32_e32 v1, 0x7f800001, v0, vcc_lo
; %bb.22591:                            ;   in Loop: Header=BB6_22365 Depth=3
	s_or_b32 exec_lo, exec_lo, s75
.LBB6_22592:                            ;   in Loop: Header=BB6_22365 Depth=3
	s_delay_alu instid0(SALU_CYCLE_1)
	s_or_b32 exec_lo, exec_lo, s74
.LBB6_22593:                            ;   in Loop: Header=BB6_22365 Depth=3
	s_delay_alu instid0(SALU_CYCLE_1) | instskip(NEXT) | instid1(VALU_DEP_1)
	s_or_b32 exec_lo, exec_lo, s13
	v_dual_mul_f32 v2, s73, v1 :: v_dual_mov_b32 v5, v113
	v_mov_b32_e32 v1, v113
                                        ; implicit-def: $vgpr56
	s_mov_b32 s13, exec_lo
	s_delay_alu instid0(VALU_DEP_2) | instskip(SKIP_2) | instid1(VALU_DEP_3)
	v_and_b32_e32 v4, 0x7f800000, v2
	v_and_b32_e32 v0, 0x7fffff, v2
	v_lshrrev_b32_e32 v3, 24, v2
	v_cmpx_ne_u64_e32 0x7f800000, v[4:5]
	s_xor_b32 s74, exec_lo, s13
	s_cbranch_execz .LBB6_22607
; %bb.22594:                            ;   in Loop: Header=BB6_22365 Depth=3
	v_and_b32_e32 v4, 0x7fffffff, v2
	v_mov_b32_e32 v5, v113
                                        ; implicit-def: $vgpr56
	s_delay_alu instid0(VALU_DEP_1) | instskip(SKIP_2) | instid1(SALU_CYCLE_1)
	v_cmp_gt_u64_e32 vcc_lo, 0x47600001, v[4:5]
	v_and_b32_e32 v4, 0x80, v3
	s_and_saveexec_b32 s13, vcc_lo
	s_xor_b32 s75, exec_lo, s13
	s_cbranch_execz .LBB6_22604
; %bb.22595:                            ;   in Loop: Header=BB6_22365 Depth=3
	v_mov_b32_e32 v56, 0
	s_mov_b32 s76, exec_lo
	v_cmpx_ne_u32_e32 0, v2
	s_cbranch_execz .LBB6_22603
; %bb.22596:                            ;   in Loop: Header=BB6_22365 Depth=3
	v_bfe_u32 v5, v2, 23, 8
	v_or_b32_e32 v9, 0x800000, v0
	s_delay_alu instid0(VALU_DEP_2) | instskip(SKIP_1) | instid1(VALU_DEP_2)
	v_sub_nc_u32_e32 v2, 0x71, v5
	v_cmp_gt_u32_e32 vcc_lo, 0x72, v5
	v_cndmask_b32_e32 v2, 0, v2, vcc_lo
	v_cmp_eq_u32_e32 vcc_lo, 0, v5
	s_delay_alu instid0(VALU_DEP_2) | instskip(SKIP_1) | instid1(VALU_DEP_2)
	v_cndmask_b32_e64 v8, v2, 0x70, vcc_lo
	v_cndmask_b32_e32 v0, v9, v0, vcc_lo
	v_dual_add_nc_u32 v2, 21, v8 :: v_dual_add_nc_u32 v12, 20, v8
	s_delay_alu instid0(VALU_DEP_1) | instskip(NEXT) | instid1(VALU_DEP_2)
	v_lshlrev_b64_e64 v[2:3], v2, -1
	v_lshlrev_b64_e64 v[12:13], v12, 1
	s_delay_alu instid0(VALU_DEP_2) | instskip(SKIP_1) | instid1(VALU_DEP_4)
	v_bfi_b32 v2, v2, 0, v0
	v_lshrrev_b64 v[0:1], v8, v[0:1]
	v_bfi_b32 v3, v3, 0, 0
	s_delay_alu instid0(VALU_DEP_1) | instskip(NEXT) | instid1(VALU_DEP_3)
	v_cmp_eq_u64_e64 s13, v[2:3], v[12:13]
	v_mov_b64_e32 v[2:3], v[0:1]
	s_and_saveexec_b32 s77, s13
; %bb.22597:                            ;   in Loop: Header=BB6_22365 Depth=3
	v_bfe_u32 v2, v0, 21, 1
	v_mov_b32_e32 v3, v113
	s_delay_alu instid0(VALU_DEP_1) | instskip(NEXT) | instid1(VALU_DEP_1)
	v_add_nc_u64_e32 v[2:3], v[0:1], v[2:3]
	v_add_nc_u64_e32 v[2:3], -1, v[2:3]
; %bb.22598:                            ;   in Loop: Header=BB6_22365 Depth=3
	s_or_b32 exec_lo, exec_lo, s77
	v_add_nc_u32_e32 v1, 0xffffff81, v5
	v_lshrrev_b32_e32 v3, 23, v0
	s_mov_b32 s13, exec_lo
	s_delay_alu instid0(VALU_DEP_2) | instskip(NEXT) | instid1(VALU_DEP_1)
	v_cndmask_b32_e64 v1, v1, 0xffffff82, vcc_lo
	v_add3_u32 v3, v8, v1, v3
	v_and_b32_e32 v1, 0x1fffff, v2
                                        ; implicit-def: $vgpr2
	s_delay_alu instid0(VALU_DEP_1) | instskip(SKIP_1) | instid1(VALU_DEP_2)
	v_dual_add_nc_u32 v5, 14, v3 :: v_dual_add_nc_u32 v0, v1, v0
	v_mov_b32_e32 v1, v113
	v_cmpx_ne_u32_e32 0, v5
	s_xor_b32 s13, exec_lo, s13
; %bb.22599:                            ;   in Loop: Header=BB6_22365 Depth=3
	s_delay_alu instid0(VALU_DEP_2) | instskip(SKIP_2) | instid1(VALU_DEP_2)
	v_cmp_lt_u64_e32 vcc_lo, 0xffffff, v[0:1]
	v_add_nc_u32_e32 v2, 15, v3
	v_cndmask_b32_e64 v3, 0, 1, vcc_lo
	v_cndmask_b32_e32 v2, v5, v2, vcc_lo
	s_delay_alu instid0(VALU_DEP_2)
	v_lshrrev_b64 v[0:1], v3, v[0:1]
; %bb.22600:                            ;   in Loop: Header=BB6_22365 Depth=3
	s_and_not1_saveexec_b32 s13, s13
; %bb.22601:                            ;   in Loop: Header=BB6_22365 Depth=3
	s_delay_alu instid0(VALU_DEP_1)
	v_bfe_u32 v2, v0, 23, 1
; %bb.22602:                            ;   in Loop: Header=BB6_22365 Depth=3
	s_or_b32 exec_lo, exec_lo, s13
	s_delay_alu instid0(VALU_DEP_2) | instskip(NEXT) | instid1(VALU_DEP_2)
	v_lshrrev_b64 v[0:1], 21, v[0:1]
	v_cmp_gt_i32_e32 vcc_lo, 32, v2
	v_min_i32_e32 v3, 31, v2
	v_cmp_eq_u32_e64 s13, 0, v2
	s_delay_alu instid0(VALU_DEP_2) | instskip(SKIP_1) | instid1(VALU_DEP_2)
	v_dual_cndmask_b32 v1, 0, v1, vcc_lo :: v_dual_lshlrev_b32 v3, 2, v3
	v_cndmask_b32_e32 v0, 3, v0, vcc_lo
	v_and_b32_e32 v3, 0xfc, v3
	s_delay_alu instid0(VALU_DEP_2) | instskip(NEXT) | instid1(VALU_DEP_2)
	v_cmp_eq_u64_e32 vcc_lo, 0, v[0:1]
	v_and_or_b32 v0, v0, 3, v3
	s_and_b32 s13, s13, vcc_lo
	s_delay_alu instid0(VALU_DEP_1) | instid1(SALU_CYCLE_1)
	v_cndmask_b32_e64 v0, v0, 0, s13
	s_delay_alu instid0(VALU_DEP_1)
	v_or_b32_e32 v56, v0, v4
.LBB6_22603:                            ;   in Loop: Header=BB6_22365 Depth=3
	s_or_b32 exec_lo, exec_lo, s76
                                        ; implicit-def: $vgpr4
.LBB6_22604:                            ;   in Loop: Header=BB6_22365 Depth=3
	s_and_not1_saveexec_b32 s13, s75
; %bb.22605:                            ;   in Loop: Header=BB6_22365 Depth=3
	v_or_b32_e32 v56, 0x7b, v4
; %bb.22606:                            ;   in Loop: Header=BB6_22365 Depth=3
	s_or_b32 exec_lo, exec_lo, s13
                                        ; implicit-def: $vgpr2
                                        ; implicit-def: $vgpr0_vgpr1
                                        ; implicit-def: $vgpr3
.LBB6_22607:                            ;   in Loop: Header=BB6_22365 Depth=3
	s_and_not1_saveexec_b32 s13, s74
	s_cbranch_execz .LBB6_22613
; %bb.22608:                            ;   in Loop: Header=BB6_22365 Depth=3
	s_mov_b32 s74, exec_lo
                                        ; implicit-def: $vgpr56
	v_cmpx_ne_u64_e32 0, v[0:1]
	s_xor_b32 s74, exec_lo, s74
; %bb.22609:                            ;   in Loop: Header=BB6_22365 Depth=3
	v_or_b32_e32 v56, 0x7f, v3
                                        ; implicit-def: $vgpr2
; %bb.22610:                            ;   in Loop: Header=BB6_22365 Depth=3
	s_and_not1_saveexec_b32 s74, s74
; %bb.22611:                            ;   in Loop: Header=BB6_22365 Depth=3
	v_cmp_lt_i32_e32 vcc_lo, -1, v2
	v_mov_b32_e32 v0, 0x7c
	s_delay_alu instid0(VALU_DEP_1)
	v_cndmask_b32_e32 v56, 0xfc, v0, vcc_lo
; %bb.22612:                            ;   in Loop: Header=BB6_22365 Depth=3
	s_or_b32 exec_lo, exec_lo, s74
.LBB6_22613:                            ;   in Loop: Header=BB6_22365 Depth=3
	s_delay_alu instid0(SALU_CYCLE_1) | instskip(SKIP_1) | instid1(VALU_DEP_1)
	s_or_b32 exec_lo, exec_lo, s13
	v_and_b32_e32 v0, 0xff, v10
	v_cmp_ne_u16_e32 vcc_lo, 0, v0
	v_mov_b32_e32 v0, 0
	s_and_saveexec_b32 s13, vcc_lo
	s_cbranch_execz .LBB6_22623
; %bb.22614:                            ;   in Loop: Header=BB6_22365 Depth=3
	v_bfe_i32 v2, v10, 0, 8
	v_bfrev_b32_e32 v0, 1
	s_mov_b32 s74, exec_lo
	s_delay_alu instid0(VALU_DEP_2)
	v_cmpx_ne_u16_e32 0xff80, v2
	s_cbranch_execz .LBB6_22622
; %bb.22615:                            ;   in Loop: Header=BB6_22365 Depth=3
	v_and_b32_e32 v0, 0x7c, v10
	v_and_b32_e32 v1, 3, v10
	s_delay_alu instid0(VALU_DEP_2) | instskip(SKIP_1) | instid1(SALU_CYCLE_1)
	v_cmp_ne_u32_e32 vcc_lo, 0x7c, v0
                                        ; implicit-def: $vgpr0
	s_and_saveexec_b32 s75, vcc_lo
	s_xor_b32 s75, exec_lo, s75
	s_cbranch_execz .LBB6_22619
; %bb.22616:                            ;   in Loop: Header=BB6_22365 Depth=3
	v_bfe_u32 v0, v10, 2, 5
	s_mov_b32 s76, exec_lo
	s_delay_alu instid0(VALU_DEP_1)
	v_cmpx_eq_u32_e32 0, v0
; %bb.22617:                            ;   in Loop: Header=BB6_22365 Depth=3
	v_clz_i32_u32_e32 v0, v1
	s_delay_alu instid0(VALU_DEP_1) | instskip(NEXT) | instid1(VALU_DEP_1)
	v_min_u32_e32 v0, 32, v0
	v_subrev_nc_u32_e32 v1, 29, v0
	s_delay_alu instid0(VALU_DEP_1) | instskip(NEXT) | instid1(VALU_DEP_1)
	v_lshlrev_b64_e32 v[2:3], v1, v[10:11]
	v_dual_sub_nc_u32 v0, 30, v0 :: v_dual_bitop2_b32 v1, 3, v2 bitop3:0x40
; %bb.22618:                            ;   in Loop: Header=BB6_22365 Depth=3
	s_or_b32 exec_lo, exec_lo, s76
	v_lshlrev_b32_e32 v2, 24, v10
	s_delay_alu instid0(VALU_DEP_1) | instskip(NEXT) | instid1(VALU_DEP_1)
	v_and_b32_e32 v2, 0x80000000, v2
	v_lshl_add_u32 v0, v0, 23, v2
                                        ; implicit-def: $vgpr2
	s_delay_alu instid0(VALU_DEP_1) | instskip(NEXT) | instid1(VALU_DEP_1)
	v_lshl_or_b32 v0, v1, 21, v0
                                        ; implicit-def: $vgpr1
	v_add_nc_u32_e32 v0, 0x38000000, v0
.LBB6_22619:                            ;   in Loop: Header=BB6_22365 Depth=3
	s_and_not1_saveexec_b32 s75, s75
; %bb.22620:                            ;   in Loop: Header=BB6_22365 Depth=3
	v_cmp_lt_i16_e32 vcc_lo, -1, v2
	v_mov_b32_e32 v0, 0x7f800000
	s_delay_alu instid0(VALU_DEP_1) | instskip(SKIP_1) | instid1(VALU_DEP_2)
	v_cndmask_b32_e32 v0, 0xff800000, v0, vcc_lo
	v_cmp_eq_u32_e32 vcc_lo, 0, v1
	v_cndmask_b32_e32 v0, 0x7f800001, v0, vcc_lo
; %bb.22621:                            ;   in Loop: Header=BB6_22365 Depth=3
	s_or_b32 exec_lo, exec_lo, s75
.LBB6_22622:                            ;   in Loop: Header=BB6_22365 Depth=3
	s_delay_alu instid0(SALU_CYCLE_1)
	s_or_b32 exec_lo, exec_lo, s74
.LBB6_22623:                            ;   in Loop: Header=BB6_22365 Depth=3
	s_delay_alu instid0(SALU_CYCLE_1) | instskip(NEXT) | instid1(VALU_DEP_1)
	s_or_b32 exec_lo, exec_lo, s13
	v_dual_mul_f32 v2, s73, v0 :: v_dual_mov_b32 v5, v113
	v_mov_b32_e32 v1, v113
                                        ; implicit-def: $vgpr99
	s_mov_b32 s13, exec_lo
	s_delay_alu instid0(VALU_DEP_2) | instskip(SKIP_2) | instid1(VALU_DEP_3)
	v_and_b32_e32 v4, 0x7f800000, v2
	v_and_b32_e32 v0, 0x7fffff, v2
	v_lshrrev_b32_e32 v3, 24, v2
	v_cmpx_ne_u64_e32 0x7f800000, v[4:5]
	s_xor_b32 s74, exec_lo, s13
	s_cbranch_execz .LBB6_22637
; %bb.22624:                            ;   in Loop: Header=BB6_22365 Depth=3
	v_and_b32_e32 v4, 0x7fffffff, v2
	v_mov_b32_e32 v5, v113
                                        ; implicit-def: $vgpr99
	s_delay_alu instid0(VALU_DEP_1) | instskip(SKIP_2) | instid1(SALU_CYCLE_1)
	v_cmp_gt_u64_e32 vcc_lo, 0x47600001, v[4:5]
	v_and_b32_e32 v4, 0x80, v3
	s_and_saveexec_b32 s13, vcc_lo
	s_xor_b32 s75, exec_lo, s13
	s_cbranch_execz .LBB6_22634
; %bb.22625:                            ;   in Loop: Header=BB6_22365 Depth=3
	v_mov_b32_e32 v99, 0
	s_mov_b32 s76, exec_lo
	v_cmpx_ne_u32_e32 0, v2
	s_cbranch_execz .LBB6_22633
; %bb.22626:                            ;   in Loop: Header=BB6_22365 Depth=3
	v_bfe_u32 v5, v2, 23, 8
	v_or_b32_e32 v9, 0x800000, v0
	s_delay_alu instid0(VALU_DEP_2) | instskip(SKIP_1) | instid1(VALU_DEP_2)
	v_sub_nc_u32_e32 v2, 0x71, v5
	v_cmp_gt_u32_e32 vcc_lo, 0x72, v5
	v_cndmask_b32_e32 v2, 0, v2, vcc_lo
	v_cmp_eq_u32_e32 vcc_lo, 0, v5
	s_delay_alu instid0(VALU_DEP_2) | instskip(SKIP_1) | instid1(VALU_DEP_2)
	v_cndmask_b32_e64 v8, v2, 0x70, vcc_lo
	v_cndmask_b32_e32 v0, v9, v0, vcc_lo
	v_dual_add_nc_u32 v2, 21, v8 :: v_dual_add_nc_u32 v12, 20, v8
	s_delay_alu instid0(VALU_DEP_1) | instskip(NEXT) | instid1(VALU_DEP_2)
	v_lshlrev_b64_e64 v[2:3], v2, -1
	v_lshlrev_b64_e64 v[12:13], v12, 1
	s_delay_alu instid0(VALU_DEP_2) | instskip(SKIP_1) | instid1(VALU_DEP_4)
	v_bfi_b32 v2, v2, 0, v0
	v_lshrrev_b64 v[0:1], v8, v[0:1]
	v_bfi_b32 v3, v3, 0, 0
	s_delay_alu instid0(VALU_DEP_1) | instskip(NEXT) | instid1(VALU_DEP_3)
	v_cmp_eq_u64_e64 s13, v[2:3], v[12:13]
	v_mov_b64_e32 v[2:3], v[0:1]
	s_and_saveexec_b32 s77, s13
; %bb.22627:                            ;   in Loop: Header=BB6_22365 Depth=3
	v_bfe_u32 v2, v0, 21, 1
	v_mov_b32_e32 v3, v113
	s_delay_alu instid0(VALU_DEP_1) | instskip(NEXT) | instid1(VALU_DEP_1)
	v_add_nc_u64_e32 v[2:3], v[0:1], v[2:3]
	v_add_nc_u64_e32 v[2:3], -1, v[2:3]
; %bb.22628:                            ;   in Loop: Header=BB6_22365 Depth=3
	s_or_b32 exec_lo, exec_lo, s77
	v_add_nc_u32_e32 v1, 0xffffff81, v5
	v_lshrrev_b32_e32 v3, 23, v0
	s_mov_b32 s13, exec_lo
	s_delay_alu instid0(VALU_DEP_2) | instskip(NEXT) | instid1(VALU_DEP_1)
	v_cndmask_b32_e64 v1, v1, 0xffffff82, vcc_lo
	v_add3_u32 v3, v8, v1, v3
	v_and_b32_e32 v1, 0x1fffff, v2
                                        ; implicit-def: $vgpr2
	s_delay_alu instid0(VALU_DEP_1) | instskip(SKIP_1) | instid1(VALU_DEP_2)
	v_dual_add_nc_u32 v5, 14, v3 :: v_dual_add_nc_u32 v0, v1, v0
	v_mov_b32_e32 v1, v113
	v_cmpx_ne_u32_e32 0, v5
	s_xor_b32 s13, exec_lo, s13
; %bb.22629:                            ;   in Loop: Header=BB6_22365 Depth=3
	s_delay_alu instid0(VALU_DEP_2) | instskip(SKIP_2) | instid1(VALU_DEP_2)
	v_cmp_lt_u64_e32 vcc_lo, 0xffffff, v[0:1]
	v_add_nc_u32_e32 v2, 15, v3
	v_cndmask_b32_e64 v3, 0, 1, vcc_lo
	v_cndmask_b32_e32 v2, v5, v2, vcc_lo
	s_delay_alu instid0(VALU_DEP_2)
	v_lshrrev_b64 v[0:1], v3, v[0:1]
; %bb.22630:                            ;   in Loop: Header=BB6_22365 Depth=3
	s_and_not1_saveexec_b32 s13, s13
; %bb.22631:                            ;   in Loop: Header=BB6_22365 Depth=3
	s_delay_alu instid0(VALU_DEP_1)
	v_bfe_u32 v2, v0, 23, 1
; %bb.22632:                            ;   in Loop: Header=BB6_22365 Depth=3
	s_or_b32 exec_lo, exec_lo, s13
	s_delay_alu instid0(VALU_DEP_2) | instskip(NEXT) | instid1(VALU_DEP_2)
	v_lshrrev_b64 v[0:1], 21, v[0:1]
	v_cmp_gt_i32_e32 vcc_lo, 32, v2
	v_min_i32_e32 v3, 31, v2
	v_cmp_eq_u32_e64 s13, 0, v2
	s_delay_alu instid0(VALU_DEP_2) | instskip(SKIP_1) | instid1(VALU_DEP_2)
	v_dual_cndmask_b32 v1, 0, v1, vcc_lo :: v_dual_lshlrev_b32 v3, 2, v3
	v_cndmask_b32_e32 v0, 3, v0, vcc_lo
	v_and_b32_e32 v3, 0xfc, v3
	s_delay_alu instid0(VALU_DEP_2) | instskip(NEXT) | instid1(VALU_DEP_2)
	v_cmp_eq_u64_e32 vcc_lo, 0, v[0:1]
	v_and_or_b32 v0, v0, 3, v3
	s_and_b32 s13, s13, vcc_lo
	s_delay_alu instid0(VALU_DEP_1) | instid1(SALU_CYCLE_1)
	v_cndmask_b32_e64 v0, v0, 0, s13
	s_delay_alu instid0(VALU_DEP_1)
	v_or_b32_e32 v99, v0, v4
.LBB6_22633:                            ;   in Loop: Header=BB6_22365 Depth=3
	s_or_b32 exec_lo, exec_lo, s76
                                        ; implicit-def: $vgpr4
.LBB6_22634:                            ;   in Loop: Header=BB6_22365 Depth=3
	s_and_not1_saveexec_b32 s13, s75
; %bb.22635:                            ;   in Loop: Header=BB6_22365 Depth=3
	v_or_b32_e32 v99, 0x7b, v4
; %bb.22636:                            ;   in Loop: Header=BB6_22365 Depth=3
	s_or_b32 exec_lo, exec_lo, s13
                                        ; implicit-def: $vgpr2
                                        ; implicit-def: $vgpr0_vgpr1
                                        ; implicit-def: $vgpr3
.LBB6_22637:                            ;   in Loop: Header=BB6_22365 Depth=3
	s_and_not1_saveexec_b32 s13, s74
	s_cbranch_execz .LBB6_22643
; %bb.22638:                            ;   in Loop: Header=BB6_22365 Depth=3
	s_mov_b32 s74, exec_lo
                                        ; implicit-def: $vgpr99
	v_cmpx_ne_u64_e32 0, v[0:1]
	s_xor_b32 s74, exec_lo, s74
; %bb.22639:                            ;   in Loop: Header=BB6_22365 Depth=3
	v_or_b32_e32 v99, 0x7f, v3
                                        ; implicit-def: $vgpr2
; %bb.22640:                            ;   in Loop: Header=BB6_22365 Depth=3
	s_and_not1_saveexec_b32 s74, s74
; %bb.22641:                            ;   in Loop: Header=BB6_22365 Depth=3
	v_cmp_lt_i32_e32 vcc_lo, -1, v2
	v_mov_b32_e32 v0, 0x7c
	s_delay_alu instid0(VALU_DEP_1)
	v_cndmask_b32_e32 v99, 0xfc, v0, vcc_lo
; %bb.22642:                            ;   in Loop: Header=BB6_22365 Depth=3
	s_or_b32 exec_lo, exec_lo, s74
.LBB6_22643:                            ;   in Loop: Header=BB6_22365 Depth=3
	s_delay_alu instid0(SALU_CYCLE_1) | instskip(SKIP_3) | instid1(VALU_DEP_2)
	s_or_b32 exec_lo, exec_lo, s13
	v_lshrrev_b16 v0, 8, v10
	v_mov_b32_e32 v2, 0
	s_mov_b32 s13, exec_lo
	v_cmpx_ne_u16_e32 0, v0
	s_cbranch_execz .LBB6_22653
; %bb.22644:                            ;   in Loop: Header=BB6_22365 Depth=3
	v_bfrev_b32_e32 v2, 1
	s_mov_b32 s74, exec_lo
	v_cmpx_ne_u16_e32 0x80, v0
	s_cbranch_execz .LBB6_22652
; %bb.22645:                            ;   in Loop: Header=BB6_22365 Depth=3
	v_and_b32_e32 v3, 0xffff, v0
	s_delay_alu instid0(VALU_DEP_1) | instskip(SKIP_1) | instid1(VALU_DEP_2)
	v_and_b32_e32 v2, 0x7c, v3
	v_and_b32_e32 v1, 3, v3
	v_cmp_ne_u32_e32 vcc_lo, 0x7c, v2
                                        ; implicit-def: $vgpr2
	s_and_saveexec_b32 s75, vcc_lo
	s_delay_alu instid0(SALU_CYCLE_1)
	s_xor_b32 s75, exec_lo, s75
	s_cbranch_execz .LBB6_22649
; %bb.22646:                            ;   in Loop: Header=BB6_22365 Depth=3
	v_bfe_u32 v2, v3, 2, 5
	s_mov_b32 s76, exec_lo
	s_delay_alu instid0(VALU_DEP_1)
	v_cmpx_eq_u32_e32 0, v2
	s_cbranch_execz .LBB6_22648
; %bb.22647:                            ;   in Loop: Header=BB6_22365 Depth=3
	v_clz_i32_u32_e32 v1, v1
	s_delay_alu instid0(VALU_DEP_1) | instskip(SKIP_1) | instid1(VALU_DEP_2)
	v_min_u32_e32 v2, 32, v1
	v_mov_b32_e32 v1, v113
	v_subrev_nc_u32_e32 v3, 29, v2
	v_sub_nc_u32_e32 v2, 30, v2
	s_delay_alu instid0(VALU_DEP_2) | instskip(NEXT) | instid1(VALU_DEP_1)
	v_lshlrev_b64_e32 v[0:1], v3, v[0:1]
	v_and_b32_e32 v1, 3, v0
.LBB6_22648:                            ;   in Loop: Header=BB6_22365 Depth=3
	s_or_b32 exec_lo, exec_lo, s76
	v_lshlrev_b32_e32 v0, 16, v10
	s_delay_alu instid0(VALU_DEP_1) | instskip(NEXT) | instid1(VALU_DEP_1)
	v_and_b32_e32 v0, 0x80000000, v0
	v_lshl_add_u32 v0, v2, 23, v0
	s_delay_alu instid0(VALU_DEP_1) | instskip(NEXT) | instid1(VALU_DEP_1)
	v_lshl_or_b32 v0, v1, 21, v0
                                        ; implicit-def: $vgpr1
	v_add_nc_u32_e32 v2, 0x38000000, v0
.LBB6_22649:                            ;   in Loop: Header=BB6_22365 Depth=3
	s_and_not1_saveexec_b32 s75, s75
; %bb.22650:                            ;   in Loop: Header=BB6_22365 Depth=3
	v_cmp_lt_i16_e32 vcc_lo, -1, v10
	v_mov_b32_e32 v0, 0x7f800000
	s_delay_alu instid0(VALU_DEP_1) | instskip(SKIP_1) | instid1(VALU_DEP_2)
	v_cndmask_b32_e32 v0, 0xff800000, v0, vcc_lo
	v_cmp_eq_u32_e32 vcc_lo, 0, v1
	v_cndmask_b32_e32 v2, 0x7f800001, v0, vcc_lo
; %bb.22651:                            ;   in Loop: Header=BB6_22365 Depth=3
	s_or_b32 exec_lo, exec_lo, s75
.LBB6_22652:                            ;   in Loop: Header=BB6_22365 Depth=3
	s_delay_alu instid0(SALU_CYCLE_1)
	s_or_b32 exec_lo, exec_lo, s74
.LBB6_22653:                            ;   in Loop: Header=BB6_22365 Depth=3
	s_delay_alu instid0(SALU_CYCLE_1) | instskip(NEXT) | instid1(VALU_DEP_1)
	s_or_b32 exec_lo, exec_lo, s13
	v_dual_mul_f32 v2, s73, v2 :: v_dual_mov_b32 v5, v113
	v_mov_b32_e32 v1, v113
                                        ; implicit-def: $vgpr112
	s_mov_b32 s13, exec_lo
	s_delay_alu instid0(VALU_DEP_2) | instskip(SKIP_2) | instid1(VALU_DEP_3)
	v_and_b32_e32 v4, 0x7f800000, v2
	v_and_b32_e32 v0, 0x7fffff, v2
	v_lshrrev_b32_e32 v3, 24, v2
	v_cmpx_ne_u64_e32 0x7f800000, v[4:5]
	s_xor_b32 s74, exec_lo, s13
	s_cbranch_execz .LBB6_22667
; %bb.22654:                            ;   in Loop: Header=BB6_22365 Depth=3
	v_and_b32_e32 v4, 0x7fffffff, v2
	v_mov_b32_e32 v5, v113
                                        ; implicit-def: $vgpr112
	s_delay_alu instid0(VALU_DEP_1) | instskip(SKIP_2) | instid1(SALU_CYCLE_1)
	v_cmp_gt_u64_e32 vcc_lo, 0x47600001, v[4:5]
	v_and_b32_e32 v4, 0x80, v3
	s_and_saveexec_b32 s13, vcc_lo
	s_xor_b32 s75, exec_lo, s13
	s_cbranch_execz .LBB6_22664
; %bb.22655:                            ;   in Loop: Header=BB6_22365 Depth=3
	v_mov_b32_e32 v112, 0
	s_mov_b32 s76, exec_lo
	v_cmpx_ne_u32_e32 0, v2
	s_cbranch_execz .LBB6_22663
; %bb.22656:                            ;   in Loop: Header=BB6_22365 Depth=3
	v_bfe_u32 v5, v2, 23, 8
	v_or_b32_e32 v9, 0x800000, v0
	s_delay_alu instid0(VALU_DEP_2) | instskip(SKIP_1) | instid1(VALU_DEP_2)
	v_sub_nc_u32_e32 v2, 0x71, v5
	v_cmp_gt_u32_e32 vcc_lo, 0x72, v5
	v_cndmask_b32_e32 v2, 0, v2, vcc_lo
	v_cmp_eq_u32_e32 vcc_lo, 0, v5
	s_delay_alu instid0(VALU_DEP_2) | instskip(SKIP_1) | instid1(VALU_DEP_2)
	v_cndmask_b32_e64 v8, v2, 0x70, vcc_lo
	v_cndmask_b32_e32 v0, v9, v0, vcc_lo
	v_dual_add_nc_u32 v2, 21, v8 :: v_dual_add_nc_u32 v12, 20, v8
	s_delay_alu instid0(VALU_DEP_1) | instskip(NEXT) | instid1(VALU_DEP_2)
	v_lshlrev_b64_e64 v[2:3], v2, -1
	v_lshlrev_b64_e64 v[12:13], v12, 1
	s_delay_alu instid0(VALU_DEP_2) | instskip(SKIP_1) | instid1(VALU_DEP_4)
	v_bfi_b32 v2, v2, 0, v0
	v_lshrrev_b64 v[0:1], v8, v[0:1]
	v_bfi_b32 v3, v3, 0, 0
	s_delay_alu instid0(VALU_DEP_1) | instskip(NEXT) | instid1(VALU_DEP_3)
	v_cmp_eq_u64_e64 s13, v[2:3], v[12:13]
	v_mov_b64_e32 v[2:3], v[0:1]
	s_and_saveexec_b32 s77, s13
; %bb.22657:                            ;   in Loop: Header=BB6_22365 Depth=3
	v_bfe_u32 v2, v0, 21, 1
	v_mov_b32_e32 v3, v113
	s_delay_alu instid0(VALU_DEP_1) | instskip(NEXT) | instid1(VALU_DEP_1)
	v_add_nc_u64_e32 v[2:3], v[0:1], v[2:3]
	v_add_nc_u64_e32 v[2:3], -1, v[2:3]
; %bb.22658:                            ;   in Loop: Header=BB6_22365 Depth=3
	s_or_b32 exec_lo, exec_lo, s77
	v_add_nc_u32_e32 v1, 0xffffff81, v5
	v_lshrrev_b32_e32 v3, 23, v0
	s_mov_b32 s13, exec_lo
	s_delay_alu instid0(VALU_DEP_2) | instskip(NEXT) | instid1(VALU_DEP_1)
	v_cndmask_b32_e64 v1, v1, 0xffffff82, vcc_lo
	v_add3_u32 v3, v8, v1, v3
	v_and_b32_e32 v1, 0x1fffff, v2
                                        ; implicit-def: $vgpr2
	s_delay_alu instid0(VALU_DEP_1) | instskip(SKIP_1) | instid1(VALU_DEP_2)
	v_dual_add_nc_u32 v5, 14, v3 :: v_dual_add_nc_u32 v0, v1, v0
	v_mov_b32_e32 v1, v113
	v_cmpx_ne_u32_e32 0, v5
	s_xor_b32 s13, exec_lo, s13
; %bb.22659:                            ;   in Loop: Header=BB6_22365 Depth=3
	s_delay_alu instid0(VALU_DEP_2) | instskip(SKIP_2) | instid1(VALU_DEP_2)
	v_cmp_lt_u64_e32 vcc_lo, 0xffffff, v[0:1]
	v_add_nc_u32_e32 v2, 15, v3
	v_cndmask_b32_e64 v3, 0, 1, vcc_lo
	v_cndmask_b32_e32 v2, v5, v2, vcc_lo
	s_delay_alu instid0(VALU_DEP_2)
	v_lshrrev_b64 v[0:1], v3, v[0:1]
; %bb.22660:                            ;   in Loop: Header=BB6_22365 Depth=3
	s_and_not1_saveexec_b32 s13, s13
; %bb.22661:                            ;   in Loop: Header=BB6_22365 Depth=3
	s_delay_alu instid0(VALU_DEP_1)
	v_bfe_u32 v2, v0, 23, 1
; %bb.22662:                            ;   in Loop: Header=BB6_22365 Depth=3
	s_or_b32 exec_lo, exec_lo, s13
	s_delay_alu instid0(VALU_DEP_2) | instskip(NEXT) | instid1(VALU_DEP_2)
	v_lshrrev_b64 v[0:1], 21, v[0:1]
	v_cmp_gt_i32_e32 vcc_lo, 32, v2
	v_min_i32_e32 v3, 31, v2
	v_cmp_eq_u32_e64 s13, 0, v2
	s_delay_alu instid0(VALU_DEP_2) | instskip(SKIP_1) | instid1(VALU_DEP_2)
	v_dual_cndmask_b32 v1, 0, v1, vcc_lo :: v_dual_lshlrev_b32 v3, 2, v3
	v_cndmask_b32_e32 v0, 3, v0, vcc_lo
	v_and_b32_e32 v3, 0xfc, v3
	s_delay_alu instid0(VALU_DEP_2) | instskip(NEXT) | instid1(VALU_DEP_2)
	v_cmp_eq_u64_e32 vcc_lo, 0, v[0:1]
	v_and_or_b32 v0, v0, 3, v3
	s_and_b32 s13, s13, vcc_lo
	s_delay_alu instid0(VALU_DEP_1) | instid1(SALU_CYCLE_1)
	v_cndmask_b32_e64 v0, v0, 0, s13
	s_delay_alu instid0(VALU_DEP_1)
	v_or_b32_e32 v112, v0, v4
.LBB6_22663:                            ;   in Loop: Header=BB6_22365 Depth=3
	s_or_b32 exec_lo, exec_lo, s76
                                        ; implicit-def: $vgpr4
.LBB6_22664:                            ;   in Loop: Header=BB6_22365 Depth=3
	s_and_not1_saveexec_b32 s13, s75
; %bb.22665:                            ;   in Loop: Header=BB6_22365 Depth=3
	v_or_b32_e32 v112, 0x7b, v4
; %bb.22666:                            ;   in Loop: Header=BB6_22365 Depth=3
	s_or_b32 exec_lo, exec_lo, s13
                                        ; implicit-def: $vgpr2
                                        ; implicit-def: $vgpr0_vgpr1
                                        ; implicit-def: $vgpr3
.LBB6_22667:                            ;   in Loop: Header=BB6_22365 Depth=3
	s_and_not1_saveexec_b32 s13, s74
	s_cbranch_execz .LBB6_22673
; %bb.22668:                            ;   in Loop: Header=BB6_22365 Depth=3
	s_mov_b32 s74, exec_lo
                                        ; implicit-def: $vgpr112
	v_cmpx_ne_u64_e32 0, v[0:1]
	s_xor_b32 s74, exec_lo, s74
; %bb.22669:                            ;   in Loop: Header=BB6_22365 Depth=3
	v_or_b32_e32 v112, 0x7f, v3
                                        ; implicit-def: $vgpr2
; %bb.22670:                            ;   in Loop: Header=BB6_22365 Depth=3
	s_and_not1_saveexec_b32 s74, s74
; %bb.22671:                            ;   in Loop: Header=BB6_22365 Depth=3
	v_cmp_lt_i32_e32 vcc_lo, -1, v2
	v_mov_b32_e32 v0, 0x7c
	s_delay_alu instid0(VALU_DEP_1)
	v_cndmask_b32_e32 v112, 0xfc, v0, vcc_lo
; %bb.22672:                            ;   in Loop: Header=BB6_22365 Depth=3
	s_or_b32 exec_lo, exec_lo, s74
.LBB6_22673:                            ;   in Loop: Header=BB6_22365 Depth=3
	s_delay_alu instid0(SALU_CYCLE_1) | instskip(SKIP_2) | instid1(VALU_DEP_1)
	s_or_b32 exec_lo, exec_lo, s13
	v_dual_mov_b32 v1, 0 :: v_dual_lshrrev_b32 v0, 16, v10
	s_mov_b32 s13, exec_lo
	v_and_b32_e32 v2, 0xff, v0
	s_delay_alu instid0(VALU_DEP_1)
	v_cmpx_ne_u16_e32 0, v2
	s_cbranch_execz .LBB6_22683
; %bb.22674:                            ;   in Loop: Header=BB6_22365 Depth=3
	v_bfrev_b32_e32 v1, 1
	s_mov_b32 s74, exec_lo
	v_cmpx_ne_u16_e32 0x80, v2
	s_cbranch_execz .LBB6_22682
; %bb.22675:                            ;   in Loop: Header=BB6_22365 Depth=3
	v_and_b32_e32 v1, 0x7c0000, v10
	v_bfe_u32 v2, v10, 16, 2
	s_delay_alu instid0(VALU_DEP_2) | instskip(SKIP_1) | instid1(SALU_CYCLE_1)
	v_cmp_ne_u32_e32 vcc_lo, 0x7c0000, v1
                                        ; implicit-def: $vgpr1
	s_and_saveexec_b32 s75, vcc_lo
	s_xor_b32 s75, exec_lo, s75
	s_cbranch_execz .LBB6_22679
; %bb.22676:                            ;   in Loop: Header=BB6_22365 Depth=3
	v_bfe_u32 v1, v10, 18, 5
	s_mov_b32 s76, exec_lo
	s_delay_alu instid0(VALU_DEP_1)
	v_cmpx_eq_u32_e32 0, v1
; %bb.22677:                            ;   in Loop: Header=BB6_22365 Depth=3
	v_clz_i32_u32_e32 v1, v2
	s_delay_alu instid0(VALU_DEP_1) | instskip(NEXT) | instid1(VALU_DEP_1)
	v_min_u32_e32 v1, 32, v1
	v_subrev_nc_u32_e32 v2, 29, v1
	s_delay_alu instid0(VALU_DEP_1) | instskip(NEXT) | instid1(VALU_DEP_1)
	v_lshlrev_b64_e32 v[2:3], v2, v[0:1]
	v_dual_sub_nc_u32 v1, 30, v1 :: v_dual_bitop2_b32 v2, 3, v2 bitop3:0x40
; %bb.22678:                            ;   in Loop: Header=BB6_22365 Depth=3
	s_or_b32 exec_lo, exec_lo, s76
	v_lshlrev_b32_e32 v0, 24, v0
	s_delay_alu instid0(VALU_DEP_1) | instskip(NEXT) | instid1(VALU_DEP_1)
	v_and_b32_e32 v0, 0x80000000, v0
	v_lshl_add_u32 v0, v1, 23, v0
	s_delay_alu instid0(VALU_DEP_1) | instskip(NEXT) | instid1(VALU_DEP_1)
	v_lshl_or_b32 v0, v2, 21, v0
                                        ; implicit-def: $vgpr2
	v_add_nc_u32_e32 v1, 0x38000000, v0
                                        ; implicit-def: $vgpr0
.LBB6_22679:                            ;   in Loop: Header=BB6_22365 Depth=3
	s_and_not1_saveexec_b32 s75, s75
; %bb.22680:                            ;   in Loop: Header=BB6_22365 Depth=3
	v_bfe_i32 v0, v0, 0, 8
	s_delay_alu instid0(VALU_DEP_1) | instskip(SKIP_1) | instid1(VALU_DEP_1)
	v_cmp_lt_i16_e32 vcc_lo, -1, v0
	v_mov_b32_e32 v0, 0x7f800000
	v_cndmask_b32_e32 v0, 0xff800000, v0, vcc_lo
	v_cmp_eq_u32_e32 vcc_lo, 0, v2
	s_delay_alu instid0(VALU_DEP_2)
	v_cndmask_b32_e32 v1, 0x7f800001, v0, vcc_lo
; %bb.22681:                            ;   in Loop: Header=BB6_22365 Depth=3
	s_or_b32 exec_lo, exec_lo, s75
.LBB6_22682:                            ;   in Loop: Header=BB6_22365 Depth=3
	s_delay_alu instid0(SALU_CYCLE_1)
	s_or_b32 exec_lo, exec_lo, s74
.LBB6_22683:                            ;   in Loop: Header=BB6_22365 Depth=3
	s_delay_alu instid0(SALU_CYCLE_1) | instskip(NEXT) | instid1(VALU_DEP_1)
	s_or_b32 exec_lo, exec_lo, s13
	v_dual_mul_f32 v2, s73, v1 :: v_dual_mov_b32 v5, v113
	v_mov_b32_e32 v1, v113
                                        ; implicit-def: $vgpr118
	s_mov_b32 s13, exec_lo
	s_delay_alu instid0(VALU_DEP_2) | instskip(SKIP_2) | instid1(VALU_DEP_3)
	v_and_b32_e32 v4, 0x7f800000, v2
	v_and_b32_e32 v0, 0x7fffff, v2
	v_lshrrev_b32_e32 v3, 24, v2
	v_cmpx_ne_u64_e32 0x7f800000, v[4:5]
	s_xor_b32 s74, exec_lo, s13
	s_cbranch_execz .LBB6_22697
; %bb.22684:                            ;   in Loop: Header=BB6_22365 Depth=3
	v_and_b32_e32 v4, 0x7fffffff, v2
	v_mov_b32_e32 v5, v113
                                        ; implicit-def: $vgpr118
	s_delay_alu instid0(VALU_DEP_1) | instskip(SKIP_2) | instid1(SALU_CYCLE_1)
	v_cmp_gt_u64_e32 vcc_lo, 0x47600001, v[4:5]
	v_and_b32_e32 v4, 0x80, v3
	s_and_saveexec_b32 s13, vcc_lo
	s_xor_b32 s75, exec_lo, s13
	s_cbranch_execz .LBB6_22694
; %bb.22685:                            ;   in Loop: Header=BB6_22365 Depth=3
	v_mov_b32_e32 v118, 0
	s_mov_b32 s76, exec_lo
	v_cmpx_ne_u32_e32 0, v2
	s_cbranch_execz .LBB6_22693
; %bb.22686:                            ;   in Loop: Header=BB6_22365 Depth=3
	v_bfe_u32 v5, v2, 23, 8
	v_or_b32_e32 v9, 0x800000, v0
	s_delay_alu instid0(VALU_DEP_2) | instskip(SKIP_1) | instid1(VALU_DEP_2)
	v_sub_nc_u32_e32 v2, 0x71, v5
	v_cmp_gt_u32_e32 vcc_lo, 0x72, v5
	v_cndmask_b32_e32 v2, 0, v2, vcc_lo
	v_cmp_eq_u32_e32 vcc_lo, 0, v5
	s_delay_alu instid0(VALU_DEP_2) | instskip(SKIP_1) | instid1(VALU_DEP_2)
	v_cndmask_b32_e64 v8, v2, 0x70, vcc_lo
	v_cndmask_b32_e32 v0, v9, v0, vcc_lo
	v_dual_add_nc_u32 v2, 21, v8 :: v_dual_add_nc_u32 v12, 20, v8
	s_delay_alu instid0(VALU_DEP_1) | instskip(NEXT) | instid1(VALU_DEP_2)
	v_lshlrev_b64_e64 v[2:3], v2, -1
	v_lshlrev_b64_e64 v[12:13], v12, 1
	s_delay_alu instid0(VALU_DEP_2) | instskip(SKIP_1) | instid1(VALU_DEP_4)
	v_bfi_b32 v2, v2, 0, v0
	v_lshrrev_b64 v[0:1], v8, v[0:1]
	v_bfi_b32 v3, v3, 0, 0
	s_delay_alu instid0(VALU_DEP_1) | instskip(NEXT) | instid1(VALU_DEP_3)
	v_cmp_eq_u64_e64 s13, v[2:3], v[12:13]
	v_mov_b64_e32 v[2:3], v[0:1]
	s_and_saveexec_b32 s77, s13
; %bb.22687:                            ;   in Loop: Header=BB6_22365 Depth=3
	v_bfe_u32 v2, v0, 21, 1
	v_mov_b32_e32 v3, v113
	s_delay_alu instid0(VALU_DEP_1) | instskip(NEXT) | instid1(VALU_DEP_1)
	v_add_nc_u64_e32 v[2:3], v[0:1], v[2:3]
	v_add_nc_u64_e32 v[2:3], -1, v[2:3]
; %bb.22688:                            ;   in Loop: Header=BB6_22365 Depth=3
	s_or_b32 exec_lo, exec_lo, s77
	v_add_nc_u32_e32 v1, 0xffffff81, v5
	v_lshrrev_b32_e32 v3, 23, v0
	s_mov_b32 s13, exec_lo
	s_delay_alu instid0(VALU_DEP_2) | instskip(NEXT) | instid1(VALU_DEP_1)
	v_cndmask_b32_e64 v1, v1, 0xffffff82, vcc_lo
	v_add3_u32 v3, v8, v1, v3
	v_and_b32_e32 v1, 0x1fffff, v2
                                        ; implicit-def: $vgpr2
	s_delay_alu instid0(VALU_DEP_1) | instskip(SKIP_1) | instid1(VALU_DEP_2)
	v_dual_add_nc_u32 v5, 14, v3 :: v_dual_add_nc_u32 v0, v1, v0
	v_mov_b32_e32 v1, v113
	v_cmpx_ne_u32_e32 0, v5
	s_xor_b32 s13, exec_lo, s13
; %bb.22689:                            ;   in Loop: Header=BB6_22365 Depth=3
	s_delay_alu instid0(VALU_DEP_2) | instskip(SKIP_2) | instid1(VALU_DEP_2)
	v_cmp_lt_u64_e32 vcc_lo, 0xffffff, v[0:1]
	v_add_nc_u32_e32 v2, 15, v3
	v_cndmask_b32_e64 v3, 0, 1, vcc_lo
	v_cndmask_b32_e32 v2, v5, v2, vcc_lo
	s_delay_alu instid0(VALU_DEP_2)
	v_lshrrev_b64 v[0:1], v3, v[0:1]
; %bb.22690:                            ;   in Loop: Header=BB6_22365 Depth=3
	s_and_not1_saveexec_b32 s13, s13
; %bb.22691:                            ;   in Loop: Header=BB6_22365 Depth=3
	s_delay_alu instid0(VALU_DEP_1)
	v_bfe_u32 v2, v0, 23, 1
; %bb.22692:                            ;   in Loop: Header=BB6_22365 Depth=3
	s_or_b32 exec_lo, exec_lo, s13
	s_delay_alu instid0(VALU_DEP_2) | instskip(NEXT) | instid1(VALU_DEP_2)
	v_lshrrev_b64 v[0:1], 21, v[0:1]
	v_cmp_gt_i32_e32 vcc_lo, 32, v2
	v_min_i32_e32 v3, 31, v2
	v_cmp_eq_u32_e64 s13, 0, v2
	s_delay_alu instid0(VALU_DEP_2) | instskip(SKIP_1) | instid1(VALU_DEP_2)
	v_dual_cndmask_b32 v1, 0, v1, vcc_lo :: v_dual_lshlrev_b32 v3, 2, v3
	v_cndmask_b32_e32 v0, 3, v0, vcc_lo
	v_and_b32_e32 v3, 0xfc, v3
	s_delay_alu instid0(VALU_DEP_2) | instskip(NEXT) | instid1(VALU_DEP_2)
	v_cmp_eq_u64_e32 vcc_lo, 0, v[0:1]
	v_and_or_b32 v0, v0, 3, v3
	s_and_b32 s13, s13, vcc_lo
	s_delay_alu instid0(VALU_DEP_1) | instid1(SALU_CYCLE_1)
	v_cndmask_b32_e64 v0, v0, 0, s13
	s_delay_alu instid0(VALU_DEP_1)
	v_or_b32_e32 v118, v0, v4
.LBB6_22693:                            ;   in Loop: Header=BB6_22365 Depth=3
	s_or_b32 exec_lo, exec_lo, s76
                                        ; implicit-def: $vgpr4
.LBB6_22694:                            ;   in Loop: Header=BB6_22365 Depth=3
	s_and_not1_saveexec_b32 s13, s75
; %bb.22695:                            ;   in Loop: Header=BB6_22365 Depth=3
	v_or_b32_e32 v118, 0x7b, v4
; %bb.22696:                            ;   in Loop: Header=BB6_22365 Depth=3
	s_or_b32 exec_lo, exec_lo, s13
                                        ; implicit-def: $vgpr2
                                        ; implicit-def: $vgpr0_vgpr1
                                        ; implicit-def: $vgpr3
.LBB6_22697:                            ;   in Loop: Header=BB6_22365 Depth=3
	s_and_not1_saveexec_b32 s13, s74
	s_cbranch_execz .LBB6_22703
; %bb.22698:                            ;   in Loop: Header=BB6_22365 Depth=3
	s_mov_b32 s74, exec_lo
                                        ; implicit-def: $vgpr118
	v_cmpx_ne_u64_e32 0, v[0:1]
	s_xor_b32 s74, exec_lo, s74
; %bb.22699:                            ;   in Loop: Header=BB6_22365 Depth=3
	v_or_b32_e32 v118, 0x7f, v3
                                        ; implicit-def: $vgpr2
; %bb.22700:                            ;   in Loop: Header=BB6_22365 Depth=3
	s_and_not1_saveexec_b32 s74, s74
; %bb.22701:                            ;   in Loop: Header=BB6_22365 Depth=3
	v_cmp_lt_i32_e32 vcc_lo, -1, v2
	v_mov_b32_e32 v0, 0x7c
	s_delay_alu instid0(VALU_DEP_1)
	v_cndmask_b32_e32 v118, 0xfc, v0, vcc_lo
; %bb.22702:                            ;   in Loop: Header=BB6_22365 Depth=3
	s_or_b32 exec_lo, exec_lo, s74
.LBB6_22703:                            ;   in Loop: Header=BB6_22365 Depth=3
	s_delay_alu instid0(SALU_CYCLE_1)
	s_or_b32 exec_lo, exec_lo, s13
	v_mov_b32_e32 v1, 0
	s_mov_b32 s13, exec_lo
	v_cmpx_lt_u32_e32 0xffffff, v10
	s_cbranch_execz .LBB6_22713
; %bb.22704:                            ;   in Loop: Header=BB6_22365 Depth=3
	v_lshrrev_b32_e32 v0, 24, v10
	v_bfrev_b32_e32 v1, 1
	s_mov_b32 s74, exec_lo
	s_delay_alu instid0(VALU_DEP_2)
	v_cmpx_ne_u32_e32 0x80, v0
	s_cbranch_execz .LBB6_22712
; %bb.22705:                            ;   in Loop: Header=BB6_22365 Depth=3
	v_and_b32_e32 v1, 0x7c000000, v10
	v_bfe_u32 v2, v10, 24, 2
	s_delay_alu instid0(VALU_DEP_2) | instskip(SKIP_1) | instid1(SALU_CYCLE_1)
	v_cmp_ne_u32_e32 vcc_lo, 0x7c000000, v1
                                        ; implicit-def: $vgpr1
	s_and_saveexec_b32 s75, vcc_lo
	s_xor_b32 s75, exec_lo, s75
	s_cbranch_execz .LBB6_22709
; %bb.22706:                            ;   in Loop: Header=BB6_22365 Depth=3
	v_bfe_u32 v1, v10, 26, 5
	s_mov_b32 s76, exec_lo
	s_delay_alu instid0(VALU_DEP_1)
	v_cmpx_eq_u32_e32 0, v1
; %bb.22707:                            ;   in Loop: Header=BB6_22365 Depth=3
	v_clz_i32_u32_e32 v1, v2
	s_delay_alu instid0(VALU_DEP_1) | instskip(NEXT) | instid1(VALU_DEP_1)
	v_min_u32_e32 v2, 32, v1
	v_subrev_nc_u32_e32 v1, 29, v2
	s_delay_alu instid0(VALU_DEP_1) | instskip(NEXT) | instid1(VALU_DEP_1)
	v_lshlrev_b64_e32 v[0:1], v1, v[0:1]
	v_dual_sub_nc_u32 v1, 30, v2 :: v_dual_bitop2_b32 v2, 3, v0 bitop3:0x40
; %bb.22708:                            ;   in Loop: Header=BB6_22365 Depth=3
	s_or_b32 exec_lo, exec_lo, s76
	v_and_b32_e32 v0, 0x80000000, v10
	s_delay_alu instid0(VALU_DEP_1) | instskip(NEXT) | instid1(VALU_DEP_1)
	v_lshl_add_u32 v0, v1, 23, v0
	v_lshl_or_b32 v0, v2, 21, v0
                                        ; implicit-def: $vgpr2
	s_delay_alu instid0(VALU_DEP_1)
	v_add_nc_u32_e32 v1, 0x38000000, v0
.LBB6_22709:                            ;   in Loop: Header=BB6_22365 Depth=3
	s_and_not1_saveexec_b32 s75, s75
; %bb.22710:                            ;   in Loop: Header=BB6_22365 Depth=3
	v_cmp_lt_i32_e32 vcc_lo, -1, v10
	v_mov_b32_e32 v0, 0x7f800000
	s_delay_alu instid0(VALU_DEP_1) | instskip(SKIP_1) | instid1(VALU_DEP_2)
	v_cndmask_b32_e32 v0, 0xff800000, v0, vcc_lo
	v_cmp_eq_u32_e32 vcc_lo, 0, v2
	v_cndmask_b32_e32 v1, 0x7f800001, v0, vcc_lo
; %bb.22711:                            ;   in Loop: Header=BB6_22365 Depth=3
	s_or_b32 exec_lo, exec_lo, s75
.LBB6_22712:                            ;   in Loop: Header=BB6_22365 Depth=3
	s_delay_alu instid0(SALU_CYCLE_1)
	s_or_b32 exec_lo, exec_lo, s74
.LBB6_22713:                            ;   in Loop: Header=BB6_22365 Depth=3
	s_delay_alu instid0(SALU_CYCLE_1) | instskip(NEXT) | instid1(VALU_DEP_1)
	s_or_b32 exec_lo, exec_lo, s13
	v_dual_mul_f32 v2, s73, v1 :: v_dual_mov_b32 v5, v113
	v_mov_b32_e32 v1, v113
                                        ; implicit-def: $vgpr47
	s_mov_b32 s13, exec_lo
	s_delay_alu instid0(VALU_DEP_2) | instskip(SKIP_2) | instid1(VALU_DEP_3)
	v_and_b32_e32 v4, 0x7f800000, v2
	v_and_b32_e32 v0, 0x7fffff, v2
	v_lshrrev_b32_e32 v3, 24, v2
	v_cmpx_ne_u64_e32 0x7f800000, v[4:5]
	s_xor_b32 s74, exec_lo, s13
	s_cbranch_execz .LBB6_22727
; %bb.22714:                            ;   in Loop: Header=BB6_22365 Depth=3
	v_and_b32_e32 v4, 0x7fffffff, v2
	v_mov_b32_e32 v5, v113
                                        ; implicit-def: $vgpr47
	s_delay_alu instid0(VALU_DEP_1) | instskip(SKIP_2) | instid1(SALU_CYCLE_1)
	v_cmp_gt_u64_e32 vcc_lo, 0x47600001, v[4:5]
	v_and_b32_e32 v4, 0x80, v3
	s_and_saveexec_b32 s13, vcc_lo
	s_xor_b32 s75, exec_lo, s13
	s_cbranch_execz .LBB6_22724
; %bb.22715:                            ;   in Loop: Header=BB6_22365 Depth=3
	v_mov_b32_e32 v47, 0
	s_mov_b32 s76, exec_lo
	v_cmpx_ne_u32_e32 0, v2
	s_cbranch_execz .LBB6_22723
; %bb.22716:                            ;   in Loop: Header=BB6_22365 Depth=3
	v_bfe_u32 v5, v2, 23, 8
	v_or_b32_e32 v9, 0x800000, v0
	s_delay_alu instid0(VALU_DEP_2) | instskip(SKIP_1) | instid1(VALU_DEP_2)
	v_sub_nc_u32_e32 v2, 0x71, v5
	v_cmp_gt_u32_e32 vcc_lo, 0x72, v5
	v_cndmask_b32_e32 v2, 0, v2, vcc_lo
	v_cmp_eq_u32_e32 vcc_lo, 0, v5
	s_delay_alu instid0(VALU_DEP_2) | instskip(SKIP_1) | instid1(VALU_DEP_2)
	v_cndmask_b32_e64 v8, v2, 0x70, vcc_lo
	v_cndmask_b32_e32 v0, v9, v0, vcc_lo
	v_dual_add_nc_u32 v2, 21, v8 :: v_dual_add_nc_u32 v12, 20, v8
	s_delay_alu instid0(VALU_DEP_1) | instskip(NEXT) | instid1(VALU_DEP_2)
	v_lshlrev_b64_e64 v[2:3], v2, -1
	v_lshlrev_b64_e64 v[12:13], v12, 1
	s_delay_alu instid0(VALU_DEP_2) | instskip(SKIP_1) | instid1(VALU_DEP_4)
	v_bfi_b32 v2, v2, 0, v0
	v_lshrrev_b64 v[0:1], v8, v[0:1]
	v_bfi_b32 v3, v3, 0, 0
	s_delay_alu instid0(VALU_DEP_1) | instskip(NEXT) | instid1(VALU_DEP_3)
	v_cmp_eq_u64_e64 s13, v[2:3], v[12:13]
	v_mov_b64_e32 v[2:3], v[0:1]
	s_and_saveexec_b32 s77, s13
; %bb.22717:                            ;   in Loop: Header=BB6_22365 Depth=3
	v_bfe_u32 v2, v0, 21, 1
	v_mov_b32_e32 v3, v113
	s_delay_alu instid0(VALU_DEP_1) | instskip(NEXT) | instid1(VALU_DEP_1)
	v_add_nc_u64_e32 v[2:3], v[0:1], v[2:3]
	v_add_nc_u64_e32 v[2:3], -1, v[2:3]
; %bb.22718:                            ;   in Loop: Header=BB6_22365 Depth=3
	s_or_b32 exec_lo, exec_lo, s77
	v_add_nc_u32_e32 v1, 0xffffff81, v5
	v_lshrrev_b32_e32 v3, 23, v0
	s_mov_b32 s13, exec_lo
	s_delay_alu instid0(VALU_DEP_2) | instskip(NEXT) | instid1(VALU_DEP_1)
	v_cndmask_b32_e64 v1, v1, 0xffffff82, vcc_lo
	v_add3_u32 v3, v8, v1, v3
	v_and_b32_e32 v1, 0x1fffff, v2
                                        ; implicit-def: $vgpr2
	s_delay_alu instid0(VALU_DEP_1) | instskip(SKIP_1) | instid1(VALU_DEP_2)
	v_dual_add_nc_u32 v5, 14, v3 :: v_dual_add_nc_u32 v0, v1, v0
	v_mov_b32_e32 v1, v113
	v_cmpx_ne_u32_e32 0, v5
	s_xor_b32 s13, exec_lo, s13
; %bb.22719:                            ;   in Loop: Header=BB6_22365 Depth=3
	s_delay_alu instid0(VALU_DEP_2) | instskip(SKIP_2) | instid1(VALU_DEP_2)
	v_cmp_lt_u64_e32 vcc_lo, 0xffffff, v[0:1]
	v_add_nc_u32_e32 v2, 15, v3
	v_cndmask_b32_e64 v3, 0, 1, vcc_lo
	v_cndmask_b32_e32 v2, v5, v2, vcc_lo
	s_delay_alu instid0(VALU_DEP_2)
	v_lshrrev_b64 v[0:1], v3, v[0:1]
; %bb.22720:                            ;   in Loop: Header=BB6_22365 Depth=3
	s_and_not1_saveexec_b32 s13, s13
; %bb.22721:                            ;   in Loop: Header=BB6_22365 Depth=3
	s_delay_alu instid0(VALU_DEP_1)
	v_bfe_u32 v2, v0, 23, 1
; %bb.22722:                            ;   in Loop: Header=BB6_22365 Depth=3
	s_or_b32 exec_lo, exec_lo, s13
	s_delay_alu instid0(VALU_DEP_2) | instskip(NEXT) | instid1(VALU_DEP_2)
	v_lshrrev_b64 v[0:1], 21, v[0:1]
	v_cmp_gt_i32_e32 vcc_lo, 32, v2
	v_min_i32_e32 v3, 31, v2
	v_cmp_eq_u32_e64 s13, 0, v2
	s_delay_alu instid0(VALU_DEP_2) | instskip(SKIP_1) | instid1(VALU_DEP_2)
	v_dual_cndmask_b32 v1, 0, v1, vcc_lo :: v_dual_lshlrev_b32 v3, 2, v3
	v_cndmask_b32_e32 v0, 3, v0, vcc_lo
	v_and_b32_e32 v3, 0xfc, v3
	s_delay_alu instid0(VALU_DEP_2) | instskip(NEXT) | instid1(VALU_DEP_2)
	v_cmp_eq_u64_e32 vcc_lo, 0, v[0:1]
	v_and_or_b32 v0, v0, 3, v3
	s_and_b32 s13, s13, vcc_lo
	s_delay_alu instid0(VALU_DEP_1) | instid1(SALU_CYCLE_1)
	v_cndmask_b32_e64 v0, v0, 0, s13
	s_delay_alu instid0(VALU_DEP_1)
	v_or_b32_e32 v47, v0, v4
.LBB6_22723:                            ;   in Loop: Header=BB6_22365 Depth=3
	s_or_b32 exec_lo, exec_lo, s76
                                        ; implicit-def: $vgpr4
.LBB6_22724:                            ;   in Loop: Header=BB6_22365 Depth=3
	s_and_not1_saveexec_b32 s13, s75
; %bb.22725:                            ;   in Loop: Header=BB6_22365 Depth=3
	v_or_b32_e32 v47, 0x7b, v4
; %bb.22726:                            ;   in Loop: Header=BB6_22365 Depth=3
	s_or_b32 exec_lo, exec_lo, s13
                                        ; implicit-def: $vgpr2
                                        ; implicit-def: $vgpr0_vgpr1
                                        ; implicit-def: $vgpr3
.LBB6_22727:                            ;   in Loop: Header=BB6_22365 Depth=3
	s_and_not1_saveexec_b32 s13, s74
	s_cbranch_execz .LBB6_22733
; %bb.22728:                            ;   in Loop: Header=BB6_22365 Depth=3
	s_mov_b32 s74, exec_lo
                                        ; implicit-def: $vgpr47
	v_cmpx_ne_u64_e32 0, v[0:1]
	s_xor_b32 s74, exec_lo, s74
; %bb.22729:                            ;   in Loop: Header=BB6_22365 Depth=3
	v_or_b32_e32 v47, 0x7f, v3
                                        ; implicit-def: $vgpr2
; %bb.22730:                            ;   in Loop: Header=BB6_22365 Depth=3
	s_and_not1_saveexec_b32 s74, s74
; %bb.22731:                            ;   in Loop: Header=BB6_22365 Depth=3
	v_cmp_lt_i32_e32 vcc_lo, -1, v2
	v_mov_b32_e32 v0, 0x7c
	s_delay_alu instid0(VALU_DEP_1)
	v_cndmask_b32_e32 v47, 0xfc, v0, vcc_lo
; %bb.22732:                            ;   in Loop: Header=BB6_22365 Depth=3
	s_or_b32 exec_lo, exec_lo, s74
.LBB6_22733:                            ;   in Loop: Header=BB6_22365 Depth=3
	s_delay_alu instid0(SALU_CYCLE_1) | instskip(SKIP_4) | instid1(VALU_DEP_3)
	s_or_b32 exec_lo, exec_lo, s13
	v_and_b32_e32 v3, 0xff, v11
	v_dual_mov_b32 v0, v11 :: v_dual_mov_b32 v1, v113
	v_mov_b32_e32 v2, 0
	s_mov_b32 s13, exec_lo
	v_cmpx_ne_u16_e32 0, v3
	s_cbranch_execz .LBB6_22743
; %bb.22734:                            ;   in Loop: Header=BB6_22365 Depth=3
	v_bfrev_b32_e32 v2, 1
	s_mov_b32 s74, exec_lo
	v_cmpx_ne_u16_e32 0x80, v3
	s_cbranch_execz .LBB6_22742
; %bb.22735:                            ;   in Loop: Header=BB6_22365 Depth=3
	v_and_b32_e32 v2, 0x7c, v11
	v_and_b32_e32 v3, 3, v11
	s_delay_alu instid0(VALU_DEP_2) | instskip(SKIP_1) | instid1(SALU_CYCLE_1)
	v_cmp_ne_u32_e32 vcc_lo, 0x7c, v2
                                        ; implicit-def: $vgpr2
	s_and_saveexec_b32 s75, vcc_lo
	s_xor_b32 s75, exec_lo, s75
	s_cbranch_execz .LBB6_22739
; %bb.22736:                            ;   in Loop: Header=BB6_22365 Depth=3
	v_bfe_u32 v2, v11, 2, 5
	s_mov_b32 s76, exec_lo
	s_delay_alu instid0(VALU_DEP_1)
	v_cmpx_eq_u32_e32 0, v2
; %bb.22737:                            ;   in Loop: Header=BB6_22365 Depth=3
	v_clz_i32_u32_e32 v2, v3
	s_delay_alu instid0(VALU_DEP_1) | instskip(NEXT) | instid1(VALU_DEP_1)
	v_min_u32_e32 v2, 32, v2
	v_subrev_nc_u32_e32 v3, 29, v2
	s_delay_alu instid0(VALU_DEP_1) | instskip(NEXT) | instid1(VALU_DEP_1)
	v_lshlrev_b64_e32 v[4:5], v3, v[0:1]
	v_dual_sub_nc_u32 v2, 30, v2 :: v_dual_bitop2_b32 v3, 3, v4 bitop3:0x40
; %bb.22738:                            ;   in Loop: Header=BB6_22365 Depth=3
	s_or_b32 exec_lo, exec_lo, s76
	v_lshlrev_b32_e32 v1, 24, v11
	s_delay_alu instid0(VALU_DEP_1) | instskip(NEXT) | instid1(VALU_DEP_1)
	v_and_b32_e32 v1, 0x80000000, v1
	v_lshl_add_u32 v1, v2, 23, v1
	s_delay_alu instid0(VALU_DEP_1) | instskip(NEXT) | instid1(VALU_DEP_1)
	v_lshl_or_b32 v1, v3, 21, v1
                                        ; implicit-def: $vgpr3
	v_add_nc_u32_e32 v2, 0x38000000, v1
.LBB6_22739:                            ;   in Loop: Header=BB6_22365 Depth=3
	s_and_not1_saveexec_b32 s75, s75
; %bb.22740:                            ;   in Loop: Header=BB6_22365 Depth=3
	v_bfe_i32 v1, v11, 0, 8
	s_delay_alu instid0(VALU_DEP_1) | instskip(SKIP_1) | instid1(VALU_DEP_1)
	v_cmp_lt_i16_e32 vcc_lo, -1, v1
	v_mov_b32_e32 v1, 0x7f800000
	v_cndmask_b32_e32 v1, 0xff800000, v1, vcc_lo
	v_cmp_eq_u32_e32 vcc_lo, 0, v3
	s_delay_alu instid0(VALU_DEP_2)
	v_cndmask_b32_e32 v2, 0x7f800001, v1, vcc_lo
; %bb.22741:                            ;   in Loop: Header=BB6_22365 Depth=3
	s_or_b32 exec_lo, exec_lo, s75
.LBB6_22742:                            ;   in Loop: Header=BB6_22365 Depth=3
	s_delay_alu instid0(SALU_CYCLE_1)
	s_or_b32 exec_lo, exec_lo, s74
.LBB6_22743:                            ;   in Loop: Header=BB6_22365 Depth=3
	s_delay_alu instid0(SALU_CYCLE_1) | instskip(NEXT) | instid1(VALU_DEP_1)
	s_or_b32 exec_lo, exec_lo, s13
	v_dual_mul_f32 v4, s73, v2 :: v_dual_mov_b32 v9, v113
	v_mov_b32_e32 v3, v113
                                        ; implicit-def: $vgpr41
	s_mov_b32 s13, exec_lo
	s_delay_alu instid0(VALU_DEP_2) | instskip(SKIP_2) | instid1(VALU_DEP_3)
	v_and_b32_e32 v8, 0x7f800000, v4
	v_and_b32_e32 v2, 0x7fffff, v4
	v_lshrrev_b32_e32 v1, 24, v4
	v_cmpx_ne_u64_e32 0x7f800000, v[8:9]
	s_xor_b32 s74, exec_lo, s13
	s_cbranch_execz .LBB6_22757
; %bb.22744:                            ;   in Loop: Header=BB6_22365 Depth=3
	v_and_b32_e32 v8, 0x7fffffff, v4
	v_mov_b32_e32 v9, v113
	v_and_b32_e32 v1, 0x80, v1
                                        ; implicit-def: $vgpr41
	s_mov_b32 s13, exec_lo
	s_delay_alu instid0(VALU_DEP_2)
	v_cmpx_gt_u64_e32 0x47600001, v[8:9]
	s_xor_b32 s75, exec_lo, s13
	s_cbranch_execz .LBB6_22754
; %bb.22745:                            ;   in Loop: Header=BB6_22365 Depth=3
	v_mov_b32_e32 v41, 0
	s_mov_b32 s76, exec_lo
	v_cmpx_ne_u32_e32 0, v4
	s_cbranch_execz .LBB6_22753
; %bb.22746:                            ;   in Loop: Header=BB6_22365 Depth=3
	v_bfe_u32 v8, v4, 23, 8
	v_or_b32_e32 v12, 0x800000, v2
	s_delay_alu instid0(VALU_DEP_2) | instskip(SKIP_1) | instid1(VALU_DEP_2)
	v_sub_nc_u32_e32 v4, 0x71, v8
	v_cmp_gt_u32_e32 vcc_lo, 0x72, v8
	v_cndmask_b32_e32 v4, 0, v4, vcc_lo
	v_cmp_eq_u32_e32 vcc_lo, 0, v8
	s_delay_alu instid0(VALU_DEP_2) | instskip(NEXT) | instid1(VALU_DEP_1)
	v_cndmask_b32_e64 v9, v4, 0x70, vcc_lo
	v_dual_cndmask_b32 v2, v12, v2, vcc_lo :: v_dual_add_nc_u32 v4, 21, v9
	v_add_nc_u32_e32 v13, 20, v9
	s_delay_alu instid0(VALU_DEP_2) | instskip(NEXT) | instid1(VALU_DEP_2)
	v_lshlrev_b64_e64 v[4:5], v4, -1
	v_lshlrev_b64_e64 v[12:13], v13, 1
	s_delay_alu instid0(VALU_DEP_2) | instskip(SKIP_1) | instid1(VALU_DEP_4)
	v_bfi_b32 v4, v4, 0, v2
	v_lshrrev_b64 v[2:3], v9, v[2:3]
	v_bfi_b32 v5, v5, 0, 0
	s_delay_alu instid0(VALU_DEP_1) | instskip(NEXT) | instid1(VALU_DEP_3)
	v_cmp_eq_u64_e64 s13, v[4:5], v[12:13]
	v_mov_b64_e32 v[4:5], v[2:3]
	s_and_saveexec_b32 s77, s13
; %bb.22747:                            ;   in Loop: Header=BB6_22365 Depth=3
	v_bfe_u32 v4, v2, 21, 1
	v_mov_b32_e32 v5, v113
	s_delay_alu instid0(VALU_DEP_1) | instskip(NEXT) | instid1(VALU_DEP_1)
	v_add_nc_u64_e32 v[4:5], v[2:3], v[4:5]
	v_add_nc_u64_e32 v[4:5], -1, v[4:5]
; %bb.22748:                            ;   in Loop: Header=BB6_22365 Depth=3
	s_or_b32 exec_lo, exec_lo, s77
	v_add_nc_u32_e32 v3, 0xffffff81, v8
	v_lshrrev_b32_e32 v5, 23, v2
	s_mov_b32 s13, exec_lo
	s_delay_alu instid0(VALU_DEP_2) | instskip(NEXT) | instid1(VALU_DEP_1)
	v_cndmask_b32_e64 v3, v3, 0xffffff82, vcc_lo
	v_add3_u32 v5, v9, v3, v5
	v_and_b32_e32 v3, 0x1fffff, v4
                                        ; implicit-def: $vgpr4
	s_delay_alu instid0(VALU_DEP_1) | instskip(SKIP_1) | instid1(VALU_DEP_2)
	v_dual_add_nc_u32 v8, 14, v5 :: v_dual_add_nc_u32 v2, v3, v2
	v_mov_b32_e32 v3, v113
	v_cmpx_ne_u32_e32 0, v8
	s_xor_b32 s13, exec_lo, s13
; %bb.22749:                            ;   in Loop: Header=BB6_22365 Depth=3
	s_delay_alu instid0(VALU_DEP_2) | instskip(SKIP_2) | instid1(VALU_DEP_2)
	v_cmp_lt_u64_e32 vcc_lo, 0xffffff, v[2:3]
	v_add_nc_u32_e32 v4, 15, v5
	v_cndmask_b32_e64 v5, 0, 1, vcc_lo
	v_cndmask_b32_e32 v4, v8, v4, vcc_lo
	s_delay_alu instid0(VALU_DEP_2)
	v_lshrrev_b64 v[2:3], v5, v[2:3]
; %bb.22750:                            ;   in Loop: Header=BB6_22365 Depth=3
	s_and_not1_saveexec_b32 s13, s13
; %bb.22751:                            ;   in Loop: Header=BB6_22365 Depth=3
	s_delay_alu instid0(VALU_DEP_1)
	v_bfe_u32 v4, v2, 23, 1
; %bb.22752:                            ;   in Loop: Header=BB6_22365 Depth=3
	s_or_b32 exec_lo, exec_lo, s13
	s_delay_alu instid0(VALU_DEP_2) | instskip(NEXT) | instid1(VALU_DEP_2)
	v_lshrrev_b64 v[2:3], 21, v[2:3]
	v_cmp_gt_i32_e32 vcc_lo, 32, v4
	v_min_i32_e32 v5, 31, v4
	v_cmp_eq_u32_e64 s13, 0, v4
	s_delay_alu instid0(VALU_DEP_2) | instskip(SKIP_1) | instid1(VALU_DEP_2)
	v_dual_cndmask_b32 v3, 0, v3, vcc_lo :: v_dual_lshlrev_b32 v5, 2, v5
	v_cndmask_b32_e32 v2, 3, v2, vcc_lo
	v_and_b32_e32 v5, 0xfc, v5
	s_delay_alu instid0(VALU_DEP_2) | instskip(NEXT) | instid1(VALU_DEP_2)
	v_cmp_eq_u64_e32 vcc_lo, 0, v[2:3]
	v_and_or_b32 v2, v2, 3, v5
	s_and_b32 s13, s13, vcc_lo
	s_delay_alu instid0(VALU_DEP_1) | instid1(SALU_CYCLE_1)
	v_cndmask_b32_e64 v2, v2, 0, s13
	s_delay_alu instid0(VALU_DEP_1)
	v_or_b32_e32 v41, v2, v1
.LBB6_22753:                            ;   in Loop: Header=BB6_22365 Depth=3
	s_or_b32 exec_lo, exec_lo, s76
                                        ; implicit-def: $vgpr1
.LBB6_22754:                            ;   in Loop: Header=BB6_22365 Depth=3
	s_and_not1_saveexec_b32 s13, s75
; %bb.22755:                            ;   in Loop: Header=BB6_22365 Depth=3
	v_or_b32_e32 v41, 0x7b, v1
; %bb.22756:                            ;   in Loop: Header=BB6_22365 Depth=3
	s_or_b32 exec_lo, exec_lo, s13
                                        ; implicit-def: $vgpr4
                                        ; implicit-def: $vgpr2_vgpr3
                                        ; implicit-def: $vgpr1
.LBB6_22757:                            ;   in Loop: Header=BB6_22365 Depth=3
	s_and_not1_saveexec_b32 s13, s74
	s_cbranch_execz .LBB6_22763
; %bb.22758:                            ;   in Loop: Header=BB6_22365 Depth=3
	s_mov_b32 s74, exec_lo
                                        ; implicit-def: $vgpr41
	v_cmpx_ne_u64_e32 0, v[2:3]
	s_xor_b32 s74, exec_lo, s74
; %bb.22759:                            ;   in Loop: Header=BB6_22365 Depth=3
	v_or_b32_e32 v41, 0x7f, v1
                                        ; implicit-def: $vgpr4
; %bb.22760:                            ;   in Loop: Header=BB6_22365 Depth=3
	s_and_not1_saveexec_b32 s74, s74
; %bb.22761:                            ;   in Loop: Header=BB6_22365 Depth=3
	v_cmp_lt_i32_e32 vcc_lo, -1, v4
	v_mov_b32_e32 v1, 0x7c
	s_delay_alu instid0(VALU_DEP_1)
	v_cndmask_b32_e32 v41, 0xfc, v1, vcc_lo
; %bb.22762:                            ;   in Loop: Header=BB6_22365 Depth=3
	s_or_b32 exec_lo, exec_lo, s74
.LBB6_22763:                            ;   in Loop: Header=BB6_22365 Depth=3
	s_delay_alu instid0(SALU_CYCLE_1) | instskip(SKIP_3) | instid1(VALU_DEP_2)
	s_or_b32 exec_lo, exec_lo, s13
	v_lshrrev_b16 v2, 8, v0
	v_mov_b32_e32 v4, 0
	s_mov_b32 s13, exec_lo
	v_cmpx_ne_u16_e32 0, v2
	s_cbranch_execz .LBB6_22773
; %bb.22764:                            ;   in Loop: Header=BB6_22365 Depth=3
	v_bfrev_b32_e32 v4, 1
	s_mov_b32 s74, exec_lo
	v_cmpx_ne_u16_e32 0x80, v2
	s_cbranch_execz .LBB6_22772
; %bb.22765:                            ;   in Loop: Header=BB6_22365 Depth=3
	v_and_b32_e32 v1, 0xffff, v2
	s_delay_alu instid0(VALU_DEP_1) | instskip(SKIP_1) | instid1(VALU_DEP_2)
	v_and_b32_e32 v4, 0x7c, v1
	v_and_b32_e32 v3, 3, v1
	v_cmp_ne_u32_e32 vcc_lo, 0x7c, v4
                                        ; implicit-def: $vgpr4
	s_and_saveexec_b32 s75, vcc_lo
	s_delay_alu instid0(SALU_CYCLE_1)
	s_xor_b32 s75, exec_lo, s75
	s_cbranch_execz .LBB6_22769
; %bb.22766:                            ;   in Loop: Header=BB6_22365 Depth=3
	v_bfe_u32 v1, v1, 2, 5
	s_mov_b32 s76, exec_lo
	s_delay_alu instid0(VALU_DEP_1)
	v_cmpx_eq_u32_e32 0, v1
	s_cbranch_execz .LBB6_22768
; %bb.22767:                            ;   in Loop: Header=BB6_22365 Depth=3
	v_clz_i32_u32_e32 v1, v3
	s_delay_alu instid0(VALU_DEP_1) | instskip(SKIP_1) | instid1(VALU_DEP_2)
	v_min_u32_e32 v1, 32, v1
	v_mov_b32_e32 v3, v113
	v_subrev_nc_u32_e32 v4, 29, v1
	v_sub_nc_u32_e32 v1, 30, v1
	s_delay_alu instid0(VALU_DEP_2) | instskip(NEXT) | instid1(VALU_DEP_1)
	v_lshlrev_b64_e32 v[2:3], v4, v[2:3]
	v_and_b32_e32 v3, 3, v2
.LBB6_22768:                            ;   in Loop: Header=BB6_22365 Depth=3
	s_or_b32 exec_lo, exec_lo, s76
	v_lshlrev_b32_e32 v0, 16, v0
	s_delay_alu instid0(VALU_DEP_1) | instskip(NEXT) | instid1(VALU_DEP_1)
	v_and_b32_e32 v0, 0x80000000, v0
	v_lshl_add_u32 v0, v1, 23, v0
	s_delay_alu instid0(VALU_DEP_1) | instskip(NEXT) | instid1(VALU_DEP_1)
	v_lshl_or_b32 v0, v3, 21, v0
                                        ; implicit-def: $vgpr3
	v_add_nc_u32_e32 v4, 0x38000000, v0
                                        ; implicit-def: $vgpr0_vgpr1
.LBB6_22769:                            ;   in Loop: Header=BB6_22365 Depth=3
	s_and_not1_saveexec_b32 s75, s75
; %bb.22770:                            ;   in Loop: Header=BB6_22365 Depth=3
	v_cmp_lt_i16_e32 vcc_lo, -1, v0
	v_mov_b32_e32 v0, 0x7f800000
	s_delay_alu instid0(VALU_DEP_1) | instskip(SKIP_1) | instid1(VALU_DEP_2)
	v_cndmask_b32_e32 v0, 0xff800000, v0, vcc_lo
	v_cmp_eq_u32_e32 vcc_lo, 0, v3
	v_cndmask_b32_e32 v4, 0x7f800001, v0, vcc_lo
; %bb.22771:                            ;   in Loop: Header=BB6_22365 Depth=3
	s_or_b32 exec_lo, exec_lo, s75
.LBB6_22772:                            ;   in Loop: Header=BB6_22365 Depth=3
	s_delay_alu instid0(SALU_CYCLE_1)
	s_or_b32 exec_lo, exec_lo, s74
.LBB6_22773:                            ;   in Loop: Header=BB6_22365 Depth=3
	s_delay_alu instid0(SALU_CYCLE_1) | instskip(NEXT) | instid1(VALU_DEP_1)
	s_or_b32 exec_lo, exec_lo, s13
	v_dual_mul_f32 v2, s73, v4 :: v_dual_mov_b32 v5, v113
	v_mov_b32_e32 v1, v113
                                        ; implicit-def: $vgpr43
	s_mov_b32 s13, exec_lo
	s_delay_alu instid0(VALU_DEP_2) | instskip(SKIP_2) | instid1(VALU_DEP_3)
	v_and_b32_e32 v4, 0x7f800000, v2
	v_and_b32_e32 v0, 0x7fffff, v2
	v_lshrrev_b32_e32 v3, 24, v2
	v_cmpx_ne_u64_e32 0x7f800000, v[4:5]
	s_xor_b32 s74, exec_lo, s13
	s_cbranch_execz .LBB6_22787
; %bb.22774:                            ;   in Loop: Header=BB6_22365 Depth=3
	v_and_b32_e32 v4, 0x7fffffff, v2
	v_mov_b32_e32 v5, v113
                                        ; implicit-def: $vgpr43
	s_delay_alu instid0(VALU_DEP_1) | instskip(SKIP_2) | instid1(SALU_CYCLE_1)
	v_cmp_gt_u64_e32 vcc_lo, 0x47600001, v[4:5]
	v_and_b32_e32 v4, 0x80, v3
	s_and_saveexec_b32 s13, vcc_lo
	s_xor_b32 s75, exec_lo, s13
	s_cbranch_execz .LBB6_22784
; %bb.22775:                            ;   in Loop: Header=BB6_22365 Depth=3
	v_mov_b32_e32 v43, 0
	s_mov_b32 s76, exec_lo
	v_cmpx_ne_u32_e32 0, v2
	s_cbranch_execz .LBB6_22783
; %bb.22776:                            ;   in Loop: Header=BB6_22365 Depth=3
	v_bfe_u32 v5, v2, 23, 8
	v_or_b32_e32 v9, 0x800000, v0
	s_delay_alu instid0(VALU_DEP_2) | instskip(SKIP_1) | instid1(VALU_DEP_2)
	v_sub_nc_u32_e32 v2, 0x71, v5
	v_cmp_gt_u32_e32 vcc_lo, 0x72, v5
	v_cndmask_b32_e32 v2, 0, v2, vcc_lo
	v_cmp_eq_u32_e32 vcc_lo, 0, v5
	s_delay_alu instid0(VALU_DEP_2) | instskip(SKIP_1) | instid1(VALU_DEP_2)
	v_cndmask_b32_e64 v8, v2, 0x70, vcc_lo
	v_cndmask_b32_e32 v0, v9, v0, vcc_lo
	v_dual_add_nc_u32 v2, 21, v8 :: v_dual_add_nc_u32 v12, 20, v8
	s_delay_alu instid0(VALU_DEP_1) | instskip(NEXT) | instid1(VALU_DEP_2)
	v_lshlrev_b64_e64 v[2:3], v2, -1
	v_lshlrev_b64_e64 v[12:13], v12, 1
	s_delay_alu instid0(VALU_DEP_2) | instskip(SKIP_1) | instid1(VALU_DEP_4)
	v_bfi_b32 v2, v2, 0, v0
	v_lshrrev_b64 v[0:1], v8, v[0:1]
	v_bfi_b32 v3, v3, 0, 0
	s_delay_alu instid0(VALU_DEP_1) | instskip(NEXT) | instid1(VALU_DEP_3)
	v_cmp_eq_u64_e64 s13, v[2:3], v[12:13]
	v_mov_b64_e32 v[2:3], v[0:1]
	s_and_saveexec_b32 s77, s13
; %bb.22777:                            ;   in Loop: Header=BB6_22365 Depth=3
	v_bfe_u32 v2, v0, 21, 1
	v_mov_b32_e32 v3, v113
	s_delay_alu instid0(VALU_DEP_1) | instskip(NEXT) | instid1(VALU_DEP_1)
	v_add_nc_u64_e32 v[2:3], v[0:1], v[2:3]
	v_add_nc_u64_e32 v[2:3], -1, v[2:3]
; %bb.22778:                            ;   in Loop: Header=BB6_22365 Depth=3
	s_or_b32 exec_lo, exec_lo, s77
	v_add_nc_u32_e32 v1, 0xffffff81, v5
	v_lshrrev_b32_e32 v3, 23, v0
	s_mov_b32 s13, exec_lo
	s_delay_alu instid0(VALU_DEP_2) | instskip(NEXT) | instid1(VALU_DEP_1)
	v_cndmask_b32_e64 v1, v1, 0xffffff82, vcc_lo
	v_add3_u32 v3, v8, v1, v3
	v_and_b32_e32 v1, 0x1fffff, v2
                                        ; implicit-def: $vgpr2
	s_delay_alu instid0(VALU_DEP_1) | instskip(SKIP_1) | instid1(VALU_DEP_2)
	v_dual_add_nc_u32 v5, 14, v3 :: v_dual_add_nc_u32 v0, v1, v0
	v_mov_b32_e32 v1, v113
	v_cmpx_ne_u32_e32 0, v5
	s_xor_b32 s13, exec_lo, s13
; %bb.22779:                            ;   in Loop: Header=BB6_22365 Depth=3
	s_delay_alu instid0(VALU_DEP_2) | instskip(SKIP_2) | instid1(VALU_DEP_2)
	v_cmp_lt_u64_e32 vcc_lo, 0xffffff, v[0:1]
	v_add_nc_u32_e32 v2, 15, v3
	v_cndmask_b32_e64 v3, 0, 1, vcc_lo
	v_cndmask_b32_e32 v2, v5, v2, vcc_lo
	s_delay_alu instid0(VALU_DEP_2)
	v_lshrrev_b64 v[0:1], v3, v[0:1]
; %bb.22780:                            ;   in Loop: Header=BB6_22365 Depth=3
	s_and_not1_saveexec_b32 s13, s13
; %bb.22781:                            ;   in Loop: Header=BB6_22365 Depth=3
	s_delay_alu instid0(VALU_DEP_1)
	v_bfe_u32 v2, v0, 23, 1
; %bb.22782:                            ;   in Loop: Header=BB6_22365 Depth=3
	s_or_b32 exec_lo, exec_lo, s13
	s_delay_alu instid0(VALU_DEP_2) | instskip(NEXT) | instid1(VALU_DEP_2)
	v_lshrrev_b64 v[0:1], 21, v[0:1]
	v_cmp_gt_i32_e32 vcc_lo, 32, v2
	v_min_i32_e32 v3, 31, v2
	v_cmp_eq_u32_e64 s13, 0, v2
	s_delay_alu instid0(VALU_DEP_2) | instskip(SKIP_1) | instid1(VALU_DEP_2)
	v_dual_cndmask_b32 v1, 0, v1, vcc_lo :: v_dual_lshlrev_b32 v3, 2, v3
	v_cndmask_b32_e32 v0, 3, v0, vcc_lo
	v_and_b32_e32 v3, 0xfc, v3
	s_delay_alu instid0(VALU_DEP_2) | instskip(NEXT) | instid1(VALU_DEP_2)
	v_cmp_eq_u64_e32 vcc_lo, 0, v[0:1]
	v_and_or_b32 v0, v0, 3, v3
	s_and_b32 s13, s13, vcc_lo
	s_delay_alu instid0(VALU_DEP_1) | instid1(SALU_CYCLE_1)
	v_cndmask_b32_e64 v0, v0, 0, s13
	s_delay_alu instid0(VALU_DEP_1)
	v_or_b32_e32 v43, v0, v4
.LBB6_22783:                            ;   in Loop: Header=BB6_22365 Depth=3
	s_or_b32 exec_lo, exec_lo, s76
                                        ; implicit-def: $vgpr4
.LBB6_22784:                            ;   in Loop: Header=BB6_22365 Depth=3
	s_and_not1_saveexec_b32 s13, s75
; %bb.22785:                            ;   in Loop: Header=BB6_22365 Depth=3
	v_or_b32_e32 v43, 0x7b, v4
; %bb.22786:                            ;   in Loop: Header=BB6_22365 Depth=3
	s_or_b32 exec_lo, exec_lo, s13
                                        ; implicit-def: $vgpr2
                                        ; implicit-def: $vgpr0_vgpr1
                                        ; implicit-def: $vgpr3
.LBB6_22787:                            ;   in Loop: Header=BB6_22365 Depth=3
	s_and_not1_saveexec_b32 s13, s74
	s_cbranch_execz .LBB6_22793
; %bb.22788:                            ;   in Loop: Header=BB6_22365 Depth=3
	s_mov_b32 s74, exec_lo
                                        ; implicit-def: $vgpr43
	v_cmpx_ne_u64_e32 0, v[0:1]
	s_xor_b32 s74, exec_lo, s74
; %bb.22789:                            ;   in Loop: Header=BB6_22365 Depth=3
	v_or_b32_e32 v43, 0x7f, v3
                                        ; implicit-def: $vgpr2
; %bb.22790:                            ;   in Loop: Header=BB6_22365 Depth=3
	s_and_not1_saveexec_b32 s74, s74
; %bb.22791:                            ;   in Loop: Header=BB6_22365 Depth=3
	v_cmp_lt_i32_e32 vcc_lo, -1, v2
	v_mov_b32_e32 v0, 0x7c
	s_delay_alu instid0(VALU_DEP_1)
	v_cndmask_b32_e32 v43, 0xfc, v0, vcc_lo
; %bb.22792:                            ;   in Loop: Header=BB6_22365 Depth=3
	s_or_b32 exec_lo, exec_lo, s74
.LBB6_22793:                            ;   in Loop: Header=BB6_22365 Depth=3
	s_delay_alu instid0(SALU_CYCLE_1) | instskip(SKIP_2) | instid1(VALU_DEP_1)
	s_or_b32 exec_lo, exec_lo, s13
	v_dual_mov_b32 v1, 0 :: v_dual_lshrrev_b32 v0, 16, v11
	s_mov_b32 s13, exec_lo
	v_and_b32_e32 v2, 0xff, v0
	s_delay_alu instid0(VALU_DEP_1)
	v_cmpx_ne_u16_e32 0, v2
	s_cbranch_execz .LBB6_22803
; %bb.22794:                            ;   in Loop: Header=BB6_22365 Depth=3
	v_bfrev_b32_e32 v1, 1
	s_mov_b32 s74, exec_lo
	v_cmpx_ne_u16_e32 0x80, v2
	s_cbranch_execz .LBB6_22802
; %bb.22795:                            ;   in Loop: Header=BB6_22365 Depth=3
	v_and_b32_e32 v1, 0x7c0000, v11
	v_bfe_u32 v2, v11, 16, 2
	s_delay_alu instid0(VALU_DEP_2) | instskip(SKIP_1) | instid1(SALU_CYCLE_1)
	v_cmp_ne_u32_e32 vcc_lo, 0x7c0000, v1
                                        ; implicit-def: $vgpr1
	s_and_saveexec_b32 s75, vcc_lo
	s_xor_b32 s75, exec_lo, s75
	s_cbranch_execz .LBB6_22799
; %bb.22796:                            ;   in Loop: Header=BB6_22365 Depth=3
	v_bfe_u32 v1, v11, 18, 5
	s_mov_b32 s76, exec_lo
	s_delay_alu instid0(VALU_DEP_1)
	v_cmpx_eq_u32_e32 0, v1
; %bb.22797:                            ;   in Loop: Header=BB6_22365 Depth=3
	v_clz_i32_u32_e32 v1, v2
	s_delay_alu instid0(VALU_DEP_1) | instskip(NEXT) | instid1(VALU_DEP_1)
	v_min_u32_e32 v1, 32, v1
	v_subrev_nc_u32_e32 v2, 29, v1
	s_delay_alu instid0(VALU_DEP_1) | instskip(NEXT) | instid1(VALU_DEP_1)
	v_lshlrev_b64_e32 v[2:3], v2, v[0:1]
	v_dual_sub_nc_u32 v1, 30, v1 :: v_dual_bitop2_b32 v2, 3, v2 bitop3:0x40
; %bb.22798:                            ;   in Loop: Header=BB6_22365 Depth=3
	s_or_b32 exec_lo, exec_lo, s76
	v_lshlrev_b32_e32 v0, 24, v0
	s_delay_alu instid0(VALU_DEP_1) | instskip(NEXT) | instid1(VALU_DEP_1)
	v_and_b32_e32 v0, 0x80000000, v0
	v_lshl_add_u32 v0, v1, 23, v0
	s_delay_alu instid0(VALU_DEP_1) | instskip(NEXT) | instid1(VALU_DEP_1)
	v_lshl_or_b32 v0, v2, 21, v0
                                        ; implicit-def: $vgpr2
	v_add_nc_u32_e32 v1, 0x38000000, v0
                                        ; implicit-def: $vgpr0
.LBB6_22799:                            ;   in Loop: Header=BB6_22365 Depth=3
	s_and_not1_saveexec_b32 s75, s75
; %bb.22800:                            ;   in Loop: Header=BB6_22365 Depth=3
	v_bfe_i32 v0, v0, 0, 8
	s_delay_alu instid0(VALU_DEP_1) | instskip(SKIP_1) | instid1(VALU_DEP_1)
	v_cmp_lt_i16_e32 vcc_lo, -1, v0
	v_mov_b32_e32 v0, 0x7f800000
	v_cndmask_b32_e32 v0, 0xff800000, v0, vcc_lo
	v_cmp_eq_u32_e32 vcc_lo, 0, v2
	s_delay_alu instid0(VALU_DEP_2)
	v_cndmask_b32_e32 v1, 0x7f800001, v0, vcc_lo
; %bb.22801:                            ;   in Loop: Header=BB6_22365 Depth=3
	s_or_b32 exec_lo, exec_lo, s75
.LBB6_22802:                            ;   in Loop: Header=BB6_22365 Depth=3
	s_delay_alu instid0(SALU_CYCLE_1)
	s_or_b32 exec_lo, exec_lo, s74
.LBB6_22803:                            ;   in Loop: Header=BB6_22365 Depth=3
	s_delay_alu instid0(SALU_CYCLE_1) | instskip(NEXT) | instid1(VALU_DEP_1)
	s_or_b32 exec_lo, exec_lo, s13
	v_dual_mul_f32 v2, s73, v1 :: v_dual_mov_b32 v5, v113
	v_mov_b32_e32 v1, v113
                                        ; implicit-def: $vgpr45
	s_mov_b32 s13, exec_lo
	s_delay_alu instid0(VALU_DEP_2) | instskip(SKIP_2) | instid1(VALU_DEP_3)
	v_and_b32_e32 v4, 0x7f800000, v2
	v_and_b32_e32 v0, 0x7fffff, v2
	v_lshrrev_b32_e32 v3, 24, v2
	v_cmpx_ne_u64_e32 0x7f800000, v[4:5]
	s_xor_b32 s74, exec_lo, s13
	s_cbranch_execz .LBB6_22817
; %bb.22804:                            ;   in Loop: Header=BB6_22365 Depth=3
	v_and_b32_e32 v4, 0x7fffffff, v2
	v_mov_b32_e32 v5, v113
                                        ; implicit-def: $vgpr45
	s_delay_alu instid0(VALU_DEP_1) | instskip(SKIP_2) | instid1(SALU_CYCLE_1)
	v_cmp_gt_u64_e32 vcc_lo, 0x47600001, v[4:5]
	v_and_b32_e32 v4, 0x80, v3
	s_and_saveexec_b32 s13, vcc_lo
	s_xor_b32 s75, exec_lo, s13
	s_cbranch_execz .LBB6_22814
; %bb.22805:                            ;   in Loop: Header=BB6_22365 Depth=3
	v_mov_b32_e32 v45, 0
	s_mov_b32 s76, exec_lo
	v_cmpx_ne_u32_e32 0, v2
	s_cbranch_execz .LBB6_22813
; %bb.22806:                            ;   in Loop: Header=BB6_22365 Depth=3
	v_bfe_u32 v5, v2, 23, 8
	v_or_b32_e32 v9, 0x800000, v0
	s_delay_alu instid0(VALU_DEP_2) | instskip(SKIP_1) | instid1(VALU_DEP_2)
	v_sub_nc_u32_e32 v2, 0x71, v5
	v_cmp_gt_u32_e32 vcc_lo, 0x72, v5
	v_cndmask_b32_e32 v2, 0, v2, vcc_lo
	v_cmp_eq_u32_e32 vcc_lo, 0, v5
	s_delay_alu instid0(VALU_DEP_2) | instskip(SKIP_1) | instid1(VALU_DEP_2)
	v_cndmask_b32_e64 v8, v2, 0x70, vcc_lo
	v_cndmask_b32_e32 v0, v9, v0, vcc_lo
	v_dual_add_nc_u32 v2, 21, v8 :: v_dual_add_nc_u32 v12, 20, v8
	s_delay_alu instid0(VALU_DEP_1) | instskip(NEXT) | instid1(VALU_DEP_2)
	v_lshlrev_b64_e64 v[2:3], v2, -1
	v_lshlrev_b64_e64 v[12:13], v12, 1
	s_delay_alu instid0(VALU_DEP_2) | instskip(SKIP_1) | instid1(VALU_DEP_4)
	v_bfi_b32 v2, v2, 0, v0
	v_lshrrev_b64 v[0:1], v8, v[0:1]
	v_bfi_b32 v3, v3, 0, 0
	s_delay_alu instid0(VALU_DEP_1) | instskip(NEXT) | instid1(VALU_DEP_3)
	v_cmp_eq_u64_e64 s13, v[2:3], v[12:13]
	v_mov_b64_e32 v[2:3], v[0:1]
	s_and_saveexec_b32 s77, s13
; %bb.22807:                            ;   in Loop: Header=BB6_22365 Depth=3
	v_bfe_u32 v2, v0, 21, 1
	v_mov_b32_e32 v3, v113
	s_delay_alu instid0(VALU_DEP_1) | instskip(NEXT) | instid1(VALU_DEP_1)
	v_add_nc_u64_e32 v[2:3], v[0:1], v[2:3]
	v_add_nc_u64_e32 v[2:3], -1, v[2:3]
; %bb.22808:                            ;   in Loop: Header=BB6_22365 Depth=3
	s_or_b32 exec_lo, exec_lo, s77
	v_add_nc_u32_e32 v1, 0xffffff81, v5
	v_lshrrev_b32_e32 v3, 23, v0
	s_mov_b32 s13, exec_lo
	s_delay_alu instid0(VALU_DEP_2) | instskip(NEXT) | instid1(VALU_DEP_1)
	v_cndmask_b32_e64 v1, v1, 0xffffff82, vcc_lo
	v_add3_u32 v3, v8, v1, v3
	v_and_b32_e32 v1, 0x1fffff, v2
                                        ; implicit-def: $vgpr2
	s_delay_alu instid0(VALU_DEP_1) | instskip(SKIP_1) | instid1(VALU_DEP_2)
	v_dual_add_nc_u32 v5, 14, v3 :: v_dual_add_nc_u32 v0, v1, v0
	v_mov_b32_e32 v1, v113
	v_cmpx_ne_u32_e32 0, v5
	s_xor_b32 s13, exec_lo, s13
; %bb.22809:                            ;   in Loop: Header=BB6_22365 Depth=3
	s_delay_alu instid0(VALU_DEP_2) | instskip(SKIP_2) | instid1(VALU_DEP_2)
	v_cmp_lt_u64_e32 vcc_lo, 0xffffff, v[0:1]
	v_add_nc_u32_e32 v2, 15, v3
	v_cndmask_b32_e64 v3, 0, 1, vcc_lo
	v_cndmask_b32_e32 v2, v5, v2, vcc_lo
	s_delay_alu instid0(VALU_DEP_2)
	v_lshrrev_b64 v[0:1], v3, v[0:1]
; %bb.22810:                            ;   in Loop: Header=BB6_22365 Depth=3
	s_and_not1_saveexec_b32 s13, s13
; %bb.22811:                            ;   in Loop: Header=BB6_22365 Depth=3
	s_delay_alu instid0(VALU_DEP_1)
	v_bfe_u32 v2, v0, 23, 1
; %bb.22812:                            ;   in Loop: Header=BB6_22365 Depth=3
	s_or_b32 exec_lo, exec_lo, s13
	s_delay_alu instid0(VALU_DEP_2) | instskip(NEXT) | instid1(VALU_DEP_2)
	v_lshrrev_b64 v[0:1], 21, v[0:1]
	v_cmp_gt_i32_e32 vcc_lo, 32, v2
	v_min_i32_e32 v3, 31, v2
	v_cmp_eq_u32_e64 s13, 0, v2
	s_delay_alu instid0(VALU_DEP_2) | instskip(SKIP_1) | instid1(VALU_DEP_2)
	v_dual_cndmask_b32 v1, 0, v1, vcc_lo :: v_dual_lshlrev_b32 v3, 2, v3
	v_cndmask_b32_e32 v0, 3, v0, vcc_lo
	v_and_b32_e32 v3, 0xfc, v3
	s_delay_alu instid0(VALU_DEP_2) | instskip(NEXT) | instid1(VALU_DEP_2)
	v_cmp_eq_u64_e32 vcc_lo, 0, v[0:1]
	v_and_or_b32 v0, v0, 3, v3
	s_and_b32 s13, s13, vcc_lo
	s_delay_alu instid0(VALU_DEP_1) | instid1(SALU_CYCLE_1)
	v_cndmask_b32_e64 v0, v0, 0, s13
	s_delay_alu instid0(VALU_DEP_1)
	v_or_b32_e32 v45, v0, v4
.LBB6_22813:                            ;   in Loop: Header=BB6_22365 Depth=3
	s_or_b32 exec_lo, exec_lo, s76
                                        ; implicit-def: $vgpr4
.LBB6_22814:                            ;   in Loop: Header=BB6_22365 Depth=3
	s_and_not1_saveexec_b32 s13, s75
; %bb.22815:                            ;   in Loop: Header=BB6_22365 Depth=3
	v_or_b32_e32 v45, 0x7b, v4
; %bb.22816:                            ;   in Loop: Header=BB6_22365 Depth=3
	s_or_b32 exec_lo, exec_lo, s13
                                        ; implicit-def: $vgpr2
                                        ; implicit-def: $vgpr0_vgpr1
                                        ; implicit-def: $vgpr3
.LBB6_22817:                            ;   in Loop: Header=BB6_22365 Depth=3
	s_and_not1_saveexec_b32 s13, s74
	s_cbranch_execz .LBB6_22823
; %bb.22818:                            ;   in Loop: Header=BB6_22365 Depth=3
	s_mov_b32 s74, exec_lo
                                        ; implicit-def: $vgpr45
	v_cmpx_ne_u64_e32 0, v[0:1]
	s_xor_b32 s74, exec_lo, s74
; %bb.22819:                            ;   in Loop: Header=BB6_22365 Depth=3
	v_or_b32_e32 v45, 0x7f, v3
                                        ; implicit-def: $vgpr2
; %bb.22820:                            ;   in Loop: Header=BB6_22365 Depth=3
	s_and_not1_saveexec_b32 s74, s74
; %bb.22821:                            ;   in Loop: Header=BB6_22365 Depth=3
	v_cmp_lt_i32_e32 vcc_lo, -1, v2
	v_mov_b32_e32 v0, 0x7c
	s_delay_alu instid0(VALU_DEP_1)
	v_cndmask_b32_e32 v45, 0xfc, v0, vcc_lo
; %bb.22822:                            ;   in Loop: Header=BB6_22365 Depth=3
	s_or_b32 exec_lo, exec_lo, s74
.LBB6_22823:                            ;   in Loop: Header=BB6_22365 Depth=3
	s_delay_alu instid0(SALU_CYCLE_1)
	s_or_b32 exec_lo, exec_lo, s13
	v_mov_b32_e32 v1, 0
	s_mov_b32 s13, exec_lo
	v_cmpx_lt_u64_e64 s[22:23], v[10:11]
	s_cbranch_execz .LBB6_22833
; %bb.22824:                            ;   in Loop: Header=BB6_22365 Depth=3
	v_lshrrev_b32_e32 v0, 24, v11
	v_bfrev_b32_e32 v1, 1
	s_mov_b32 s74, exec_lo
	s_delay_alu instid0(VALU_DEP_2)
	v_cmpx_ne_u32_e32 0x80, v0
	s_cbranch_execz .LBB6_22832
; %bb.22825:                            ;   in Loop: Header=BB6_22365 Depth=3
	v_and_b32_e32 v1, 0x7c000000, v11
	v_bfe_u32 v2, v11, 24, 2
	s_delay_alu instid0(VALU_DEP_2) | instskip(SKIP_1) | instid1(SALU_CYCLE_1)
	v_cmp_ne_u32_e32 vcc_lo, 0x7c000000, v1
                                        ; implicit-def: $vgpr1
	s_and_saveexec_b32 s75, vcc_lo
	s_xor_b32 s75, exec_lo, s75
	s_cbranch_execz .LBB6_22829
; %bb.22826:                            ;   in Loop: Header=BB6_22365 Depth=3
	v_bfe_u32 v1, v11, 26, 5
	s_mov_b32 s76, exec_lo
	s_delay_alu instid0(VALU_DEP_1)
	v_cmpx_eq_u32_e32 0, v1
; %bb.22827:                            ;   in Loop: Header=BB6_22365 Depth=3
	v_clz_i32_u32_e32 v1, v2
	s_delay_alu instid0(VALU_DEP_1) | instskip(NEXT) | instid1(VALU_DEP_1)
	v_min_u32_e32 v2, 32, v1
	v_subrev_nc_u32_e32 v1, 29, v2
	s_delay_alu instid0(VALU_DEP_1) | instskip(NEXT) | instid1(VALU_DEP_1)
	v_lshlrev_b64_e32 v[0:1], v1, v[0:1]
	v_dual_sub_nc_u32 v1, 30, v2 :: v_dual_bitop2_b32 v2, 3, v0 bitop3:0x40
; %bb.22828:                            ;   in Loop: Header=BB6_22365 Depth=3
	s_or_b32 exec_lo, exec_lo, s76
	v_and_b32_e32 v0, 0x80000000, v11
                                        ; implicit-def: $vgpr10_vgpr11
	s_delay_alu instid0(VALU_DEP_1) | instskip(NEXT) | instid1(VALU_DEP_1)
	v_lshl_add_u32 v0, v1, 23, v0
	v_lshl_or_b32 v0, v2, 21, v0
                                        ; implicit-def: $vgpr2
	s_delay_alu instid0(VALU_DEP_1)
	v_add_nc_u32_e32 v1, 0x38000000, v0
.LBB6_22829:                            ;   in Loop: Header=BB6_22365 Depth=3
	s_and_not1_saveexec_b32 s75, s75
; %bb.22830:                            ;   in Loop: Header=BB6_22365 Depth=3
	v_cmp_lt_i64_e32 vcc_lo, -1, v[10:11]
	v_mov_b32_e32 v0, 0x7f800000
	s_delay_alu instid0(VALU_DEP_1) | instskip(SKIP_1) | instid1(VALU_DEP_2)
	v_cndmask_b32_e32 v0, 0xff800000, v0, vcc_lo
	v_cmp_eq_u32_e32 vcc_lo, 0, v2
	v_cndmask_b32_e32 v1, 0x7f800001, v0, vcc_lo
; %bb.22831:                            ;   in Loop: Header=BB6_22365 Depth=3
	s_or_b32 exec_lo, exec_lo, s75
.LBB6_22832:                            ;   in Loop: Header=BB6_22365 Depth=3
	s_delay_alu instid0(SALU_CYCLE_1)
	s_or_b32 exec_lo, exec_lo, s74
.LBB6_22833:                            ;   in Loop: Header=BB6_22365 Depth=3
	s_delay_alu instid0(SALU_CYCLE_1) | instskip(NEXT) | instid1(VALU_DEP_1)
	s_or_b32 exec_lo, exec_lo, s13
	v_dual_mul_f32 v2, s73, v1 :: v_dual_mov_b32 v5, v113
	v_mov_b32_e32 v1, v113
                                        ; implicit-def: $vgpr46
	s_mov_b32 s13, exec_lo
	s_delay_alu instid0(VALU_DEP_2) | instskip(SKIP_2) | instid1(VALU_DEP_3)
	v_and_b32_e32 v4, 0x7f800000, v2
	v_and_b32_e32 v0, 0x7fffff, v2
	v_lshrrev_b32_e32 v3, 24, v2
	v_cmpx_ne_u64_e32 0x7f800000, v[4:5]
	s_xor_b32 s74, exec_lo, s13
	s_cbranch_execz .LBB6_22847
; %bb.22834:                            ;   in Loop: Header=BB6_22365 Depth=3
	v_and_b32_e32 v4, 0x7fffffff, v2
	v_mov_b32_e32 v5, v113
                                        ; implicit-def: $vgpr46
	s_delay_alu instid0(VALU_DEP_1) | instskip(SKIP_2) | instid1(SALU_CYCLE_1)
	v_cmp_gt_u64_e32 vcc_lo, 0x47600001, v[4:5]
	v_and_b32_e32 v4, 0x80, v3
	s_and_saveexec_b32 s13, vcc_lo
	s_xor_b32 s75, exec_lo, s13
	s_cbranch_execz .LBB6_22844
; %bb.22835:                            ;   in Loop: Header=BB6_22365 Depth=3
	v_mov_b32_e32 v46, 0
	s_mov_b32 s76, exec_lo
	v_cmpx_ne_u32_e32 0, v2
	s_cbranch_execz .LBB6_22843
; %bb.22836:                            ;   in Loop: Header=BB6_22365 Depth=3
	v_bfe_u32 v5, v2, 23, 8
	v_or_b32_e32 v9, 0x800000, v0
	s_delay_alu instid0(VALU_DEP_2) | instskip(SKIP_1) | instid1(VALU_DEP_2)
	v_sub_nc_u32_e32 v2, 0x71, v5
	v_cmp_gt_u32_e32 vcc_lo, 0x72, v5
	v_cndmask_b32_e32 v2, 0, v2, vcc_lo
	v_cmp_eq_u32_e32 vcc_lo, 0, v5
	s_delay_alu instid0(VALU_DEP_2) | instskip(SKIP_1) | instid1(VALU_DEP_2)
	v_cndmask_b32_e64 v8, v2, 0x70, vcc_lo
	v_cndmask_b32_e32 v0, v9, v0, vcc_lo
	v_dual_add_nc_u32 v2, 21, v8 :: v_dual_add_nc_u32 v10, 20, v8
	s_delay_alu instid0(VALU_DEP_1) | instskip(NEXT) | instid1(VALU_DEP_2)
	v_lshlrev_b64_e64 v[2:3], v2, -1
	v_lshlrev_b64_e64 v[10:11], v10, 1
	s_delay_alu instid0(VALU_DEP_2) | instskip(SKIP_1) | instid1(VALU_DEP_4)
	v_bfi_b32 v2, v2, 0, v0
	v_lshrrev_b64 v[0:1], v8, v[0:1]
	v_bfi_b32 v3, v3, 0, 0
	s_delay_alu instid0(VALU_DEP_1) | instskip(NEXT) | instid1(VALU_DEP_3)
	v_cmp_eq_u64_e64 s13, v[2:3], v[10:11]
	v_mov_b64_e32 v[2:3], v[0:1]
	s_and_saveexec_b32 s77, s13
; %bb.22837:                            ;   in Loop: Header=BB6_22365 Depth=3
	v_bfe_u32 v2, v0, 21, 1
	v_mov_b32_e32 v3, v113
	s_delay_alu instid0(VALU_DEP_1) | instskip(NEXT) | instid1(VALU_DEP_1)
	v_add_nc_u64_e32 v[2:3], v[0:1], v[2:3]
	v_add_nc_u64_e32 v[2:3], -1, v[2:3]
; %bb.22838:                            ;   in Loop: Header=BB6_22365 Depth=3
	s_or_b32 exec_lo, exec_lo, s77
	v_add_nc_u32_e32 v1, 0xffffff81, v5
	v_lshrrev_b32_e32 v3, 23, v0
	s_mov_b32 s13, exec_lo
	s_delay_alu instid0(VALU_DEP_2) | instskip(NEXT) | instid1(VALU_DEP_1)
	v_cndmask_b32_e64 v1, v1, 0xffffff82, vcc_lo
	v_add3_u32 v3, v8, v1, v3
	v_and_b32_e32 v1, 0x1fffff, v2
                                        ; implicit-def: $vgpr2
	s_delay_alu instid0(VALU_DEP_1) | instskip(SKIP_1) | instid1(VALU_DEP_2)
	v_dual_add_nc_u32 v5, 14, v3 :: v_dual_add_nc_u32 v0, v1, v0
	v_mov_b32_e32 v1, v113
	v_cmpx_ne_u32_e32 0, v5
	s_xor_b32 s13, exec_lo, s13
; %bb.22839:                            ;   in Loop: Header=BB6_22365 Depth=3
	s_delay_alu instid0(VALU_DEP_2) | instskip(SKIP_2) | instid1(VALU_DEP_2)
	v_cmp_lt_u64_e32 vcc_lo, 0xffffff, v[0:1]
	v_add_nc_u32_e32 v2, 15, v3
	v_cndmask_b32_e64 v3, 0, 1, vcc_lo
	v_cndmask_b32_e32 v2, v5, v2, vcc_lo
	s_delay_alu instid0(VALU_DEP_2)
	v_lshrrev_b64 v[0:1], v3, v[0:1]
; %bb.22840:                            ;   in Loop: Header=BB6_22365 Depth=3
	s_and_not1_saveexec_b32 s13, s13
; %bb.22841:                            ;   in Loop: Header=BB6_22365 Depth=3
	s_delay_alu instid0(VALU_DEP_1)
	v_bfe_u32 v2, v0, 23, 1
; %bb.22842:                            ;   in Loop: Header=BB6_22365 Depth=3
	s_or_b32 exec_lo, exec_lo, s13
	s_delay_alu instid0(VALU_DEP_2) | instskip(NEXT) | instid1(VALU_DEP_2)
	v_lshrrev_b64 v[0:1], 21, v[0:1]
	v_cmp_gt_i32_e32 vcc_lo, 32, v2
	v_min_i32_e32 v3, 31, v2
	v_cmp_eq_u32_e64 s13, 0, v2
	s_delay_alu instid0(VALU_DEP_2) | instskip(SKIP_1) | instid1(VALU_DEP_2)
	v_dual_cndmask_b32 v1, 0, v1, vcc_lo :: v_dual_lshlrev_b32 v3, 2, v3
	v_cndmask_b32_e32 v0, 3, v0, vcc_lo
	v_and_b32_e32 v3, 0xfc, v3
	s_delay_alu instid0(VALU_DEP_2) | instskip(NEXT) | instid1(VALU_DEP_2)
	v_cmp_eq_u64_e32 vcc_lo, 0, v[0:1]
	v_and_or_b32 v0, v0, 3, v3
	s_and_b32 s13, s13, vcc_lo
	s_delay_alu instid0(VALU_DEP_1) | instid1(SALU_CYCLE_1)
	v_cndmask_b32_e64 v0, v0, 0, s13
	s_delay_alu instid0(VALU_DEP_1)
	v_or_b32_e32 v46, v0, v4
.LBB6_22843:                            ;   in Loop: Header=BB6_22365 Depth=3
	s_or_b32 exec_lo, exec_lo, s76
                                        ; implicit-def: $vgpr4
.LBB6_22844:                            ;   in Loop: Header=BB6_22365 Depth=3
	s_and_not1_saveexec_b32 s13, s75
; %bb.22845:                            ;   in Loop: Header=BB6_22365 Depth=3
	v_or_b32_e32 v46, 0x7b, v4
; %bb.22846:                            ;   in Loop: Header=BB6_22365 Depth=3
	s_or_b32 exec_lo, exec_lo, s13
                                        ; implicit-def: $vgpr2
                                        ; implicit-def: $vgpr0_vgpr1
                                        ; implicit-def: $vgpr3
.LBB6_22847:                            ;   in Loop: Header=BB6_22365 Depth=3
	s_and_not1_saveexec_b32 s13, s74
	s_cbranch_execz .LBB6_22853
; %bb.22848:                            ;   in Loop: Header=BB6_22365 Depth=3
	s_mov_b32 s74, exec_lo
                                        ; implicit-def: $vgpr46
	v_cmpx_ne_u64_e32 0, v[0:1]
	s_xor_b32 s74, exec_lo, s74
; %bb.22849:                            ;   in Loop: Header=BB6_22365 Depth=3
	v_or_b32_e32 v46, 0x7f, v3
                                        ; implicit-def: $vgpr2
; %bb.22850:                            ;   in Loop: Header=BB6_22365 Depth=3
	s_and_not1_saveexec_b32 s74, s74
; %bb.22851:                            ;   in Loop: Header=BB6_22365 Depth=3
	v_cmp_lt_i32_e32 vcc_lo, -1, v2
	v_mov_b32_e32 v0, 0x7c
	s_delay_alu instid0(VALU_DEP_1)
	v_cndmask_b32_e32 v46, 0xfc, v0, vcc_lo
; %bb.22852:                            ;   in Loop: Header=BB6_22365 Depth=3
	s_or_b32 exec_lo, exec_lo, s74
.LBB6_22853:                            ;   in Loop: Header=BB6_22365 Depth=3
	s_delay_alu instid0(SALU_CYCLE_1) | instskip(SKIP_3) | instid1(VALU_DEP_1)
	s_or_b32 exec_lo, exec_lo, s13
	global_load_b128 v[8:11], v[60:61], off offset:512 th:TH_LOAD_NT
	s_wait_loadcnt 0x0
	v_and_b32_e32 v0, 0xff, v8
	v_cmp_ne_u16_e32 vcc_lo, 0, v0
	v_mov_b32_e32 v0, 0
	s_wait_xcnt 0x0
	s_and_saveexec_b32 s13, vcc_lo
	s_cbranch_execz .LBB6_22863
; %bb.22854:                            ;   in Loop: Header=BB6_22365 Depth=3
	v_bfe_i32 v2, v8, 0, 8
	v_bfrev_b32_e32 v0, 1
	s_mov_b32 s74, exec_lo
	s_delay_alu instid0(VALU_DEP_2)
	v_cmpx_ne_u16_e32 0xff80, v2
	s_cbranch_execz .LBB6_22862
; %bb.22855:                            ;   in Loop: Header=BB6_22365 Depth=3
	v_and_b32_e32 v0, 0x7c, v8
	v_and_b32_e32 v1, 3, v8
	s_delay_alu instid0(VALU_DEP_2) | instskip(SKIP_1) | instid1(SALU_CYCLE_1)
	v_cmp_ne_u32_e32 vcc_lo, 0x7c, v0
                                        ; implicit-def: $vgpr0
	s_and_saveexec_b32 s75, vcc_lo
	s_xor_b32 s75, exec_lo, s75
	s_cbranch_execz .LBB6_22859
; %bb.22856:                            ;   in Loop: Header=BB6_22365 Depth=3
	v_bfe_u32 v0, v8, 2, 5
	s_mov_b32 s76, exec_lo
	s_delay_alu instid0(VALU_DEP_1)
	v_cmpx_eq_u32_e32 0, v0
; %bb.22857:                            ;   in Loop: Header=BB6_22365 Depth=3
	v_clz_i32_u32_e32 v0, v1
	s_delay_alu instid0(VALU_DEP_1) | instskip(NEXT) | instid1(VALU_DEP_1)
	v_min_u32_e32 v0, 32, v0
	v_subrev_nc_u32_e32 v1, 29, v0
	s_delay_alu instid0(VALU_DEP_1) | instskip(NEXT) | instid1(VALU_DEP_1)
	v_lshlrev_b64_e32 v[2:3], v1, v[8:9]
	v_dual_sub_nc_u32 v0, 30, v0 :: v_dual_bitop2_b32 v1, 3, v2 bitop3:0x40
; %bb.22858:                            ;   in Loop: Header=BB6_22365 Depth=3
	s_or_b32 exec_lo, exec_lo, s76
	v_lshlrev_b32_e32 v2, 24, v8
	s_delay_alu instid0(VALU_DEP_1) | instskip(NEXT) | instid1(VALU_DEP_1)
	v_and_b32_e32 v2, 0x80000000, v2
	v_lshl_add_u32 v0, v0, 23, v2
                                        ; implicit-def: $vgpr2
	s_delay_alu instid0(VALU_DEP_1) | instskip(NEXT) | instid1(VALU_DEP_1)
	v_lshl_or_b32 v0, v1, 21, v0
                                        ; implicit-def: $vgpr1
	v_add_nc_u32_e32 v0, 0x38000000, v0
.LBB6_22859:                            ;   in Loop: Header=BB6_22365 Depth=3
	s_and_not1_saveexec_b32 s75, s75
; %bb.22860:                            ;   in Loop: Header=BB6_22365 Depth=3
	v_cmp_lt_i16_e32 vcc_lo, -1, v2
	v_mov_b32_e32 v0, 0x7f800000
	s_delay_alu instid0(VALU_DEP_1) | instskip(SKIP_1) | instid1(VALU_DEP_2)
	v_cndmask_b32_e32 v0, 0xff800000, v0, vcc_lo
	v_cmp_eq_u32_e32 vcc_lo, 0, v1
	v_cndmask_b32_e32 v0, 0x7f800001, v0, vcc_lo
; %bb.22861:                            ;   in Loop: Header=BB6_22365 Depth=3
	s_or_b32 exec_lo, exec_lo, s75
.LBB6_22862:                            ;   in Loop: Header=BB6_22365 Depth=3
	s_delay_alu instid0(SALU_CYCLE_1)
	s_or_b32 exec_lo, exec_lo, s74
.LBB6_22863:                            ;   in Loop: Header=BB6_22365 Depth=3
	s_delay_alu instid0(SALU_CYCLE_1) | instskip(NEXT) | instid1(VALU_DEP_1)
	s_or_b32 exec_lo, exec_lo, s13
	v_dual_mul_f32 v2, s73, v0 :: v_dual_mov_b32 v5, v113
	v_mov_b32_e32 v1, v113
                                        ; implicit-def: $vgpr115
	s_mov_b32 s13, exec_lo
	s_delay_alu instid0(VALU_DEP_2) | instskip(SKIP_2) | instid1(VALU_DEP_3)
	v_and_b32_e32 v4, 0x7f800000, v2
	v_and_b32_e32 v0, 0x7fffff, v2
	v_lshrrev_b32_e32 v3, 24, v2
	v_cmpx_ne_u64_e32 0x7f800000, v[4:5]
	s_xor_b32 s74, exec_lo, s13
	s_cbranch_execz .LBB6_22877
; %bb.22864:                            ;   in Loop: Header=BB6_22365 Depth=3
	v_and_b32_e32 v4, 0x7fffffff, v2
	v_mov_b32_e32 v5, v113
                                        ; implicit-def: $vgpr115
	s_delay_alu instid0(VALU_DEP_1) | instskip(SKIP_2) | instid1(SALU_CYCLE_1)
	v_cmp_gt_u64_e32 vcc_lo, 0x47600001, v[4:5]
	v_and_b32_e32 v4, 0x80, v3
	s_and_saveexec_b32 s13, vcc_lo
	s_xor_b32 s75, exec_lo, s13
	s_cbranch_execz .LBB6_22874
; %bb.22865:                            ;   in Loop: Header=BB6_22365 Depth=3
	v_mov_b32_e32 v115, 0
	s_mov_b32 s76, exec_lo
	v_cmpx_ne_u32_e32 0, v2
	s_cbranch_execz .LBB6_22873
; %bb.22866:                            ;   in Loop: Header=BB6_22365 Depth=3
	v_bfe_u32 v5, v2, 23, 8
	v_or_b32_e32 v13, 0x800000, v0
	s_delay_alu instid0(VALU_DEP_2) | instskip(SKIP_1) | instid1(VALU_DEP_2)
	v_sub_nc_u32_e32 v2, 0x71, v5
	v_cmp_gt_u32_e32 vcc_lo, 0x72, v5
	v_cndmask_b32_e32 v2, 0, v2, vcc_lo
	v_cmp_eq_u32_e32 vcc_lo, 0, v5
	s_delay_alu instid0(VALU_DEP_2) | instskip(SKIP_1) | instid1(VALU_DEP_2)
	v_cndmask_b32_e64 v12, v2, 0x70, vcc_lo
	v_cndmask_b32_e32 v0, v13, v0, vcc_lo
	v_dual_add_nc_u32 v2, 21, v12 :: v_dual_add_nc_u32 v14, 20, v12
	s_delay_alu instid0(VALU_DEP_1) | instskip(NEXT) | instid1(VALU_DEP_2)
	v_lshlrev_b64_e64 v[2:3], v2, -1
	v_lshlrev_b64_e64 v[14:15], v14, 1
	s_delay_alu instid0(VALU_DEP_2) | instskip(SKIP_1) | instid1(VALU_DEP_4)
	v_bfi_b32 v2, v2, 0, v0
	v_lshrrev_b64 v[0:1], v12, v[0:1]
	v_bfi_b32 v3, v3, 0, 0
	s_delay_alu instid0(VALU_DEP_1) | instskip(NEXT) | instid1(VALU_DEP_3)
	v_cmp_eq_u64_e64 s13, v[2:3], v[14:15]
	v_mov_b64_e32 v[2:3], v[0:1]
	s_and_saveexec_b32 s77, s13
; %bb.22867:                            ;   in Loop: Header=BB6_22365 Depth=3
	v_bfe_u32 v2, v0, 21, 1
	v_mov_b32_e32 v3, v113
	s_delay_alu instid0(VALU_DEP_1) | instskip(NEXT) | instid1(VALU_DEP_1)
	v_add_nc_u64_e32 v[2:3], v[0:1], v[2:3]
	v_add_nc_u64_e32 v[2:3], -1, v[2:3]
; %bb.22868:                            ;   in Loop: Header=BB6_22365 Depth=3
	s_or_b32 exec_lo, exec_lo, s77
	v_add_nc_u32_e32 v1, 0xffffff81, v5
	v_lshrrev_b32_e32 v3, 23, v0
	s_mov_b32 s13, exec_lo
	s_delay_alu instid0(VALU_DEP_2) | instskip(NEXT) | instid1(VALU_DEP_1)
	v_cndmask_b32_e64 v1, v1, 0xffffff82, vcc_lo
	v_add3_u32 v3, v12, v1, v3
	v_and_b32_e32 v1, 0x1fffff, v2
                                        ; implicit-def: $vgpr2
	s_delay_alu instid0(VALU_DEP_1) | instskip(SKIP_1) | instid1(VALU_DEP_2)
	v_dual_add_nc_u32 v5, 14, v3 :: v_dual_add_nc_u32 v0, v1, v0
	v_mov_b32_e32 v1, v113
	v_cmpx_ne_u32_e32 0, v5
	s_xor_b32 s13, exec_lo, s13
; %bb.22869:                            ;   in Loop: Header=BB6_22365 Depth=3
	s_delay_alu instid0(VALU_DEP_2) | instskip(SKIP_2) | instid1(VALU_DEP_2)
	v_cmp_lt_u64_e32 vcc_lo, 0xffffff, v[0:1]
	v_add_nc_u32_e32 v2, 15, v3
	v_cndmask_b32_e64 v3, 0, 1, vcc_lo
	v_cndmask_b32_e32 v2, v5, v2, vcc_lo
	s_delay_alu instid0(VALU_DEP_2)
	v_lshrrev_b64 v[0:1], v3, v[0:1]
; %bb.22870:                            ;   in Loop: Header=BB6_22365 Depth=3
	s_and_not1_saveexec_b32 s13, s13
; %bb.22871:                            ;   in Loop: Header=BB6_22365 Depth=3
	s_delay_alu instid0(VALU_DEP_1)
	v_bfe_u32 v2, v0, 23, 1
; %bb.22872:                            ;   in Loop: Header=BB6_22365 Depth=3
	s_or_b32 exec_lo, exec_lo, s13
	s_delay_alu instid0(VALU_DEP_2) | instskip(NEXT) | instid1(VALU_DEP_2)
	v_lshrrev_b64 v[0:1], 21, v[0:1]
	v_cmp_gt_i32_e32 vcc_lo, 32, v2
	v_min_i32_e32 v3, 31, v2
	v_cmp_eq_u32_e64 s13, 0, v2
	s_delay_alu instid0(VALU_DEP_2) | instskip(SKIP_1) | instid1(VALU_DEP_2)
	v_dual_cndmask_b32 v1, 0, v1, vcc_lo :: v_dual_lshlrev_b32 v3, 2, v3
	v_cndmask_b32_e32 v0, 3, v0, vcc_lo
	v_and_b32_e32 v3, 0xfc, v3
	s_delay_alu instid0(VALU_DEP_2) | instskip(NEXT) | instid1(VALU_DEP_2)
	v_cmp_eq_u64_e32 vcc_lo, 0, v[0:1]
	v_and_or_b32 v0, v0, 3, v3
	s_and_b32 s13, s13, vcc_lo
	s_delay_alu instid0(VALU_DEP_1) | instid1(SALU_CYCLE_1)
	v_cndmask_b32_e64 v0, v0, 0, s13
	s_delay_alu instid0(VALU_DEP_1)
	v_or_b32_e32 v115, v0, v4
.LBB6_22873:                            ;   in Loop: Header=BB6_22365 Depth=3
	s_or_b32 exec_lo, exec_lo, s76
                                        ; implicit-def: $vgpr4
.LBB6_22874:                            ;   in Loop: Header=BB6_22365 Depth=3
	s_and_not1_saveexec_b32 s13, s75
; %bb.22875:                            ;   in Loop: Header=BB6_22365 Depth=3
	v_or_b32_e32 v115, 0x7b, v4
; %bb.22876:                            ;   in Loop: Header=BB6_22365 Depth=3
	s_or_b32 exec_lo, exec_lo, s13
                                        ; implicit-def: $vgpr2
                                        ; implicit-def: $vgpr0_vgpr1
                                        ; implicit-def: $vgpr3
.LBB6_22877:                            ;   in Loop: Header=BB6_22365 Depth=3
	s_and_not1_saveexec_b32 s13, s74
	s_cbranch_execz .LBB6_22883
; %bb.22878:                            ;   in Loop: Header=BB6_22365 Depth=3
	s_mov_b32 s74, exec_lo
                                        ; implicit-def: $vgpr115
	v_cmpx_ne_u64_e32 0, v[0:1]
	s_xor_b32 s74, exec_lo, s74
; %bb.22879:                            ;   in Loop: Header=BB6_22365 Depth=3
	v_or_b32_e32 v115, 0x7f, v3
                                        ; implicit-def: $vgpr2
; %bb.22880:                            ;   in Loop: Header=BB6_22365 Depth=3
	s_and_not1_saveexec_b32 s74, s74
; %bb.22881:                            ;   in Loop: Header=BB6_22365 Depth=3
	v_cmp_lt_i32_e32 vcc_lo, -1, v2
	v_mov_b32_e32 v0, 0x7c
	s_delay_alu instid0(VALU_DEP_1)
	v_cndmask_b32_e32 v115, 0xfc, v0, vcc_lo
; %bb.22882:                            ;   in Loop: Header=BB6_22365 Depth=3
	s_or_b32 exec_lo, exec_lo, s74
.LBB6_22883:                            ;   in Loop: Header=BB6_22365 Depth=3
	s_delay_alu instid0(SALU_CYCLE_1) | instskip(SKIP_3) | instid1(VALU_DEP_2)
	s_or_b32 exec_lo, exec_lo, s13
	v_lshrrev_b16 v0, 8, v8
	v_mov_b32_e32 v2, 0
	s_mov_b32 s13, exec_lo
	v_cmpx_ne_u16_e32 0, v0
	s_cbranch_execz .LBB6_22893
; %bb.22884:                            ;   in Loop: Header=BB6_22365 Depth=3
	v_bfrev_b32_e32 v2, 1
	s_mov_b32 s74, exec_lo
	v_cmpx_ne_u16_e32 0x80, v0
	s_cbranch_execz .LBB6_22892
; %bb.22885:                            ;   in Loop: Header=BB6_22365 Depth=3
	v_and_b32_e32 v3, 0xffff, v0
	s_delay_alu instid0(VALU_DEP_1) | instskip(SKIP_1) | instid1(VALU_DEP_2)
	v_and_b32_e32 v2, 0x7c, v3
	v_and_b32_e32 v1, 3, v3
	v_cmp_ne_u32_e32 vcc_lo, 0x7c, v2
                                        ; implicit-def: $vgpr2
	s_and_saveexec_b32 s75, vcc_lo
	s_delay_alu instid0(SALU_CYCLE_1)
	s_xor_b32 s75, exec_lo, s75
	s_cbranch_execz .LBB6_22889
; %bb.22886:                            ;   in Loop: Header=BB6_22365 Depth=3
	v_bfe_u32 v2, v3, 2, 5
	s_mov_b32 s76, exec_lo
	s_delay_alu instid0(VALU_DEP_1)
	v_cmpx_eq_u32_e32 0, v2
	s_cbranch_execz .LBB6_22888
; %bb.22887:                            ;   in Loop: Header=BB6_22365 Depth=3
	v_clz_i32_u32_e32 v1, v1
	s_delay_alu instid0(VALU_DEP_1) | instskip(SKIP_1) | instid1(VALU_DEP_2)
	v_min_u32_e32 v2, 32, v1
	v_mov_b32_e32 v1, v113
	v_subrev_nc_u32_e32 v3, 29, v2
	v_sub_nc_u32_e32 v2, 30, v2
	s_delay_alu instid0(VALU_DEP_2) | instskip(NEXT) | instid1(VALU_DEP_1)
	v_lshlrev_b64_e32 v[0:1], v3, v[0:1]
	v_and_b32_e32 v1, 3, v0
.LBB6_22888:                            ;   in Loop: Header=BB6_22365 Depth=3
	s_or_b32 exec_lo, exec_lo, s76
	v_lshlrev_b32_e32 v0, 16, v8
	s_delay_alu instid0(VALU_DEP_1) | instskip(NEXT) | instid1(VALU_DEP_1)
	v_and_b32_e32 v0, 0x80000000, v0
	v_lshl_add_u32 v0, v2, 23, v0
	s_delay_alu instid0(VALU_DEP_1) | instskip(NEXT) | instid1(VALU_DEP_1)
	v_lshl_or_b32 v0, v1, 21, v0
                                        ; implicit-def: $vgpr1
	v_add_nc_u32_e32 v2, 0x38000000, v0
.LBB6_22889:                            ;   in Loop: Header=BB6_22365 Depth=3
	s_and_not1_saveexec_b32 s75, s75
; %bb.22890:                            ;   in Loop: Header=BB6_22365 Depth=3
	v_cmp_lt_i16_e32 vcc_lo, -1, v8
	v_mov_b32_e32 v0, 0x7f800000
	s_delay_alu instid0(VALU_DEP_1) | instskip(SKIP_1) | instid1(VALU_DEP_2)
	v_cndmask_b32_e32 v0, 0xff800000, v0, vcc_lo
	v_cmp_eq_u32_e32 vcc_lo, 0, v1
	v_cndmask_b32_e32 v2, 0x7f800001, v0, vcc_lo
; %bb.22891:                            ;   in Loop: Header=BB6_22365 Depth=3
	s_or_b32 exec_lo, exec_lo, s75
.LBB6_22892:                            ;   in Loop: Header=BB6_22365 Depth=3
	s_delay_alu instid0(SALU_CYCLE_1)
	s_or_b32 exec_lo, exec_lo, s74
.LBB6_22893:                            ;   in Loop: Header=BB6_22365 Depth=3
	s_delay_alu instid0(SALU_CYCLE_1) | instskip(NEXT) | instid1(VALU_DEP_1)
	s_or_b32 exec_lo, exec_lo, s13
	v_dual_mul_f32 v2, s73, v2 :: v_dual_mov_b32 v5, v113
	v_mov_b32_e32 v1, v113
                                        ; implicit-def: $vgpr119
	s_mov_b32 s13, exec_lo
	s_delay_alu instid0(VALU_DEP_2) | instskip(SKIP_2) | instid1(VALU_DEP_3)
	v_and_b32_e32 v4, 0x7f800000, v2
	v_and_b32_e32 v0, 0x7fffff, v2
	v_lshrrev_b32_e32 v3, 24, v2
	v_cmpx_ne_u64_e32 0x7f800000, v[4:5]
	s_xor_b32 s74, exec_lo, s13
	s_cbranch_execz .LBB6_22907
; %bb.22894:                            ;   in Loop: Header=BB6_22365 Depth=3
	v_and_b32_e32 v4, 0x7fffffff, v2
	v_mov_b32_e32 v5, v113
                                        ; implicit-def: $vgpr119
	s_delay_alu instid0(VALU_DEP_1) | instskip(SKIP_2) | instid1(SALU_CYCLE_1)
	v_cmp_gt_u64_e32 vcc_lo, 0x47600001, v[4:5]
	v_and_b32_e32 v4, 0x80, v3
	s_and_saveexec_b32 s13, vcc_lo
	s_xor_b32 s75, exec_lo, s13
	s_cbranch_execz .LBB6_22904
; %bb.22895:                            ;   in Loop: Header=BB6_22365 Depth=3
	v_mov_b32_e32 v119, 0
	s_mov_b32 s76, exec_lo
	v_cmpx_ne_u32_e32 0, v2
	s_cbranch_execz .LBB6_22903
; %bb.22896:                            ;   in Loop: Header=BB6_22365 Depth=3
	v_bfe_u32 v5, v2, 23, 8
	v_or_b32_e32 v13, 0x800000, v0
	s_delay_alu instid0(VALU_DEP_2) | instskip(SKIP_1) | instid1(VALU_DEP_2)
	v_sub_nc_u32_e32 v2, 0x71, v5
	v_cmp_gt_u32_e32 vcc_lo, 0x72, v5
	v_cndmask_b32_e32 v2, 0, v2, vcc_lo
	v_cmp_eq_u32_e32 vcc_lo, 0, v5
	s_delay_alu instid0(VALU_DEP_2) | instskip(SKIP_1) | instid1(VALU_DEP_2)
	v_cndmask_b32_e64 v12, v2, 0x70, vcc_lo
	v_cndmask_b32_e32 v0, v13, v0, vcc_lo
	v_dual_add_nc_u32 v2, 21, v12 :: v_dual_add_nc_u32 v14, 20, v12
	s_delay_alu instid0(VALU_DEP_1) | instskip(NEXT) | instid1(VALU_DEP_2)
	v_lshlrev_b64_e64 v[2:3], v2, -1
	v_lshlrev_b64_e64 v[14:15], v14, 1
	s_delay_alu instid0(VALU_DEP_2) | instskip(SKIP_1) | instid1(VALU_DEP_4)
	v_bfi_b32 v2, v2, 0, v0
	v_lshrrev_b64 v[0:1], v12, v[0:1]
	v_bfi_b32 v3, v3, 0, 0
	s_delay_alu instid0(VALU_DEP_1) | instskip(NEXT) | instid1(VALU_DEP_3)
	v_cmp_eq_u64_e64 s13, v[2:3], v[14:15]
	v_mov_b64_e32 v[2:3], v[0:1]
	s_and_saveexec_b32 s77, s13
; %bb.22897:                            ;   in Loop: Header=BB6_22365 Depth=3
	v_bfe_u32 v2, v0, 21, 1
	v_mov_b32_e32 v3, v113
	s_delay_alu instid0(VALU_DEP_1) | instskip(NEXT) | instid1(VALU_DEP_1)
	v_add_nc_u64_e32 v[2:3], v[0:1], v[2:3]
	v_add_nc_u64_e32 v[2:3], -1, v[2:3]
; %bb.22898:                            ;   in Loop: Header=BB6_22365 Depth=3
	s_or_b32 exec_lo, exec_lo, s77
	v_add_nc_u32_e32 v1, 0xffffff81, v5
	v_lshrrev_b32_e32 v3, 23, v0
	s_mov_b32 s13, exec_lo
	s_delay_alu instid0(VALU_DEP_2) | instskip(NEXT) | instid1(VALU_DEP_1)
	v_cndmask_b32_e64 v1, v1, 0xffffff82, vcc_lo
	v_add3_u32 v3, v12, v1, v3
	v_and_b32_e32 v1, 0x1fffff, v2
                                        ; implicit-def: $vgpr2
	s_delay_alu instid0(VALU_DEP_1) | instskip(SKIP_1) | instid1(VALU_DEP_2)
	v_dual_add_nc_u32 v5, 14, v3 :: v_dual_add_nc_u32 v0, v1, v0
	v_mov_b32_e32 v1, v113
	v_cmpx_ne_u32_e32 0, v5
	s_xor_b32 s13, exec_lo, s13
; %bb.22899:                            ;   in Loop: Header=BB6_22365 Depth=3
	s_delay_alu instid0(VALU_DEP_2) | instskip(SKIP_2) | instid1(VALU_DEP_2)
	v_cmp_lt_u64_e32 vcc_lo, 0xffffff, v[0:1]
	v_add_nc_u32_e32 v2, 15, v3
	v_cndmask_b32_e64 v3, 0, 1, vcc_lo
	v_cndmask_b32_e32 v2, v5, v2, vcc_lo
	s_delay_alu instid0(VALU_DEP_2)
	v_lshrrev_b64 v[0:1], v3, v[0:1]
; %bb.22900:                            ;   in Loop: Header=BB6_22365 Depth=3
	s_and_not1_saveexec_b32 s13, s13
; %bb.22901:                            ;   in Loop: Header=BB6_22365 Depth=3
	s_delay_alu instid0(VALU_DEP_1)
	v_bfe_u32 v2, v0, 23, 1
; %bb.22902:                            ;   in Loop: Header=BB6_22365 Depth=3
	s_or_b32 exec_lo, exec_lo, s13
	s_delay_alu instid0(VALU_DEP_2) | instskip(NEXT) | instid1(VALU_DEP_2)
	v_lshrrev_b64 v[0:1], 21, v[0:1]
	v_cmp_gt_i32_e32 vcc_lo, 32, v2
	v_min_i32_e32 v3, 31, v2
	v_cmp_eq_u32_e64 s13, 0, v2
	s_delay_alu instid0(VALU_DEP_2) | instskip(SKIP_1) | instid1(VALU_DEP_2)
	v_dual_cndmask_b32 v1, 0, v1, vcc_lo :: v_dual_lshlrev_b32 v3, 2, v3
	v_cndmask_b32_e32 v0, 3, v0, vcc_lo
	v_and_b32_e32 v3, 0xfc, v3
	s_delay_alu instid0(VALU_DEP_2) | instskip(NEXT) | instid1(VALU_DEP_2)
	v_cmp_eq_u64_e32 vcc_lo, 0, v[0:1]
	v_and_or_b32 v0, v0, 3, v3
	s_and_b32 s13, s13, vcc_lo
	s_delay_alu instid0(VALU_DEP_1) | instid1(SALU_CYCLE_1)
	v_cndmask_b32_e64 v0, v0, 0, s13
	s_delay_alu instid0(VALU_DEP_1)
	v_or_b32_e32 v119, v0, v4
.LBB6_22903:                            ;   in Loop: Header=BB6_22365 Depth=3
	s_or_b32 exec_lo, exec_lo, s76
                                        ; implicit-def: $vgpr4
.LBB6_22904:                            ;   in Loop: Header=BB6_22365 Depth=3
	s_and_not1_saveexec_b32 s13, s75
; %bb.22905:                            ;   in Loop: Header=BB6_22365 Depth=3
	v_or_b32_e32 v119, 0x7b, v4
; %bb.22906:                            ;   in Loop: Header=BB6_22365 Depth=3
	s_or_b32 exec_lo, exec_lo, s13
                                        ; implicit-def: $vgpr2
                                        ; implicit-def: $vgpr0_vgpr1
                                        ; implicit-def: $vgpr3
.LBB6_22907:                            ;   in Loop: Header=BB6_22365 Depth=3
	s_and_not1_saveexec_b32 s13, s74
	s_cbranch_execz .LBB6_22913
; %bb.22908:                            ;   in Loop: Header=BB6_22365 Depth=3
	s_mov_b32 s74, exec_lo
                                        ; implicit-def: $vgpr119
	v_cmpx_ne_u64_e32 0, v[0:1]
	s_xor_b32 s74, exec_lo, s74
; %bb.22909:                            ;   in Loop: Header=BB6_22365 Depth=3
	v_or_b32_e32 v119, 0x7f, v3
                                        ; implicit-def: $vgpr2
; %bb.22910:                            ;   in Loop: Header=BB6_22365 Depth=3
	s_and_not1_saveexec_b32 s74, s74
; %bb.22911:                            ;   in Loop: Header=BB6_22365 Depth=3
	v_cmp_lt_i32_e32 vcc_lo, -1, v2
	v_mov_b32_e32 v0, 0x7c
	s_delay_alu instid0(VALU_DEP_1)
	v_cndmask_b32_e32 v119, 0xfc, v0, vcc_lo
; %bb.22912:                            ;   in Loop: Header=BB6_22365 Depth=3
	s_or_b32 exec_lo, exec_lo, s74
.LBB6_22913:                            ;   in Loop: Header=BB6_22365 Depth=3
	s_delay_alu instid0(SALU_CYCLE_1) | instskip(SKIP_2) | instid1(VALU_DEP_1)
	s_or_b32 exec_lo, exec_lo, s13
	v_dual_lshrrev_b32 v0, 16, v8 :: v_dual_mov_b32 v2, 0
	s_mov_b32 s13, exec_lo
	v_and_b32_e32 v1, 0xff, v0
	s_delay_alu instid0(VALU_DEP_1)
	v_cmpx_ne_u16_e32 0, v1
	s_cbranch_execz .LBB6_22923
; %bb.22914:                            ;   in Loop: Header=BB6_22365 Depth=3
	v_bfrev_b32_e32 v2, 1
	s_mov_b32 s74, exec_lo
	v_cmpx_ne_u16_e32 0x80, v1
	s_cbranch_execz .LBB6_22922
; %bb.22915:                            ;   in Loop: Header=BB6_22365 Depth=3
	v_and_b32_e32 v2, 0x7c0000, v8
	v_bfe_u32 v1, v8, 16, 2
	s_delay_alu instid0(VALU_DEP_2) | instskip(SKIP_1) | instid1(SALU_CYCLE_1)
	v_cmp_ne_u32_e32 vcc_lo, 0x7c0000, v2
                                        ; implicit-def: $vgpr2
	s_and_saveexec_b32 s75, vcc_lo
	s_xor_b32 s75, exec_lo, s75
	s_cbranch_execz .LBB6_22919
; %bb.22916:                            ;   in Loop: Header=BB6_22365 Depth=3
	v_bfe_u32 v2, v8, 18, 5
	s_mov_b32 s76, exec_lo
	s_delay_alu instid0(VALU_DEP_1)
	v_cmpx_eq_u32_e32 0, v2
; %bb.22917:                            ;   in Loop: Header=BB6_22365 Depth=3
	v_clz_i32_u32_e32 v1, v1
	s_delay_alu instid0(VALU_DEP_1) | instskip(NEXT) | instid1(VALU_DEP_1)
	v_min_u32_e32 v1, 32, v1
	v_subrev_nc_u32_e32 v2, 29, v1
	s_delay_alu instid0(VALU_DEP_1) | instskip(NEXT) | instid1(VALU_DEP_1)
	v_lshlrev_b64_e32 v[4:5], v2, v[0:1]
	v_dual_sub_nc_u32 v2, 30, v1 :: v_dual_bitop2_b32 v1, 3, v4 bitop3:0x40
; %bb.22918:                            ;   in Loop: Header=BB6_22365 Depth=3
	s_or_b32 exec_lo, exec_lo, s76
	v_lshlrev_b32_e32 v0, 24, v0
	s_delay_alu instid0(VALU_DEP_1) | instskip(NEXT) | instid1(VALU_DEP_1)
	v_and_b32_e32 v0, 0x80000000, v0
	v_lshl_add_u32 v0, v2, 23, v0
	s_delay_alu instid0(VALU_DEP_1) | instskip(NEXT) | instid1(VALU_DEP_1)
	v_lshl_or_b32 v0, v1, 21, v0
                                        ; implicit-def: $vgpr1
	v_add_nc_u32_e32 v2, 0x38000000, v0
                                        ; implicit-def: $vgpr0
.LBB6_22919:                            ;   in Loop: Header=BB6_22365 Depth=3
	s_and_not1_saveexec_b32 s75, s75
; %bb.22920:                            ;   in Loop: Header=BB6_22365 Depth=3
	v_bfe_i32 v0, v0, 0, 8
	s_delay_alu instid0(VALU_DEP_1) | instskip(SKIP_1) | instid1(VALU_DEP_1)
	v_cmp_lt_i16_e32 vcc_lo, -1, v0
	v_mov_b32_e32 v0, 0x7f800000
	v_cndmask_b32_e32 v0, 0xff800000, v0, vcc_lo
	v_cmp_eq_u32_e32 vcc_lo, 0, v1
	s_delay_alu instid0(VALU_DEP_2)
	v_cndmask_b32_e32 v2, 0x7f800001, v0, vcc_lo
; %bb.22921:                            ;   in Loop: Header=BB6_22365 Depth=3
	s_or_b32 exec_lo, exec_lo, s75
.LBB6_22922:                            ;   in Loop: Header=BB6_22365 Depth=3
	s_delay_alu instid0(SALU_CYCLE_1)
	s_or_b32 exec_lo, exec_lo, s74
.LBB6_22923:                            ;   in Loop: Header=BB6_22365 Depth=3
	s_delay_alu instid0(SALU_CYCLE_1) | instskip(NEXT) | instid1(VALU_DEP_1)
	s_or_b32 exec_lo, exec_lo, s13
	v_dual_mul_f32 v2, s73, v2 :: v_dual_mov_b32 v5, v113
	v_mov_b32_e32 v1, v113
                                        ; implicit-def: $vgpr42
	s_mov_b32 s13, exec_lo
	s_delay_alu instid0(VALU_DEP_2) | instskip(SKIP_2) | instid1(VALU_DEP_3)
	v_and_b32_e32 v4, 0x7f800000, v2
	v_and_b32_e32 v0, 0x7fffff, v2
	v_lshrrev_b32_e32 v3, 24, v2
	v_cmpx_ne_u64_e32 0x7f800000, v[4:5]
	s_xor_b32 s74, exec_lo, s13
	s_cbranch_execz .LBB6_22937
; %bb.22924:                            ;   in Loop: Header=BB6_22365 Depth=3
	v_and_b32_e32 v4, 0x7fffffff, v2
	v_mov_b32_e32 v5, v113
                                        ; implicit-def: $vgpr42
	s_delay_alu instid0(VALU_DEP_1) | instskip(SKIP_2) | instid1(SALU_CYCLE_1)
	v_cmp_gt_u64_e32 vcc_lo, 0x47600001, v[4:5]
	v_and_b32_e32 v4, 0x80, v3
	s_and_saveexec_b32 s13, vcc_lo
	s_xor_b32 s75, exec_lo, s13
	s_cbranch_execz .LBB6_22934
; %bb.22925:                            ;   in Loop: Header=BB6_22365 Depth=3
	v_mov_b32_e32 v42, 0
	s_mov_b32 s76, exec_lo
	v_cmpx_ne_u32_e32 0, v2
	s_cbranch_execz .LBB6_22933
; %bb.22926:                            ;   in Loop: Header=BB6_22365 Depth=3
	v_bfe_u32 v5, v2, 23, 8
	v_or_b32_e32 v13, 0x800000, v0
	s_delay_alu instid0(VALU_DEP_2) | instskip(SKIP_1) | instid1(VALU_DEP_2)
	v_sub_nc_u32_e32 v2, 0x71, v5
	v_cmp_gt_u32_e32 vcc_lo, 0x72, v5
	v_cndmask_b32_e32 v2, 0, v2, vcc_lo
	v_cmp_eq_u32_e32 vcc_lo, 0, v5
	s_delay_alu instid0(VALU_DEP_2) | instskip(SKIP_1) | instid1(VALU_DEP_2)
	v_cndmask_b32_e64 v12, v2, 0x70, vcc_lo
	v_cndmask_b32_e32 v0, v13, v0, vcc_lo
	v_dual_add_nc_u32 v2, 21, v12 :: v_dual_add_nc_u32 v14, 20, v12
	s_delay_alu instid0(VALU_DEP_1) | instskip(NEXT) | instid1(VALU_DEP_2)
	v_lshlrev_b64_e64 v[2:3], v2, -1
	v_lshlrev_b64_e64 v[14:15], v14, 1
	s_delay_alu instid0(VALU_DEP_2) | instskip(SKIP_1) | instid1(VALU_DEP_4)
	v_bfi_b32 v2, v2, 0, v0
	v_lshrrev_b64 v[0:1], v12, v[0:1]
	v_bfi_b32 v3, v3, 0, 0
	s_delay_alu instid0(VALU_DEP_1) | instskip(NEXT) | instid1(VALU_DEP_3)
	v_cmp_eq_u64_e64 s13, v[2:3], v[14:15]
	v_mov_b64_e32 v[2:3], v[0:1]
	s_and_saveexec_b32 s77, s13
; %bb.22927:                            ;   in Loop: Header=BB6_22365 Depth=3
	v_bfe_u32 v2, v0, 21, 1
	v_mov_b32_e32 v3, v113
	s_delay_alu instid0(VALU_DEP_1) | instskip(NEXT) | instid1(VALU_DEP_1)
	v_add_nc_u64_e32 v[2:3], v[0:1], v[2:3]
	v_add_nc_u64_e32 v[2:3], -1, v[2:3]
; %bb.22928:                            ;   in Loop: Header=BB6_22365 Depth=3
	s_or_b32 exec_lo, exec_lo, s77
	v_add_nc_u32_e32 v1, 0xffffff81, v5
	v_lshrrev_b32_e32 v3, 23, v0
	s_mov_b32 s13, exec_lo
	s_delay_alu instid0(VALU_DEP_2) | instskip(NEXT) | instid1(VALU_DEP_1)
	v_cndmask_b32_e64 v1, v1, 0xffffff82, vcc_lo
	v_add3_u32 v3, v12, v1, v3
	v_and_b32_e32 v1, 0x1fffff, v2
                                        ; implicit-def: $vgpr2
	s_delay_alu instid0(VALU_DEP_1) | instskip(SKIP_1) | instid1(VALU_DEP_2)
	v_dual_add_nc_u32 v5, 14, v3 :: v_dual_add_nc_u32 v0, v1, v0
	v_mov_b32_e32 v1, v113
	v_cmpx_ne_u32_e32 0, v5
	s_xor_b32 s13, exec_lo, s13
; %bb.22929:                            ;   in Loop: Header=BB6_22365 Depth=3
	s_delay_alu instid0(VALU_DEP_2) | instskip(SKIP_2) | instid1(VALU_DEP_2)
	v_cmp_lt_u64_e32 vcc_lo, 0xffffff, v[0:1]
	v_add_nc_u32_e32 v2, 15, v3
	v_cndmask_b32_e64 v3, 0, 1, vcc_lo
	v_cndmask_b32_e32 v2, v5, v2, vcc_lo
	s_delay_alu instid0(VALU_DEP_2)
	v_lshrrev_b64 v[0:1], v3, v[0:1]
; %bb.22930:                            ;   in Loop: Header=BB6_22365 Depth=3
	s_and_not1_saveexec_b32 s13, s13
; %bb.22931:                            ;   in Loop: Header=BB6_22365 Depth=3
	s_delay_alu instid0(VALU_DEP_1)
	v_bfe_u32 v2, v0, 23, 1
; %bb.22932:                            ;   in Loop: Header=BB6_22365 Depth=3
	s_or_b32 exec_lo, exec_lo, s13
	s_delay_alu instid0(VALU_DEP_2) | instskip(NEXT) | instid1(VALU_DEP_2)
	v_lshrrev_b64 v[0:1], 21, v[0:1]
	v_cmp_gt_i32_e32 vcc_lo, 32, v2
	v_min_i32_e32 v3, 31, v2
	v_cmp_eq_u32_e64 s13, 0, v2
	s_delay_alu instid0(VALU_DEP_2) | instskip(SKIP_1) | instid1(VALU_DEP_2)
	v_dual_cndmask_b32 v1, 0, v1, vcc_lo :: v_dual_lshlrev_b32 v3, 2, v3
	v_cndmask_b32_e32 v0, 3, v0, vcc_lo
	v_and_b32_e32 v3, 0xfc, v3
	s_delay_alu instid0(VALU_DEP_2) | instskip(NEXT) | instid1(VALU_DEP_2)
	v_cmp_eq_u64_e32 vcc_lo, 0, v[0:1]
	v_and_or_b32 v0, v0, 3, v3
	s_and_b32 s13, s13, vcc_lo
	s_delay_alu instid0(VALU_DEP_1) | instid1(SALU_CYCLE_1)
	v_cndmask_b32_e64 v0, v0, 0, s13
	s_delay_alu instid0(VALU_DEP_1)
	v_or_b32_e32 v42, v0, v4
.LBB6_22933:                            ;   in Loop: Header=BB6_22365 Depth=3
	s_or_b32 exec_lo, exec_lo, s76
                                        ; implicit-def: $vgpr4
.LBB6_22934:                            ;   in Loop: Header=BB6_22365 Depth=3
	s_and_not1_saveexec_b32 s13, s75
; %bb.22935:                            ;   in Loop: Header=BB6_22365 Depth=3
	v_or_b32_e32 v42, 0x7b, v4
; %bb.22936:                            ;   in Loop: Header=BB6_22365 Depth=3
	s_or_b32 exec_lo, exec_lo, s13
                                        ; implicit-def: $vgpr2
                                        ; implicit-def: $vgpr0_vgpr1
                                        ; implicit-def: $vgpr3
.LBB6_22937:                            ;   in Loop: Header=BB6_22365 Depth=3
	s_and_not1_saveexec_b32 s13, s74
	s_cbranch_execz .LBB6_22943
; %bb.22938:                            ;   in Loop: Header=BB6_22365 Depth=3
	s_mov_b32 s74, exec_lo
                                        ; implicit-def: $vgpr42
	v_cmpx_ne_u64_e32 0, v[0:1]
	s_xor_b32 s74, exec_lo, s74
; %bb.22939:                            ;   in Loop: Header=BB6_22365 Depth=3
	v_or_b32_e32 v42, 0x7f, v3
                                        ; implicit-def: $vgpr2
; %bb.22940:                            ;   in Loop: Header=BB6_22365 Depth=3
	s_and_not1_saveexec_b32 s74, s74
; %bb.22941:                            ;   in Loop: Header=BB6_22365 Depth=3
	v_cmp_lt_i32_e32 vcc_lo, -1, v2
	v_mov_b32_e32 v0, 0x7c
	s_delay_alu instid0(VALU_DEP_1)
	v_cndmask_b32_e32 v42, 0xfc, v0, vcc_lo
; %bb.22942:                            ;   in Loop: Header=BB6_22365 Depth=3
	s_or_b32 exec_lo, exec_lo, s74
.LBB6_22943:                            ;   in Loop: Header=BB6_22365 Depth=3
	s_delay_alu instid0(SALU_CYCLE_1)
	s_or_b32 exec_lo, exec_lo, s13
	v_mov_b32_e32 v1, 0
	s_mov_b32 s13, exec_lo
	v_cmpx_lt_u32_e32 0xffffff, v8
	s_cbranch_execz .LBB6_22953
; %bb.22944:                            ;   in Loop: Header=BB6_22365 Depth=3
	v_lshrrev_b32_e32 v0, 24, v8
	v_bfrev_b32_e32 v1, 1
	s_mov_b32 s74, exec_lo
	s_delay_alu instid0(VALU_DEP_2)
	v_cmpx_ne_u32_e32 0x80, v0
	s_cbranch_execz .LBB6_22952
; %bb.22945:                            ;   in Loop: Header=BB6_22365 Depth=3
	v_and_b32_e32 v1, 0x7c000000, v8
	v_bfe_u32 v2, v8, 24, 2
	s_delay_alu instid0(VALU_DEP_2) | instskip(SKIP_1) | instid1(SALU_CYCLE_1)
	v_cmp_ne_u32_e32 vcc_lo, 0x7c000000, v1
                                        ; implicit-def: $vgpr1
	s_and_saveexec_b32 s75, vcc_lo
	s_xor_b32 s75, exec_lo, s75
	s_cbranch_execz .LBB6_22949
; %bb.22946:                            ;   in Loop: Header=BB6_22365 Depth=3
	v_bfe_u32 v1, v8, 26, 5
	s_mov_b32 s76, exec_lo
	s_delay_alu instid0(VALU_DEP_1)
	v_cmpx_eq_u32_e32 0, v1
; %bb.22947:                            ;   in Loop: Header=BB6_22365 Depth=3
	v_clz_i32_u32_e32 v1, v2
	s_delay_alu instid0(VALU_DEP_1) | instskip(NEXT) | instid1(VALU_DEP_1)
	v_min_u32_e32 v2, 32, v1
	v_subrev_nc_u32_e32 v1, 29, v2
	s_delay_alu instid0(VALU_DEP_1) | instskip(NEXT) | instid1(VALU_DEP_1)
	v_lshlrev_b64_e32 v[0:1], v1, v[0:1]
	v_dual_sub_nc_u32 v1, 30, v2 :: v_dual_bitop2_b32 v2, 3, v0 bitop3:0x40
; %bb.22948:                            ;   in Loop: Header=BB6_22365 Depth=3
	s_or_b32 exec_lo, exec_lo, s76
	v_and_b32_e32 v0, 0x80000000, v8
	s_delay_alu instid0(VALU_DEP_1) | instskip(NEXT) | instid1(VALU_DEP_1)
	v_lshl_add_u32 v0, v1, 23, v0
	v_lshl_or_b32 v0, v2, 21, v0
                                        ; implicit-def: $vgpr2
	s_delay_alu instid0(VALU_DEP_1)
	v_add_nc_u32_e32 v1, 0x38000000, v0
.LBB6_22949:                            ;   in Loop: Header=BB6_22365 Depth=3
	s_and_not1_saveexec_b32 s75, s75
; %bb.22950:                            ;   in Loop: Header=BB6_22365 Depth=3
	v_cmp_lt_i32_e32 vcc_lo, -1, v8
	v_mov_b32_e32 v0, 0x7f800000
	s_delay_alu instid0(VALU_DEP_1) | instskip(SKIP_1) | instid1(VALU_DEP_2)
	v_cndmask_b32_e32 v0, 0xff800000, v0, vcc_lo
	v_cmp_eq_u32_e32 vcc_lo, 0, v2
	v_cndmask_b32_e32 v1, 0x7f800001, v0, vcc_lo
; %bb.22951:                            ;   in Loop: Header=BB6_22365 Depth=3
	s_or_b32 exec_lo, exec_lo, s75
.LBB6_22952:                            ;   in Loop: Header=BB6_22365 Depth=3
	s_delay_alu instid0(SALU_CYCLE_1)
	s_or_b32 exec_lo, exec_lo, s74
.LBB6_22953:                            ;   in Loop: Header=BB6_22365 Depth=3
	s_delay_alu instid0(SALU_CYCLE_1) | instskip(NEXT) | instid1(VALU_DEP_1)
	s_or_b32 exec_lo, exec_lo, s13
	v_dual_mul_f32 v2, s73, v1 :: v_dual_mov_b32 v5, v113
	v_mov_b32_e32 v1, v113
                                        ; implicit-def: $vgpr44
	s_mov_b32 s13, exec_lo
	s_delay_alu instid0(VALU_DEP_2) | instskip(SKIP_2) | instid1(VALU_DEP_3)
	v_and_b32_e32 v4, 0x7f800000, v2
	v_and_b32_e32 v0, 0x7fffff, v2
	v_lshrrev_b32_e32 v3, 24, v2
	v_cmpx_ne_u64_e32 0x7f800000, v[4:5]
	s_xor_b32 s74, exec_lo, s13
	s_cbranch_execz .LBB6_22967
; %bb.22954:                            ;   in Loop: Header=BB6_22365 Depth=3
	v_and_b32_e32 v4, 0x7fffffff, v2
	v_mov_b32_e32 v5, v113
                                        ; implicit-def: $vgpr44
	s_delay_alu instid0(VALU_DEP_1) | instskip(SKIP_2) | instid1(SALU_CYCLE_1)
	v_cmp_gt_u64_e32 vcc_lo, 0x47600001, v[4:5]
	v_and_b32_e32 v4, 0x80, v3
	s_and_saveexec_b32 s13, vcc_lo
	s_xor_b32 s75, exec_lo, s13
	s_cbranch_execz .LBB6_22964
; %bb.22955:                            ;   in Loop: Header=BB6_22365 Depth=3
	v_mov_b32_e32 v44, 0
	s_mov_b32 s76, exec_lo
	v_cmpx_ne_u32_e32 0, v2
	s_cbranch_execz .LBB6_22963
; %bb.22956:                            ;   in Loop: Header=BB6_22365 Depth=3
	v_bfe_u32 v5, v2, 23, 8
	v_or_b32_e32 v13, 0x800000, v0
	s_delay_alu instid0(VALU_DEP_2) | instskip(SKIP_1) | instid1(VALU_DEP_2)
	v_sub_nc_u32_e32 v2, 0x71, v5
	v_cmp_gt_u32_e32 vcc_lo, 0x72, v5
	v_cndmask_b32_e32 v2, 0, v2, vcc_lo
	v_cmp_eq_u32_e32 vcc_lo, 0, v5
	s_delay_alu instid0(VALU_DEP_2) | instskip(SKIP_1) | instid1(VALU_DEP_2)
	v_cndmask_b32_e64 v12, v2, 0x70, vcc_lo
	v_cndmask_b32_e32 v0, v13, v0, vcc_lo
	v_dual_add_nc_u32 v2, 21, v12 :: v_dual_add_nc_u32 v14, 20, v12
	s_delay_alu instid0(VALU_DEP_1) | instskip(NEXT) | instid1(VALU_DEP_2)
	v_lshlrev_b64_e64 v[2:3], v2, -1
	v_lshlrev_b64_e64 v[14:15], v14, 1
	s_delay_alu instid0(VALU_DEP_2) | instskip(SKIP_1) | instid1(VALU_DEP_4)
	v_bfi_b32 v2, v2, 0, v0
	v_lshrrev_b64 v[0:1], v12, v[0:1]
	v_bfi_b32 v3, v3, 0, 0
	s_delay_alu instid0(VALU_DEP_1) | instskip(NEXT) | instid1(VALU_DEP_3)
	v_cmp_eq_u64_e64 s13, v[2:3], v[14:15]
	v_mov_b64_e32 v[2:3], v[0:1]
	s_and_saveexec_b32 s77, s13
; %bb.22957:                            ;   in Loop: Header=BB6_22365 Depth=3
	v_bfe_u32 v2, v0, 21, 1
	v_mov_b32_e32 v3, v113
	s_delay_alu instid0(VALU_DEP_1) | instskip(NEXT) | instid1(VALU_DEP_1)
	v_add_nc_u64_e32 v[2:3], v[0:1], v[2:3]
	v_add_nc_u64_e32 v[2:3], -1, v[2:3]
; %bb.22958:                            ;   in Loop: Header=BB6_22365 Depth=3
	s_or_b32 exec_lo, exec_lo, s77
	v_add_nc_u32_e32 v1, 0xffffff81, v5
	v_lshrrev_b32_e32 v3, 23, v0
	s_mov_b32 s13, exec_lo
	s_delay_alu instid0(VALU_DEP_2) | instskip(NEXT) | instid1(VALU_DEP_1)
	v_cndmask_b32_e64 v1, v1, 0xffffff82, vcc_lo
	v_add3_u32 v3, v12, v1, v3
	v_and_b32_e32 v1, 0x1fffff, v2
                                        ; implicit-def: $vgpr2
	s_delay_alu instid0(VALU_DEP_1) | instskip(SKIP_1) | instid1(VALU_DEP_2)
	v_dual_add_nc_u32 v5, 14, v3 :: v_dual_add_nc_u32 v0, v1, v0
	v_mov_b32_e32 v1, v113
	v_cmpx_ne_u32_e32 0, v5
	s_xor_b32 s13, exec_lo, s13
; %bb.22959:                            ;   in Loop: Header=BB6_22365 Depth=3
	s_delay_alu instid0(VALU_DEP_2) | instskip(SKIP_2) | instid1(VALU_DEP_2)
	v_cmp_lt_u64_e32 vcc_lo, 0xffffff, v[0:1]
	v_add_nc_u32_e32 v2, 15, v3
	v_cndmask_b32_e64 v3, 0, 1, vcc_lo
	v_cndmask_b32_e32 v2, v5, v2, vcc_lo
	s_delay_alu instid0(VALU_DEP_2)
	v_lshrrev_b64 v[0:1], v3, v[0:1]
; %bb.22960:                            ;   in Loop: Header=BB6_22365 Depth=3
	s_and_not1_saveexec_b32 s13, s13
; %bb.22961:                            ;   in Loop: Header=BB6_22365 Depth=3
	s_delay_alu instid0(VALU_DEP_1)
	v_bfe_u32 v2, v0, 23, 1
; %bb.22962:                            ;   in Loop: Header=BB6_22365 Depth=3
	s_or_b32 exec_lo, exec_lo, s13
	s_delay_alu instid0(VALU_DEP_2) | instskip(NEXT) | instid1(VALU_DEP_2)
	v_lshrrev_b64 v[0:1], 21, v[0:1]
	v_cmp_gt_i32_e32 vcc_lo, 32, v2
	v_min_i32_e32 v3, 31, v2
	v_cmp_eq_u32_e64 s13, 0, v2
	s_delay_alu instid0(VALU_DEP_2) | instskip(SKIP_1) | instid1(VALU_DEP_2)
	v_dual_cndmask_b32 v1, 0, v1, vcc_lo :: v_dual_lshlrev_b32 v3, 2, v3
	v_cndmask_b32_e32 v0, 3, v0, vcc_lo
	v_and_b32_e32 v3, 0xfc, v3
	s_delay_alu instid0(VALU_DEP_2) | instskip(NEXT) | instid1(VALU_DEP_2)
	v_cmp_eq_u64_e32 vcc_lo, 0, v[0:1]
	v_and_or_b32 v0, v0, 3, v3
	s_and_b32 s13, s13, vcc_lo
	s_delay_alu instid0(VALU_DEP_1) | instid1(SALU_CYCLE_1)
	v_cndmask_b32_e64 v0, v0, 0, s13
	s_delay_alu instid0(VALU_DEP_1)
	v_or_b32_e32 v44, v0, v4
.LBB6_22963:                            ;   in Loop: Header=BB6_22365 Depth=3
	s_or_b32 exec_lo, exec_lo, s76
                                        ; implicit-def: $vgpr4
.LBB6_22964:                            ;   in Loop: Header=BB6_22365 Depth=3
	s_and_not1_saveexec_b32 s13, s75
; %bb.22965:                            ;   in Loop: Header=BB6_22365 Depth=3
	v_or_b32_e32 v44, 0x7b, v4
; %bb.22966:                            ;   in Loop: Header=BB6_22365 Depth=3
	s_or_b32 exec_lo, exec_lo, s13
                                        ; implicit-def: $vgpr2
                                        ; implicit-def: $vgpr0_vgpr1
                                        ; implicit-def: $vgpr3
.LBB6_22967:                            ;   in Loop: Header=BB6_22365 Depth=3
	s_and_not1_saveexec_b32 s13, s74
	s_cbranch_execz .LBB6_22973
; %bb.22968:                            ;   in Loop: Header=BB6_22365 Depth=3
	s_mov_b32 s74, exec_lo
                                        ; implicit-def: $vgpr44
	v_cmpx_ne_u64_e32 0, v[0:1]
	s_xor_b32 s74, exec_lo, s74
; %bb.22969:                            ;   in Loop: Header=BB6_22365 Depth=3
	v_or_b32_e32 v44, 0x7f, v3
                                        ; implicit-def: $vgpr2
; %bb.22970:                            ;   in Loop: Header=BB6_22365 Depth=3
	s_and_not1_saveexec_b32 s74, s74
; %bb.22971:                            ;   in Loop: Header=BB6_22365 Depth=3
	v_cmp_lt_i32_e32 vcc_lo, -1, v2
	v_mov_b32_e32 v0, 0x7c
	s_delay_alu instid0(VALU_DEP_1)
	v_cndmask_b32_e32 v44, 0xfc, v0, vcc_lo
; %bb.22972:                            ;   in Loop: Header=BB6_22365 Depth=3
	s_or_b32 exec_lo, exec_lo, s74
.LBB6_22973:                            ;   in Loop: Header=BB6_22365 Depth=3
	s_delay_alu instid0(SALU_CYCLE_1) | instskip(SKIP_4) | instid1(VALU_DEP_3)
	s_or_b32 exec_lo, exec_lo, s13
	v_and_b32_e32 v2, 0xff, v9
	v_dual_mov_b32 v0, v9 :: v_dual_mov_b32 v1, v113
	v_mov_b32_e32 v3, 0
	s_mov_b32 s13, exec_lo
	v_cmpx_ne_u16_e32 0, v2
	s_cbranch_execz .LBB6_22983
; %bb.22974:                            ;   in Loop: Header=BB6_22365 Depth=3
	v_bfrev_b32_e32 v3, 1
	s_mov_b32 s74, exec_lo
	v_cmpx_ne_u16_e32 0x80, v2
	s_cbranch_execz .LBB6_22982
; %bb.22975:                            ;   in Loop: Header=BB6_22365 Depth=3
	v_and_b32_e32 v3, 0x7c, v9
	v_and_b32_e32 v2, 3, v9
	s_delay_alu instid0(VALU_DEP_2) | instskip(SKIP_1) | instid1(SALU_CYCLE_1)
	v_cmp_ne_u32_e32 vcc_lo, 0x7c, v3
                                        ; implicit-def: $vgpr3
	s_and_saveexec_b32 s75, vcc_lo
	s_xor_b32 s75, exec_lo, s75
	s_cbranch_execz .LBB6_22979
; %bb.22976:                            ;   in Loop: Header=BB6_22365 Depth=3
	v_bfe_u32 v3, v9, 2, 5
	s_mov_b32 s76, exec_lo
	s_delay_alu instid0(VALU_DEP_1)
	v_cmpx_eq_u32_e32 0, v3
; %bb.22977:                            ;   in Loop: Header=BB6_22365 Depth=3
	v_clz_i32_u32_e32 v2, v2
	s_delay_alu instid0(VALU_DEP_1) | instskip(NEXT) | instid1(VALU_DEP_1)
	v_min_u32_e32 v4, 32, v2
	v_subrev_nc_u32_e32 v2, 29, v4
	s_delay_alu instid0(VALU_DEP_1) | instskip(NEXT) | instid1(VALU_DEP_1)
	v_lshlrev_b64_e32 v[2:3], v2, v[0:1]
	v_dual_sub_nc_u32 v3, 30, v4 :: v_dual_bitop2_b32 v2, 3, v2 bitop3:0x40
; %bb.22978:                            ;   in Loop: Header=BB6_22365 Depth=3
	s_or_b32 exec_lo, exec_lo, s76
	v_lshlrev_b32_e32 v1, 24, v9
	s_delay_alu instid0(VALU_DEP_1) | instskip(NEXT) | instid1(VALU_DEP_1)
	v_and_b32_e32 v1, 0x80000000, v1
	v_lshl_add_u32 v1, v3, 23, v1
	s_delay_alu instid0(VALU_DEP_1) | instskip(NEXT) | instid1(VALU_DEP_1)
	v_lshl_or_b32 v1, v2, 21, v1
                                        ; implicit-def: $vgpr2
	v_add_nc_u32_e32 v3, 0x38000000, v1
.LBB6_22979:                            ;   in Loop: Header=BB6_22365 Depth=3
	s_and_not1_saveexec_b32 s75, s75
; %bb.22980:                            ;   in Loop: Header=BB6_22365 Depth=3
	v_bfe_i32 v1, v9, 0, 8
	s_delay_alu instid0(VALU_DEP_1) | instskip(SKIP_1) | instid1(VALU_DEP_1)
	v_cmp_lt_i16_e32 vcc_lo, -1, v1
	v_mov_b32_e32 v1, 0x7f800000
	v_cndmask_b32_e32 v1, 0xff800000, v1, vcc_lo
	v_cmp_eq_u32_e32 vcc_lo, 0, v2
	s_delay_alu instid0(VALU_DEP_2)
	v_cndmask_b32_e32 v3, 0x7f800001, v1, vcc_lo
; %bb.22981:                            ;   in Loop: Header=BB6_22365 Depth=3
	s_or_b32 exec_lo, exec_lo, s75
.LBB6_22982:                            ;   in Loop: Header=BB6_22365 Depth=3
	s_delay_alu instid0(SALU_CYCLE_1)
	s_or_b32 exec_lo, exec_lo, s74
.LBB6_22983:                            ;   in Loop: Header=BB6_22365 Depth=3
	s_delay_alu instid0(SALU_CYCLE_1) | instskip(NEXT) | instid1(VALU_DEP_1)
	s_or_b32 exec_lo, exec_lo, s13
	v_dual_mul_f32 v4, s73, v3 :: v_dual_mov_b32 v13, v113
	v_mov_b32_e32 v3, v113
                                        ; implicit-def: $vgpr101
	s_mov_b32 s13, exec_lo
	s_delay_alu instid0(VALU_DEP_2) | instskip(SKIP_2) | instid1(VALU_DEP_3)
	v_and_b32_e32 v12, 0x7f800000, v4
	v_and_b32_e32 v2, 0x7fffff, v4
	v_lshrrev_b32_e32 v1, 24, v4
	v_cmpx_ne_u64_e32 0x7f800000, v[12:13]
	s_xor_b32 s74, exec_lo, s13
	s_cbranch_execz .LBB6_22997
; %bb.22984:                            ;   in Loop: Header=BB6_22365 Depth=3
	v_and_b32_e32 v12, 0x7fffffff, v4
	v_mov_b32_e32 v13, v113
	v_and_b32_e32 v1, 0x80, v1
                                        ; implicit-def: $vgpr101
	s_mov_b32 s13, exec_lo
	s_delay_alu instid0(VALU_DEP_2)
	v_cmpx_gt_u64_e32 0x47600001, v[12:13]
	s_xor_b32 s75, exec_lo, s13
	s_cbranch_execz .LBB6_22994
; %bb.22985:                            ;   in Loop: Header=BB6_22365 Depth=3
	v_mov_b32_e32 v101, 0
	s_mov_b32 s76, exec_lo
	v_cmpx_ne_u32_e32 0, v4
	s_cbranch_execz .LBB6_22993
; %bb.22986:                            ;   in Loop: Header=BB6_22365 Depth=3
	v_bfe_u32 v12, v4, 23, 8
	v_or_b32_e32 v14, 0x800000, v2
	s_delay_alu instid0(VALU_DEP_2) | instskip(SKIP_1) | instid1(VALU_DEP_2)
	v_sub_nc_u32_e32 v4, 0x71, v12
	v_cmp_gt_u32_e32 vcc_lo, 0x72, v12
	v_cndmask_b32_e32 v4, 0, v4, vcc_lo
	v_cmp_eq_u32_e32 vcc_lo, 0, v12
	s_delay_alu instid0(VALU_DEP_2) | instskip(NEXT) | instid1(VALU_DEP_1)
	v_cndmask_b32_e64 v13, v4, 0x70, vcc_lo
	v_dual_cndmask_b32 v2, v14, v2, vcc_lo :: v_dual_add_nc_u32 v4, 21, v13
	v_add_nc_u32_e32 v15, 20, v13
	s_delay_alu instid0(VALU_DEP_2) | instskip(NEXT) | instid1(VALU_DEP_2)
	v_lshlrev_b64_e64 v[4:5], v4, -1
	v_lshlrev_b64_e64 v[14:15], v15, 1
	s_delay_alu instid0(VALU_DEP_2) | instskip(SKIP_1) | instid1(VALU_DEP_4)
	v_bfi_b32 v4, v4, 0, v2
	v_lshrrev_b64 v[2:3], v13, v[2:3]
	v_bfi_b32 v5, v5, 0, 0
	s_delay_alu instid0(VALU_DEP_1) | instskip(NEXT) | instid1(VALU_DEP_3)
	v_cmp_eq_u64_e64 s13, v[4:5], v[14:15]
	v_mov_b64_e32 v[4:5], v[2:3]
	s_and_saveexec_b32 s77, s13
; %bb.22987:                            ;   in Loop: Header=BB6_22365 Depth=3
	v_bfe_u32 v4, v2, 21, 1
	v_mov_b32_e32 v5, v113
	s_delay_alu instid0(VALU_DEP_1) | instskip(NEXT) | instid1(VALU_DEP_1)
	v_add_nc_u64_e32 v[4:5], v[2:3], v[4:5]
	v_add_nc_u64_e32 v[4:5], -1, v[4:5]
; %bb.22988:                            ;   in Loop: Header=BB6_22365 Depth=3
	s_or_b32 exec_lo, exec_lo, s77
	v_add_nc_u32_e32 v3, 0xffffff81, v12
	v_lshrrev_b32_e32 v5, 23, v2
	s_mov_b32 s13, exec_lo
	s_delay_alu instid0(VALU_DEP_2) | instskip(NEXT) | instid1(VALU_DEP_1)
	v_cndmask_b32_e64 v3, v3, 0xffffff82, vcc_lo
	v_add3_u32 v5, v13, v3, v5
	v_and_b32_e32 v3, 0x1fffff, v4
                                        ; implicit-def: $vgpr4
	s_delay_alu instid0(VALU_DEP_1) | instskip(SKIP_1) | instid1(VALU_DEP_2)
	v_dual_add_nc_u32 v12, 14, v5 :: v_dual_add_nc_u32 v2, v3, v2
	v_mov_b32_e32 v3, v113
	v_cmpx_ne_u32_e32 0, v12
	s_xor_b32 s13, exec_lo, s13
; %bb.22989:                            ;   in Loop: Header=BB6_22365 Depth=3
	s_delay_alu instid0(VALU_DEP_2) | instskip(SKIP_2) | instid1(VALU_DEP_2)
	v_cmp_lt_u64_e32 vcc_lo, 0xffffff, v[2:3]
	v_add_nc_u32_e32 v4, 15, v5
	v_cndmask_b32_e64 v5, 0, 1, vcc_lo
	v_cndmask_b32_e32 v4, v12, v4, vcc_lo
	s_delay_alu instid0(VALU_DEP_2)
	v_lshrrev_b64 v[2:3], v5, v[2:3]
; %bb.22990:                            ;   in Loop: Header=BB6_22365 Depth=3
	s_and_not1_saveexec_b32 s13, s13
; %bb.22991:                            ;   in Loop: Header=BB6_22365 Depth=3
	s_delay_alu instid0(VALU_DEP_1)
	v_bfe_u32 v4, v2, 23, 1
; %bb.22992:                            ;   in Loop: Header=BB6_22365 Depth=3
	s_or_b32 exec_lo, exec_lo, s13
	s_delay_alu instid0(VALU_DEP_2) | instskip(NEXT) | instid1(VALU_DEP_2)
	v_lshrrev_b64 v[2:3], 21, v[2:3]
	v_cmp_gt_i32_e32 vcc_lo, 32, v4
	v_min_i32_e32 v5, 31, v4
	v_cmp_eq_u32_e64 s13, 0, v4
	s_delay_alu instid0(VALU_DEP_2) | instskip(SKIP_1) | instid1(VALU_DEP_2)
	v_dual_cndmask_b32 v3, 0, v3, vcc_lo :: v_dual_lshlrev_b32 v5, 2, v5
	v_cndmask_b32_e32 v2, 3, v2, vcc_lo
	v_and_b32_e32 v5, 0xfc, v5
	s_delay_alu instid0(VALU_DEP_2) | instskip(NEXT) | instid1(VALU_DEP_2)
	v_cmp_eq_u64_e32 vcc_lo, 0, v[2:3]
	v_and_or_b32 v2, v2, 3, v5
	s_and_b32 s13, s13, vcc_lo
	s_delay_alu instid0(VALU_DEP_1) | instid1(SALU_CYCLE_1)
	v_cndmask_b32_e64 v2, v2, 0, s13
	s_delay_alu instid0(VALU_DEP_1)
	v_or_b32_e32 v101, v2, v1
.LBB6_22993:                            ;   in Loop: Header=BB6_22365 Depth=3
	s_or_b32 exec_lo, exec_lo, s76
                                        ; implicit-def: $vgpr1
.LBB6_22994:                            ;   in Loop: Header=BB6_22365 Depth=3
	s_and_not1_saveexec_b32 s13, s75
; %bb.22995:                            ;   in Loop: Header=BB6_22365 Depth=3
	v_or_b32_e32 v101, 0x7b, v1
; %bb.22996:                            ;   in Loop: Header=BB6_22365 Depth=3
	s_or_b32 exec_lo, exec_lo, s13
                                        ; implicit-def: $vgpr4
                                        ; implicit-def: $vgpr2_vgpr3
                                        ; implicit-def: $vgpr1
.LBB6_22997:                            ;   in Loop: Header=BB6_22365 Depth=3
	s_and_not1_saveexec_b32 s13, s74
	s_cbranch_execz .LBB6_23003
; %bb.22998:                            ;   in Loop: Header=BB6_22365 Depth=3
	s_mov_b32 s74, exec_lo
                                        ; implicit-def: $vgpr101
	v_cmpx_ne_u64_e32 0, v[2:3]
	s_xor_b32 s74, exec_lo, s74
; %bb.22999:                            ;   in Loop: Header=BB6_22365 Depth=3
	v_or_b32_e32 v101, 0x7f, v1
                                        ; implicit-def: $vgpr4
; %bb.23000:                            ;   in Loop: Header=BB6_22365 Depth=3
	s_and_not1_saveexec_b32 s74, s74
; %bb.23001:                            ;   in Loop: Header=BB6_22365 Depth=3
	v_cmp_lt_i32_e32 vcc_lo, -1, v4
	v_mov_b32_e32 v1, 0x7c
	s_delay_alu instid0(VALU_DEP_1)
	v_cndmask_b32_e32 v101, 0xfc, v1, vcc_lo
; %bb.23002:                            ;   in Loop: Header=BB6_22365 Depth=3
	s_or_b32 exec_lo, exec_lo, s74
.LBB6_23003:                            ;   in Loop: Header=BB6_22365 Depth=3
	s_delay_alu instid0(SALU_CYCLE_1) | instskip(SKIP_3) | instid1(VALU_DEP_2)
	s_or_b32 exec_lo, exec_lo, s13
	v_lshrrev_b16 v2, 8, v0
	v_mov_b32_e32 v4, 0
	s_mov_b32 s13, exec_lo
	v_cmpx_ne_u16_e32 0, v2
	s_cbranch_execz .LBB6_23013
; %bb.23004:                            ;   in Loop: Header=BB6_22365 Depth=3
	v_bfrev_b32_e32 v4, 1
	s_mov_b32 s74, exec_lo
	v_cmpx_ne_u16_e32 0x80, v2
	s_cbranch_execz .LBB6_23012
; %bb.23005:                            ;   in Loop: Header=BB6_22365 Depth=3
	v_and_b32_e32 v1, 0xffff, v2
	s_delay_alu instid0(VALU_DEP_1) | instskip(SKIP_1) | instid1(VALU_DEP_2)
	v_and_b32_e32 v4, 0x7c, v1
	v_and_b32_e32 v3, 3, v1
	v_cmp_ne_u32_e32 vcc_lo, 0x7c, v4
                                        ; implicit-def: $vgpr4
	s_and_saveexec_b32 s75, vcc_lo
	s_delay_alu instid0(SALU_CYCLE_1)
	s_xor_b32 s75, exec_lo, s75
	s_cbranch_execz .LBB6_23009
; %bb.23006:                            ;   in Loop: Header=BB6_22365 Depth=3
	v_bfe_u32 v1, v1, 2, 5
	s_mov_b32 s76, exec_lo
	s_delay_alu instid0(VALU_DEP_1)
	v_cmpx_eq_u32_e32 0, v1
	s_cbranch_execz .LBB6_23008
; %bb.23007:                            ;   in Loop: Header=BB6_22365 Depth=3
	v_clz_i32_u32_e32 v1, v3
	s_delay_alu instid0(VALU_DEP_1) | instskip(SKIP_1) | instid1(VALU_DEP_2)
	v_min_u32_e32 v1, 32, v1
	v_mov_b32_e32 v3, v113
	v_subrev_nc_u32_e32 v4, 29, v1
	v_sub_nc_u32_e32 v1, 30, v1
	s_delay_alu instid0(VALU_DEP_2) | instskip(NEXT) | instid1(VALU_DEP_1)
	v_lshlrev_b64_e32 v[2:3], v4, v[2:3]
	v_and_b32_e32 v3, 3, v2
.LBB6_23008:                            ;   in Loop: Header=BB6_22365 Depth=3
	s_or_b32 exec_lo, exec_lo, s76
	v_lshlrev_b32_e32 v0, 16, v0
	s_delay_alu instid0(VALU_DEP_1) | instskip(NEXT) | instid1(VALU_DEP_1)
	v_and_b32_e32 v0, 0x80000000, v0
	v_lshl_add_u32 v0, v1, 23, v0
	s_delay_alu instid0(VALU_DEP_1) | instskip(NEXT) | instid1(VALU_DEP_1)
	v_lshl_or_b32 v0, v3, 21, v0
                                        ; implicit-def: $vgpr3
	v_add_nc_u32_e32 v4, 0x38000000, v0
                                        ; implicit-def: $vgpr0_vgpr1
.LBB6_23009:                            ;   in Loop: Header=BB6_22365 Depth=3
	s_and_not1_saveexec_b32 s75, s75
; %bb.23010:                            ;   in Loop: Header=BB6_22365 Depth=3
	v_cmp_lt_i16_e32 vcc_lo, -1, v0
	v_mov_b32_e32 v0, 0x7f800000
	s_delay_alu instid0(VALU_DEP_1) | instskip(SKIP_1) | instid1(VALU_DEP_2)
	v_cndmask_b32_e32 v0, 0xff800000, v0, vcc_lo
	v_cmp_eq_u32_e32 vcc_lo, 0, v3
	v_cndmask_b32_e32 v4, 0x7f800001, v0, vcc_lo
; %bb.23011:                            ;   in Loop: Header=BB6_22365 Depth=3
	s_or_b32 exec_lo, exec_lo, s75
.LBB6_23012:                            ;   in Loop: Header=BB6_22365 Depth=3
	s_delay_alu instid0(SALU_CYCLE_1)
	s_or_b32 exec_lo, exec_lo, s74
.LBB6_23013:                            ;   in Loop: Header=BB6_22365 Depth=3
	s_delay_alu instid0(SALU_CYCLE_1) | instskip(NEXT) | instid1(VALU_DEP_1)
	s_or_b32 exec_lo, exec_lo, s13
	v_dual_mul_f32 v2, s73, v4 :: v_dual_mov_b32 v5, v113
	v_mov_b32_e32 v1, v113
                                        ; implicit-def: $vgpr114
	s_mov_b32 s13, exec_lo
	s_delay_alu instid0(VALU_DEP_2) | instskip(SKIP_2) | instid1(VALU_DEP_3)
	v_and_b32_e32 v4, 0x7f800000, v2
	v_and_b32_e32 v0, 0x7fffff, v2
	v_lshrrev_b32_e32 v3, 24, v2
	v_cmpx_ne_u64_e32 0x7f800000, v[4:5]
	s_xor_b32 s74, exec_lo, s13
	s_cbranch_execz .LBB6_23027
; %bb.23014:                            ;   in Loop: Header=BB6_22365 Depth=3
	v_and_b32_e32 v4, 0x7fffffff, v2
	v_mov_b32_e32 v5, v113
                                        ; implicit-def: $vgpr114
	s_delay_alu instid0(VALU_DEP_1) | instskip(SKIP_2) | instid1(SALU_CYCLE_1)
	v_cmp_gt_u64_e32 vcc_lo, 0x47600001, v[4:5]
	v_and_b32_e32 v4, 0x80, v3
	s_and_saveexec_b32 s13, vcc_lo
	s_xor_b32 s75, exec_lo, s13
	s_cbranch_execz .LBB6_23024
; %bb.23015:                            ;   in Loop: Header=BB6_22365 Depth=3
	v_mov_b32_e32 v114, 0
	s_mov_b32 s76, exec_lo
	v_cmpx_ne_u32_e32 0, v2
	s_cbranch_execz .LBB6_23023
; %bb.23016:                            ;   in Loop: Header=BB6_22365 Depth=3
	v_bfe_u32 v5, v2, 23, 8
	v_or_b32_e32 v13, 0x800000, v0
	s_delay_alu instid0(VALU_DEP_2) | instskip(SKIP_1) | instid1(VALU_DEP_2)
	v_sub_nc_u32_e32 v2, 0x71, v5
	v_cmp_gt_u32_e32 vcc_lo, 0x72, v5
	v_cndmask_b32_e32 v2, 0, v2, vcc_lo
	v_cmp_eq_u32_e32 vcc_lo, 0, v5
	s_delay_alu instid0(VALU_DEP_2) | instskip(SKIP_1) | instid1(VALU_DEP_2)
	v_cndmask_b32_e64 v12, v2, 0x70, vcc_lo
	v_cndmask_b32_e32 v0, v13, v0, vcc_lo
	v_dual_add_nc_u32 v2, 21, v12 :: v_dual_add_nc_u32 v14, 20, v12
	s_delay_alu instid0(VALU_DEP_1) | instskip(NEXT) | instid1(VALU_DEP_2)
	v_lshlrev_b64_e64 v[2:3], v2, -1
	v_lshlrev_b64_e64 v[14:15], v14, 1
	s_delay_alu instid0(VALU_DEP_2) | instskip(SKIP_1) | instid1(VALU_DEP_4)
	v_bfi_b32 v2, v2, 0, v0
	v_lshrrev_b64 v[0:1], v12, v[0:1]
	v_bfi_b32 v3, v3, 0, 0
	s_delay_alu instid0(VALU_DEP_1) | instskip(NEXT) | instid1(VALU_DEP_3)
	v_cmp_eq_u64_e64 s13, v[2:3], v[14:15]
	v_mov_b64_e32 v[2:3], v[0:1]
	s_and_saveexec_b32 s77, s13
; %bb.23017:                            ;   in Loop: Header=BB6_22365 Depth=3
	v_bfe_u32 v2, v0, 21, 1
	v_mov_b32_e32 v3, v113
	s_delay_alu instid0(VALU_DEP_1) | instskip(NEXT) | instid1(VALU_DEP_1)
	v_add_nc_u64_e32 v[2:3], v[0:1], v[2:3]
	v_add_nc_u64_e32 v[2:3], -1, v[2:3]
; %bb.23018:                            ;   in Loop: Header=BB6_22365 Depth=3
	s_or_b32 exec_lo, exec_lo, s77
	v_add_nc_u32_e32 v1, 0xffffff81, v5
	v_lshrrev_b32_e32 v3, 23, v0
	s_mov_b32 s13, exec_lo
	s_delay_alu instid0(VALU_DEP_2) | instskip(NEXT) | instid1(VALU_DEP_1)
	v_cndmask_b32_e64 v1, v1, 0xffffff82, vcc_lo
	v_add3_u32 v3, v12, v1, v3
	v_and_b32_e32 v1, 0x1fffff, v2
                                        ; implicit-def: $vgpr2
	s_delay_alu instid0(VALU_DEP_1) | instskip(SKIP_1) | instid1(VALU_DEP_2)
	v_dual_add_nc_u32 v5, 14, v3 :: v_dual_add_nc_u32 v0, v1, v0
	v_mov_b32_e32 v1, v113
	v_cmpx_ne_u32_e32 0, v5
	s_xor_b32 s13, exec_lo, s13
; %bb.23019:                            ;   in Loop: Header=BB6_22365 Depth=3
	s_delay_alu instid0(VALU_DEP_2) | instskip(SKIP_2) | instid1(VALU_DEP_2)
	v_cmp_lt_u64_e32 vcc_lo, 0xffffff, v[0:1]
	v_add_nc_u32_e32 v2, 15, v3
	v_cndmask_b32_e64 v3, 0, 1, vcc_lo
	v_cndmask_b32_e32 v2, v5, v2, vcc_lo
	s_delay_alu instid0(VALU_DEP_2)
	v_lshrrev_b64 v[0:1], v3, v[0:1]
; %bb.23020:                            ;   in Loop: Header=BB6_22365 Depth=3
	s_and_not1_saveexec_b32 s13, s13
; %bb.23021:                            ;   in Loop: Header=BB6_22365 Depth=3
	s_delay_alu instid0(VALU_DEP_1)
	v_bfe_u32 v2, v0, 23, 1
; %bb.23022:                            ;   in Loop: Header=BB6_22365 Depth=3
	s_or_b32 exec_lo, exec_lo, s13
	s_delay_alu instid0(VALU_DEP_2) | instskip(NEXT) | instid1(VALU_DEP_2)
	v_lshrrev_b64 v[0:1], 21, v[0:1]
	v_cmp_gt_i32_e32 vcc_lo, 32, v2
	v_min_i32_e32 v3, 31, v2
	v_cmp_eq_u32_e64 s13, 0, v2
	s_delay_alu instid0(VALU_DEP_2) | instskip(SKIP_1) | instid1(VALU_DEP_2)
	v_dual_cndmask_b32 v1, 0, v1, vcc_lo :: v_dual_lshlrev_b32 v3, 2, v3
	v_cndmask_b32_e32 v0, 3, v0, vcc_lo
	v_and_b32_e32 v3, 0xfc, v3
	s_delay_alu instid0(VALU_DEP_2) | instskip(NEXT) | instid1(VALU_DEP_2)
	v_cmp_eq_u64_e32 vcc_lo, 0, v[0:1]
	v_and_or_b32 v0, v0, 3, v3
	s_and_b32 s13, s13, vcc_lo
	s_delay_alu instid0(VALU_DEP_1) | instid1(SALU_CYCLE_1)
	v_cndmask_b32_e64 v0, v0, 0, s13
	s_delay_alu instid0(VALU_DEP_1)
	v_or_b32_e32 v114, v0, v4
.LBB6_23023:                            ;   in Loop: Header=BB6_22365 Depth=3
	s_or_b32 exec_lo, exec_lo, s76
                                        ; implicit-def: $vgpr4
.LBB6_23024:                            ;   in Loop: Header=BB6_22365 Depth=3
	s_and_not1_saveexec_b32 s13, s75
; %bb.23025:                            ;   in Loop: Header=BB6_22365 Depth=3
	v_or_b32_e32 v114, 0x7b, v4
; %bb.23026:                            ;   in Loop: Header=BB6_22365 Depth=3
	s_or_b32 exec_lo, exec_lo, s13
                                        ; implicit-def: $vgpr2
                                        ; implicit-def: $vgpr0_vgpr1
                                        ; implicit-def: $vgpr3
.LBB6_23027:                            ;   in Loop: Header=BB6_22365 Depth=3
	s_and_not1_saveexec_b32 s13, s74
	s_cbranch_execz .LBB6_23033
; %bb.23028:                            ;   in Loop: Header=BB6_22365 Depth=3
	s_mov_b32 s74, exec_lo
                                        ; implicit-def: $vgpr114
	v_cmpx_ne_u64_e32 0, v[0:1]
	s_xor_b32 s74, exec_lo, s74
; %bb.23029:                            ;   in Loop: Header=BB6_22365 Depth=3
	v_or_b32_e32 v114, 0x7f, v3
                                        ; implicit-def: $vgpr2
; %bb.23030:                            ;   in Loop: Header=BB6_22365 Depth=3
	s_and_not1_saveexec_b32 s74, s74
; %bb.23031:                            ;   in Loop: Header=BB6_22365 Depth=3
	v_cmp_lt_i32_e32 vcc_lo, -1, v2
	v_mov_b32_e32 v0, 0x7c
	s_delay_alu instid0(VALU_DEP_1)
	v_cndmask_b32_e32 v114, 0xfc, v0, vcc_lo
; %bb.23032:                            ;   in Loop: Header=BB6_22365 Depth=3
	s_or_b32 exec_lo, exec_lo, s74
.LBB6_23033:                            ;   in Loop: Header=BB6_22365 Depth=3
	s_delay_alu instid0(SALU_CYCLE_1) | instskip(SKIP_2) | instid1(VALU_DEP_1)
	s_or_b32 exec_lo, exec_lo, s13
	v_dual_lshrrev_b32 v0, 16, v9 :: v_dual_mov_b32 v2, 0
	s_mov_b32 s13, exec_lo
	v_and_b32_e32 v1, 0xff, v0
	s_delay_alu instid0(VALU_DEP_1)
	v_cmpx_ne_u16_e32 0, v1
	s_cbranch_execz .LBB6_23043
; %bb.23034:                            ;   in Loop: Header=BB6_22365 Depth=3
	v_bfrev_b32_e32 v2, 1
	s_mov_b32 s74, exec_lo
	v_cmpx_ne_u16_e32 0x80, v1
	s_cbranch_execz .LBB6_23042
; %bb.23035:                            ;   in Loop: Header=BB6_22365 Depth=3
	v_and_b32_e32 v2, 0x7c0000, v9
	v_bfe_u32 v1, v9, 16, 2
	s_delay_alu instid0(VALU_DEP_2) | instskip(SKIP_1) | instid1(SALU_CYCLE_1)
	v_cmp_ne_u32_e32 vcc_lo, 0x7c0000, v2
                                        ; implicit-def: $vgpr2
	s_and_saveexec_b32 s75, vcc_lo
	s_xor_b32 s75, exec_lo, s75
	s_cbranch_execz .LBB6_23039
; %bb.23036:                            ;   in Loop: Header=BB6_22365 Depth=3
	v_bfe_u32 v2, v9, 18, 5
	s_mov_b32 s76, exec_lo
	s_delay_alu instid0(VALU_DEP_1)
	v_cmpx_eq_u32_e32 0, v2
; %bb.23037:                            ;   in Loop: Header=BB6_22365 Depth=3
	v_clz_i32_u32_e32 v1, v1
	s_delay_alu instid0(VALU_DEP_1) | instskip(NEXT) | instid1(VALU_DEP_1)
	v_min_u32_e32 v1, 32, v1
	v_subrev_nc_u32_e32 v2, 29, v1
	s_delay_alu instid0(VALU_DEP_1) | instskip(NEXT) | instid1(VALU_DEP_1)
	v_lshlrev_b64_e32 v[4:5], v2, v[0:1]
	v_dual_sub_nc_u32 v2, 30, v1 :: v_dual_bitop2_b32 v1, 3, v4 bitop3:0x40
; %bb.23038:                            ;   in Loop: Header=BB6_22365 Depth=3
	s_or_b32 exec_lo, exec_lo, s76
	v_lshlrev_b32_e32 v0, 24, v0
	s_delay_alu instid0(VALU_DEP_1) | instskip(NEXT) | instid1(VALU_DEP_1)
	v_and_b32_e32 v0, 0x80000000, v0
	v_lshl_add_u32 v0, v2, 23, v0
	s_delay_alu instid0(VALU_DEP_1) | instskip(NEXT) | instid1(VALU_DEP_1)
	v_lshl_or_b32 v0, v1, 21, v0
                                        ; implicit-def: $vgpr1
	v_add_nc_u32_e32 v2, 0x38000000, v0
                                        ; implicit-def: $vgpr0
.LBB6_23039:                            ;   in Loop: Header=BB6_22365 Depth=3
	s_and_not1_saveexec_b32 s75, s75
; %bb.23040:                            ;   in Loop: Header=BB6_22365 Depth=3
	v_bfe_i32 v0, v0, 0, 8
	s_delay_alu instid0(VALU_DEP_1) | instskip(SKIP_1) | instid1(VALU_DEP_1)
	v_cmp_lt_i16_e32 vcc_lo, -1, v0
	v_mov_b32_e32 v0, 0x7f800000
	v_cndmask_b32_e32 v0, 0xff800000, v0, vcc_lo
	v_cmp_eq_u32_e32 vcc_lo, 0, v1
	s_delay_alu instid0(VALU_DEP_2)
	v_cndmask_b32_e32 v2, 0x7f800001, v0, vcc_lo
; %bb.23041:                            ;   in Loop: Header=BB6_22365 Depth=3
	s_or_b32 exec_lo, exec_lo, s75
.LBB6_23042:                            ;   in Loop: Header=BB6_22365 Depth=3
	s_delay_alu instid0(SALU_CYCLE_1)
	s_or_b32 exec_lo, exec_lo, s74
.LBB6_23043:                            ;   in Loop: Header=BB6_22365 Depth=3
	s_delay_alu instid0(SALU_CYCLE_1) | instskip(NEXT) | instid1(VALU_DEP_1)
	s_or_b32 exec_lo, exec_lo, s13
	v_dual_mul_f32 v2, s73, v2 :: v_dual_mov_b32 v5, v113
	v_mov_b32_e32 v1, v113
                                        ; implicit-def: $vgpr117
	s_mov_b32 s13, exec_lo
	s_delay_alu instid0(VALU_DEP_2) | instskip(SKIP_2) | instid1(VALU_DEP_3)
	v_and_b32_e32 v4, 0x7f800000, v2
	v_and_b32_e32 v0, 0x7fffff, v2
	v_lshrrev_b32_e32 v3, 24, v2
	v_cmpx_ne_u64_e32 0x7f800000, v[4:5]
	s_xor_b32 s74, exec_lo, s13
	s_cbranch_execz .LBB6_23057
; %bb.23044:                            ;   in Loop: Header=BB6_22365 Depth=3
	v_and_b32_e32 v4, 0x7fffffff, v2
	v_mov_b32_e32 v5, v113
                                        ; implicit-def: $vgpr117
	s_delay_alu instid0(VALU_DEP_1) | instskip(SKIP_2) | instid1(SALU_CYCLE_1)
	v_cmp_gt_u64_e32 vcc_lo, 0x47600001, v[4:5]
	v_and_b32_e32 v4, 0x80, v3
	s_and_saveexec_b32 s13, vcc_lo
	s_xor_b32 s75, exec_lo, s13
	s_cbranch_execz .LBB6_23054
; %bb.23045:                            ;   in Loop: Header=BB6_22365 Depth=3
	v_mov_b32_e32 v117, 0
	s_mov_b32 s76, exec_lo
	v_cmpx_ne_u32_e32 0, v2
	s_cbranch_execz .LBB6_23053
; %bb.23046:                            ;   in Loop: Header=BB6_22365 Depth=3
	v_bfe_u32 v5, v2, 23, 8
	v_or_b32_e32 v3, 0x800000, v0
	s_delay_alu instid0(VALU_DEP_2) | instskip(SKIP_2) | instid1(VALU_DEP_2)
	v_cmp_gt_u32_e64 s13, 0x72, v5
	v_sub_nc_u32_e32 v2, 0x71, v5
	v_cmp_eq_u32_e32 vcc_lo, 0, v5
	v_dual_cndmask_b32 v2, 0, v2, s13 :: v_dual_cndmask_b32 v0, v3, v0, vcc_lo
	s_delay_alu instid0(VALU_DEP_1) | instskip(NEXT) | instid1(VALU_DEP_1)
	v_cndmask_b32_e64 v12, v2, 0x70, vcc_lo
	v_dual_add_nc_u32 v2, 21, v12 :: v_dual_add_nc_u32 v13, 20, v12
	s_delay_alu instid0(VALU_DEP_1) | instskip(NEXT) | instid1(VALU_DEP_2)
	v_lshlrev_b64_e64 v[2:3], v2, -1
	v_lshlrev_b64_e64 v[14:15], v13, 1
	s_delay_alu instid0(VALU_DEP_2) | instskip(SKIP_1) | instid1(VALU_DEP_4)
	v_bfi_b32 v2, v2, 0, v0
	v_lshrrev_b64 v[0:1], v12, v[0:1]
	v_bfi_b32 v3, v3, 0, 0
	s_delay_alu instid0(VALU_DEP_1) | instskip(NEXT) | instid1(VALU_DEP_3)
	v_cmp_eq_u64_e64 s13, v[2:3], v[14:15]
	v_mov_b64_e32 v[2:3], v[0:1]
	s_and_saveexec_b32 s77, s13
; %bb.23047:                            ;   in Loop: Header=BB6_22365 Depth=3
	v_bfe_u32 v2, v0, 21, 1
	v_mov_b32_e32 v3, v113
	s_delay_alu instid0(VALU_DEP_1) | instskip(NEXT) | instid1(VALU_DEP_1)
	v_add_nc_u64_e32 v[2:3], v[0:1], v[2:3]
	v_add_nc_u64_e32 v[2:3], -1, v[2:3]
; %bb.23048:                            ;   in Loop: Header=BB6_22365 Depth=3
	s_or_b32 exec_lo, exec_lo, s77
	v_add_nc_u32_e32 v1, 0xffffff81, v5
	v_lshrrev_b32_e32 v3, 23, v0
	s_mov_b32 s13, exec_lo
	s_delay_alu instid0(VALU_DEP_2) | instskip(NEXT) | instid1(VALU_DEP_1)
	v_cndmask_b32_e64 v1, v1, 0xffffff82, vcc_lo
	v_add3_u32 v3, v12, v1, v3
	v_and_b32_e32 v1, 0x1fffff, v2
                                        ; implicit-def: $vgpr2
	s_delay_alu instid0(VALU_DEP_1) | instskip(SKIP_1) | instid1(VALU_DEP_2)
	v_dual_add_nc_u32 v5, 14, v3 :: v_dual_add_nc_u32 v0, v1, v0
	v_mov_b32_e32 v1, v113
	v_cmpx_ne_u32_e32 0, v5
	s_xor_b32 s13, exec_lo, s13
; %bb.23049:                            ;   in Loop: Header=BB6_22365 Depth=3
	s_delay_alu instid0(VALU_DEP_2) | instskip(SKIP_2) | instid1(VALU_DEP_2)
	v_cmp_lt_u64_e32 vcc_lo, 0xffffff, v[0:1]
	v_add_nc_u32_e32 v2, 15, v3
	v_cndmask_b32_e64 v3, 0, 1, vcc_lo
	v_cndmask_b32_e32 v2, v5, v2, vcc_lo
	s_delay_alu instid0(VALU_DEP_2)
	v_lshrrev_b64 v[0:1], v3, v[0:1]
; %bb.23050:                            ;   in Loop: Header=BB6_22365 Depth=3
	s_and_not1_saveexec_b32 s13, s13
; %bb.23051:                            ;   in Loop: Header=BB6_22365 Depth=3
	s_delay_alu instid0(VALU_DEP_1)
	v_bfe_u32 v2, v0, 23, 1
; %bb.23052:                            ;   in Loop: Header=BB6_22365 Depth=3
	s_or_b32 exec_lo, exec_lo, s13
	s_delay_alu instid0(VALU_DEP_2) | instskip(NEXT) | instid1(VALU_DEP_2)
	v_lshrrev_b64 v[0:1], 21, v[0:1]
	v_cmp_gt_i32_e32 vcc_lo, 32, v2
	v_min_i32_e32 v3, 31, v2
	v_cmp_eq_u32_e64 s13, 0, v2
	s_delay_alu instid0(VALU_DEP_2) | instskip(SKIP_1) | instid1(VALU_DEP_2)
	v_dual_cndmask_b32 v1, 0, v1, vcc_lo :: v_dual_lshlrev_b32 v3, 2, v3
	v_cndmask_b32_e32 v0, 3, v0, vcc_lo
	v_and_b32_e32 v3, 0xfc, v3
	s_delay_alu instid0(VALU_DEP_2) | instskip(NEXT) | instid1(VALU_DEP_2)
	v_cmp_eq_u64_e32 vcc_lo, 0, v[0:1]
	v_and_or_b32 v0, v0, 3, v3
	s_and_b32 s13, s13, vcc_lo
	s_delay_alu instid0(VALU_DEP_1) | instid1(SALU_CYCLE_1)
	v_cndmask_b32_e64 v0, v0, 0, s13
	s_delay_alu instid0(VALU_DEP_1)
	v_or_b32_e32 v117, v0, v4
.LBB6_23053:                            ;   in Loop: Header=BB6_22365 Depth=3
	s_or_b32 exec_lo, exec_lo, s76
                                        ; implicit-def: $vgpr4
.LBB6_23054:                            ;   in Loop: Header=BB6_22365 Depth=3
	s_and_not1_saveexec_b32 s13, s75
; %bb.23055:                            ;   in Loop: Header=BB6_22365 Depth=3
	v_or_b32_e32 v117, 0x7b, v4
; %bb.23056:                            ;   in Loop: Header=BB6_22365 Depth=3
	s_or_b32 exec_lo, exec_lo, s13
                                        ; implicit-def: $vgpr2
                                        ; implicit-def: $vgpr0_vgpr1
                                        ; implicit-def: $vgpr3
.LBB6_23057:                            ;   in Loop: Header=BB6_22365 Depth=3
	s_and_not1_saveexec_b32 s13, s74
	s_cbranch_execz .LBB6_23063
; %bb.23058:                            ;   in Loop: Header=BB6_22365 Depth=3
	s_mov_b32 s74, exec_lo
                                        ; implicit-def: $vgpr117
	v_cmpx_ne_u64_e32 0, v[0:1]
	s_xor_b32 s74, exec_lo, s74
; %bb.23059:                            ;   in Loop: Header=BB6_22365 Depth=3
	v_or_b32_e32 v117, 0x7f, v3
                                        ; implicit-def: $vgpr2
; %bb.23060:                            ;   in Loop: Header=BB6_22365 Depth=3
	s_and_not1_saveexec_b32 s74, s74
; %bb.23061:                            ;   in Loop: Header=BB6_22365 Depth=3
	v_cmp_lt_i32_e32 vcc_lo, -1, v2
	v_mov_b32_e32 v0, 0x7c
	s_delay_alu instid0(VALU_DEP_1)
	v_cndmask_b32_e32 v117, 0xfc, v0, vcc_lo
; %bb.23062:                            ;   in Loop: Header=BB6_22365 Depth=3
	s_or_b32 exec_lo, exec_lo, s74
.LBB6_23063:                            ;   in Loop: Header=BB6_22365 Depth=3
	s_delay_alu instid0(SALU_CYCLE_1)
	s_or_b32 exec_lo, exec_lo, s13
	v_mov_b32_e32 v1, 0
	s_mov_b32 s13, exec_lo
	v_cmpx_lt_u64_e64 s[22:23], v[8:9]
	s_cbranch_execz .LBB6_23073
; %bb.23064:                            ;   in Loop: Header=BB6_22365 Depth=3
	v_lshrrev_b32_e32 v0, 24, v9
	v_bfrev_b32_e32 v1, 1
	s_mov_b32 s74, exec_lo
	s_delay_alu instid0(VALU_DEP_2)
	v_cmpx_ne_u32_e32 0x80, v0
	s_cbranch_execz .LBB6_23072
; %bb.23065:                            ;   in Loop: Header=BB6_22365 Depth=3
	v_and_b32_e32 v1, 0x7c000000, v9
	v_bfe_u32 v2, v9, 24, 2
	s_delay_alu instid0(VALU_DEP_2) | instskip(SKIP_1) | instid1(SALU_CYCLE_1)
	v_cmp_ne_u32_e32 vcc_lo, 0x7c000000, v1
                                        ; implicit-def: $vgpr1
	s_and_saveexec_b32 s75, vcc_lo
	s_xor_b32 s75, exec_lo, s75
	s_cbranch_execz .LBB6_23069
; %bb.23066:                            ;   in Loop: Header=BB6_22365 Depth=3
	v_bfe_u32 v1, v9, 26, 5
	s_mov_b32 s76, exec_lo
	s_delay_alu instid0(VALU_DEP_1)
	v_cmpx_eq_u32_e32 0, v1
; %bb.23067:                            ;   in Loop: Header=BB6_22365 Depth=3
	v_clz_i32_u32_e32 v1, v2
	s_delay_alu instid0(VALU_DEP_1) | instskip(NEXT) | instid1(VALU_DEP_1)
	v_min_u32_e32 v2, 32, v1
	v_subrev_nc_u32_e32 v1, 29, v2
	s_delay_alu instid0(VALU_DEP_1) | instskip(NEXT) | instid1(VALU_DEP_1)
	v_lshlrev_b64_e32 v[0:1], v1, v[0:1]
	v_dual_sub_nc_u32 v1, 30, v2 :: v_dual_bitop2_b32 v2, 3, v0 bitop3:0x40
; %bb.23068:                            ;   in Loop: Header=BB6_22365 Depth=3
	s_or_b32 exec_lo, exec_lo, s76
	v_and_b32_e32 v0, 0x80000000, v9
	s_delay_alu instid0(VALU_DEP_1) | instskip(NEXT) | instid1(VALU_DEP_1)
	v_lshl_add_u32 v0, v1, 23, v0
	v_lshl_or_b32 v0, v2, 21, v0
                                        ; implicit-def: $vgpr2
	s_delay_alu instid0(VALU_DEP_1)
	v_add_nc_u32_e32 v1, 0x38000000, v0
.LBB6_23069:                            ;   in Loop: Header=BB6_22365 Depth=3
	s_and_not1_saveexec_b32 s75, s75
; %bb.23070:                            ;   in Loop: Header=BB6_22365 Depth=3
	v_cmp_lt_i64_e32 vcc_lo, -1, v[8:9]
	v_mov_b32_e32 v0, 0x7f800000
	s_delay_alu instid0(VALU_DEP_1) | instskip(SKIP_1) | instid1(VALU_DEP_2)
	v_cndmask_b32_e32 v0, 0xff800000, v0, vcc_lo
	v_cmp_eq_u32_e32 vcc_lo, 0, v2
	v_cndmask_b32_e32 v1, 0x7f800001, v0, vcc_lo
; %bb.23071:                            ;   in Loop: Header=BB6_22365 Depth=3
	s_or_b32 exec_lo, exec_lo, s75
.LBB6_23072:                            ;   in Loop: Header=BB6_22365 Depth=3
	s_delay_alu instid0(SALU_CYCLE_1)
	s_or_b32 exec_lo, exec_lo, s74
.LBB6_23073:                            ;   in Loop: Header=BB6_22365 Depth=3
	s_delay_alu instid0(SALU_CYCLE_1) | instskip(NEXT) | instid1(VALU_DEP_1)
	s_or_b32 exec_lo, exec_lo, s13
	v_dual_mul_f32 v2, s73, v1 :: v_dual_mov_b32 v5, v113
	v_mov_b32_e32 v1, v113
                                        ; implicit-def: $vgpr40
	s_mov_b32 s13, exec_lo
	s_delay_alu instid0(VALU_DEP_2) | instskip(SKIP_2) | instid1(VALU_DEP_3)
	v_and_b32_e32 v4, 0x7f800000, v2
	v_and_b32_e32 v0, 0x7fffff, v2
	v_lshrrev_b32_e32 v3, 24, v2
	v_cmpx_ne_u64_e32 0x7f800000, v[4:5]
	s_xor_b32 s74, exec_lo, s13
	s_cbranch_execz .LBB6_23087
; %bb.23074:                            ;   in Loop: Header=BB6_22365 Depth=3
	v_and_b32_e32 v4, 0x7fffffff, v2
	v_mov_b32_e32 v5, v113
                                        ; implicit-def: $vgpr40
	s_delay_alu instid0(VALU_DEP_1) | instskip(SKIP_2) | instid1(SALU_CYCLE_1)
	v_cmp_gt_u64_e32 vcc_lo, 0x47600001, v[4:5]
	v_and_b32_e32 v4, 0x80, v3
	s_and_saveexec_b32 s13, vcc_lo
	s_xor_b32 s75, exec_lo, s13
	s_cbranch_execz .LBB6_23084
; %bb.23075:                            ;   in Loop: Header=BB6_22365 Depth=3
	v_mov_b32_e32 v40, 0
	s_mov_b32 s76, exec_lo
	v_cmpx_ne_u32_e32 0, v2
	s_cbranch_execz .LBB6_23083
; %bb.23076:                            ;   in Loop: Header=BB6_22365 Depth=3
	v_bfe_u32 v5, v2, 23, 8
	v_or_b32_e32 v9, 0x800000, v0
	s_delay_alu instid0(VALU_DEP_2) | instskip(SKIP_1) | instid1(VALU_DEP_2)
	v_sub_nc_u32_e32 v2, 0x71, v5
	v_cmp_gt_u32_e32 vcc_lo, 0x72, v5
	v_cndmask_b32_e32 v2, 0, v2, vcc_lo
	v_cmp_eq_u32_e32 vcc_lo, 0, v5
	s_delay_alu instid0(VALU_DEP_2) | instskip(SKIP_1) | instid1(VALU_DEP_2)
	v_cndmask_b32_e64 v8, v2, 0x70, vcc_lo
	v_cndmask_b32_e32 v0, v9, v0, vcc_lo
	v_dual_add_nc_u32 v2, 21, v8 :: v_dual_add_nc_u32 v12, 20, v8
	s_delay_alu instid0(VALU_DEP_1) | instskip(NEXT) | instid1(VALU_DEP_2)
	v_lshlrev_b64_e64 v[2:3], v2, -1
	v_lshlrev_b64_e64 v[12:13], v12, 1
	s_delay_alu instid0(VALU_DEP_2) | instskip(SKIP_1) | instid1(VALU_DEP_4)
	v_bfi_b32 v2, v2, 0, v0
	v_lshrrev_b64 v[0:1], v8, v[0:1]
	v_bfi_b32 v3, v3, 0, 0
	s_delay_alu instid0(VALU_DEP_1) | instskip(NEXT) | instid1(VALU_DEP_3)
	v_cmp_eq_u64_e64 s13, v[2:3], v[12:13]
	v_mov_b64_e32 v[2:3], v[0:1]
	s_and_saveexec_b32 s77, s13
; %bb.23077:                            ;   in Loop: Header=BB6_22365 Depth=3
	v_bfe_u32 v2, v0, 21, 1
	v_mov_b32_e32 v3, v113
	s_delay_alu instid0(VALU_DEP_1) | instskip(NEXT) | instid1(VALU_DEP_1)
	v_add_nc_u64_e32 v[2:3], v[0:1], v[2:3]
	v_add_nc_u64_e32 v[2:3], -1, v[2:3]
; %bb.23078:                            ;   in Loop: Header=BB6_22365 Depth=3
	s_or_b32 exec_lo, exec_lo, s77
	v_add_nc_u32_e32 v1, 0xffffff81, v5
	v_lshrrev_b32_e32 v3, 23, v0
	s_mov_b32 s13, exec_lo
	s_delay_alu instid0(VALU_DEP_2) | instskip(NEXT) | instid1(VALU_DEP_1)
	v_cndmask_b32_e64 v1, v1, 0xffffff82, vcc_lo
	v_add3_u32 v3, v8, v1, v3
	v_and_b32_e32 v1, 0x1fffff, v2
                                        ; implicit-def: $vgpr2
	s_delay_alu instid0(VALU_DEP_1) | instskip(SKIP_1) | instid1(VALU_DEP_2)
	v_dual_add_nc_u32 v5, 14, v3 :: v_dual_add_nc_u32 v0, v1, v0
	v_mov_b32_e32 v1, v113
	v_cmpx_ne_u32_e32 0, v5
	s_xor_b32 s13, exec_lo, s13
; %bb.23079:                            ;   in Loop: Header=BB6_22365 Depth=3
	s_delay_alu instid0(VALU_DEP_2) | instskip(SKIP_2) | instid1(VALU_DEP_2)
	v_cmp_lt_u64_e32 vcc_lo, 0xffffff, v[0:1]
	v_add_nc_u32_e32 v2, 15, v3
	v_cndmask_b32_e64 v3, 0, 1, vcc_lo
	v_cndmask_b32_e32 v2, v5, v2, vcc_lo
	s_delay_alu instid0(VALU_DEP_2)
	v_lshrrev_b64 v[0:1], v3, v[0:1]
; %bb.23080:                            ;   in Loop: Header=BB6_22365 Depth=3
	s_and_not1_saveexec_b32 s13, s13
; %bb.23081:                            ;   in Loop: Header=BB6_22365 Depth=3
	s_delay_alu instid0(VALU_DEP_1)
	v_bfe_u32 v2, v0, 23, 1
; %bb.23082:                            ;   in Loop: Header=BB6_22365 Depth=3
	s_or_b32 exec_lo, exec_lo, s13
	s_delay_alu instid0(VALU_DEP_2) | instskip(NEXT) | instid1(VALU_DEP_2)
	v_lshrrev_b64 v[0:1], 21, v[0:1]
	v_cmp_gt_i32_e32 vcc_lo, 32, v2
	v_min_i32_e32 v3, 31, v2
	v_cmp_eq_u32_e64 s13, 0, v2
	s_delay_alu instid0(VALU_DEP_2) | instskip(SKIP_1) | instid1(VALU_DEP_2)
	v_dual_cndmask_b32 v1, 0, v1, vcc_lo :: v_dual_lshlrev_b32 v3, 2, v3
	v_cndmask_b32_e32 v0, 3, v0, vcc_lo
	v_and_b32_e32 v3, 0xfc, v3
	s_delay_alu instid0(VALU_DEP_2) | instskip(NEXT) | instid1(VALU_DEP_2)
	v_cmp_eq_u64_e32 vcc_lo, 0, v[0:1]
	v_and_or_b32 v0, v0, 3, v3
	s_and_b32 s13, s13, vcc_lo
	s_delay_alu instid0(VALU_DEP_1) | instid1(SALU_CYCLE_1)
	v_cndmask_b32_e64 v0, v0, 0, s13
	s_delay_alu instid0(VALU_DEP_1)
	v_or_b32_e32 v40, v0, v4
.LBB6_23083:                            ;   in Loop: Header=BB6_22365 Depth=3
	s_or_b32 exec_lo, exec_lo, s76
                                        ; implicit-def: $vgpr4
.LBB6_23084:                            ;   in Loop: Header=BB6_22365 Depth=3
	s_and_not1_saveexec_b32 s13, s75
; %bb.23085:                            ;   in Loop: Header=BB6_22365 Depth=3
	v_or_b32_e32 v40, 0x7b, v4
; %bb.23086:                            ;   in Loop: Header=BB6_22365 Depth=3
	s_or_b32 exec_lo, exec_lo, s13
                                        ; implicit-def: $vgpr2
                                        ; implicit-def: $vgpr0_vgpr1
                                        ; implicit-def: $vgpr3
.LBB6_23087:                            ;   in Loop: Header=BB6_22365 Depth=3
	s_and_not1_saveexec_b32 s13, s74
	s_cbranch_execz .LBB6_23093
; %bb.23088:                            ;   in Loop: Header=BB6_22365 Depth=3
	s_mov_b32 s74, exec_lo
                                        ; implicit-def: $vgpr40
	v_cmpx_ne_u64_e32 0, v[0:1]
	s_xor_b32 s74, exec_lo, s74
; %bb.23089:                            ;   in Loop: Header=BB6_22365 Depth=3
	v_or_b32_e32 v40, 0x7f, v3
                                        ; implicit-def: $vgpr2
; %bb.23090:                            ;   in Loop: Header=BB6_22365 Depth=3
	s_and_not1_saveexec_b32 s74, s74
; %bb.23091:                            ;   in Loop: Header=BB6_22365 Depth=3
	v_cmp_lt_i32_e32 vcc_lo, -1, v2
	v_mov_b32_e32 v0, 0x7c
	s_delay_alu instid0(VALU_DEP_1)
	v_cndmask_b32_e32 v40, 0xfc, v0, vcc_lo
; %bb.23092:                            ;   in Loop: Header=BB6_22365 Depth=3
	s_or_b32 exec_lo, exec_lo, s74
.LBB6_23093:                            ;   in Loop: Header=BB6_22365 Depth=3
	s_delay_alu instid0(SALU_CYCLE_1) | instskip(SKIP_1) | instid1(VALU_DEP_1)
	s_or_b32 exec_lo, exec_lo, s13
	v_and_b32_e32 v0, 0xff, v10
	v_cmp_ne_u16_e32 vcc_lo, 0, v0
	v_mov_b32_e32 v0, 0
	s_and_saveexec_b32 s13, vcc_lo
	s_cbranch_execz .LBB6_23103
; %bb.23094:                            ;   in Loop: Header=BB6_22365 Depth=3
	v_bfe_i32 v2, v10, 0, 8
	v_bfrev_b32_e32 v0, 1
	s_mov_b32 s74, exec_lo
	s_delay_alu instid0(VALU_DEP_2)
	v_cmpx_ne_u16_e32 0xff80, v2
	s_cbranch_execz .LBB6_23102
; %bb.23095:                            ;   in Loop: Header=BB6_22365 Depth=3
	v_and_b32_e32 v0, 0x7c, v10
	v_and_b32_e32 v1, 3, v10
	s_delay_alu instid0(VALU_DEP_2) | instskip(SKIP_1) | instid1(SALU_CYCLE_1)
	v_cmp_ne_u32_e32 vcc_lo, 0x7c, v0
                                        ; implicit-def: $vgpr0
	s_and_saveexec_b32 s75, vcc_lo
	s_xor_b32 s75, exec_lo, s75
	s_cbranch_execz .LBB6_23099
; %bb.23096:                            ;   in Loop: Header=BB6_22365 Depth=3
	v_bfe_u32 v0, v10, 2, 5
	s_mov_b32 s76, exec_lo
	s_delay_alu instid0(VALU_DEP_1)
	v_cmpx_eq_u32_e32 0, v0
; %bb.23097:                            ;   in Loop: Header=BB6_22365 Depth=3
	v_clz_i32_u32_e32 v0, v1
	s_delay_alu instid0(VALU_DEP_1) | instskip(NEXT) | instid1(VALU_DEP_1)
	v_min_u32_e32 v0, 32, v0
	v_subrev_nc_u32_e32 v1, 29, v0
	s_delay_alu instid0(VALU_DEP_1) | instskip(NEXT) | instid1(VALU_DEP_1)
	v_lshlrev_b64_e32 v[2:3], v1, v[10:11]
	v_dual_sub_nc_u32 v0, 30, v0 :: v_dual_bitop2_b32 v1, 3, v2 bitop3:0x40
; %bb.23098:                            ;   in Loop: Header=BB6_22365 Depth=3
	s_or_b32 exec_lo, exec_lo, s76
	v_lshlrev_b32_e32 v2, 24, v10
	s_delay_alu instid0(VALU_DEP_1) | instskip(NEXT) | instid1(VALU_DEP_1)
	v_and_b32_e32 v2, 0x80000000, v2
	v_lshl_add_u32 v0, v0, 23, v2
                                        ; implicit-def: $vgpr2
	s_delay_alu instid0(VALU_DEP_1) | instskip(NEXT) | instid1(VALU_DEP_1)
	v_lshl_or_b32 v0, v1, 21, v0
                                        ; implicit-def: $vgpr1
	v_add_nc_u32_e32 v0, 0x38000000, v0
.LBB6_23099:                            ;   in Loop: Header=BB6_22365 Depth=3
	s_and_not1_saveexec_b32 s75, s75
; %bb.23100:                            ;   in Loop: Header=BB6_22365 Depth=3
	v_cmp_lt_i16_e32 vcc_lo, -1, v2
	v_mov_b32_e32 v0, 0x7f800000
	s_delay_alu instid0(VALU_DEP_1) | instskip(SKIP_1) | instid1(VALU_DEP_2)
	v_cndmask_b32_e32 v0, 0xff800000, v0, vcc_lo
	v_cmp_eq_u32_e32 vcc_lo, 0, v1
	v_cndmask_b32_e32 v0, 0x7f800001, v0, vcc_lo
; %bb.23101:                            ;   in Loop: Header=BB6_22365 Depth=3
	s_or_b32 exec_lo, exec_lo, s75
.LBB6_23102:                            ;   in Loop: Header=BB6_22365 Depth=3
	s_delay_alu instid0(SALU_CYCLE_1)
	s_or_b32 exec_lo, exec_lo, s74
.LBB6_23103:                            ;   in Loop: Header=BB6_22365 Depth=3
	s_delay_alu instid0(SALU_CYCLE_1) | instskip(NEXT) | instid1(VALU_DEP_1)
	s_or_b32 exec_lo, exec_lo, s13
	v_dual_mul_f32 v2, s73, v0 :: v_dual_mov_b32 v5, v113
	v_mov_b32_e32 v1, v113
                                        ; implicit-def: $vgpr87
	s_mov_b32 s13, exec_lo
	s_delay_alu instid0(VALU_DEP_2) | instskip(SKIP_2) | instid1(VALU_DEP_3)
	v_and_b32_e32 v4, 0x7f800000, v2
	v_and_b32_e32 v0, 0x7fffff, v2
	v_lshrrev_b32_e32 v3, 24, v2
	v_cmpx_ne_u64_e32 0x7f800000, v[4:5]
	s_xor_b32 s74, exec_lo, s13
	s_cbranch_execz .LBB6_23117
; %bb.23104:                            ;   in Loop: Header=BB6_22365 Depth=3
	v_and_b32_e32 v4, 0x7fffffff, v2
	v_mov_b32_e32 v5, v113
                                        ; implicit-def: $vgpr87
	s_delay_alu instid0(VALU_DEP_1) | instskip(SKIP_2) | instid1(SALU_CYCLE_1)
	v_cmp_gt_u64_e32 vcc_lo, 0x47600001, v[4:5]
	v_and_b32_e32 v4, 0x80, v3
	s_and_saveexec_b32 s13, vcc_lo
	s_xor_b32 s75, exec_lo, s13
	s_cbranch_execz .LBB6_23114
; %bb.23105:                            ;   in Loop: Header=BB6_22365 Depth=3
	v_mov_b32_e32 v87, 0
	s_mov_b32 s76, exec_lo
	v_cmpx_ne_u32_e32 0, v2
	s_cbranch_execz .LBB6_23113
; %bb.23106:                            ;   in Loop: Header=BB6_22365 Depth=3
	v_bfe_u32 v5, v2, 23, 8
	v_or_b32_e32 v3, 0x800000, v0
	s_delay_alu instid0(VALU_DEP_2) | instskip(SKIP_2) | instid1(VALU_DEP_2)
	v_cmp_gt_u32_e64 s13, 0x72, v5
	v_sub_nc_u32_e32 v2, 0x71, v5
	v_cmp_eq_u32_e32 vcc_lo, 0, v5
	v_dual_cndmask_b32 v2, 0, v2, s13 :: v_dual_cndmask_b32 v0, v3, v0, vcc_lo
	s_delay_alu instid0(VALU_DEP_1) | instskip(NEXT) | instid1(VALU_DEP_1)
	v_cndmask_b32_e64 v8, v2, 0x70, vcc_lo
	v_dual_add_nc_u32 v2, 21, v8 :: v_dual_add_nc_u32 v9, 20, v8
	s_delay_alu instid0(VALU_DEP_1) | instskip(NEXT) | instid1(VALU_DEP_2)
	v_lshlrev_b64_e64 v[2:3], v2, -1
	v_lshlrev_b64_e64 v[12:13], v9, 1
	s_delay_alu instid0(VALU_DEP_2) | instskip(SKIP_1) | instid1(VALU_DEP_4)
	v_bfi_b32 v2, v2, 0, v0
	v_lshrrev_b64 v[0:1], v8, v[0:1]
	v_bfi_b32 v3, v3, 0, 0
	s_delay_alu instid0(VALU_DEP_1) | instskip(NEXT) | instid1(VALU_DEP_3)
	v_cmp_eq_u64_e64 s13, v[2:3], v[12:13]
	v_mov_b64_e32 v[2:3], v[0:1]
	s_and_saveexec_b32 s77, s13
; %bb.23107:                            ;   in Loop: Header=BB6_22365 Depth=3
	v_bfe_u32 v2, v0, 21, 1
	v_mov_b32_e32 v3, v113
	s_delay_alu instid0(VALU_DEP_1) | instskip(NEXT) | instid1(VALU_DEP_1)
	v_add_nc_u64_e32 v[2:3], v[0:1], v[2:3]
	v_add_nc_u64_e32 v[2:3], -1, v[2:3]
; %bb.23108:                            ;   in Loop: Header=BB6_22365 Depth=3
	s_or_b32 exec_lo, exec_lo, s77
	v_add_nc_u32_e32 v1, 0xffffff81, v5
	v_lshrrev_b32_e32 v3, 23, v0
	s_mov_b32 s13, exec_lo
	s_delay_alu instid0(VALU_DEP_2) | instskip(NEXT) | instid1(VALU_DEP_1)
	v_cndmask_b32_e64 v1, v1, 0xffffff82, vcc_lo
	v_add3_u32 v3, v8, v1, v3
	v_and_b32_e32 v1, 0x1fffff, v2
                                        ; implicit-def: $vgpr2
	s_delay_alu instid0(VALU_DEP_1) | instskip(SKIP_1) | instid1(VALU_DEP_2)
	v_dual_add_nc_u32 v5, 14, v3 :: v_dual_add_nc_u32 v0, v1, v0
	v_mov_b32_e32 v1, v113
	v_cmpx_ne_u32_e32 0, v5
	s_xor_b32 s13, exec_lo, s13
; %bb.23109:                            ;   in Loop: Header=BB6_22365 Depth=3
	s_delay_alu instid0(VALU_DEP_2) | instskip(SKIP_2) | instid1(VALU_DEP_2)
	v_cmp_lt_u64_e32 vcc_lo, 0xffffff, v[0:1]
	v_add_nc_u32_e32 v2, 15, v3
	v_cndmask_b32_e64 v3, 0, 1, vcc_lo
	v_cndmask_b32_e32 v2, v5, v2, vcc_lo
	s_delay_alu instid0(VALU_DEP_2)
	v_lshrrev_b64 v[0:1], v3, v[0:1]
; %bb.23110:                            ;   in Loop: Header=BB6_22365 Depth=3
	s_and_not1_saveexec_b32 s13, s13
; %bb.23111:                            ;   in Loop: Header=BB6_22365 Depth=3
	s_delay_alu instid0(VALU_DEP_1)
	v_bfe_u32 v2, v0, 23, 1
; %bb.23112:                            ;   in Loop: Header=BB6_22365 Depth=3
	s_or_b32 exec_lo, exec_lo, s13
	s_delay_alu instid0(VALU_DEP_2) | instskip(NEXT) | instid1(VALU_DEP_2)
	v_lshrrev_b64 v[0:1], 21, v[0:1]
	v_cmp_gt_i32_e32 vcc_lo, 32, v2
	v_min_i32_e32 v3, 31, v2
	v_cmp_eq_u32_e64 s13, 0, v2
	s_delay_alu instid0(VALU_DEP_2) | instskip(SKIP_1) | instid1(VALU_DEP_2)
	v_dual_cndmask_b32 v1, 0, v1, vcc_lo :: v_dual_lshlrev_b32 v3, 2, v3
	v_cndmask_b32_e32 v0, 3, v0, vcc_lo
	v_and_b32_e32 v3, 0xfc, v3
	s_delay_alu instid0(VALU_DEP_2) | instskip(NEXT) | instid1(VALU_DEP_2)
	v_cmp_eq_u64_e32 vcc_lo, 0, v[0:1]
	v_and_or_b32 v0, v0, 3, v3
	s_and_b32 s13, s13, vcc_lo
	s_delay_alu instid0(VALU_DEP_1) | instid1(SALU_CYCLE_1)
	v_cndmask_b32_e64 v0, v0, 0, s13
	s_delay_alu instid0(VALU_DEP_1)
	v_or_b32_e32 v87, v0, v4
.LBB6_23113:                            ;   in Loop: Header=BB6_22365 Depth=3
	s_or_b32 exec_lo, exec_lo, s76
                                        ; implicit-def: $vgpr4
.LBB6_23114:                            ;   in Loop: Header=BB6_22365 Depth=3
	s_and_not1_saveexec_b32 s13, s75
; %bb.23115:                            ;   in Loop: Header=BB6_22365 Depth=3
	v_or_b32_e32 v87, 0x7b, v4
; %bb.23116:                            ;   in Loop: Header=BB6_22365 Depth=3
	s_or_b32 exec_lo, exec_lo, s13
                                        ; implicit-def: $vgpr2
                                        ; implicit-def: $vgpr0_vgpr1
                                        ; implicit-def: $vgpr3
.LBB6_23117:                            ;   in Loop: Header=BB6_22365 Depth=3
	s_and_not1_saveexec_b32 s13, s74
	s_cbranch_execz .LBB6_23123
; %bb.23118:                            ;   in Loop: Header=BB6_22365 Depth=3
	s_mov_b32 s74, exec_lo
                                        ; implicit-def: $vgpr87
	v_cmpx_ne_u64_e32 0, v[0:1]
	s_xor_b32 s74, exec_lo, s74
; %bb.23119:                            ;   in Loop: Header=BB6_22365 Depth=3
	v_or_b32_e32 v87, 0x7f, v3
                                        ; implicit-def: $vgpr2
; %bb.23120:                            ;   in Loop: Header=BB6_22365 Depth=3
	s_and_not1_saveexec_b32 s74, s74
; %bb.23121:                            ;   in Loop: Header=BB6_22365 Depth=3
	v_cmp_lt_i32_e32 vcc_lo, -1, v2
	v_mov_b32_e32 v0, 0x7c
	s_delay_alu instid0(VALU_DEP_1)
	v_cndmask_b32_e32 v87, 0xfc, v0, vcc_lo
; %bb.23122:                            ;   in Loop: Header=BB6_22365 Depth=3
	s_or_b32 exec_lo, exec_lo, s74
.LBB6_23123:                            ;   in Loop: Header=BB6_22365 Depth=3
	s_delay_alu instid0(SALU_CYCLE_1) | instskip(SKIP_3) | instid1(VALU_DEP_2)
	s_or_b32 exec_lo, exec_lo, s13
	v_lshrrev_b16 v0, 8, v10
	v_mov_b32_e32 v2, 0
	s_mov_b32 s13, exec_lo
	v_cmpx_ne_u16_e32 0, v0
	s_cbranch_execz .LBB6_23133
; %bb.23124:                            ;   in Loop: Header=BB6_22365 Depth=3
	v_bfrev_b32_e32 v2, 1
	s_mov_b32 s74, exec_lo
	v_cmpx_ne_u16_e32 0x80, v0
	s_cbranch_execz .LBB6_23132
; %bb.23125:                            ;   in Loop: Header=BB6_22365 Depth=3
	v_and_b32_e32 v3, 0xffff, v0
	s_delay_alu instid0(VALU_DEP_1) | instskip(SKIP_1) | instid1(VALU_DEP_2)
	v_and_b32_e32 v2, 0x7c, v3
	v_and_b32_e32 v1, 3, v3
	v_cmp_ne_u32_e32 vcc_lo, 0x7c, v2
                                        ; implicit-def: $vgpr2
	s_and_saveexec_b32 s75, vcc_lo
	s_delay_alu instid0(SALU_CYCLE_1)
	s_xor_b32 s75, exec_lo, s75
	s_cbranch_execz .LBB6_23129
; %bb.23126:                            ;   in Loop: Header=BB6_22365 Depth=3
	v_bfe_u32 v2, v3, 2, 5
	s_mov_b32 s76, exec_lo
	s_delay_alu instid0(VALU_DEP_1)
	v_cmpx_eq_u32_e32 0, v2
	s_cbranch_execz .LBB6_23128
; %bb.23127:                            ;   in Loop: Header=BB6_22365 Depth=3
	v_clz_i32_u32_e32 v1, v1
	s_delay_alu instid0(VALU_DEP_1) | instskip(SKIP_1) | instid1(VALU_DEP_2)
	v_min_u32_e32 v2, 32, v1
	v_mov_b32_e32 v1, v113
	v_subrev_nc_u32_e32 v3, 29, v2
	v_sub_nc_u32_e32 v2, 30, v2
	s_delay_alu instid0(VALU_DEP_2) | instskip(NEXT) | instid1(VALU_DEP_1)
	v_lshlrev_b64_e32 v[0:1], v3, v[0:1]
	v_and_b32_e32 v1, 3, v0
.LBB6_23128:                            ;   in Loop: Header=BB6_22365 Depth=3
	s_or_b32 exec_lo, exec_lo, s76
	v_lshlrev_b32_e32 v0, 16, v10
	s_delay_alu instid0(VALU_DEP_1) | instskip(NEXT) | instid1(VALU_DEP_1)
	v_and_b32_e32 v0, 0x80000000, v0
	v_lshl_add_u32 v0, v2, 23, v0
	s_delay_alu instid0(VALU_DEP_1) | instskip(NEXT) | instid1(VALU_DEP_1)
	v_lshl_or_b32 v0, v1, 21, v0
                                        ; implicit-def: $vgpr1
	v_add_nc_u32_e32 v2, 0x38000000, v0
.LBB6_23129:                            ;   in Loop: Header=BB6_22365 Depth=3
	s_and_not1_saveexec_b32 s75, s75
; %bb.23130:                            ;   in Loop: Header=BB6_22365 Depth=3
	v_cmp_lt_i16_e32 vcc_lo, -1, v10
	v_mov_b32_e32 v0, 0x7f800000
	s_delay_alu instid0(VALU_DEP_1) | instskip(SKIP_1) | instid1(VALU_DEP_2)
	v_cndmask_b32_e32 v0, 0xff800000, v0, vcc_lo
	v_cmp_eq_u32_e32 vcc_lo, 0, v1
	v_cndmask_b32_e32 v2, 0x7f800001, v0, vcc_lo
; %bb.23131:                            ;   in Loop: Header=BB6_22365 Depth=3
	s_or_b32 exec_lo, exec_lo, s75
.LBB6_23132:                            ;   in Loop: Header=BB6_22365 Depth=3
	s_delay_alu instid0(SALU_CYCLE_1)
	s_or_b32 exec_lo, exec_lo, s74
.LBB6_23133:                            ;   in Loop: Header=BB6_22365 Depth=3
	s_delay_alu instid0(SALU_CYCLE_1) | instskip(NEXT) | instid1(VALU_DEP_1)
	s_or_b32 exec_lo, exec_lo, s13
	v_dual_mul_f32 v2, s73, v2 :: v_dual_mov_b32 v5, v113
	v_mov_b32_e32 v1, v113
                                        ; implicit-def: $vgpr100
	s_mov_b32 s13, exec_lo
	s_delay_alu instid0(VALU_DEP_2) | instskip(SKIP_2) | instid1(VALU_DEP_3)
	v_and_b32_e32 v4, 0x7f800000, v2
	v_and_b32_e32 v0, 0x7fffff, v2
	v_lshrrev_b32_e32 v3, 24, v2
	v_cmpx_ne_u64_e32 0x7f800000, v[4:5]
	s_xor_b32 s74, exec_lo, s13
	s_cbranch_execz .LBB6_23147
; %bb.23134:                            ;   in Loop: Header=BB6_22365 Depth=3
	v_and_b32_e32 v4, 0x7fffffff, v2
	v_mov_b32_e32 v5, v113
                                        ; implicit-def: $vgpr100
	s_delay_alu instid0(VALU_DEP_1) | instskip(SKIP_2) | instid1(SALU_CYCLE_1)
	v_cmp_gt_u64_e32 vcc_lo, 0x47600001, v[4:5]
	v_and_b32_e32 v4, 0x80, v3
	s_and_saveexec_b32 s13, vcc_lo
	s_xor_b32 s75, exec_lo, s13
	s_cbranch_execz .LBB6_23144
; %bb.23135:                            ;   in Loop: Header=BB6_22365 Depth=3
	v_mov_b32_e32 v100, 0
	s_mov_b32 s76, exec_lo
	v_cmpx_ne_u32_e32 0, v2
	s_cbranch_execz .LBB6_23143
; %bb.23136:                            ;   in Loop: Header=BB6_22365 Depth=3
	v_bfe_u32 v5, v2, 23, 8
	v_or_b32_e32 v3, 0x800000, v0
	s_delay_alu instid0(VALU_DEP_2) | instskip(SKIP_2) | instid1(VALU_DEP_2)
	v_cmp_gt_u32_e64 s13, 0x72, v5
	v_sub_nc_u32_e32 v2, 0x71, v5
	v_cmp_eq_u32_e32 vcc_lo, 0, v5
	v_dual_cndmask_b32 v2, 0, v2, s13 :: v_dual_cndmask_b32 v0, v3, v0, vcc_lo
	s_delay_alu instid0(VALU_DEP_1) | instskip(NEXT) | instid1(VALU_DEP_1)
	v_cndmask_b32_e64 v8, v2, 0x70, vcc_lo
	v_dual_add_nc_u32 v2, 21, v8 :: v_dual_add_nc_u32 v9, 20, v8
	s_delay_alu instid0(VALU_DEP_1) | instskip(NEXT) | instid1(VALU_DEP_2)
	v_lshlrev_b64_e64 v[2:3], v2, -1
	v_lshlrev_b64_e64 v[12:13], v9, 1
	s_delay_alu instid0(VALU_DEP_2) | instskip(SKIP_1) | instid1(VALU_DEP_4)
	v_bfi_b32 v2, v2, 0, v0
	v_lshrrev_b64 v[0:1], v8, v[0:1]
	v_bfi_b32 v3, v3, 0, 0
	s_delay_alu instid0(VALU_DEP_1) | instskip(NEXT) | instid1(VALU_DEP_3)
	v_cmp_eq_u64_e64 s13, v[2:3], v[12:13]
	v_mov_b64_e32 v[2:3], v[0:1]
	s_and_saveexec_b32 s77, s13
; %bb.23137:                            ;   in Loop: Header=BB6_22365 Depth=3
	v_bfe_u32 v2, v0, 21, 1
	v_mov_b32_e32 v3, v113
	s_delay_alu instid0(VALU_DEP_1) | instskip(NEXT) | instid1(VALU_DEP_1)
	v_add_nc_u64_e32 v[2:3], v[0:1], v[2:3]
	v_add_nc_u64_e32 v[2:3], -1, v[2:3]
; %bb.23138:                            ;   in Loop: Header=BB6_22365 Depth=3
	s_or_b32 exec_lo, exec_lo, s77
	v_add_nc_u32_e32 v1, 0xffffff81, v5
	v_lshrrev_b32_e32 v3, 23, v0
	s_mov_b32 s13, exec_lo
	s_delay_alu instid0(VALU_DEP_2) | instskip(NEXT) | instid1(VALU_DEP_1)
	v_cndmask_b32_e64 v1, v1, 0xffffff82, vcc_lo
	v_add3_u32 v3, v8, v1, v3
	v_and_b32_e32 v1, 0x1fffff, v2
                                        ; implicit-def: $vgpr2
	s_delay_alu instid0(VALU_DEP_1) | instskip(SKIP_1) | instid1(VALU_DEP_2)
	v_dual_add_nc_u32 v5, 14, v3 :: v_dual_add_nc_u32 v0, v1, v0
	v_mov_b32_e32 v1, v113
	v_cmpx_ne_u32_e32 0, v5
	s_xor_b32 s13, exec_lo, s13
; %bb.23139:                            ;   in Loop: Header=BB6_22365 Depth=3
	s_delay_alu instid0(VALU_DEP_2) | instskip(SKIP_2) | instid1(VALU_DEP_2)
	v_cmp_lt_u64_e32 vcc_lo, 0xffffff, v[0:1]
	v_add_nc_u32_e32 v2, 15, v3
	v_cndmask_b32_e64 v3, 0, 1, vcc_lo
	v_cndmask_b32_e32 v2, v5, v2, vcc_lo
	s_delay_alu instid0(VALU_DEP_2)
	v_lshrrev_b64 v[0:1], v3, v[0:1]
; %bb.23140:                            ;   in Loop: Header=BB6_22365 Depth=3
	s_and_not1_saveexec_b32 s13, s13
; %bb.23141:                            ;   in Loop: Header=BB6_22365 Depth=3
	s_delay_alu instid0(VALU_DEP_1)
	v_bfe_u32 v2, v0, 23, 1
; %bb.23142:                            ;   in Loop: Header=BB6_22365 Depth=3
	s_or_b32 exec_lo, exec_lo, s13
	s_delay_alu instid0(VALU_DEP_2) | instskip(NEXT) | instid1(VALU_DEP_2)
	v_lshrrev_b64 v[0:1], 21, v[0:1]
	v_cmp_gt_i32_e32 vcc_lo, 32, v2
	v_min_i32_e32 v3, 31, v2
	v_cmp_eq_u32_e64 s13, 0, v2
	s_delay_alu instid0(VALU_DEP_2) | instskip(SKIP_1) | instid1(VALU_DEP_2)
	v_dual_cndmask_b32 v1, 0, v1, vcc_lo :: v_dual_lshlrev_b32 v3, 2, v3
	v_cndmask_b32_e32 v0, 3, v0, vcc_lo
	v_and_b32_e32 v3, 0xfc, v3
	s_delay_alu instid0(VALU_DEP_2) | instskip(NEXT) | instid1(VALU_DEP_2)
	v_cmp_eq_u64_e32 vcc_lo, 0, v[0:1]
	v_and_or_b32 v0, v0, 3, v3
	s_and_b32 s13, s13, vcc_lo
	s_delay_alu instid0(VALU_DEP_1) | instid1(SALU_CYCLE_1)
	v_cndmask_b32_e64 v0, v0, 0, s13
	s_delay_alu instid0(VALU_DEP_1)
	v_or_b32_e32 v100, v0, v4
.LBB6_23143:                            ;   in Loop: Header=BB6_22365 Depth=3
	s_or_b32 exec_lo, exec_lo, s76
                                        ; implicit-def: $vgpr4
.LBB6_23144:                            ;   in Loop: Header=BB6_22365 Depth=3
	s_and_not1_saveexec_b32 s13, s75
; %bb.23145:                            ;   in Loop: Header=BB6_22365 Depth=3
	v_or_b32_e32 v100, 0x7b, v4
; %bb.23146:                            ;   in Loop: Header=BB6_22365 Depth=3
	s_or_b32 exec_lo, exec_lo, s13
                                        ; implicit-def: $vgpr2
                                        ; implicit-def: $vgpr0_vgpr1
                                        ; implicit-def: $vgpr3
.LBB6_23147:                            ;   in Loop: Header=BB6_22365 Depth=3
	s_and_not1_saveexec_b32 s13, s74
	s_cbranch_execz .LBB6_23153
; %bb.23148:                            ;   in Loop: Header=BB6_22365 Depth=3
	s_mov_b32 s74, exec_lo
                                        ; implicit-def: $vgpr100
	v_cmpx_ne_u64_e32 0, v[0:1]
	s_xor_b32 s74, exec_lo, s74
; %bb.23149:                            ;   in Loop: Header=BB6_22365 Depth=3
	v_or_b32_e32 v100, 0x7f, v3
                                        ; implicit-def: $vgpr2
; %bb.23150:                            ;   in Loop: Header=BB6_22365 Depth=3
	s_and_not1_saveexec_b32 s74, s74
; %bb.23151:                            ;   in Loop: Header=BB6_22365 Depth=3
	v_cmp_lt_i32_e32 vcc_lo, -1, v2
	v_mov_b32_e32 v0, 0x7c
	s_delay_alu instid0(VALU_DEP_1)
	v_cndmask_b32_e32 v100, 0xfc, v0, vcc_lo
; %bb.23152:                            ;   in Loop: Header=BB6_22365 Depth=3
	s_or_b32 exec_lo, exec_lo, s74
.LBB6_23153:                            ;   in Loop: Header=BB6_22365 Depth=3
	s_delay_alu instid0(SALU_CYCLE_1) | instskip(SKIP_2) | instid1(VALU_DEP_1)
	s_or_b32 exec_lo, exec_lo, s13
	v_dual_lshrrev_b32 v0, 16, v10 :: v_dual_mov_b32 v2, 0
	s_mov_b32 s13, exec_lo
	v_and_b32_e32 v1, 0xff, v0
	s_delay_alu instid0(VALU_DEP_1)
	v_cmpx_ne_u16_e32 0, v1
	s_cbranch_execz .LBB6_23163
; %bb.23154:                            ;   in Loop: Header=BB6_22365 Depth=3
	v_bfrev_b32_e32 v2, 1
	s_mov_b32 s74, exec_lo
	v_cmpx_ne_u16_e32 0x80, v1
	s_cbranch_execz .LBB6_23162
; %bb.23155:                            ;   in Loop: Header=BB6_22365 Depth=3
	v_and_b32_e32 v2, 0x7c0000, v10
	v_bfe_u32 v1, v10, 16, 2
	s_delay_alu instid0(VALU_DEP_2) | instskip(SKIP_1) | instid1(SALU_CYCLE_1)
	v_cmp_ne_u32_e32 vcc_lo, 0x7c0000, v2
                                        ; implicit-def: $vgpr2
	s_and_saveexec_b32 s75, vcc_lo
	s_xor_b32 s75, exec_lo, s75
	s_cbranch_execz .LBB6_23159
; %bb.23156:                            ;   in Loop: Header=BB6_22365 Depth=3
	v_bfe_u32 v2, v10, 18, 5
	s_mov_b32 s76, exec_lo
	s_delay_alu instid0(VALU_DEP_1)
	v_cmpx_eq_u32_e32 0, v2
; %bb.23157:                            ;   in Loop: Header=BB6_22365 Depth=3
	v_clz_i32_u32_e32 v1, v1
	s_delay_alu instid0(VALU_DEP_1) | instskip(NEXT) | instid1(VALU_DEP_1)
	v_min_u32_e32 v1, 32, v1
	v_subrev_nc_u32_e32 v2, 29, v1
	s_delay_alu instid0(VALU_DEP_1) | instskip(NEXT) | instid1(VALU_DEP_1)
	v_lshlrev_b64_e32 v[4:5], v2, v[0:1]
	v_dual_sub_nc_u32 v2, 30, v1 :: v_dual_bitop2_b32 v1, 3, v4 bitop3:0x40
; %bb.23158:                            ;   in Loop: Header=BB6_22365 Depth=3
	s_or_b32 exec_lo, exec_lo, s76
	v_lshlrev_b32_e32 v0, 24, v0
	s_delay_alu instid0(VALU_DEP_1) | instskip(NEXT) | instid1(VALU_DEP_1)
	v_and_b32_e32 v0, 0x80000000, v0
	v_lshl_add_u32 v0, v2, 23, v0
	s_delay_alu instid0(VALU_DEP_1) | instskip(NEXT) | instid1(VALU_DEP_1)
	v_lshl_or_b32 v0, v1, 21, v0
                                        ; implicit-def: $vgpr1
	v_add_nc_u32_e32 v2, 0x38000000, v0
                                        ; implicit-def: $vgpr0
.LBB6_23159:                            ;   in Loop: Header=BB6_22365 Depth=3
	s_and_not1_saveexec_b32 s75, s75
; %bb.23160:                            ;   in Loop: Header=BB6_22365 Depth=3
	v_bfe_i32 v0, v0, 0, 8
	s_delay_alu instid0(VALU_DEP_1) | instskip(SKIP_1) | instid1(VALU_DEP_1)
	v_cmp_lt_i16_e32 vcc_lo, -1, v0
	v_mov_b32_e32 v0, 0x7f800000
	v_cndmask_b32_e32 v0, 0xff800000, v0, vcc_lo
	v_cmp_eq_u32_e32 vcc_lo, 0, v1
	s_delay_alu instid0(VALU_DEP_2)
	v_cndmask_b32_e32 v2, 0x7f800001, v0, vcc_lo
; %bb.23161:                            ;   in Loop: Header=BB6_22365 Depth=3
	s_or_b32 exec_lo, exec_lo, s75
.LBB6_23162:                            ;   in Loop: Header=BB6_22365 Depth=3
	s_delay_alu instid0(SALU_CYCLE_1)
	s_or_b32 exec_lo, exec_lo, s74
.LBB6_23163:                            ;   in Loop: Header=BB6_22365 Depth=3
	s_delay_alu instid0(SALU_CYCLE_1) | instskip(NEXT) | instid1(VALU_DEP_1)
	s_or_b32 exec_lo, exec_lo, s13
	v_dual_mul_f32 v2, s73, v2 :: v_dual_mov_b32 v5, v113
	v_mov_b32_e32 v1, v113
                                        ; implicit-def: $vgpr103
	s_mov_b32 s13, exec_lo
	s_delay_alu instid0(VALU_DEP_2) | instskip(SKIP_2) | instid1(VALU_DEP_3)
	v_and_b32_e32 v4, 0x7f800000, v2
	v_and_b32_e32 v0, 0x7fffff, v2
	v_lshrrev_b32_e32 v3, 24, v2
	v_cmpx_ne_u64_e32 0x7f800000, v[4:5]
	s_xor_b32 s74, exec_lo, s13
	s_cbranch_execz .LBB6_23177
; %bb.23164:                            ;   in Loop: Header=BB6_22365 Depth=3
	v_and_b32_e32 v4, 0x7fffffff, v2
	v_mov_b32_e32 v5, v113
                                        ; implicit-def: $vgpr103
	s_delay_alu instid0(VALU_DEP_1) | instskip(SKIP_2) | instid1(SALU_CYCLE_1)
	v_cmp_gt_u64_e32 vcc_lo, 0x47600001, v[4:5]
	v_and_b32_e32 v4, 0x80, v3
	s_and_saveexec_b32 s13, vcc_lo
	s_xor_b32 s75, exec_lo, s13
	s_cbranch_execz .LBB6_23174
; %bb.23165:                            ;   in Loop: Header=BB6_22365 Depth=3
	v_mov_b32_e32 v103, 0
	s_mov_b32 s76, exec_lo
	v_cmpx_ne_u32_e32 0, v2
	s_cbranch_execz .LBB6_23173
; %bb.23166:                            ;   in Loop: Header=BB6_22365 Depth=3
	v_bfe_u32 v5, v2, 23, 8
	v_or_b32_e32 v3, 0x800000, v0
	s_delay_alu instid0(VALU_DEP_2) | instskip(SKIP_2) | instid1(VALU_DEP_2)
	v_cmp_gt_u32_e64 s13, 0x72, v5
	v_sub_nc_u32_e32 v2, 0x71, v5
	v_cmp_eq_u32_e32 vcc_lo, 0, v5
	v_dual_cndmask_b32 v2, 0, v2, s13 :: v_dual_cndmask_b32 v0, v3, v0, vcc_lo
	s_delay_alu instid0(VALU_DEP_1) | instskip(NEXT) | instid1(VALU_DEP_1)
	v_cndmask_b32_e64 v8, v2, 0x70, vcc_lo
	v_dual_add_nc_u32 v2, 21, v8 :: v_dual_add_nc_u32 v9, 20, v8
	s_delay_alu instid0(VALU_DEP_1) | instskip(NEXT) | instid1(VALU_DEP_2)
	v_lshlrev_b64_e64 v[2:3], v2, -1
	v_lshlrev_b64_e64 v[12:13], v9, 1
	s_delay_alu instid0(VALU_DEP_2) | instskip(SKIP_1) | instid1(VALU_DEP_4)
	v_bfi_b32 v2, v2, 0, v0
	v_lshrrev_b64 v[0:1], v8, v[0:1]
	v_bfi_b32 v3, v3, 0, 0
	s_delay_alu instid0(VALU_DEP_1) | instskip(NEXT) | instid1(VALU_DEP_3)
	v_cmp_eq_u64_e64 s13, v[2:3], v[12:13]
	v_mov_b64_e32 v[2:3], v[0:1]
	s_and_saveexec_b32 s77, s13
; %bb.23167:                            ;   in Loop: Header=BB6_22365 Depth=3
	v_bfe_u32 v2, v0, 21, 1
	v_mov_b32_e32 v3, v113
	s_delay_alu instid0(VALU_DEP_1) | instskip(NEXT) | instid1(VALU_DEP_1)
	v_add_nc_u64_e32 v[2:3], v[0:1], v[2:3]
	v_add_nc_u64_e32 v[2:3], -1, v[2:3]
; %bb.23168:                            ;   in Loop: Header=BB6_22365 Depth=3
	s_or_b32 exec_lo, exec_lo, s77
	v_add_nc_u32_e32 v1, 0xffffff81, v5
	v_lshrrev_b32_e32 v3, 23, v0
	s_mov_b32 s13, exec_lo
	s_delay_alu instid0(VALU_DEP_2) | instskip(NEXT) | instid1(VALU_DEP_1)
	v_cndmask_b32_e64 v1, v1, 0xffffff82, vcc_lo
	v_add3_u32 v3, v8, v1, v3
	v_and_b32_e32 v1, 0x1fffff, v2
                                        ; implicit-def: $vgpr2
	s_delay_alu instid0(VALU_DEP_1) | instskip(SKIP_1) | instid1(VALU_DEP_2)
	v_dual_add_nc_u32 v5, 14, v3 :: v_dual_add_nc_u32 v0, v1, v0
	v_mov_b32_e32 v1, v113
	v_cmpx_ne_u32_e32 0, v5
	s_xor_b32 s13, exec_lo, s13
; %bb.23169:                            ;   in Loop: Header=BB6_22365 Depth=3
	s_delay_alu instid0(VALU_DEP_2) | instskip(SKIP_2) | instid1(VALU_DEP_2)
	v_cmp_lt_u64_e32 vcc_lo, 0xffffff, v[0:1]
	v_add_nc_u32_e32 v2, 15, v3
	v_cndmask_b32_e64 v3, 0, 1, vcc_lo
	v_cndmask_b32_e32 v2, v5, v2, vcc_lo
	s_delay_alu instid0(VALU_DEP_2)
	v_lshrrev_b64 v[0:1], v3, v[0:1]
; %bb.23170:                            ;   in Loop: Header=BB6_22365 Depth=3
	s_and_not1_saveexec_b32 s13, s13
; %bb.23171:                            ;   in Loop: Header=BB6_22365 Depth=3
	s_delay_alu instid0(VALU_DEP_1)
	v_bfe_u32 v2, v0, 23, 1
; %bb.23172:                            ;   in Loop: Header=BB6_22365 Depth=3
	s_or_b32 exec_lo, exec_lo, s13
	s_delay_alu instid0(VALU_DEP_2) | instskip(NEXT) | instid1(VALU_DEP_2)
	v_lshrrev_b64 v[0:1], 21, v[0:1]
	v_cmp_gt_i32_e32 vcc_lo, 32, v2
	v_min_i32_e32 v3, 31, v2
	v_cmp_eq_u32_e64 s13, 0, v2
	s_delay_alu instid0(VALU_DEP_2) | instskip(SKIP_1) | instid1(VALU_DEP_2)
	v_dual_cndmask_b32 v1, 0, v1, vcc_lo :: v_dual_lshlrev_b32 v3, 2, v3
	v_cndmask_b32_e32 v0, 3, v0, vcc_lo
	v_and_b32_e32 v3, 0xfc, v3
	s_delay_alu instid0(VALU_DEP_2) | instskip(NEXT) | instid1(VALU_DEP_2)
	v_cmp_eq_u64_e32 vcc_lo, 0, v[0:1]
	v_and_or_b32 v0, v0, 3, v3
	s_and_b32 s13, s13, vcc_lo
	s_delay_alu instid0(VALU_DEP_1) | instid1(SALU_CYCLE_1)
	v_cndmask_b32_e64 v0, v0, 0, s13
	s_delay_alu instid0(VALU_DEP_1)
	v_or_b32_e32 v103, v0, v4
.LBB6_23173:                            ;   in Loop: Header=BB6_22365 Depth=3
	s_or_b32 exec_lo, exec_lo, s76
                                        ; implicit-def: $vgpr4
.LBB6_23174:                            ;   in Loop: Header=BB6_22365 Depth=3
	s_and_not1_saveexec_b32 s13, s75
; %bb.23175:                            ;   in Loop: Header=BB6_22365 Depth=3
	v_or_b32_e32 v103, 0x7b, v4
; %bb.23176:                            ;   in Loop: Header=BB6_22365 Depth=3
	s_or_b32 exec_lo, exec_lo, s13
                                        ; implicit-def: $vgpr2
                                        ; implicit-def: $vgpr0_vgpr1
                                        ; implicit-def: $vgpr3
.LBB6_23177:                            ;   in Loop: Header=BB6_22365 Depth=3
	s_and_not1_saveexec_b32 s13, s74
	s_cbranch_execz .LBB6_23183
; %bb.23178:                            ;   in Loop: Header=BB6_22365 Depth=3
	s_mov_b32 s74, exec_lo
                                        ; implicit-def: $vgpr103
	v_cmpx_ne_u64_e32 0, v[0:1]
	s_xor_b32 s74, exec_lo, s74
; %bb.23179:                            ;   in Loop: Header=BB6_22365 Depth=3
	v_or_b32_e32 v103, 0x7f, v3
                                        ; implicit-def: $vgpr2
; %bb.23180:                            ;   in Loop: Header=BB6_22365 Depth=3
	s_and_not1_saveexec_b32 s74, s74
; %bb.23181:                            ;   in Loop: Header=BB6_22365 Depth=3
	v_cmp_lt_i32_e32 vcc_lo, -1, v2
	v_mov_b32_e32 v0, 0x7c
	s_delay_alu instid0(VALU_DEP_1)
	v_cndmask_b32_e32 v103, 0xfc, v0, vcc_lo
; %bb.23182:                            ;   in Loop: Header=BB6_22365 Depth=3
	s_or_b32 exec_lo, exec_lo, s74
.LBB6_23183:                            ;   in Loop: Header=BB6_22365 Depth=3
	s_delay_alu instid0(SALU_CYCLE_1)
	s_or_b32 exec_lo, exec_lo, s13
	v_mov_b32_e32 v1, 0
	s_mov_b32 s13, exec_lo
	v_cmpx_lt_u32_e32 0xffffff, v10
	s_cbranch_execz .LBB6_23193
; %bb.23184:                            ;   in Loop: Header=BB6_22365 Depth=3
	v_lshrrev_b32_e32 v0, 24, v10
	v_bfrev_b32_e32 v1, 1
	s_mov_b32 s74, exec_lo
	s_delay_alu instid0(VALU_DEP_2)
	v_cmpx_ne_u32_e32 0x80, v0
	s_cbranch_execz .LBB6_23192
; %bb.23185:                            ;   in Loop: Header=BB6_22365 Depth=3
	v_and_b32_e32 v1, 0x7c000000, v10
	v_bfe_u32 v2, v10, 24, 2
	s_delay_alu instid0(VALU_DEP_2) | instskip(SKIP_1) | instid1(SALU_CYCLE_1)
	v_cmp_ne_u32_e32 vcc_lo, 0x7c000000, v1
                                        ; implicit-def: $vgpr1
	s_and_saveexec_b32 s75, vcc_lo
	s_xor_b32 s75, exec_lo, s75
	s_cbranch_execz .LBB6_23189
; %bb.23186:                            ;   in Loop: Header=BB6_22365 Depth=3
	v_bfe_u32 v1, v10, 26, 5
	s_mov_b32 s76, exec_lo
	s_delay_alu instid0(VALU_DEP_1)
	v_cmpx_eq_u32_e32 0, v1
; %bb.23187:                            ;   in Loop: Header=BB6_22365 Depth=3
	v_clz_i32_u32_e32 v1, v2
	s_delay_alu instid0(VALU_DEP_1) | instskip(NEXT) | instid1(VALU_DEP_1)
	v_min_u32_e32 v2, 32, v1
	v_subrev_nc_u32_e32 v1, 29, v2
	s_delay_alu instid0(VALU_DEP_1) | instskip(NEXT) | instid1(VALU_DEP_1)
	v_lshlrev_b64_e32 v[0:1], v1, v[0:1]
	v_dual_sub_nc_u32 v1, 30, v2 :: v_dual_bitop2_b32 v2, 3, v0 bitop3:0x40
; %bb.23188:                            ;   in Loop: Header=BB6_22365 Depth=3
	s_or_b32 exec_lo, exec_lo, s76
	v_and_b32_e32 v0, 0x80000000, v10
	s_delay_alu instid0(VALU_DEP_1) | instskip(NEXT) | instid1(VALU_DEP_1)
	v_lshl_add_u32 v0, v1, 23, v0
	v_lshl_or_b32 v0, v2, 21, v0
                                        ; implicit-def: $vgpr2
	s_delay_alu instid0(VALU_DEP_1)
	v_add_nc_u32_e32 v1, 0x38000000, v0
.LBB6_23189:                            ;   in Loop: Header=BB6_22365 Depth=3
	s_and_not1_saveexec_b32 s75, s75
; %bb.23190:                            ;   in Loop: Header=BB6_22365 Depth=3
	v_cmp_lt_i32_e32 vcc_lo, -1, v10
	v_mov_b32_e32 v0, 0x7f800000
	s_delay_alu instid0(VALU_DEP_1) | instskip(SKIP_1) | instid1(VALU_DEP_2)
	v_cndmask_b32_e32 v0, 0xff800000, v0, vcc_lo
	v_cmp_eq_u32_e32 vcc_lo, 0, v2
	v_cndmask_b32_e32 v1, 0x7f800001, v0, vcc_lo
; %bb.23191:                            ;   in Loop: Header=BB6_22365 Depth=3
	s_or_b32 exec_lo, exec_lo, s75
.LBB6_23192:                            ;   in Loop: Header=BB6_22365 Depth=3
	s_delay_alu instid0(SALU_CYCLE_1)
	s_or_b32 exec_lo, exec_lo, s74
.LBB6_23193:                            ;   in Loop: Header=BB6_22365 Depth=3
	s_delay_alu instid0(SALU_CYCLE_1) | instskip(NEXT) | instid1(VALU_DEP_1)
	s_or_b32 exec_lo, exec_lo, s13
	v_dual_mul_f32 v2, s73, v1 :: v_dual_mov_b32 v5, v113
	v_mov_b32_e32 v1, v113
                                        ; implicit-def: $vgpr116
	s_mov_b32 s13, exec_lo
	s_delay_alu instid0(VALU_DEP_2) | instskip(SKIP_2) | instid1(VALU_DEP_3)
	v_and_b32_e32 v4, 0x7f800000, v2
	v_and_b32_e32 v0, 0x7fffff, v2
	v_lshrrev_b32_e32 v3, 24, v2
	v_cmpx_ne_u64_e32 0x7f800000, v[4:5]
	s_xor_b32 s74, exec_lo, s13
	s_cbranch_execz .LBB6_23207
; %bb.23194:                            ;   in Loop: Header=BB6_22365 Depth=3
	v_and_b32_e32 v4, 0x7fffffff, v2
	v_mov_b32_e32 v5, v113
                                        ; implicit-def: $vgpr116
	s_delay_alu instid0(VALU_DEP_1) | instskip(SKIP_2) | instid1(SALU_CYCLE_1)
	v_cmp_gt_u64_e32 vcc_lo, 0x47600001, v[4:5]
	v_and_b32_e32 v4, 0x80, v3
	s_and_saveexec_b32 s13, vcc_lo
	s_xor_b32 s75, exec_lo, s13
	s_cbranch_execz .LBB6_23204
; %bb.23195:                            ;   in Loop: Header=BB6_22365 Depth=3
	v_mov_b32_e32 v116, 0
	s_mov_b32 s76, exec_lo
	v_cmpx_ne_u32_e32 0, v2
	s_cbranch_execz .LBB6_23203
; %bb.23196:                            ;   in Loop: Header=BB6_22365 Depth=3
	v_bfe_u32 v5, v2, 23, 8
	v_or_b32_e32 v3, 0x800000, v0
	s_delay_alu instid0(VALU_DEP_2) | instskip(SKIP_2) | instid1(VALU_DEP_2)
	v_cmp_gt_u32_e64 s13, 0x72, v5
	v_sub_nc_u32_e32 v2, 0x71, v5
	v_cmp_eq_u32_e32 vcc_lo, 0, v5
	v_dual_cndmask_b32 v2, 0, v2, s13 :: v_dual_cndmask_b32 v0, v3, v0, vcc_lo
	s_delay_alu instid0(VALU_DEP_1) | instskip(NEXT) | instid1(VALU_DEP_1)
	v_cndmask_b32_e64 v8, v2, 0x70, vcc_lo
	v_dual_add_nc_u32 v2, 21, v8 :: v_dual_add_nc_u32 v9, 20, v8
	s_delay_alu instid0(VALU_DEP_1) | instskip(NEXT) | instid1(VALU_DEP_2)
	v_lshlrev_b64_e64 v[2:3], v2, -1
	v_lshlrev_b64_e64 v[12:13], v9, 1
	s_delay_alu instid0(VALU_DEP_2) | instskip(SKIP_1) | instid1(VALU_DEP_4)
	v_bfi_b32 v2, v2, 0, v0
	v_lshrrev_b64 v[0:1], v8, v[0:1]
	v_bfi_b32 v3, v3, 0, 0
	s_delay_alu instid0(VALU_DEP_1) | instskip(NEXT) | instid1(VALU_DEP_3)
	v_cmp_eq_u64_e64 s13, v[2:3], v[12:13]
	v_mov_b64_e32 v[2:3], v[0:1]
	s_and_saveexec_b32 s77, s13
; %bb.23197:                            ;   in Loop: Header=BB6_22365 Depth=3
	v_bfe_u32 v2, v0, 21, 1
	v_mov_b32_e32 v3, v113
	s_delay_alu instid0(VALU_DEP_1) | instskip(NEXT) | instid1(VALU_DEP_1)
	v_add_nc_u64_e32 v[2:3], v[0:1], v[2:3]
	v_add_nc_u64_e32 v[2:3], -1, v[2:3]
; %bb.23198:                            ;   in Loop: Header=BB6_22365 Depth=3
	s_or_b32 exec_lo, exec_lo, s77
	v_add_nc_u32_e32 v1, 0xffffff81, v5
	v_lshrrev_b32_e32 v3, 23, v0
	s_mov_b32 s13, exec_lo
	s_delay_alu instid0(VALU_DEP_2) | instskip(NEXT) | instid1(VALU_DEP_1)
	v_cndmask_b32_e64 v1, v1, 0xffffff82, vcc_lo
	v_add3_u32 v3, v8, v1, v3
	v_and_b32_e32 v1, 0x1fffff, v2
                                        ; implicit-def: $vgpr2
	s_delay_alu instid0(VALU_DEP_1) | instskip(SKIP_1) | instid1(VALU_DEP_2)
	v_dual_add_nc_u32 v5, 14, v3 :: v_dual_add_nc_u32 v0, v1, v0
	v_mov_b32_e32 v1, v113
	v_cmpx_ne_u32_e32 0, v5
	s_xor_b32 s13, exec_lo, s13
; %bb.23199:                            ;   in Loop: Header=BB6_22365 Depth=3
	s_delay_alu instid0(VALU_DEP_2) | instskip(SKIP_2) | instid1(VALU_DEP_2)
	v_cmp_lt_u64_e32 vcc_lo, 0xffffff, v[0:1]
	v_add_nc_u32_e32 v2, 15, v3
	v_cndmask_b32_e64 v3, 0, 1, vcc_lo
	v_cndmask_b32_e32 v2, v5, v2, vcc_lo
	s_delay_alu instid0(VALU_DEP_2)
	v_lshrrev_b64 v[0:1], v3, v[0:1]
; %bb.23200:                            ;   in Loop: Header=BB6_22365 Depth=3
	s_and_not1_saveexec_b32 s13, s13
; %bb.23201:                            ;   in Loop: Header=BB6_22365 Depth=3
	s_delay_alu instid0(VALU_DEP_1)
	v_bfe_u32 v2, v0, 23, 1
; %bb.23202:                            ;   in Loop: Header=BB6_22365 Depth=3
	s_or_b32 exec_lo, exec_lo, s13
	s_delay_alu instid0(VALU_DEP_2) | instskip(NEXT) | instid1(VALU_DEP_2)
	v_lshrrev_b64 v[0:1], 21, v[0:1]
	v_cmp_gt_i32_e32 vcc_lo, 32, v2
	v_min_i32_e32 v3, 31, v2
	v_cmp_eq_u32_e64 s13, 0, v2
	s_delay_alu instid0(VALU_DEP_2) | instskip(SKIP_1) | instid1(VALU_DEP_2)
	v_dual_cndmask_b32 v1, 0, v1, vcc_lo :: v_dual_lshlrev_b32 v3, 2, v3
	v_cndmask_b32_e32 v0, 3, v0, vcc_lo
	v_and_b32_e32 v3, 0xfc, v3
	s_delay_alu instid0(VALU_DEP_2) | instskip(NEXT) | instid1(VALU_DEP_2)
	v_cmp_eq_u64_e32 vcc_lo, 0, v[0:1]
	v_and_or_b32 v0, v0, 3, v3
	s_and_b32 s13, s13, vcc_lo
	s_delay_alu instid0(VALU_DEP_1) | instid1(SALU_CYCLE_1)
	v_cndmask_b32_e64 v0, v0, 0, s13
	s_delay_alu instid0(VALU_DEP_1)
	v_or_b32_e32 v116, v0, v4
.LBB6_23203:                            ;   in Loop: Header=BB6_22365 Depth=3
	s_or_b32 exec_lo, exec_lo, s76
                                        ; implicit-def: $vgpr4
.LBB6_23204:                            ;   in Loop: Header=BB6_22365 Depth=3
	s_and_not1_saveexec_b32 s13, s75
; %bb.23205:                            ;   in Loop: Header=BB6_22365 Depth=3
	v_or_b32_e32 v116, 0x7b, v4
; %bb.23206:                            ;   in Loop: Header=BB6_22365 Depth=3
	s_or_b32 exec_lo, exec_lo, s13
                                        ; implicit-def: $vgpr2
                                        ; implicit-def: $vgpr0_vgpr1
                                        ; implicit-def: $vgpr3
.LBB6_23207:                            ;   in Loop: Header=BB6_22365 Depth=3
	s_and_not1_saveexec_b32 s13, s74
	s_cbranch_execz .LBB6_23213
; %bb.23208:                            ;   in Loop: Header=BB6_22365 Depth=3
	s_mov_b32 s74, exec_lo
                                        ; implicit-def: $vgpr116
	v_cmpx_ne_u64_e32 0, v[0:1]
	s_xor_b32 s74, exec_lo, s74
; %bb.23209:                            ;   in Loop: Header=BB6_22365 Depth=3
	v_or_b32_e32 v116, 0x7f, v3
                                        ; implicit-def: $vgpr2
; %bb.23210:                            ;   in Loop: Header=BB6_22365 Depth=3
	s_and_not1_saveexec_b32 s74, s74
; %bb.23211:                            ;   in Loop: Header=BB6_22365 Depth=3
	v_cmp_lt_i32_e32 vcc_lo, -1, v2
	v_mov_b32_e32 v0, 0x7c
	s_delay_alu instid0(VALU_DEP_1)
	v_cndmask_b32_e32 v116, 0xfc, v0, vcc_lo
; %bb.23212:                            ;   in Loop: Header=BB6_22365 Depth=3
	s_or_b32 exec_lo, exec_lo, s74
.LBB6_23213:                            ;   in Loop: Header=BB6_22365 Depth=3
	s_delay_alu instid0(SALU_CYCLE_1) | instskip(SKIP_4) | instid1(VALU_DEP_3)
	s_or_b32 exec_lo, exec_lo, s13
	v_and_b32_e32 v2, 0xff, v11
	v_dual_mov_b32 v0, v11 :: v_dual_mov_b32 v1, v113
	v_mov_b32_e32 v3, 0
	s_mov_b32 s13, exec_lo
	v_cmpx_ne_u16_e32 0, v2
	s_cbranch_execz .LBB6_23223
; %bb.23214:                            ;   in Loop: Header=BB6_22365 Depth=3
	v_bfrev_b32_e32 v3, 1
	s_mov_b32 s74, exec_lo
	v_cmpx_ne_u16_e32 0x80, v2
	s_cbranch_execz .LBB6_23222
; %bb.23215:                            ;   in Loop: Header=BB6_22365 Depth=3
	v_and_b32_e32 v3, 0x7c, v11
	v_and_b32_e32 v2, 3, v11
	s_delay_alu instid0(VALU_DEP_2) | instskip(SKIP_1) | instid1(SALU_CYCLE_1)
	v_cmp_ne_u32_e32 vcc_lo, 0x7c, v3
                                        ; implicit-def: $vgpr3
	s_and_saveexec_b32 s75, vcc_lo
	s_xor_b32 s75, exec_lo, s75
	s_cbranch_execz .LBB6_23219
; %bb.23216:                            ;   in Loop: Header=BB6_22365 Depth=3
	v_bfe_u32 v3, v11, 2, 5
	s_mov_b32 s76, exec_lo
	s_delay_alu instid0(VALU_DEP_1)
	v_cmpx_eq_u32_e32 0, v3
; %bb.23217:                            ;   in Loop: Header=BB6_22365 Depth=3
	v_clz_i32_u32_e32 v2, v2
	s_delay_alu instid0(VALU_DEP_1) | instskip(NEXT) | instid1(VALU_DEP_1)
	v_min_u32_e32 v4, 32, v2
	v_subrev_nc_u32_e32 v2, 29, v4
	s_delay_alu instid0(VALU_DEP_1) | instskip(NEXT) | instid1(VALU_DEP_1)
	v_lshlrev_b64_e32 v[2:3], v2, v[0:1]
	v_dual_sub_nc_u32 v3, 30, v4 :: v_dual_bitop2_b32 v2, 3, v2 bitop3:0x40
; %bb.23218:                            ;   in Loop: Header=BB6_22365 Depth=3
	s_or_b32 exec_lo, exec_lo, s76
	v_lshlrev_b32_e32 v1, 24, v11
	s_delay_alu instid0(VALU_DEP_1) | instskip(NEXT) | instid1(VALU_DEP_1)
	v_and_b32_e32 v1, 0x80000000, v1
	v_lshl_add_u32 v1, v3, 23, v1
	s_delay_alu instid0(VALU_DEP_1) | instskip(NEXT) | instid1(VALU_DEP_1)
	v_lshl_or_b32 v1, v2, 21, v1
                                        ; implicit-def: $vgpr2
	v_add_nc_u32_e32 v3, 0x38000000, v1
.LBB6_23219:                            ;   in Loop: Header=BB6_22365 Depth=3
	s_and_not1_saveexec_b32 s75, s75
; %bb.23220:                            ;   in Loop: Header=BB6_22365 Depth=3
	v_bfe_i32 v1, v11, 0, 8
	s_delay_alu instid0(VALU_DEP_1) | instskip(SKIP_1) | instid1(VALU_DEP_1)
	v_cmp_lt_i16_e32 vcc_lo, -1, v1
	v_mov_b32_e32 v1, 0x7f800000
	v_cndmask_b32_e32 v1, 0xff800000, v1, vcc_lo
	v_cmp_eq_u32_e32 vcc_lo, 0, v2
	s_delay_alu instid0(VALU_DEP_2)
	v_cndmask_b32_e32 v3, 0x7f800001, v1, vcc_lo
; %bb.23221:                            ;   in Loop: Header=BB6_22365 Depth=3
	s_or_b32 exec_lo, exec_lo, s75
.LBB6_23222:                            ;   in Loop: Header=BB6_22365 Depth=3
	s_delay_alu instid0(SALU_CYCLE_1)
	s_or_b32 exec_lo, exec_lo, s74
.LBB6_23223:                            ;   in Loop: Header=BB6_22365 Depth=3
	s_delay_alu instid0(SALU_CYCLE_1) | instskip(NEXT) | instid1(VALU_DEP_1)
	s_or_b32 exec_lo, exec_lo, s13
	v_dual_mul_f32 v4, s73, v3 :: v_dual_mov_b32 v9, v113
	v_mov_b32_e32 v3, v113
                                        ; implicit-def: $vgpr82
	s_mov_b32 s13, exec_lo
	s_delay_alu instid0(VALU_DEP_2) | instskip(SKIP_2) | instid1(VALU_DEP_3)
	v_and_b32_e32 v8, 0x7f800000, v4
	v_and_b32_e32 v2, 0x7fffff, v4
	v_lshrrev_b32_e32 v1, 24, v4
	v_cmpx_ne_u64_e32 0x7f800000, v[8:9]
	s_xor_b32 s74, exec_lo, s13
	s_cbranch_execz .LBB6_23237
; %bb.23224:                            ;   in Loop: Header=BB6_22365 Depth=3
	v_and_b32_e32 v8, 0x7fffffff, v4
	v_mov_b32_e32 v9, v113
	v_and_b32_e32 v1, 0x80, v1
                                        ; implicit-def: $vgpr82
	s_mov_b32 s13, exec_lo
	s_delay_alu instid0(VALU_DEP_2)
	v_cmpx_gt_u64_e32 0x47600001, v[8:9]
	s_xor_b32 s75, exec_lo, s13
	s_cbranch_execz .LBB6_23234
; %bb.23225:                            ;   in Loop: Header=BB6_22365 Depth=3
	v_mov_b32_e32 v82, 0
	s_mov_b32 s76, exec_lo
	v_cmpx_ne_u32_e32 0, v4
	s_cbranch_execz .LBB6_23233
; %bb.23226:                            ;   in Loop: Header=BB6_22365 Depth=3
	v_bfe_u32 v8, v4, 23, 8
	v_or_b32_e32 v5, 0x800000, v2
	s_delay_alu instid0(VALU_DEP_2) | instskip(SKIP_2) | instid1(VALU_DEP_2)
	v_cmp_gt_u32_e64 s13, 0x72, v8
	v_sub_nc_u32_e32 v4, 0x71, v8
	v_cmp_eq_u32_e32 vcc_lo, 0, v8
	v_dual_cndmask_b32 v4, 0, v4, s13 :: v_dual_cndmask_b32 v2, v5, v2, vcc_lo
	s_delay_alu instid0(VALU_DEP_1) | instskip(NEXT) | instid1(VALU_DEP_1)
	v_cndmask_b32_e64 v9, v4, 0x70, vcc_lo
	v_dual_add_nc_u32 v4, 21, v9 :: v_dual_add_nc_u32 v12, 20, v9
	s_delay_alu instid0(VALU_DEP_1) | instskip(NEXT) | instid1(VALU_DEP_2)
	v_lshlrev_b64_e64 v[4:5], v4, -1
	v_lshlrev_b64_e64 v[12:13], v12, 1
	s_delay_alu instid0(VALU_DEP_2) | instskip(SKIP_1) | instid1(VALU_DEP_4)
	v_bfi_b32 v4, v4, 0, v2
	v_lshrrev_b64 v[2:3], v9, v[2:3]
	v_bfi_b32 v5, v5, 0, 0
	s_delay_alu instid0(VALU_DEP_1) | instskip(NEXT) | instid1(VALU_DEP_3)
	v_cmp_eq_u64_e64 s13, v[4:5], v[12:13]
	v_mov_b64_e32 v[4:5], v[2:3]
	s_and_saveexec_b32 s77, s13
; %bb.23227:                            ;   in Loop: Header=BB6_22365 Depth=3
	v_bfe_u32 v4, v2, 21, 1
	v_mov_b32_e32 v5, v113
	s_delay_alu instid0(VALU_DEP_1) | instskip(NEXT) | instid1(VALU_DEP_1)
	v_add_nc_u64_e32 v[4:5], v[2:3], v[4:5]
	v_add_nc_u64_e32 v[4:5], -1, v[4:5]
; %bb.23228:                            ;   in Loop: Header=BB6_22365 Depth=3
	s_or_b32 exec_lo, exec_lo, s77
	v_add_nc_u32_e32 v3, 0xffffff81, v8
	v_lshrrev_b32_e32 v5, 23, v2
	s_mov_b32 s13, exec_lo
	s_delay_alu instid0(VALU_DEP_2) | instskip(NEXT) | instid1(VALU_DEP_1)
	v_cndmask_b32_e64 v3, v3, 0xffffff82, vcc_lo
	v_add3_u32 v8, v9, v3, v5
	v_and_b32_e32 v3, 0x1fffff, v4
                                        ; implicit-def: $vgpr4
	s_delay_alu instid0(VALU_DEP_1) | instskip(SKIP_1) | instid1(VALU_DEP_2)
	v_dual_add_nc_u32 v5, 14, v8 :: v_dual_add_nc_u32 v2, v3, v2
	v_mov_b32_e32 v3, v113
	v_cmpx_ne_u32_e32 0, v5
	s_xor_b32 s13, exec_lo, s13
; %bb.23229:                            ;   in Loop: Header=BB6_22365 Depth=3
	s_delay_alu instid0(VALU_DEP_2) | instskip(SKIP_1) | instid1(VALU_DEP_1)
	v_cmp_lt_u64_e32 vcc_lo, 0xffffff, v[2:3]
	v_add_nc_u32_e32 v4, 15, v8
	v_cndmask_b32_e32 v4, v5, v4, vcc_lo
	v_cndmask_b32_e64 v5, 0, 1, vcc_lo
	s_delay_alu instid0(VALU_DEP_1)
	v_lshrrev_b64 v[2:3], v5, v[2:3]
; %bb.23230:                            ;   in Loop: Header=BB6_22365 Depth=3
	s_and_not1_saveexec_b32 s13, s13
; %bb.23231:                            ;   in Loop: Header=BB6_22365 Depth=3
	s_delay_alu instid0(VALU_DEP_1)
	v_bfe_u32 v4, v2, 23, 1
; %bb.23232:                            ;   in Loop: Header=BB6_22365 Depth=3
	s_or_b32 exec_lo, exec_lo, s13
	s_delay_alu instid0(VALU_DEP_2) | instskip(NEXT) | instid1(VALU_DEP_2)
	v_lshrrev_b64 v[2:3], 21, v[2:3]
	v_cmp_gt_i32_e32 vcc_lo, 32, v4
	v_min_i32_e32 v5, 31, v4
	v_cmp_eq_u32_e64 s13, 0, v4
	s_delay_alu instid0(VALU_DEP_2) | instskip(SKIP_1) | instid1(VALU_DEP_2)
	v_dual_cndmask_b32 v3, 0, v3, vcc_lo :: v_dual_lshlrev_b32 v5, 2, v5
	v_cndmask_b32_e32 v2, 3, v2, vcc_lo
	v_and_b32_e32 v5, 0xfc, v5
	s_delay_alu instid0(VALU_DEP_2) | instskip(NEXT) | instid1(VALU_DEP_2)
	v_cmp_eq_u64_e32 vcc_lo, 0, v[2:3]
	v_and_or_b32 v2, v2, 3, v5
	s_and_b32 s13, s13, vcc_lo
	s_delay_alu instid0(VALU_DEP_1) | instid1(SALU_CYCLE_1)
	v_cndmask_b32_e64 v2, v2, 0, s13
	s_delay_alu instid0(VALU_DEP_1)
	v_or_b32_e32 v82, v2, v1
.LBB6_23233:                            ;   in Loop: Header=BB6_22365 Depth=3
	s_or_b32 exec_lo, exec_lo, s76
                                        ; implicit-def: $vgpr1
.LBB6_23234:                            ;   in Loop: Header=BB6_22365 Depth=3
	s_and_not1_saveexec_b32 s13, s75
; %bb.23235:                            ;   in Loop: Header=BB6_22365 Depth=3
	v_or_b32_e32 v82, 0x7b, v1
; %bb.23236:                            ;   in Loop: Header=BB6_22365 Depth=3
	s_or_b32 exec_lo, exec_lo, s13
                                        ; implicit-def: $vgpr4
                                        ; implicit-def: $vgpr2_vgpr3
                                        ; implicit-def: $vgpr1
.LBB6_23237:                            ;   in Loop: Header=BB6_22365 Depth=3
	s_and_not1_saveexec_b32 s13, s74
	s_cbranch_execz .LBB6_23243
; %bb.23238:                            ;   in Loop: Header=BB6_22365 Depth=3
	s_mov_b32 s74, exec_lo
                                        ; implicit-def: $vgpr82
	v_cmpx_ne_u64_e32 0, v[2:3]
	s_xor_b32 s74, exec_lo, s74
; %bb.23239:                            ;   in Loop: Header=BB6_22365 Depth=3
	v_or_b32_e32 v82, 0x7f, v1
                                        ; implicit-def: $vgpr4
; %bb.23240:                            ;   in Loop: Header=BB6_22365 Depth=3
	s_and_not1_saveexec_b32 s74, s74
; %bb.23241:                            ;   in Loop: Header=BB6_22365 Depth=3
	v_cmp_lt_i32_e32 vcc_lo, -1, v4
	v_mov_b32_e32 v1, 0x7c
	s_delay_alu instid0(VALU_DEP_1)
	v_cndmask_b32_e32 v82, 0xfc, v1, vcc_lo
; %bb.23242:                            ;   in Loop: Header=BB6_22365 Depth=3
	s_or_b32 exec_lo, exec_lo, s74
.LBB6_23243:                            ;   in Loop: Header=BB6_22365 Depth=3
	s_delay_alu instid0(SALU_CYCLE_1) | instskip(SKIP_3) | instid1(VALU_DEP_2)
	s_or_b32 exec_lo, exec_lo, s13
	v_lshrrev_b16 v2, 8, v0
	v_mov_b32_e32 v4, 0
	s_mov_b32 s13, exec_lo
	v_cmpx_ne_u16_e32 0, v2
	s_cbranch_execz .LBB6_23253
; %bb.23244:                            ;   in Loop: Header=BB6_22365 Depth=3
	v_bfrev_b32_e32 v4, 1
	s_mov_b32 s74, exec_lo
	v_cmpx_ne_u16_e32 0x80, v2
	s_cbranch_execz .LBB6_23252
; %bb.23245:                            ;   in Loop: Header=BB6_22365 Depth=3
	v_and_b32_e32 v1, 0xffff, v2
	s_delay_alu instid0(VALU_DEP_1) | instskip(SKIP_1) | instid1(VALU_DEP_2)
	v_and_b32_e32 v4, 0x7c, v1
	v_and_b32_e32 v3, 3, v1
	v_cmp_ne_u32_e32 vcc_lo, 0x7c, v4
                                        ; implicit-def: $vgpr4
	s_and_saveexec_b32 s75, vcc_lo
	s_delay_alu instid0(SALU_CYCLE_1)
	s_xor_b32 s75, exec_lo, s75
	s_cbranch_execz .LBB6_23249
; %bb.23246:                            ;   in Loop: Header=BB6_22365 Depth=3
	v_bfe_u32 v1, v1, 2, 5
	s_mov_b32 s76, exec_lo
	s_delay_alu instid0(VALU_DEP_1)
	v_cmpx_eq_u32_e32 0, v1
	s_cbranch_execz .LBB6_23248
; %bb.23247:                            ;   in Loop: Header=BB6_22365 Depth=3
	v_clz_i32_u32_e32 v1, v3
	s_delay_alu instid0(VALU_DEP_1) | instskip(SKIP_1) | instid1(VALU_DEP_2)
	v_min_u32_e32 v1, 32, v1
	v_mov_b32_e32 v3, v113
	v_subrev_nc_u32_e32 v4, 29, v1
	v_sub_nc_u32_e32 v1, 30, v1
	s_delay_alu instid0(VALU_DEP_2) | instskip(NEXT) | instid1(VALU_DEP_1)
	v_lshlrev_b64_e32 v[2:3], v4, v[2:3]
	v_and_b32_e32 v3, 3, v2
.LBB6_23248:                            ;   in Loop: Header=BB6_22365 Depth=3
	s_or_b32 exec_lo, exec_lo, s76
	v_lshlrev_b32_e32 v0, 16, v0
	s_delay_alu instid0(VALU_DEP_1) | instskip(NEXT) | instid1(VALU_DEP_1)
	v_and_b32_e32 v0, 0x80000000, v0
	v_lshl_add_u32 v0, v1, 23, v0
	s_delay_alu instid0(VALU_DEP_1) | instskip(NEXT) | instid1(VALU_DEP_1)
	v_lshl_or_b32 v0, v3, 21, v0
                                        ; implicit-def: $vgpr3
	v_add_nc_u32_e32 v4, 0x38000000, v0
                                        ; implicit-def: $vgpr0_vgpr1
.LBB6_23249:                            ;   in Loop: Header=BB6_22365 Depth=3
	s_and_not1_saveexec_b32 s75, s75
; %bb.23250:                            ;   in Loop: Header=BB6_22365 Depth=3
	v_cmp_lt_i16_e32 vcc_lo, -1, v0
	v_mov_b32_e32 v0, 0x7f800000
	s_delay_alu instid0(VALU_DEP_1) | instskip(SKIP_1) | instid1(VALU_DEP_2)
	v_cndmask_b32_e32 v0, 0xff800000, v0, vcc_lo
	v_cmp_eq_u32_e32 vcc_lo, 0, v3
	v_cndmask_b32_e32 v4, 0x7f800001, v0, vcc_lo
; %bb.23251:                            ;   in Loop: Header=BB6_22365 Depth=3
	s_or_b32 exec_lo, exec_lo, s75
.LBB6_23252:                            ;   in Loop: Header=BB6_22365 Depth=3
	s_delay_alu instid0(SALU_CYCLE_1)
	s_or_b32 exec_lo, exec_lo, s74
.LBB6_23253:                            ;   in Loop: Header=BB6_22365 Depth=3
	s_delay_alu instid0(SALU_CYCLE_1) | instskip(NEXT) | instid1(VALU_DEP_1)
	s_or_b32 exec_lo, exec_lo, s13
	v_dual_mul_f32 v2, s73, v4 :: v_dual_mov_b32 v5, v113
	v_mov_b32_e32 v1, v113
                                        ; implicit-def: $vgpr96
	s_mov_b32 s13, exec_lo
	s_delay_alu instid0(VALU_DEP_2) | instskip(SKIP_2) | instid1(VALU_DEP_3)
	v_and_b32_e32 v4, 0x7f800000, v2
	v_and_b32_e32 v0, 0x7fffff, v2
	v_lshrrev_b32_e32 v3, 24, v2
	v_cmpx_ne_u64_e32 0x7f800000, v[4:5]
	s_xor_b32 s74, exec_lo, s13
	s_cbranch_execz .LBB6_23267
; %bb.23254:                            ;   in Loop: Header=BB6_22365 Depth=3
	v_and_b32_e32 v4, 0x7fffffff, v2
	v_mov_b32_e32 v5, v113
                                        ; implicit-def: $vgpr96
	s_delay_alu instid0(VALU_DEP_1) | instskip(SKIP_2) | instid1(SALU_CYCLE_1)
	v_cmp_gt_u64_e32 vcc_lo, 0x47600001, v[4:5]
	v_and_b32_e32 v4, 0x80, v3
	s_and_saveexec_b32 s13, vcc_lo
	s_xor_b32 s75, exec_lo, s13
	s_cbranch_execz .LBB6_23264
; %bb.23255:                            ;   in Loop: Header=BB6_22365 Depth=3
	v_mov_b32_e32 v96, 0
	s_mov_b32 s76, exec_lo
	v_cmpx_ne_u32_e32 0, v2
	s_cbranch_execz .LBB6_23263
; %bb.23256:                            ;   in Loop: Header=BB6_22365 Depth=3
	v_bfe_u32 v5, v2, 23, 8
	v_or_b32_e32 v3, 0x800000, v0
	s_delay_alu instid0(VALU_DEP_2) | instskip(SKIP_2) | instid1(VALU_DEP_2)
	v_cmp_gt_u32_e64 s13, 0x72, v5
	v_sub_nc_u32_e32 v2, 0x71, v5
	v_cmp_eq_u32_e32 vcc_lo, 0, v5
	v_dual_cndmask_b32 v2, 0, v2, s13 :: v_dual_cndmask_b32 v0, v3, v0, vcc_lo
	s_delay_alu instid0(VALU_DEP_1) | instskip(NEXT) | instid1(VALU_DEP_1)
	v_cndmask_b32_e64 v8, v2, 0x70, vcc_lo
	v_dual_add_nc_u32 v2, 21, v8 :: v_dual_add_nc_u32 v9, 20, v8
	s_delay_alu instid0(VALU_DEP_1) | instskip(NEXT) | instid1(VALU_DEP_2)
	v_lshlrev_b64_e64 v[2:3], v2, -1
	v_lshlrev_b64_e64 v[12:13], v9, 1
	s_delay_alu instid0(VALU_DEP_2) | instskip(SKIP_1) | instid1(VALU_DEP_4)
	v_bfi_b32 v2, v2, 0, v0
	v_lshrrev_b64 v[0:1], v8, v[0:1]
	v_bfi_b32 v3, v3, 0, 0
	s_delay_alu instid0(VALU_DEP_1) | instskip(NEXT) | instid1(VALU_DEP_3)
	v_cmp_eq_u64_e64 s13, v[2:3], v[12:13]
	v_mov_b64_e32 v[2:3], v[0:1]
	s_and_saveexec_b32 s77, s13
; %bb.23257:                            ;   in Loop: Header=BB6_22365 Depth=3
	v_bfe_u32 v2, v0, 21, 1
	v_mov_b32_e32 v3, v113
	s_delay_alu instid0(VALU_DEP_1) | instskip(NEXT) | instid1(VALU_DEP_1)
	v_add_nc_u64_e32 v[2:3], v[0:1], v[2:3]
	v_add_nc_u64_e32 v[2:3], -1, v[2:3]
; %bb.23258:                            ;   in Loop: Header=BB6_22365 Depth=3
	s_or_b32 exec_lo, exec_lo, s77
	v_add_nc_u32_e32 v1, 0xffffff81, v5
	v_lshrrev_b32_e32 v3, 23, v0
	s_mov_b32 s13, exec_lo
	s_delay_alu instid0(VALU_DEP_2) | instskip(NEXT) | instid1(VALU_DEP_1)
	v_cndmask_b32_e64 v1, v1, 0xffffff82, vcc_lo
	v_add3_u32 v5, v8, v1, v3
	v_and_b32_e32 v1, 0x1fffff, v2
                                        ; implicit-def: $vgpr2
	s_delay_alu instid0(VALU_DEP_1) | instskip(SKIP_1) | instid1(VALU_DEP_2)
	v_dual_add_nc_u32 v3, 14, v5 :: v_dual_add_nc_u32 v0, v1, v0
	v_mov_b32_e32 v1, v113
	v_cmpx_ne_u32_e32 0, v3
	s_xor_b32 s13, exec_lo, s13
; %bb.23259:                            ;   in Loop: Header=BB6_22365 Depth=3
	s_delay_alu instid0(VALU_DEP_2) | instskip(SKIP_1) | instid1(VALU_DEP_1)
	v_cmp_lt_u64_e32 vcc_lo, 0xffffff, v[0:1]
	v_add_nc_u32_e32 v2, 15, v5
	v_cndmask_b32_e32 v2, v3, v2, vcc_lo
	v_cndmask_b32_e64 v3, 0, 1, vcc_lo
	s_delay_alu instid0(VALU_DEP_1)
	v_lshrrev_b64 v[0:1], v3, v[0:1]
; %bb.23260:                            ;   in Loop: Header=BB6_22365 Depth=3
	s_and_not1_saveexec_b32 s13, s13
; %bb.23261:                            ;   in Loop: Header=BB6_22365 Depth=3
	s_delay_alu instid0(VALU_DEP_1)
	v_bfe_u32 v2, v0, 23, 1
; %bb.23262:                            ;   in Loop: Header=BB6_22365 Depth=3
	s_or_b32 exec_lo, exec_lo, s13
	s_delay_alu instid0(VALU_DEP_2) | instskip(NEXT) | instid1(VALU_DEP_2)
	v_lshrrev_b64 v[0:1], 21, v[0:1]
	v_cmp_gt_i32_e32 vcc_lo, 32, v2
	v_min_i32_e32 v3, 31, v2
	v_cmp_eq_u32_e64 s13, 0, v2
	s_delay_alu instid0(VALU_DEP_2) | instskip(SKIP_1) | instid1(VALU_DEP_2)
	v_dual_cndmask_b32 v1, 0, v1, vcc_lo :: v_dual_lshlrev_b32 v3, 2, v3
	v_cndmask_b32_e32 v0, 3, v0, vcc_lo
	v_and_b32_e32 v3, 0xfc, v3
	s_delay_alu instid0(VALU_DEP_2) | instskip(NEXT) | instid1(VALU_DEP_2)
	v_cmp_eq_u64_e32 vcc_lo, 0, v[0:1]
	v_and_or_b32 v0, v0, 3, v3
	s_and_b32 s13, s13, vcc_lo
	s_delay_alu instid0(VALU_DEP_1) | instid1(SALU_CYCLE_1)
	v_cndmask_b32_e64 v0, v0, 0, s13
	s_delay_alu instid0(VALU_DEP_1)
	v_or_b32_e32 v96, v0, v4
.LBB6_23263:                            ;   in Loop: Header=BB6_22365 Depth=3
	s_or_b32 exec_lo, exec_lo, s76
                                        ; implicit-def: $vgpr4
.LBB6_23264:                            ;   in Loop: Header=BB6_22365 Depth=3
	s_and_not1_saveexec_b32 s13, s75
; %bb.23265:                            ;   in Loop: Header=BB6_22365 Depth=3
	v_or_b32_e32 v96, 0x7b, v4
; %bb.23266:                            ;   in Loop: Header=BB6_22365 Depth=3
	s_or_b32 exec_lo, exec_lo, s13
                                        ; implicit-def: $vgpr2
                                        ; implicit-def: $vgpr0_vgpr1
                                        ; implicit-def: $vgpr3
.LBB6_23267:                            ;   in Loop: Header=BB6_22365 Depth=3
	s_and_not1_saveexec_b32 s13, s74
	s_cbranch_execz .LBB6_23273
; %bb.23268:                            ;   in Loop: Header=BB6_22365 Depth=3
	s_mov_b32 s74, exec_lo
                                        ; implicit-def: $vgpr96
	v_cmpx_ne_u64_e32 0, v[0:1]
	s_xor_b32 s74, exec_lo, s74
; %bb.23269:                            ;   in Loop: Header=BB6_22365 Depth=3
	v_or_b32_e32 v96, 0x7f, v3
                                        ; implicit-def: $vgpr2
; %bb.23270:                            ;   in Loop: Header=BB6_22365 Depth=3
	s_and_not1_saveexec_b32 s74, s74
; %bb.23271:                            ;   in Loop: Header=BB6_22365 Depth=3
	v_cmp_lt_i32_e32 vcc_lo, -1, v2
	v_mov_b32_e32 v0, 0x7c
	s_delay_alu instid0(VALU_DEP_1)
	v_cndmask_b32_e32 v96, 0xfc, v0, vcc_lo
; %bb.23272:                            ;   in Loop: Header=BB6_22365 Depth=3
	s_or_b32 exec_lo, exec_lo, s74
.LBB6_23273:                            ;   in Loop: Header=BB6_22365 Depth=3
	s_delay_alu instid0(SALU_CYCLE_1) | instskip(SKIP_2) | instid1(VALU_DEP_1)
	s_or_b32 exec_lo, exec_lo, s13
	v_dual_lshrrev_b32 v0, 16, v11 :: v_dual_mov_b32 v2, 0
	s_mov_b32 s13, exec_lo
	v_and_b32_e32 v1, 0xff, v0
	s_delay_alu instid0(VALU_DEP_1)
	v_cmpx_ne_u16_e32 0, v1
	s_cbranch_execz .LBB6_23283
; %bb.23274:                            ;   in Loop: Header=BB6_22365 Depth=3
	v_bfrev_b32_e32 v2, 1
	s_mov_b32 s74, exec_lo
	v_cmpx_ne_u16_e32 0x80, v1
	s_cbranch_execz .LBB6_23282
; %bb.23275:                            ;   in Loop: Header=BB6_22365 Depth=3
	v_and_b32_e32 v2, 0x7c0000, v11
	v_bfe_u32 v1, v11, 16, 2
	s_delay_alu instid0(VALU_DEP_2) | instskip(SKIP_1) | instid1(SALU_CYCLE_1)
	v_cmp_ne_u32_e32 vcc_lo, 0x7c0000, v2
                                        ; implicit-def: $vgpr2
	s_and_saveexec_b32 s75, vcc_lo
	s_xor_b32 s75, exec_lo, s75
	s_cbranch_execz .LBB6_23279
; %bb.23276:                            ;   in Loop: Header=BB6_22365 Depth=3
	v_bfe_u32 v2, v11, 18, 5
	s_mov_b32 s76, exec_lo
	s_delay_alu instid0(VALU_DEP_1)
	v_cmpx_eq_u32_e32 0, v2
; %bb.23277:                            ;   in Loop: Header=BB6_22365 Depth=3
	v_clz_i32_u32_e32 v1, v1
	s_delay_alu instid0(VALU_DEP_1) | instskip(NEXT) | instid1(VALU_DEP_1)
	v_min_u32_e32 v1, 32, v1
	v_subrev_nc_u32_e32 v2, 29, v1
	s_delay_alu instid0(VALU_DEP_1) | instskip(NEXT) | instid1(VALU_DEP_1)
	v_lshlrev_b64_e32 v[4:5], v2, v[0:1]
	v_dual_sub_nc_u32 v2, 30, v1 :: v_dual_bitop2_b32 v1, 3, v4 bitop3:0x40
; %bb.23278:                            ;   in Loop: Header=BB6_22365 Depth=3
	s_or_b32 exec_lo, exec_lo, s76
	v_lshlrev_b32_e32 v0, 24, v0
	s_delay_alu instid0(VALU_DEP_1) | instskip(NEXT) | instid1(VALU_DEP_1)
	v_and_b32_e32 v0, 0x80000000, v0
	v_lshl_add_u32 v0, v2, 23, v0
	s_delay_alu instid0(VALU_DEP_1) | instskip(NEXT) | instid1(VALU_DEP_1)
	v_lshl_or_b32 v0, v1, 21, v0
                                        ; implicit-def: $vgpr1
	v_add_nc_u32_e32 v2, 0x38000000, v0
                                        ; implicit-def: $vgpr0
.LBB6_23279:                            ;   in Loop: Header=BB6_22365 Depth=3
	s_and_not1_saveexec_b32 s75, s75
; %bb.23280:                            ;   in Loop: Header=BB6_22365 Depth=3
	v_bfe_i32 v0, v0, 0, 8
	s_delay_alu instid0(VALU_DEP_1) | instskip(SKIP_1) | instid1(VALU_DEP_1)
	v_cmp_lt_i16_e32 vcc_lo, -1, v0
	v_mov_b32_e32 v0, 0x7f800000
	v_cndmask_b32_e32 v0, 0xff800000, v0, vcc_lo
	v_cmp_eq_u32_e32 vcc_lo, 0, v1
	s_delay_alu instid0(VALU_DEP_2)
	v_cndmask_b32_e32 v2, 0x7f800001, v0, vcc_lo
; %bb.23281:                            ;   in Loop: Header=BB6_22365 Depth=3
	s_or_b32 exec_lo, exec_lo, s75
.LBB6_23282:                            ;   in Loop: Header=BB6_22365 Depth=3
	s_delay_alu instid0(SALU_CYCLE_1)
	s_or_b32 exec_lo, exec_lo, s74
.LBB6_23283:                            ;   in Loop: Header=BB6_22365 Depth=3
	s_delay_alu instid0(SALU_CYCLE_1) | instskip(NEXT) | instid1(VALU_DEP_1)
	s_or_b32 exec_lo, exec_lo, s13
	v_dual_mul_f32 v2, s73, v2 :: v_dual_mov_b32 v5, v113
	v_mov_b32_e32 v1, v113
                                        ; implicit-def: $vgpr98
	s_mov_b32 s13, exec_lo
	s_delay_alu instid0(VALU_DEP_2) | instskip(SKIP_2) | instid1(VALU_DEP_3)
	v_and_b32_e32 v4, 0x7f800000, v2
	v_and_b32_e32 v0, 0x7fffff, v2
	v_lshrrev_b32_e32 v3, 24, v2
	v_cmpx_ne_u64_e32 0x7f800000, v[4:5]
	s_xor_b32 s74, exec_lo, s13
	s_cbranch_execz .LBB6_23297
; %bb.23284:                            ;   in Loop: Header=BB6_22365 Depth=3
	v_and_b32_e32 v4, 0x7fffffff, v2
	v_mov_b32_e32 v5, v113
                                        ; implicit-def: $vgpr98
	s_delay_alu instid0(VALU_DEP_1) | instskip(SKIP_2) | instid1(SALU_CYCLE_1)
	v_cmp_gt_u64_e32 vcc_lo, 0x47600001, v[4:5]
	v_and_b32_e32 v4, 0x80, v3
	s_and_saveexec_b32 s13, vcc_lo
	s_xor_b32 s75, exec_lo, s13
	s_cbranch_execz .LBB6_23294
; %bb.23285:                            ;   in Loop: Header=BB6_22365 Depth=3
	v_mov_b32_e32 v98, 0
	s_mov_b32 s76, exec_lo
	v_cmpx_ne_u32_e32 0, v2
	s_cbranch_execz .LBB6_23293
; %bb.23286:                            ;   in Loop: Header=BB6_22365 Depth=3
	v_bfe_u32 v5, v2, 23, 8
	v_or_b32_e32 v3, 0x800000, v0
	s_delay_alu instid0(VALU_DEP_2) | instskip(SKIP_2) | instid1(VALU_DEP_2)
	v_cmp_gt_u32_e64 s13, 0x72, v5
	v_sub_nc_u32_e32 v2, 0x71, v5
	v_cmp_eq_u32_e32 vcc_lo, 0, v5
	v_dual_cndmask_b32 v2, 0, v2, s13 :: v_dual_cndmask_b32 v0, v3, v0, vcc_lo
	s_delay_alu instid0(VALU_DEP_1) | instskip(NEXT) | instid1(VALU_DEP_1)
	v_cndmask_b32_e64 v8, v2, 0x70, vcc_lo
	v_dual_add_nc_u32 v2, 21, v8 :: v_dual_add_nc_u32 v9, 20, v8
	s_delay_alu instid0(VALU_DEP_1) | instskip(NEXT) | instid1(VALU_DEP_2)
	v_lshlrev_b64_e64 v[2:3], v2, -1
	v_lshlrev_b64_e64 v[12:13], v9, 1
	s_delay_alu instid0(VALU_DEP_2) | instskip(SKIP_1) | instid1(VALU_DEP_4)
	v_bfi_b32 v2, v2, 0, v0
	v_lshrrev_b64 v[0:1], v8, v[0:1]
	v_bfi_b32 v3, v3, 0, 0
	s_delay_alu instid0(VALU_DEP_1) | instskip(NEXT) | instid1(VALU_DEP_3)
	v_cmp_eq_u64_e64 s13, v[2:3], v[12:13]
	v_mov_b64_e32 v[2:3], v[0:1]
	s_and_saveexec_b32 s77, s13
; %bb.23287:                            ;   in Loop: Header=BB6_22365 Depth=3
	v_bfe_u32 v2, v0, 21, 1
	v_mov_b32_e32 v3, v113
	s_delay_alu instid0(VALU_DEP_1) | instskip(NEXT) | instid1(VALU_DEP_1)
	v_add_nc_u64_e32 v[2:3], v[0:1], v[2:3]
	v_add_nc_u64_e32 v[2:3], -1, v[2:3]
; %bb.23288:                            ;   in Loop: Header=BB6_22365 Depth=3
	s_or_b32 exec_lo, exec_lo, s77
	v_add_nc_u32_e32 v1, 0xffffff81, v5
	v_lshrrev_b32_e32 v3, 23, v0
	s_mov_b32 s13, exec_lo
	s_delay_alu instid0(VALU_DEP_2) | instskip(NEXT) | instid1(VALU_DEP_1)
	v_cndmask_b32_e64 v1, v1, 0xffffff82, vcc_lo
	v_add3_u32 v5, v8, v1, v3
	v_and_b32_e32 v1, 0x1fffff, v2
                                        ; implicit-def: $vgpr2
	s_delay_alu instid0(VALU_DEP_1) | instskip(SKIP_1) | instid1(VALU_DEP_2)
	v_dual_add_nc_u32 v3, 14, v5 :: v_dual_add_nc_u32 v0, v1, v0
	v_mov_b32_e32 v1, v113
	v_cmpx_ne_u32_e32 0, v3
	s_xor_b32 s13, exec_lo, s13
; %bb.23289:                            ;   in Loop: Header=BB6_22365 Depth=3
	s_delay_alu instid0(VALU_DEP_2) | instskip(SKIP_1) | instid1(VALU_DEP_1)
	v_cmp_lt_u64_e32 vcc_lo, 0xffffff, v[0:1]
	v_add_nc_u32_e32 v2, 15, v5
	v_cndmask_b32_e32 v2, v3, v2, vcc_lo
	v_cndmask_b32_e64 v3, 0, 1, vcc_lo
	s_delay_alu instid0(VALU_DEP_1)
	v_lshrrev_b64 v[0:1], v3, v[0:1]
; %bb.23290:                            ;   in Loop: Header=BB6_22365 Depth=3
	s_and_not1_saveexec_b32 s13, s13
; %bb.23291:                            ;   in Loop: Header=BB6_22365 Depth=3
	s_delay_alu instid0(VALU_DEP_1)
	v_bfe_u32 v2, v0, 23, 1
; %bb.23292:                            ;   in Loop: Header=BB6_22365 Depth=3
	s_or_b32 exec_lo, exec_lo, s13
	s_delay_alu instid0(VALU_DEP_2) | instskip(NEXT) | instid1(VALU_DEP_2)
	v_lshrrev_b64 v[0:1], 21, v[0:1]
	v_cmp_gt_i32_e32 vcc_lo, 32, v2
	v_min_i32_e32 v3, 31, v2
	v_cmp_eq_u32_e64 s13, 0, v2
	s_delay_alu instid0(VALU_DEP_2) | instskip(SKIP_1) | instid1(VALU_DEP_2)
	v_dual_cndmask_b32 v1, 0, v1, vcc_lo :: v_dual_lshlrev_b32 v3, 2, v3
	v_cndmask_b32_e32 v0, 3, v0, vcc_lo
	v_and_b32_e32 v3, 0xfc, v3
	s_delay_alu instid0(VALU_DEP_2) | instskip(NEXT) | instid1(VALU_DEP_2)
	v_cmp_eq_u64_e32 vcc_lo, 0, v[0:1]
	v_and_or_b32 v0, v0, 3, v3
	s_and_b32 s13, s13, vcc_lo
	s_delay_alu instid0(VALU_DEP_1) | instid1(SALU_CYCLE_1)
	v_cndmask_b32_e64 v0, v0, 0, s13
	s_delay_alu instid0(VALU_DEP_1)
	v_or_b32_e32 v98, v0, v4
.LBB6_23293:                            ;   in Loop: Header=BB6_22365 Depth=3
	s_or_b32 exec_lo, exec_lo, s76
                                        ; implicit-def: $vgpr4
.LBB6_23294:                            ;   in Loop: Header=BB6_22365 Depth=3
	s_and_not1_saveexec_b32 s13, s75
; %bb.23295:                            ;   in Loop: Header=BB6_22365 Depth=3
	v_or_b32_e32 v98, 0x7b, v4
; %bb.23296:                            ;   in Loop: Header=BB6_22365 Depth=3
	s_or_b32 exec_lo, exec_lo, s13
                                        ; implicit-def: $vgpr2
                                        ; implicit-def: $vgpr0_vgpr1
                                        ; implicit-def: $vgpr3
.LBB6_23297:                            ;   in Loop: Header=BB6_22365 Depth=3
	s_and_not1_saveexec_b32 s13, s74
	s_cbranch_execz .LBB6_23303
; %bb.23298:                            ;   in Loop: Header=BB6_22365 Depth=3
	s_mov_b32 s74, exec_lo
                                        ; implicit-def: $vgpr98
	v_cmpx_ne_u64_e32 0, v[0:1]
	s_xor_b32 s74, exec_lo, s74
; %bb.23299:                            ;   in Loop: Header=BB6_22365 Depth=3
	v_or_b32_e32 v98, 0x7f, v3
                                        ; implicit-def: $vgpr2
; %bb.23300:                            ;   in Loop: Header=BB6_22365 Depth=3
	s_and_not1_saveexec_b32 s74, s74
; %bb.23301:                            ;   in Loop: Header=BB6_22365 Depth=3
	v_cmp_lt_i32_e32 vcc_lo, -1, v2
	v_mov_b32_e32 v0, 0x7c
	s_delay_alu instid0(VALU_DEP_1)
	v_cndmask_b32_e32 v98, 0xfc, v0, vcc_lo
; %bb.23302:                            ;   in Loop: Header=BB6_22365 Depth=3
	s_or_b32 exec_lo, exec_lo, s74
.LBB6_23303:                            ;   in Loop: Header=BB6_22365 Depth=3
	s_delay_alu instid0(SALU_CYCLE_1)
	s_or_b32 exec_lo, exec_lo, s13
	v_mov_b32_e32 v1, 0
	s_mov_b32 s13, exec_lo
	v_cmpx_lt_u64_e64 s[22:23], v[10:11]
	s_cbranch_execz .LBB6_23313
; %bb.23304:                            ;   in Loop: Header=BB6_22365 Depth=3
	v_lshrrev_b32_e32 v0, 24, v11
	v_bfrev_b32_e32 v1, 1
	s_mov_b32 s74, exec_lo
	s_delay_alu instid0(VALU_DEP_2)
	v_cmpx_ne_u32_e32 0x80, v0
	s_cbranch_execz .LBB6_23312
; %bb.23305:                            ;   in Loop: Header=BB6_22365 Depth=3
	v_and_b32_e32 v1, 0x7c000000, v11
	v_bfe_u32 v2, v11, 24, 2
	s_delay_alu instid0(VALU_DEP_2) | instskip(SKIP_1) | instid1(SALU_CYCLE_1)
	v_cmp_ne_u32_e32 vcc_lo, 0x7c000000, v1
                                        ; implicit-def: $vgpr1
	s_and_saveexec_b32 s75, vcc_lo
	s_xor_b32 s75, exec_lo, s75
	s_cbranch_execz .LBB6_23309
; %bb.23306:                            ;   in Loop: Header=BB6_22365 Depth=3
	v_bfe_u32 v1, v11, 26, 5
	s_mov_b32 s76, exec_lo
	s_delay_alu instid0(VALU_DEP_1)
	v_cmpx_eq_u32_e32 0, v1
; %bb.23307:                            ;   in Loop: Header=BB6_22365 Depth=3
	v_clz_i32_u32_e32 v1, v2
	s_delay_alu instid0(VALU_DEP_1) | instskip(NEXT) | instid1(VALU_DEP_1)
	v_min_u32_e32 v2, 32, v1
	v_subrev_nc_u32_e32 v1, 29, v2
	s_delay_alu instid0(VALU_DEP_1) | instskip(NEXT) | instid1(VALU_DEP_1)
	v_lshlrev_b64_e32 v[0:1], v1, v[0:1]
	v_dual_sub_nc_u32 v1, 30, v2 :: v_dual_bitop2_b32 v2, 3, v0 bitop3:0x40
; %bb.23308:                            ;   in Loop: Header=BB6_22365 Depth=3
	s_or_b32 exec_lo, exec_lo, s76
	v_and_b32_e32 v0, 0x80000000, v11
                                        ; implicit-def: $vgpr10_vgpr11
	s_delay_alu instid0(VALU_DEP_1) | instskip(NEXT) | instid1(VALU_DEP_1)
	v_lshl_add_u32 v0, v1, 23, v0
	v_lshl_or_b32 v0, v2, 21, v0
                                        ; implicit-def: $vgpr2
	s_delay_alu instid0(VALU_DEP_1)
	v_add_nc_u32_e32 v1, 0x38000000, v0
.LBB6_23309:                            ;   in Loop: Header=BB6_22365 Depth=3
	s_and_not1_saveexec_b32 s75, s75
; %bb.23310:                            ;   in Loop: Header=BB6_22365 Depth=3
	v_cmp_lt_i64_e32 vcc_lo, -1, v[10:11]
	v_mov_b32_e32 v0, 0x7f800000
	s_delay_alu instid0(VALU_DEP_1) | instskip(SKIP_1) | instid1(VALU_DEP_2)
	v_cndmask_b32_e32 v0, 0xff800000, v0, vcc_lo
	v_cmp_eq_u32_e32 vcc_lo, 0, v2
	v_cndmask_b32_e32 v1, 0x7f800001, v0, vcc_lo
; %bb.23311:                            ;   in Loop: Header=BB6_22365 Depth=3
	s_or_b32 exec_lo, exec_lo, s75
.LBB6_23312:                            ;   in Loop: Header=BB6_22365 Depth=3
	s_delay_alu instid0(SALU_CYCLE_1)
	s_or_b32 exec_lo, exec_lo, s74
.LBB6_23313:                            ;   in Loop: Header=BB6_22365 Depth=3
	s_delay_alu instid0(SALU_CYCLE_1) | instskip(NEXT) | instid1(VALU_DEP_1)
	s_or_b32 exec_lo, exec_lo, s13
	v_dual_mul_f32 v2, s73, v1 :: v_dual_mov_b32 v5, v113
	v_mov_b32_e32 v1, v113
                                        ; implicit-def: $vgpr102
	s_mov_b32 s13, exec_lo
	s_delay_alu instid0(VALU_DEP_2) | instskip(SKIP_2) | instid1(VALU_DEP_3)
	v_and_b32_e32 v4, 0x7f800000, v2
	v_and_b32_e32 v0, 0x7fffff, v2
	v_lshrrev_b32_e32 v3, 24, v2
	v_cmpx_ne_u64_e32 0x7f800000, v[4:5]
	s_xor_b32 s74, exec_lo, s13
	s_cbranch_execz .LBB6_23327
; %bb.23314:                            ;   in Loop: Header=BB6_22365 Depth=3
	v_and_b32_e32 v4, 0x7fffffff, v2
	v_mov_b32_e32 v5, v113
                                        ; implicit-def: $vgpr102
	s_delay_alu instid0(VALU_DEP_1) | instskip(SKIP_2) | instid1(SALU_CYCLE_1)
	v_cmp_gt_u64_e32 vcc_lo, 0x47600001, v[4:5]
	v_and_b32_e32 v4, 0x80, v3
	s_and_saveexec_b32 s13, vcc_lo
	s_xor_b32 s75, exec_lo, s13
	s_cbranch_execz .LBB6_23324
; %bb.23315:                            ;   in Loop: Header=BB6_22365 Depth=3
	v_mov_b32_e32 v102, 0
	s_mov_b32 s76, exec_lo
	v_cmpx_ne_u32_e32 0, v2
	s_cbranch_execz .LBB6_23323
; %bb.23316:                            ;   in Loop: Header=BB6_22365 Depth=3
	v_bfe_u32 v5, v2, 23, 8
	v_or_b32_e32 v3, 0x800000, v0
	s_delay_alu instid0(VALU_DEP_2) | instskip(SKIP_2) | instid1(VALU_DEP_2)
	v_cmp_gt_u32_e64 s13, 0x72, v5
	v_sub_nc_u32_e32 v2, 0x71, v5
	v_cmp_eq_u32_e32 vcc_lo, 0, v5
	v_dual_cndmask_b32 v2, 0, v2, s13 :: v_dual_cndmask_b32 v0, v3, v0, vcc_lo
	s_delay_alu instid0(VALU_DEP_1) | instskip(NEXT) | instid1(VALU_DEP_1)
	v_cndmask_b32_e64 v8, v2, 0x70, vcc_lo
	v_dual_add_nc_u32 v2, 21, v8 :: v_dual_add_nc_u32 v9, 20, v8
	s_delay_alu instid0(VALU_DEP_1) | instskip(NEXT) | instid1(VALU_DEP_2)
	v_lshlrev_b64_e64 v[2:3], v2, -1
	v_lshlrev_b64_e64 v[10:11], v9, 1
	s_delay_alu instid0(VALU_DEP_2) | instskip(SKIP_1) | instid1(VALU_DEP_4)
	v_bfi_b32 v2, v2, 0, v0
	v_lshrrev_b64 v[0:1], v8, v[0:1]
	v_bfi_b32 v3, v3, 0, 0
	s_delay_alu instid0(VALU_DEP_1) | instskip(NEXT) | instid1(VALU_DEP_3)
	v_cmp_eq_u64_e64 s13, v[2:3], v[10:11]
	v_mov_b64_e32 v[2:3], v[0:1]
	s_and_saveexec_b32 s77, s13
; %bb.23317:                            ;   in Loop: Header=BB6_22365 Depth=3
	v_bfe_u32 v2, v0, 21, 1
	v_mov_b32_e32 v3, v113
	s_delay_alu instid0(VALU_DEP_1) | instskip(NEXT) | instid1(VALU_DEP_1)
	v_add_nc_u64_e32 v[2:3], v[0:1], v[2:3]
	v_add_nc_u64_e32 v[2:3], -1, v[2:3]
; %bb.23318:                            ;   in Loop: Header=BB6_22365 Depth=3
	s_or_b32 exec_lo, exec_lo, s77
	v_add_nc_u32_e32 v1, 0xffffff81, v5
	v_lshrrev_b32_e32 v3, 23, v0
	s_mov_b32 s13, exec_lo
	s_delay_alu instid0(VALU_DEP_2) | instskip(NEXT) | instid1(VALU_DEP_1)
	v_cndmask_b32_e64 v1, v1, 0xffffff82, vcc_lo
	v_add3_u32 v5, v8, v1, v3
	v_and_b32_e32 v1, 0x1fffff, v2
                                        ; implicit-def: $vgpr2
	s_delay_alu instid0(VALU_DEP_1) | instskip(SKIP_1) | instid1(VALU_DEP_2)
	v_dual_add_nc_u32 v3, 14, v5 :: v_dual_add_nc_u32 v0, v1, v0
	v_mov_b32_e32 v1, v113
	v_cmpx_ne_u32_e32 0, v3
	s_xor_b32 s13, exec_lo, s13
; %bb.23319:                            ;   in Loop: Header=BB6_22365 Depth=3
	s_delay_alu instid0(VALU_DEP_2) | instskip(SKIP_1) | instid1(VALU_DEP_1)
	v_cmp_lt_u64_e32 vcc_lo, 0xffffff, v[0:1]
	v_add_nc_u32_e32 v2, 15, v5
	v_cndmask_b32_e32 v2, v3, v2, vcc_lo
	v_cndmask_b32_e64 v3, 0, 1, vcc_lo
	s_delay_alu instid0(VALU_DEP_1)
	v_lshrrev_b64 v[0:1], v3, v[0:1]
; %bb.23320:                            ;   in Loop: Header=BB6_22365 Depth=3
	s_and_not1_saveexec_b32 s13, s13
; %bb.23321:                            ;   in Loop: Header=BB6_22365 Depth=3
	s_delay_alu instid0(VALU_DEP_1)
	v_bfe_u32 v2, v0, 23, 1
; %bb.23322:                            ;   in Loop: Header=BB6_22365 Depth=3
	s_or_b32 exec_lo, exec_lo, s13
	s_delay_alu instid0(VALU_DEP_2) | instskip(NEXT) | instid1(VALU_DEP_2)
	v_lshrrev_b64 v[0:1], 21, v[0:1]
	v_cmp_gt_i32_e32 vcc_lo, 32, v2
	v_min_i32_e32 v3, 31, v2
	v_cmp_eq_u32_e64 s13, 0, v2
	s_delay_alu instid0(VALU_DEP_2) | instskip(SKIP_1) | instid1(VALU_DEP_2)
	v_dual_cndmask_b32 v1, 0, v1, vcc_lo :: v_dual_lshlrev_b32 v3, 2, v3
	v_cndmask_b32_e32 v0, 3, v0, vcc_lo
	v_and_b32_e32 v3, 0xfc, v3
	s_delay_alu instid0(VALU_DEP_2) | instskip(NEXT) | instid1(VALU_DEP_2)
	v_cmp_eq_u64_e32 vcc_lo, 0, v[0:1]
	v_and_or_b32 v0, v0, 3, v3
	s_and_b32 s13, s13, vcc_lo
	s_delay_alu instid0(VALU_DEP_1) | instid1(SALU_CYCLE_1)
	v_cndmask_b32_e64 v0, v0, 0, s13
	s_delay_alu instid0(VALU_DEP_1)
	v_or_b32_e32 v102, v0, v4
.LBB6_23323:                            ;   in Loop: Header=BB6_22365 Depth=3
	s_or_b32 exec_lo, exec_lo, s76
                                        ; implicit-def: $vgpr4
.LBB6_23324:                            ;   in Loop: Header=BB6_22365 Depth=3
	s_and_not1_saveexec_b32 s13, s75
; %bb.23325:                            ;   in Loop: Header=BB6_22365 Depth=3
	v_or_b32_e32 v102, 0x7b, v4
; %bb.23326:                            ;   in Loop: Header=BB6_22365 Depth=3
	s_or_b32 exec_lo, exec_lo, s13
                                        ; implicit-def: $vgpr2
                                        ; implicit-def: $vgpr0_vgpr1
                                        ; implicit-def: $vgpr3
.LBB6_23327:                            ;   in Loop: Header=BB6_22365 Depth=3
	s_and_not1_saveexec_b32 s13, s74
	s_cbranch_execz .LBB6_23333
; %bb.23328:                            ;   in Loop: Header=BB6_22365 Depth=3
	s_mov_b32 s74, exec_lo
                                        ; implicit-def: $vgpr102
	v_cmpx_ne_u64_e32 0, v[0:1]
	s_xor_b32 s74, exec_lo, s74
; %bb.23329:                            ;   in Loop: Header=BB6_22365 Depth=3
	v_or_b32_e32 v102, 0x7f, v3
                                        ; implicit-def: $vgpr2
; %bb.23330:                            ;   in Loop: Header=BB6_22365 Depth=3
	s_and_not1_saveexec_b32 s74, s74
; %bb.23331:                            ;   in Loop: Header=BB6_22365 Depth=3
	v_cmp_lt_i32_e32 vcc_lo, -1, v2
	v_mov_b32_e32 v0, 0x7c
	s_delay_alu instid0(VALU_DEP_1)
	v_cndmask_b32_e32 v102, 0xfc, v0, vcc_lo
; %bb.23332:                            ;   in Loop: Header=BB6_22365 Depth=3
	s_or_b32 exec_lo, exec_lo, s74
.LBB6_23333:                            ;   in Loop: Header=BB6_22365 Depth=3
	s_delay_alu instid0(SALU_CYCLE_1) | instskip(SKIP_3) | instid1(VALU_DEP_1)
	s_or_b32 exec_lo, exec_lo, s13
	global_load_b128 v[8:11], v[60:61], off offset:1024 th:TH_LOAD_NT
	s_wait_loadcnt 0x0
	v_and_b32_e32 v0, 0xff, v8
	v_cmp_ne_u16_e32 vcc_lo, 0, v0
	v_mov_b32_e32 v0, 0
	s_wait_xcnt 0x0
	s_and_saveexec_b32 s74, vcc_lo
	s_cbranch_execz .LBB6_23343
; %bb.23334:                            ;   in Loop: Header=BB6_22365 Depth=3
	v_bfe_i32 v2, v8, 0, 8
	v_bfrev_b32_e32 v0, 1
	s_mov_b32 s75, exec_lo
	s_delay_alu instid0(VALU_DEP_2)
	v_cmpx_ne_u16_e32 0xff80, v2
	s_cbranch_execz .LBB6_23342
; %bb.23335:                            ;   in Loop: Header=BB6_22365 Depth=3
	v_and_b32_e32 v0, 0x7c, v8
	v_and_b32_e32 v1, 3, v8
	s_delay_alu instid0(VALU_DEP_2) | instskip(SKIP_1) | instid1(SALU_CYCLE_1)
	v_cmp_ne_u32_e32 vcc_lo, 0x7c, v0
                                        ; implicit-def: $vgpr0
	s_and_saveexec_b32 s13, vcc_lo
	s_xor_b32 s13, exec_lo, s13
	s_cbranch_execz .LBB6_23339
; %bb.23336:                            ;   in Loop: Header=BB6_22365 Depth=3
	v_bfe_u32 v0, v8, 2, 5
	s_mov_b32 s76, exec_lo
	s_delay_alu instid0(VALU_DEP_1)
	v_cmpx_eq_u32_e32 0, v0
; %bb.23337:                            ;   in Loop: Header=BB6_22365 Depth=3
	v_clz_i32_u32_e32 v0, v1
	s_delay_alu instid0(VALU_DEP_1) | instskip(NEXT) | instid1(VALU_DEP_1)
	v_min_u32_e32 v0, 32, v0
	v_subrev_nc_u32_e32 v1, 29, v0
	s_delay_alu instid0(VALU_DEP_1) | instskip(NEXT) | instid1(VALU_DEP_1)
	v_lshlrev_b64_e32 v[2:3], v1, v[8:9]
	v_dual_sub_nc_u32 v0, 30, v0 :: v_dual_bitop2_b32 v1, 3, v2 bitop3:0x40
; %bb.23338:                            ;   in Loop: Header=BB6_22365 Depth=3
	s_or_b32 exec_lo, exec_lo, s76
	v_lshlrev_b32_e32 v2, 24, v8
	s_delay_alu instid0(VALU_DEP_1) | instskip(NEXT) | instid1(VALU_DEP_1)
	v_and_b32_e32 v2, 0x80000000, v2
	v_lshl_add_u32 v0, v0, 23, v2
                                        ; implicit-def: $vgpr2
	s_delay_alu instid0(VALU_DEP_1) | instskip(NEXT) | instid1(VALU_DEP_1)
	v_lshl_or_b32 v0, v1, 21, v0
                                        ; implicit-def: $vgpr1
	v_add_nc_u32_e32 v0, 0x38000000, v0
.LBB6_23339:                            ;   in Loop: Header=BB6_22365 Depth=3
	s_and_not1_saveexec_b32 s76, s13
; %bb.23340:                            ;   in Loop: Header=BB6_22365 Depth=3
	v_cmp_lt_i16_e64 s13, -1, v2
	v_mov_b32_e32 v0, 0x7f800000
	v_cmp_eq_u32_e32 vcc_lo, 0, v1
	s_delay_alu instid0(VALU_DEP_2) | instskip(NEXT) | instid1(VALU_DEP_1)
	v_cndmask_b32_e64 v0, 0xff800000, v0, s13
	v_cndmask_b32_e32 v0, 0x7f800001, v0, vcc_lo
; %bb.23341:                            ;   in Loop: Header=BB6_22365 Depth=3
	s_or_b32 exec_lo, exec_lo, s76
.LBB6_23342:                            ;   in Loop: Header=BB6_22365 Depth=3
	s_delay_alu instid0(SALU_CYCLE_1)
	s_or_b32 exec_lo, exec_lo, s75
.LBB6_23343:                            ;   in Loop: Header=BB6_22365 Depth=3
	s_delay_alu instid0(SALU_CYCLE_1) | instskip(NEXT) | instid1(VALU_DEP_1)
	s_or_b32 exec_lo, exec_lo, s74
	v_dual_mul_f32 v2, s73, v0 :: v_dual_mov_b32 v5, v113
	v_mov_b32_e32 v1, v113
                                        ; implicit-def: $vgpr70
	s_mov_b32 s13, exec_lo
	s_delay_alu instid0(VALU_DEP_2) | instskip(SKIP_2) | instid1(VALU_DEP_3)
	v_and_b32_e32 v4, 0x7f800000, v2
	v_and_b32_e32 v0, 0x7fffff, v2
	v_lshrrev_b32_e32 v3, 24, v2
	v_cmpx_ne_u64_e32 0x7f800000, v[4:5]
	s_xor_b32 s74, exec_lo, s13
	s_cbranch_execz .LBB6_23357
; %bb.23344:                            ;   in Loop: Header=BB6_22365 Depth=3
	v_and_b32_e32 v4, 0x7fffffff, v2
	v_mov_b32_e32 v5, v113
                                        ; implicit-def: $vgpr70
	s_delay_alu instid0(VALU_DEP_1) | instskip(SKIP_2) | instid1(SALU_CYCLE_1)
	v_cmp_gt_u64_e32 vcc_lo, 0x47600001, v[4:5]
	v_and_b32_e32 v4, 0x80, v3
	s_and_saveexec_b32 s13, vcc_lo
	s_xor_b32 s75, exec_lo, s13
	s_cbranch_execz .LBB6_23354
; %bb.23345:                            ;   in Loop: Header=BB6_22365 Depth=3
	v_mov_b32_e32 v70, 0
	s_mov_b32 s76, exec_lo
	v_cmpx_ne_u32_e32 0, v2
	s_cbranch_execz .LBB6_23353
; %bb.23346:                            ;   in Loop: Header=BB6_22365 Depth=3
	v_bfe_u32 v5, v2, 23, 8
	v_or_b32_e32 v3, 0x800000, v0
	s_delay_alu instid0(VALU_DEP_2) | instskip(SKIP_2) | instid1(VALU_DEP_2)
	v_cmp_gt_u32_e64 s13, 0x72, v5
	v_sub_nc_u32_e32 v2, 0x71, v5
	v_cmp_eq_u32_e32 vcc_lo, 0, v5
	v_dual_cndmask_b32 v2, 0, v2, s13 :: v_dual_cndmask_b32 v0, v3, v0, vcc_lo
	s_delay_alu instid0(VALU_DEP_1) | instskip(NEXT) | instid1(VALU_DEP_1)
	v_cndmask_b32_e64 v12, v2, 0x70, vcc_lo
	v_dual_add_nc_u32 v2, 21, v12 :: v_dual_add_nc_u32 v13, 20, v12
	s_delay_alu instid0(VALU_DEP_1) | instskip(NEXT) | instid1(VALU_DEP_2)
	v_lshlrev_b64_e64 v[2:3], v2, -1
	v_lshlrev_b64_e64 v[14:15], v13, 1
	s_delay_alu instid0(VALU_DEP_2) | instskip(SKIP_1) | instid1(VALU_DEP_4)
	v_bfi_b32 v2, v2, 0, v0
	v_lshrrev_b64 v[0:1], v12, v[0:1]
	v_bfi_b32 v3, v3, 0, 0
	s_delay_alu instid0(VALU_DEP_1) | instskip(NEXT) | instid1(VALU_DEP_3)
	v_cmp_eq_u64_e64 s13, v[2:3], v[14:15]
	v_mov_b64_e32 v[2:3], v[0:1]
	s_and_saveexec_b32 s77, s13
; %bb.23347:                            ;   in Loop: Header=BB6_22365 Depth=3
	v_bfe_u32 v2, v0, 21, 1
	v_mov_b32_e32 v3, v113
	s_delay_alu instid0(VALU_DEP_1) | instskip(NEXT) | instid1(VALU_DEP_1)
	v_add_nc_u64_e32 v[2:3], v[0:1], v[2:3]
	v_add_nc_u64_e32 v[2:3], -1, v[2:3]
; %bb.23348:                            ;   in Loop: Header=BB6_22365 Depth=3
	s_or_b32 exec_lo, exec_lo, s77
	v_add_nc_u32_e32 v1, 0xffffff81, v5
	v_lshrrev_b32_e32 v3, 23, v0
	s_mov_b32 s13, exec_lo
	s_delay_alu instid0(VALU_DEP_2) | instskip(NEXT) | instid1(VALU_DEP_1)
	v_cndmask_b32_e64 v1, v1, 0xffffff82, vcc_lo
	v_add3_u32 v5, v12, v1, v3
	v_and_b32_e32 v1, 0x1fffff, v2
                                        ; implicit-def: $vgpr2
	s_delay_alu instid0(VALU_DEP_1) | instskip(SKIP_1) | instid1(VALU_DEP_2)
	v_dual_add_nc_u32 v3, 14, v5 :: v_dual_add_nc_u32 v0, v1, v0
	v_mov_b32_e32 v1, v113
	v_cmpx_ne_u32_e32 0, v3
	s_xor_b32 s13, exec_lo, s13
; %bb.23349:                            ;   in Loop: Header=BB6_22365 Depth=3
	s_delay_alu instid0(VALU_DEP_2) | instskip(SKIP_1) | instid1(VALU_DEP_1)
	v_cmp_lt_u64_e32 vcc_lo, 0xffffff, v[0:1]
	v_add_nc_u32_e32 v2, 15, v5
	v_cndmask_b32_e32 v2, v3, v2, vcc_lo
	v_cndmask_b32_e64 v3, 0, 1, vcc_lo
	s_delay_alu instid0(VALU_DEP_1)
	v_lshrrev_b64 v[0:1], v3, v[0:1]
; %bb.23350:                            ;   in Loop: Header=BB6_22365 Depth=3
	s_and_not1_saveexec_b32 s13, s13
; %bb.23351:                            ;   in Loop: Header=BB6_22365 Depth=3
	s_delay_alu instid0(VALU_DEP_1)
	v_bfe_u32 v2, v0, 23, 1
; %bb.23352:                            ;   in Loop: Header=BB6_22365 Depth=3
	s_or_b32 exec_lo, exec_lo, s13
	s_delay_alu instid0(VALU_DEP_2) | instskip(NEXT) | instid1(VALU_DEP_2)
	v_lshrrev_b64 v[0:1], 21, v[0:1]
	v_cmp_gt_i32_e32 vcc_lo, 32, v2
	v_min_i32_e32 v3, 31, v2
	v_cmp_eq_u32_e64 s13, 0, v2
	s_delay_alu instid0(VALU_DEP_2) | instskip(SKIP_1) | instid1(VALU_DEP_2)
	v_dual_cndmask_b32 v1, 0, v1, vcc_lo :: v_dual_lshlrev_b32 v3, 2, v3
	v_cndmask_b32_e32 v0, 3, v0, vcc_lo
	v_and_b32_e32 v3, 0xfc, v3
	s_delay_alu instid0(VALU_DEP_2) | instskip(NEXT) | instid1(VALU_DEP_2)
	v_cmp_eq_u64_e32 vcc_lo, 0, v[0:1]
	v_and_or_b32 v0, v0, 3, v3
	s_and_b32 s13, s13, vcc_lo
	s_delay_alu instid0(VALU_DEP_1) | instid1(SALU_CYCLE_1)
	v_cndmask_b32_e64 v0, v0, 0, s13
	s_delay_alu instid0(VALU_DEP_1)
	v_or_b32_e32 v70, v0, v4
.LBB6_23353:                            ;   in Loop: Header=BB6_22365 Depth=3
	s_or_b32 exec_lo, exec_lo, s76
                                        ; implicit-def: $vgpr4
.LBB6_23354:                            ;   in Loop: Header=BB6_22365 Depth=3
	s_and_not1_saveexec_b32 s13, s75
; %bb.23355:                            ;   in Loop: Header=BB6_22365 Depth=3
	v_or_b32_e32 v70, 0x7b, v4
; %bb.23356:                            ;   in Loop: Header=BB6_22365 Depth=3
	s_or_b32 exec_lo, exec_lo, s13
                                        ; implicit-def: $vgpr2
                                        ; implicit-def: $vgpr0_vgpr1
                                        ; implicit-def: $vgpr3
.LBB6_23357:                            ;   in Loop: Header=BB6_22365 Depth=3
	s_and_not1_saveexec_b32 s13, s74
	s_cbranch_execz .LBB6_23363
; %bb.23358:                            ;   in Loop: Header=BB6_22365 Depth=3
	s_mov_b32 s74, exec_lo
                                        ; implicit-def: $vgpr70
	v_cmpx_ne_u64_e32 0, v[0:1]
	s_xor_b32 s74, exec_lo, s74
; %bb.23359:                            ;   in Loop: Header=BB6_22365 Depth=3
	v_or_b32_e32 v70, 0x7f, v3
                                        ; implicit-def: $vgpr2
; %bb.23360:                            ;   in Loop: Header=BB6_22365 Depth=3
	s_and_not1_saveexec_b32 s74, s74
; %bb.23361:                            ;   in Loop: Header=BB6_22365 Depth=3
	v_cmp_lt_i32_e32 vcc_lo, -1, v2
	v_mov_b32_e32 v0, 0x7c
	s_delay_alu instid0(VALU_DEP_1)
	v_cndmask_b32_e32 v70, 0xfc, v0, vcc_lo
; %bb.23362:                            ;   in Loop: Header=BB6_22365 Depth=3
	s_or_b32 exec_lo, exec_lo, s74
.LBB6_23363:                            ;   in Loop: Header=BB6_22365 Depth=3
	s_delay_alu instid0(SALU_CYCLE_1) | instskip(SKIP_3) | instid1(VALU_DEP_2)
	s_or_b32 exec_lo, exec_lo, s13
	v_lshrrev_b16 v0, 8, v8
	v_mov_b32_e32 v1, 0
	s_mov_b32 s74, exec_lo
	v_cmpx_ne_u16_e32 0, v0
	s_cbranch_execz .LBB6_23373
; %bb.23364:                            ;   in Loop: Header=BB6_22365 Depth=3
	v_bfrev_b32_e32 v1, 1
	s_mov_b32 s75, exec_lo
	v_cmpx_ne_u16_e32 0x80, v0
	s_cbranch_execz .LBB6_23372
; %bb.23365:                            ;   in Loop: Header=BB6_22365 Depth=3
	v_and_b32_e32 v3, 0xffff, v0
	s_delay_alu instid0(VALU_DEP_1) | instskip(SKIP_1) | instid1(VALU_DEP_2)
	v_and_b32_e32 v1, 0x7c, v3
	v_and_b32_e32 v2, 3, v3
	v_cmp_ne_u32_e32 vcc_lo, 0x7c, v1
                                        ; implicit-def: $vgpr1
	s_and_saveexec_b32 s13, vcc_lo
	s_delay_alu instid0(SALU_CYCLE_1)
	s_xor_b32 s13, exec_lo, s13
	s_cbranch_execz .LBB6_23369
; %bb.23366:                            ;   in Loop: Header=BB6_22365 Depth=3
	v_bfe_u32 v1, v3, 2, 5
	s_mov_b32 s76, exec_lo
	s_delay_alu instid0(VALU_DEP_1)
	v_cmpx_eq_u32_e32 0, v1
; %bb.23367:                            ;   in Loop: Header=BB6_22365 Depth=3
	v_clz_i32_u32_e32 v1, v2
	s_delay_alu instid0(VALU_DEP_1) | instskip(SKIP_1) | instid1(VALU_DEP_2)
	v_min_u32_e32 v2, 32, v1
	v_mov_b32_e32 v1, v113
	v_subrev_nc_u32_e32 v3, 29, v2
	s_delay_alu instid0(VALU_DEP_1) | instskip(NEXT) | instid1(VALU_DEP_1)
	v_lshlrev_b64_e32 v[0:1], v3, v[0:1]
	v_dual_sub_nc_u32 v1, 30, v2 :: v_dual_bitop2_b32 v2, 3, v0 bitop3:0x40
; %bb.23368:                            ;   in Loop: Header=BB6_22365 Depth=3
	s_or_b32 exec_lo, exec_lo, s76
	v_lshlrev_b32_e32 v0, 16, v8
	s_delay_alu instid0(VALU_DEP_1) | instskip(NEXT) | instid1(VALU_DEP_1)
	v_and_b32_e32 v0, 0x80000000, v0
	v_lshl_add_u32 v0, v1, 23, v0
	s_delay_alu instid0(VALU_DEP_1) | instskip(NEXT) | instid1(VALU_DEP_1)
	v_lshl_or_b32 v0, v2, 21, v0
                                        ; implicit-def: $vgpr2
	v_add_nc_u32_e32 v1, 0x38000000, v0
.LBB6_23369:                            ;   in Loop: Header=BB6_22365 Depth=3
	s_and_not1_saveexec_b32 s76, s13
; %bb.23370:                            ;   in Loop: Header=BB6_22365 Depth=3
	v_cmp_lt_i16_e64 s13, -1, v8
	v_mov_b32_e32 v0, 0x7f800000
	v_cmp_eq_u32_e32 vcc_lo, 0, v2
	s_delay_alu instid0(VALU_DEP_2) | instskip(NEXT) | instid1(VALU_DEP_1)
	v_cndmask_b32_e64 v0, 0xff800000, v0, s13
	v_cndmask_b32_e32 v1, 0x7f800001, v0, vcc_lo
; %bb.23371:                            ;   in Loop: Header=BB6_22365 Depth=3
	s_or_b32 exec_lo, exec_lo, s76
.LBB6_23372:                            ;   in Loop: Header=BB6_22365 Depth=3
	s_delay_alu instid0(SALU_CYCLE_1)
	s_or_b32 exec_lo, exec_lo, s75
.LBB6_23373:                            ;   in Loop: Header=BB6_22365 Depth=3
	s_delay_alu instid0(SALU_CYCLE_1) | instskip(NEXT) | instid1(VALU_DEP_1)
	s_or_b32 exec_lo, exec_lo, s74
	v_dual_mul_f32 v2, s73, v1 :: v_dual_mov_b32 v5, v113
	v_mov_b32_e32 v1, v113
                                        ; implicit-def: $vgpr84
	s_mov_b32 s13, exec_lo
	s_delay_alu instid0(VALU_DEP_2) | instskip(SKIP_2) | instid1(VALU_DEP_3)
	v_and_b32_e32 v4, 0x7f800000, v2
	v_and_b32_e32 v0, 0x7fffff, v2
	v_lshrrev_b32_e32 v3, 24, v2
	v_cmpx_ne_u64_e32 0x7f800000, v[4:5]
	s_xor_b32 s74, exec_lo, s13
	s_cbranch_execz .LBB6_23387
; %bb.23374:                            ;   in Loop: Header=BB6_22365 Depth=3
	v_and_b32_e32 v4, 0x7fffffff, v2
	v_mov_b32_e32 v5, v113
                                        ; implicit-def: $vgpr84
	s_delay_alu instid0(VALU_DEP_1) | instskip(SKIP_2) | instid1(SALU_CYCLE_1)
	v_cmp_gt_u64_e32 vcc_lo, 0x47600001, v[4:5]
	v_and_b32_e32 v4, 0x80, v3
	s_and_saveexec_b32 s13, vcc_lo
	s_xor_b32 s75, exec_lo, s13
	s_cbranch_execz .LBB6_23384
; %bb.23375:                            ;   in Loop: Header=BB6_22365 Depth=3
	v_mov_b32_e32 v84, 0
	s_mov_b32 s76, exec_lo
	v_cmpx_ne_u32_e32 0, v2
	s_cbranch_execz .LBB6_23383
; %bb.23376:                            ;   in Loop: Header=BB6_22365 Depth=3
	v_bfe_u32 v5, v2, 23, 8
	v_or_b32_e32 v3, 0x800000, v0
	s_delay_alu instid0(VALU_DEP_2) | instskip(SKIP_2) | instid1(VALU_DEP_2)
	v_cmp_gt_u32_e64 s13, 0x72, v5
	v_sub_nc_u32_e32 v2, 0x71, v5
	v_cmp_eq_u32_e32 vcc_lo, 0, v5
	v_dual_cndmask_b32 v2, 0, v2, s13 :: v_dual_cndmask_b32 v0, v3, v0, vcc_lo
	s_delay_alu instid0(VALU_DEP_1) | instskip(NEXT) | instid1(VALU_DEP_1)
	v_cndmask_b32_e64 v12, v2, 0x70, vcc_lo
	v_dual_add_nc_u32 v2, 21, v12 :: v_dual_add_nc_u32 v13, 20, v12
	s_delay_alu instid0(VALU_DEP_1) | instskip(NEXT) | instid1(VALU_DEP_2)
	v_lshlrev_b64_e64 v[2:3], v2, -1
	v_lshlrev_b64_e64 v[14:15], v13, 1
	s_delay_alu instid0(VALU_DEP_2) | instskip(SKIP_1) | instid1(VALU_DEP_4)
	v_bfi_b32 v2, v2, 0, v0
	v_lshrrev_b64 v[0:1], v12, v[0:1]
	v_bfi_b32 v3, v3, 0, 0
	s_delay_alu instid0(VALU_DEP_1) | instskip(NEXT) | instid1(VALU_DEP_3)
	v_cmp_eq_u64_e64 s13, v[2:3], v[14:15]
	v_mov_b64_e32 v[2:3], v[0:1]
	s_and_saveexec_b32 s77, s13
; %bb.23377:                            ;   in Loop: Header=BB6_22365 Depth=3
	v_bfe_u32 v2, v0, 21, 1
	v_mov_b32_e32 v3, v113
	s_delay_alu instid0(VALU_DEP_1) | instskip(NEXT) | instid1(VALU_DEP_1)
	v_add_nc_u64_e32 v[2:3], v[0:1], v[2:3]
	v_add_nc_u64_e32 v[2:3], -1, v[2:3]
; %bb.23378:                            ;   in Loop: Header=BB6_22365 Depth=3
	s_or_b32 exec_lo, exec_lo, s77
	v_add_nc_u32_e32 v1, 0xffffff81, v5
	v_lshrrev_b32_e32 v3, 23, v0
	s_mov_b32 s13, exec_lo
	s_delay_alu instid0(VALU_DEP_2) | instskip(NEXT) | instid1(VALU_DEP_1)
	v_cndmask_b32_e64 v1, v1, 0xffffff82, vcc_lo
	v_add3_u32 v5, v12, v1, v3
	v_and_b32_e32 v1, 0x1fffff, v2
                                        ; implicit-def: $vgpr2
	s_delay_alu instid0(VALU_DEP_1) | instskip(SKIP_1) | instid1(VALU_DEP_2)
	v_dual_add_nc_u32 v3, 14, v5 :: v_dual_add_nc_u32 v0, v1, v0
	v_mov_b32_e32 v1, v113
	v_cmpx_ne_u32_e32 0, v3
	s_xor_b32 s13, exec_lo, s13
; %bb.23379:                            ;   in Loop: Header=BB6_22365 Depth=3
	s_delay_alu instid0(VALU_DEP_2) | instskip(SKIP_1) | instid1(VALU_DEP_1)
	v_cmp_lt_u64_e32 vcc_lo, 0xffffff, v[0:1]
	v_add_nc_u32_e32 v2, 15, v5
	v_cndmask_b32_e32 v2, v3, v2, vcc_lo
	v_cndmask_b32_e64 v3, 0, 1, vcc_lo
	s_delay_alu instid0(VALU_DEP_1)
	v_lshrrev_b64 v[0:1], v3, v[0:1]
; %bb.23380:                            ;   in Loop: Header=BB6_22365 Depth=3
	s_and_not1_saveexec_b32 s13, s13
; %bb.23381:                            ;   in Loop: Header=BB6_22365 Depth=3
	s_delay_alu instid0(VALU_DEP_1)
	v_bfe_u32 v2, v0, 23, 1
; %bb.23382:                            ;   in Loop: Header=BB6_22365 Depth=3
	s_or_b32 exec_lo, exec_lo, s13
	s_delay_alu instid0(VALU_DEP_2) | instskip(NEXT) | instid1(VALU_DEP_2)
	v_lshrrev_b64 v[0:1], 21, v[0:1]
	v_cmp_gt_i32_e32 vcc_lo, 32, v2
	v_min_i32_e32 v3, 31, v2
	v_cmp_eq_u32_e64 s13, 0, v2
	s_delay_alu instid0(VALU_DEP_2) | instskip(SKIP_1) | instid1(VALU_DEP_2)
	v_dual_cndmask_b32 v1, 0, v1, vcc_lo :: v_dual_lshlrev_b32 v3, 2, v3
	v_cndmask_b32_e32 v0, 3, v0, vcc_lo
	v_and_b32_e32 v3, 0xfc, v3
	s_delay_alu instid0(VALU_DEP_2) | instskip(NEXT) | instid1(VALU_DEP_2)
	v_cmp_eq_u64_e32 vcc_lo, 0, v[0:1]
	v_and_or_b32 v0, v0, 3, v3
	s_and_b32 s13, s13, vcc_lo
	s_delay_alu instid0(VALU_DEP_1) | instid1(SALU_CYCLE_1)
	v_cndmask_b32_e64 v0, v0, 0, s13
	s_delay_alu instid0(VALU_DEP_1)
	v_or_b32_e32 v84, v0, v4
.LBB6_23383:                            ;   in Loop: Header=BB6_22365 Depth=3
	s_or_b32 exec_lo, exec_lo, s76
                                        ; implicit-def: $vgpr4
.LBB6_23384:                            ;   in Loop: Header=BB6_22365 Depth=3
	s_and_not1_saveexec_b32 s13, s75
; %bb.23385:                            ;   in Loop: Header=BB6_22365 Depth=3
	v_or_b32_e32 v84, 0x7b, v4
; %bb.23386:                            ;   in Loop: Header=BB6_22365 Depth=3
	s_or_b32 exec_lo, exec_lo, s13
                                        ; implicit-def: $vgpr2
                                        ; implicit-def: $vgpr0_vgpr1
                                        ; implicit-def: $vgpr3
.LBB6_23387:                            ;   in Loop: Header=BB6_22365 Depth=3
	s_and_not1_saveexec_b32 s13, s74
	s_cbranch_execz .LBB6_23393
; %bb.23388:                            ;   in Loop: Header=BB6_22365 Depth=3
	s_mov_b32 s74, exec_lo
                                        ; implicit-def: $vgpr84
	v_cmpx_ne_u64_e32 0, v[0:1]
	s_xor_b32 s74, exec_lo, s74
; %bb.23389:                            ;   in Loop: Header=BB6_22365 Depth=3
	v_or_b32_e32 v84, 0x7f, v3
                                        ; implicit-def: $vgpr2
; %bb.23390:                            ;   in Loop: Header=BB6_22365 Depth=3
	s_and_not1_saveexec_b32 s74, s74
; %bb.23391:                            ;   in Loop: Header=BB6_22365 Depth=3
	v_cmp_lt_i32_e32 vcc_lo, -1, v2
	v_mov_b32_e32 v0, 0x7c
	s_delay_alu instid0(VALU_DEP_1)
	v_cndmask_b32_e32 v84, 0xfc, v0, vcc_lo
; %bb.23392:                            ;   in Loop: Header=BB6_22365 Depth=3
	s_or_b32 exec_lo, exec_lo, s74
.LBB6_23393:                            ;   in Loop: Header=BB6_22365 Depth=3
	s_delay_alu instid0(SALU_CYCLE_1) | instskip(SKIP_2) | instid1(VALU_DEP_1)
	s_or_b32 exec_lo, exec_lo, s13
	v_dual_mov_b32 v1, 0 :: v_dual_lshrrev_b32 v0, 16, v8
	s_mov_b32 s74, exec_lo
	v_and_b32_e32 v2, 0xff, v0
	s_delay_alu instid0(VALU_DEP_1)
	v_cmpx_ne_u16_e32 0, v2
	s_cbranch_execz .LBB6_23403
; %bb.23394:                            ;   in Loop: Header=BB6_22365 Depth=3
	v_bfrev_b32_e32 v1, 1
	s_mov_b32 s75, exec_lo
	v_cmpx_ne_u16_e32 0x80, v2
	s_cbranch_execz .LBB6_23402
; %bb.23395:                            ;   in Loop: Header=BB6_22365 Depth=3
	v_and_b32_e32 v1, 0x7c0000, v8
	v_bfe_u32 v2, v8, 16, 2
	s_delay_alu instid0(VALU_DEP_2) | instskip(SKIP_1) | instid1(SALU_CYCLE_1)
	v_cmp_ne_u32_e32 vcc_lo, 0x7c0000, v1
                                        ; implicit-def: $vgpr1
	s_and_saveexec_b32 s13, vcc_lo
	s_xor_b32 s13, exec_lo, s13
	s_cbranch_execz .LBB6_23399
; %bb.23396:                            ;   in Loop: Header=BB6_22365 Depth=3
	v_bfe_u32 v1, v8, 18, 5
	s_mov_b32 s76, exec_lo
	s_delay_alu instid0(VALU_DEP_1)
	v_cmpx_eq_u32_e32 0, v1
; %bb.23397:                            ;   in Loop: Header=BB6_22365 Depth=3
	v_clz_i32_u32_e32 v1, v2
	s_delay_alu instid0(VALU_DEP_1) | instskip(NEXT) | instid1(VALU_DEP_1)
	v_min_u32_e32 v1, 32, v1
	v_subrev_nc_u32_e32 v2, 29, v1
	s_delay_alu instid0(VALU_DEP_1) | instskip(NEXT) | instid1(VALU_DEP_1)
	v_lshlrev_b64_e32 v[2:3], v2, v[0:1]
	v_dual_sub_nc_u32 v1, 30, v1 :: v_dual_bitop2_b32 v2, 3, v2 bitop3:0x40
; %bb.23398:                            ;   in Loop: Header=BB6_22365 Depth=3
	s_or_b32 exec_lo, exec_lo, s76
	v_lshlrev_b32_e32 v0, 24, v0
	s_delay_alu instid0(VALU_DEP_1) | instskip(NEXT) | instid1(VALU_DEP_1)
	v_and_b32_e32 v0, 0x80000000, v0
	v_lshl_add_u32 v0, v1, 23, v0
	s_delay_alu instid0(VALU_DEP_1) | instskip(NEXT) | instid1(VALU_DEP_1)
	v_lshl_or_b32 v0, v2, 21, v0
                                        ; implicit-def: $vgpr2
	v_add_nc_u32_e32 v1, 0x38000000, v0
                                        ; implicit-def: $vgpr0
.LBB6_23399:                            ;   in Loop: Header=BB6_22365 Depth=3
	s_and_not1_saveexec_b32 s76, s13
; %bb.23400:                            ;   in Loop: Header=BB6_22365 Depth=3
	v_bfe_i32 v0, v0, 0, 8
	v_cmp_eq_u32_e32 vcc_lo, 0, v2
	s_delay_alu instid0(VALU_DEP_2) | instskip(SKIP_1) | instid1(VALU_DEP_1)
	v_cmp_lt_i16_e64 s13, -1, v0
	v_mov_b32_e32 v0, 0x7f800000
	v_cndmask_b32_e64 v0, 0xff800000, v0, s13
	s_delay_alu instid0(VALU_DEP_1)
	v_cndmask_b32_e32 v1, 0x7f800001, v0, vcc_lo
; %bb.23401:                            ;   in Loop: Header=BB6_22365 Depth=3
	s_or_b32 exec_lo, exec_lo, s76
.LBB6_23402:                            ;   in Loop: Header=BB6_22365 Depth=3
	s_delay_alu instid0(SALU_CYCLE_1)
	s_or_b32 exec_lo, exec_lo, s75
.LBB6_23403:                            ;   in Loop: Header=BB6_22365 Depth=3
	s_delay_alu instid0(SALU_CYCLE_1) | instskip(NEXT) | instid1(VALU_DEP_1)
	s_or_b32 exec_lo, exec_lo, s74
	v_dual_mul_f32 v2, s73, v1 :: v_dual_mov_b32 v5, v113
	v_mov_b32_e32 v1, v113
                                        ; implicit-def: $vgpr86
	s_mov_b32 s13, exec_lo
	s_delay_alu instid0(VALU_DEP_2) | instskip(SKIP_2) | instid1(VALU_DEP_3)
	v_and_b32_e32 v4, 0x7f800000, v2
	v_and_b32_e32 v0, 0x7fffff, v2
	v_lshrrev_b32_e32 v3, 24, v2
	v_cmpx_ne_u64_e32 0x7f800000, v[4:5]
	s_xor_b32 s74, exec_lo, s13
	s_cbranch_execz .LBB6_23417
; %bb.23404:                            ;   in Loop: Header=BB6_22365 Depth=3
	v_and_b32_e32 v4, 0x7fffffff, v2
	v_mov_b32_e32 v5, v113
                                        ; implicit-def: $vgpr86
	s_delay_alu instid0(VALU_DEP_1) | instskip(SKIP_2) | instid1(SALU_CYCLE_1)
	v_cmp_gt_u64_e32 vcc_lo, 0x47600001, v[4:5]
	v_and_b32_e32 v4, 0x80, v3
	s_and_saveexec_b32 s13, vcc_lo
	s_xor_b32 s75, exec_lo, s13
	s_cbranch_execz .LBB6_23414
; %bb.23405:                            ;   in Loop: Header=BB6_22365 Depth=3
	v_mov_b32_e32 v86, 0
	s_mov_b32 s76, exec_lo
	v_cmpx_ne_u32_e32 0, v2
	s_cbranch_execz .LBB6_23413
; %bb.23406:                            ;   in Loop: Header=BB6_22365 Depth=3
	v_bfe_u32 v5, v2, 23, 8
	v_or_b32_e32 v3, 0x800000, v0
	s_delay_alu instid0(VALU_DEP_2) | instskip(SKIP_2) | instid1(VALU_DEP_2)
	v_cmp_gt_u32_e64 s13, 0x72, v5
	v_sub_nc_u32_e32 v2, 0x71, v5
	v_cmp_eq_u32_e32 vcc_lo, 0, v5
	v_dual_cndmask_b32 v2, 0, v2, s13 :: v_dual_cndmask_b32 v0, v3, v0, vcc_lo
	s_delay_alu instid0(VALU_DEP_1) | instskip(NEXT) | instid1(VALU_DEP_1)
	v_cndmask_b32_e64 v12, v2, 0x70, vcc_lo
	v_dual_add_nc_u32 v2, 21, v12 :: v_dual_add_nc_u32 v13, 20, v12
	s_delay_alu instid0(VALU_DEP_1) | instskip(NEXT) | instid1(VALU_DEP_2)
	v_lshlrev_b64_e64 v[2:3], v2, -1
	v_lshlrev_b64_e64 v[14:15], v13, 1
	s_delay_alu instid0(VALU_DEP_2) | instskip(SKIP_1) | instid1(VALU_DEP_4)
	v_bfi_b32 v2, v2, 0, v0
	v_lshrrev_b64 v[0:1], v12, v[0:1]
	v_bfi_b32 v3, v3, 0, 0
	s_delay_alu instid0(VALU_DEP_1) | instskip(NEXT) | instid1(VALU_DEP_3)
	v_cmp_eq_u64_e64 s13, v[2:3], v[14:15]
	v_mov_b64_e32 v[2:3], v[0:1]
	s_and_saveexec_b32 s77, s13
; %bb.23407:                            ;   in Loop: Header=BB6_22365 Depth=3
	v_bfe_u32 v2, v0, 21, 1
	v_mov_b32_e32 v3, v113
	s_delay_alu instid0(VALU_DEP_1) | instskip(NEXT) | instid1(VALU_DEP_1)
	v_add_nc_u64_e32 v[2:3], v[0:1], v[2:3]
	v_add_nc_u64_e32 v[2:3], -1, v[2:3]
; %bb.23408:                            ;   in Loop: Header=BB6_22365 Depth=3
	s_or_b32 exec_lo, exec_lo, s77
	v_add_nc_u32_e32 v1, 0xffffff81, v5
	v_lshrrev_b32_e32 v3, 23, v0
	s_mov_b32 s13, exec_lo
	s_delay_alu instid0(VALU_DEP_2) | instskip(NEXT) | instid1(VALU_DEP_1)
	v_cndmask_b32_e64 v1, v1, 0xffffff82, vcc_lo
	v_add3_u32 v5, v12, v1, v3
	v_and_b32_e32 v1, 0x1fffff, v2
                                        ; implicit-def: $vgpr2
	s_delay_alu instid0(VALU_DEP_1) | instskip(SKIP_1) | instid1(VALU_DEP_2)
	v_dual_add_nc_u32 v3, 14, v5 :: v_dual_add_nc_u32 v0, v1, v0
	v_mov_b32_e32 v1, v113
	v_cmpx_ne_u32_e32 0, v3
	s_xor_b32 s13, exec_lo, s13
; %bb.23409:                            ;   in Loop: Header=BB6_22365 Depth=3
	s_delay_alu instid0(VALU_DEP_2) | instskip(SKIP_1) | instid1(VALU_DEP_1)
	v_cmp_lt_u64_e32 vcc_lo, 0xffffff, v[0:1]
	v_add_nc_u32_e32 v2, 15, v5
	v_cndmask_b32_e32 v2, v3, v2, vcc_lo
	v_cndmask_b32_e64 v3, 0, 1, vcc_lo
	s_delay_alu instid0(VALU_DEP_1)
	v_lshrrev_b64 v[0:1], v3, v[0:1]
; %bb.23410:                            ;   in Loop: Header=BB6_22365 Depth=3
	s_and_not1_saveexec_b32 s13, s13
; %bb.23411:                            ;   in Loop: Header=BB6_22365 Depth=3
	s_delay_alu instid0(VALU_DEP_1)
	v_bfe_u32 v2, v0, 23, 1
; %bb.23412:                            ;   in Loop: Header=BB6_22365 Depth=3
	s_or_b32 exec_lo, exec_lo, s13
	s_delay_alu instid0(VALU_DEP_2) | instskip(NEXT) | instid1(VALU_DEP_2)
	v_lshrrev_b64 v[0:1], 21, v[0:1]
	v_cmp_gt_i32_e32 vcc_lo, 32, v2
	v_min_i32_e32 v3, 31, v2
	v_cmp_eq_u32_e64 s13, 0, v2
	s_delay_alu instid0(VALU_DEP_2) | instskip(SKIP_1) | instid1(VALU_DEP_2)
	v_dual_cndmask_b32 v1, 0, v1, vcc_lo :: v_dual_lshlrev_b32 v3, 2, v3
	v_cndmask_b32_e32 v0, 3, v0, vcc_lo
	v_and_b32_e32 v3, 0xfc, v3
	s_delay_alu instid0(VALU_DEP_2) | instskip(NEXT) | instid1(VALU_DEP_2)
	v_cmp_eq_u64_e32 vcc_lo, 0, v[0:1]
	v_and_or_b32 v0, v0, 3, v3
	s_and_b32 s13, s13, vcc_lo
	s_delay_alu instid0(VALU_DEP_1) | instid1(SALU_CYCLE_1)
	v_cndmask_b32_e64 v0, v0, 0, s13
	s_delay_alu instid0(VALU_DEP_1)
	v_or_b32_e32 v86, v0, v4
.LBB6_23413:                            ;   in Loop: Header=BB6_22365 Depth=3
	s_or_b32 exec_lo, exec_lo, s76
                                        ; implicit-def: $vgpr4
.LBB6_23414:                            ;   in Loop: Header=BB6_22365 Depth=3
	s_and_not1_saveexec_b32 s13, s75
; %bb.23415:                            ;   in Loop: Header=BB6_22365 Depth=3
	v_or_b32_e32 v86, 0x7b, v4
; %bb.23416:                            ;   in Loop: Header=BB6_22365 Depth=3
	s_or_b32 exec_lo, exec_lo, s13
                                        ; implicit-def: $vgpr2
                                        ; implicit-def: $vgpr0_vgpr1
                                        ; implicit-def: $vgpr3
.LBB6_23417:                            ;   in Loop: Header=BB6_22365 Depth=3
	s_and_not1_saveexec_b32 s13, s74
	s_cbranch_execz .LBB6_23423
; %bb.23418:                            ;   in Loop: Header=BB6_22365 Depth=3
	s_mov_b32 s74, exec_lo
                                        ; implicit-def: $vgpr86
	v_cmpx_ne_u64_e32 0, v[0:1]
	s_xor_b32 s74, exec_lo, s74
; %bb.23419:                            ;   in Loop: Header=BB6_22365 Depth=3
	v_or_b32_e32 v86, 0x7f, v3
                                        ; implicit-def: $vgpr2
; %bb.23420:                            ;   in Loop: Header=BB6_22365 Depth=3
	s_and_not1_saveexec_b32 s74, s74
; %bb.23421:                            ;   in Loop: Header=BB6_22365 Depth=3
	v_cmp_lt_i32_e32 vcc_lo, -1, v2
	v_mov_b32_e32 v0, 0x7c
	s_delay_alu instid0(VALU_DEP_1)
	v_cndmask_b32_e32 v86, 0xfc, v0, vcc_lo
; %bb.23422:                            ;   in Loop: Header=BB6_22365 Depth=3
	s_or_b32 exec_lo, exec_lo, s74
.LBB6_23423:                            ;   in Loop: Header=BB6_22365 Depth=3
	s_delay_alu instid0(SALU_CYCLE_1)
	s_or_b32 exec_lo, exec_lo, s13
	v_mov_b32_e32 v1, 0
	s_mov_b32 s74, exec_lo
	v_cmpx_lt_u32_e32 0xffffff, v8
	s_cbranch_execz .LBB6_23433
; %bb.23424:                            ;   in Loop: Header=BB6_22365 Depth=3
	v_lshrrev_b32_e32 v0, 24, v8
	v_bfrev_b32_e32 v1, 1
	s_mov_b32 s75, exec_lo
	s_delay_alu instid0(VALU_DEP_2)
	v_cmpx_ne_u32_e32 0x80, v0
	s_cbranch_execz .LBB6_23432
; %bb.23425:                            ;   in Loop: Header=BB6_22365 Depth=3
	v_and_b32_e32 v1, 0x7c000000, v8
	v_bfe_u32 v2, v8, 24, 2
	s_delay_alu instid0(VALU_DEP_2) | instskip(SKIP_1) | instid1(SALU_CYCLE_1)
	v_cmp_ne_u32_e32 vcc_lo, 0x7c000000, v1
                                        ; implicit-def: $vgpr1
	s_and_saveexec_b32 s13, vcc_lo
	s_xor_b32 s13, exec_lo, s13
	s_cbranch_execz .LBB6_23429
; %bb.23426:                            ;   in Loop: Header=BB6_22365 Depth=3
	v_bfe_u32 v1, v8, 26, 5
	s_mov_b32 s76, exec_lo
	s_delay_alu instid0(VALU_DEP_1)
	v_cmpx_eq_u32_e32 0, v1
; %bb.23427:                            ;   in Loop: Header=BB6_22365 Depth=3
	v_clz_i32_u32_e32 v1, v2
	s_delay_alu instid0(VALU_DEP_1) | instskip(NEXT) | instid1(VALU_DEP_1)
	v_min_u32_e32 v2, 32, v1
	v_subrev_nc_u32_e32 v1, 29, v2
	s_delay_alu instid0(VALU_DEP_1) | instskip(NEXT) | instid1(VALU_DEP_1)
	v_lshlrev_b64_e32 v[0:1], v1, v[0:1]
	v_dual_sub_nc_u32 v1, 30, v2 :: v_dual_bitop2_b32 v2, 3, v0 bitop3:0x40
; %bb.23428:                            ;   in Loop: Header=BB6_22365 Depth=3
	s_or_b32 exec_lo, exec_lo, s76
	v_and_b32_e32 v0, 0x80000000, v8
	s_delay_alu instid0(VALU_DEP_1) | instskip(NEXT) | instid1(VALU_DEP_1)
	v_lshl_add_u32 v0, v1, 23, v0
	v_lshl_or_b32 v0, v2, 21, v0
                                        ; implicit-def: $vgpr2
	s_delay_alu instid0(VALU_DEP_1)
	v_add_nc_u32_e32 v1, 0x38000000, v0
.LBB6_23429:                            ;   in Loop: Header=BB6_22365 Depth=3
	s_and_not1_saveexec_b32 s76, s13
; %bb.23430:                            ;   in Loop: Header=BB6_22365 Depth=3
	v_cmp_lt_i32_e64 s13, -1, v8
	v_mov_b32_e32 v0, 0x7f800000
	v_cmp_eq_u32_e32 vcc_lo, 0, v2
	s_delay_alu instid0(VALU_DEP_2) | instskip(NEXT) | instid1(VALU_DEP_1)
	v_cndmask_b32_e64 v0, 0xff800000, v0, s13
	v_cndmask_b32_e32 v1, 0x7f800001, v0, vcc_lo
; %bb.23431:                            ;   in Loop: Header=BB6_22365 Depth=3
	s_or_b32 exec_lo, exec_lo, s76
.LBB6_23432:                            ;   in Loop: Header=BB6_22365 Depth=3
	s_delay_alu instid0(SALU_CYCLE_1)
	s_or_b32 exec_lo, exec_lo, s75
.LBB6_23433:                            ;   in Loop: Header=BB6_22365 Depth=3
	s_delay_alu instid0(SALU_CYCLE_1) | instskip(NEXT) | instid1(VALU_DEP_1)
	s_or_b32 exec_lo, exec_lo, s74
	v_dual_mul_f32 v2, s73, v1 :: v_dual_mov_b32 v5, v113
	v_mov_b32_e32 v1, v113
                                        ; implicit-def: $vgpr97
	s_mov_b32 s13, exec_lo
	s_delay_alu instid0(VALU_DEP_2) | instskip(SKIP_2) | instid1(VALU_DEP_3)
	v_and_b32_e32 v4, 0x7f800000, v2
	v_and_b32_e32 v0, 0x7fffff, v2
	v_lshrrev_b32_e32 v3, 24, v2
	v_cmpx_ne_u64_e32 0x7f800000, v[4:5]
	s_xor_b32 s74, exec_lo, s13
	s_cbranch_execz .LBB6_23447
; %bb.23434:                            ;   in Loop: Header=BB6_22365 Depth=3
	v_and_b32_e32 v4, 0x7fffffff, v2
	v_mov_b32_e32 v5, v113
                                        ; implicit-def: $vgpr97
	s_delay_alu instid0(VALU_DEP_1) | instskip(SKIP_2) | instid1(SALU_CYCLE_1)
	v_cmp_gt_u64_e32 vcc_lo, 0x47600001, v[4:5]
	v_and_b32_e32 v4, 0x80, v3
	s_and_saveexec_b32 s13, vcc_lo
	s_xor_b32 s75, exec_lo, s13
	s_cbranch_execz .LBB6_23444
; %bb.23435:                            ;   in Loop: Header=BB6_22365 Depth=3
	v_mov_b32_e32 v97, 0
	s_mov_b32 s76, exec_lo
	v_cmpx_ne_u32_e32 0, v2
	s_cbranch_execz .LBB6_23443
; %bb.23436:                            ;   in Loop: Header=BB6_22365 Depth=3
	v_bfe_u32 v5, v2, 23, 8
	v_or_b32_e32 v3, 0x800000, v0
	s_delay_alu instid0(VALU_DEP_2) | instskip(SKIP_2) | instid1(VALU_DEP_2)
	v_cmp_gt_u32_e64 s13, 0x72, v5
	v_sub_nc_u32_e32 v2, 0x71, v5
	v_cmp_eq_u32_e32 vcc_lo, 0, v5
	v_dual_cndmask_b32 v2, 0, v2, s13 :: v_dual_cndmask_b32 v0, v3, v0, vcc_lo
	s_delay_alu instid0(VALU_DEP_1) | instskip(NEXT) | instid1(VALU_DEP_1)
	v_cndmask_b32_e64 v12, v2, 0x70, vcc_lo
	v_dual_add_nc_u32 v2, 21, v12 :: v_dual_add_nc_u32 v13, 20, v12
	s_delay_alu instid0(VALU_DEP_1) | instskip(NEXT) | instid1(VALU_DEP_2)
	v_lshlrev_b64_e64 v[2:3], v2, -1
	v_lshlrev_b64_e64 v[14:15], v13, 1
	s_delay_alu instid0(VALU_DEP_2) | instskip(SKIP_1) | instid1(VALU_DEP_4)
	v_bfi_b32 v2, v2, 0, v0
	v_lshrrev_b64 v[0:1], v12, v[0:1]
	v_bfi_b32 v3, v3, 0, 0
	s_delay_alu instid0(VALU_DEP_1) | instskip(NEXT) | instid1(VALU_DEP_3)
	v_cmp_eq_u64_e64 s13, v[2:3], v[14:15]
	v_mov_b64_e32 v[2:3], v[0:1]
	s_and_saveexec_b32 s77, s13
; %bb.23437:                            ;   in Loop: Header=BB6_22365 Depth=3
	v_bfe_u32 v2, v0, 21, 1
	v_mov_b32_e32 v3, v113
	s_delay_alu instid0(VALU_DEP_1) | instskip(NEXT) | instid1(VALU_DEP_1)
	v_add_nc_u64_e32 v[2:3], v[0:1], v[2:3]
	v_add_nc_u64_e32 v[2:3], -1, v[2:3]
; %bb.23438:                            ;   in Loop: Header=BB6_22365 Depth=3
	s_or_b32 exec_lo, exec_lo, s77
	v_add_nc_u32_e32 v1, 0xffffff81, v5
	v_lshrrev_b32_e32 v3, 23, v0
	s_mov_b32 s13, exec_lo
	s_delay_alu instid0(VALU_DEP_2) | instskip(NEXT) | instid1(VALU_DEP_1)
	v_cndmask_b32_e64 v1, v1, 0xffffff82, vcc_lo
	v_add3_u32 v5, v12, v1, v3
	v_and_b32_e32 v1, 0x1fffff, v2
                                        ; implicit-def: $vgpr2
	s_delay_alu instid0(VALU_DEP_1) | instskip(SKIP_1) | instid1(VALU_DEP_2)
	v_dual_add_nc_u32 v3, 14, v5 :: v_dual_add_nc_u32 v0, v1, v0
	v_mov_b32_e32 v1, v113
	v_cmpx_ne_u32_e32 0, v3
	s_xor_b32 s13, exec_lo, s13
; %bb.23439:                            ;   in Loop: Header=BB6_22365 Depth=3
	s_delay_alu instid0(VALU_DEP_2) | instskip(SKIP_1) | instid1(VALU_DEP_1)
	v_cmp_lt_u64_e32 vcc_lo, 0xffffff, v[0:1]
	v_add_nc_u32_e32 v2, 15, v5
	v_cndmask_b32_e32 v2, v3, v2, vcc_lo
	v_cndmask_b32_e64 v3, 0, 1, vcc_lo
	s_delay_alu instid0(VALU_DEP_1)
	v_lshrrev_b64 v[0:1], v3, v[0:1]
; %bb.23440:                            ;   in Loop: Header=BB6_22365 Depth=3
	s_and_not1_saveexec_b32 s13, s13
; %bb.23441:                            ;   in Loop: Header=BB6_22365 Depth=3
	s_delay_alu instid0(VALU_DEP_1)
	v_bfe_u32 v2, v0, 23, 1
; %bb.23442:                            ;   in Loop: Header=BB6_22365 Depth=3
	s_or_b32 exec_lo, exec_lo, s13
	s_delay_alu instid0(VALU_DEP_2) | instskip(NEXT) | instid1(VALU_DEP_2)
	v_lshrrev_b64 v[0:1], 21, v[0:1]
	v_cmp_gt_i32_e32 vcc_lo, 32, v2
	v_min_i32_e32 v3, 31, v2
	v_cmp_eq_u32_e64 s13, 0, v2
	s_delay_alu instid0(VALU_DEP_2) | instskip(SKIP_1) | instid1(VALU_DEP_2)
	v_dual_cndmask_b32 v1, 0, v1, vcc_lo :: v_dual_lshlrev_b32 v3, 2, v3
	v_cndmask_b32_e32 v0, 3, v0, vcc_lo
	v_and_b32_e32 v3, 0xfc, v3
	s_delay_alu instid0(VALU_DEP_2) | instskip(NEXT) | instid1(VALU_DEP_2)
	v_cmp_eq_u64_e32 vcc_lo, 0, v[0:1]
	v_and_or_b32 v0, v0, 3, v3
	s_and_b32 s13, s13, vcc_lo
	s_delay_alu instid0(VALU_DEP_1) | instid1(SALU_CYCLE_1)
	v_cndmask_b32_e64 v0, v0, 0, s13
	s_delay_alu instid0(VALU_DEP_1)
	v_or_b32_e32 v97, v0, v4
.LBB6_23443:                            ;   in Loop: Header=BB6_22365 Depth=3
	s_or_b32 exec_lo, exec_lo, s76
                                        ; implicit-def: $vgpr4
.LBB6_23444:                            ;   in Loop: Header=BB6_22365 Depth=3
	s_and_not1_saveexec_b32 s13, s75
; %bb.23445:                            ;   in Loop: Header=BB6_22365 Depth=3
	v_or_b32_e32 v97, 0x7b, v4
; %bb.23446:                            ;   in Loop: Header=BB6_22365 Depth=3
	s_or_b32 exec_lo, exec_lo, s13
                                        ; implicit-def: $vgpr2
                                        ; implicit-def: $vgpr0_vgpr1
                                        ; implicit-def: $vgpr3
.LBB6_23447:                            ;   in Loop: Header=BB6_22365 Depth=3
	s_and_not1_saveexec_b32 s13, s74
	s_cbranch_execz .LBB6_23453
; %bb.23448:                            ;   in Loop: Header=BB6_22365 Depth=3
	s_mov_b32 s74, exec_lo
                                        ; implicit-def: $vgpr97
	v_cmpx_ne_u64_e32 0, v[0:1]
	s_xor_b32 s74, exec_lo, s74
; %bb.23449:                            ;   in Loop: Header=BB6_22365 Depth=3
	v_or_b32_e32 v97, 0x7f, v3
                                        ; implicit-def: $vgpr2
; %bb.23450:                            ;   in Loop: Header=BB6_22365 Depth=3
	s_and_not1_saveexec_b32 s74, s74
; %bb.23451:                            ;   in Loop: Header=BB6_22365 Depth=3
	v_cmp_lt_i32_e32 vcc_lo, -1, v2
	v_mov_b32_e32 v0, 0x7c
	s_delay_alu instid0(VALU_DEP_1)
	v_cndmask_b32_e32 v97, 0xfc, v0, vcc_lo
; %bb.23452:                            ;   in Loop: Header=BB6_22365 Depth=3
	s_or_b32 exec_lo, exec_lo, s74
.LBB6_23453:                            ;   in Loop: Header=BB6_22365 Depth=3
	s_delay_alu instid0(SALU_CYCLE_1) | instskip(SKIP_4) | instid1(VALU_DEP_3)
	s_or_b32 exec_lo, exec_lo, s13
	v_and_b32_e32 v3, 0xff, v9
	v_dual_mov_b32 v0, v9 :: v_dual_mov_b32 v1, v113
	v_mov_b32_e32 v2, 0
	s_mov_b32 s74, exec_lo
	v_cmpx_ne_u16_e32 0, v3
	s_cbranch_execz .LBB6_23463
; %bb.23454:                            ;   in Loop: Header=BB6_22365 Depth=3
	v_bfrev_b32_e32 v2, 1
	s_mov_b32 s75, exec_lo
	v_cmpx_ne_u16_e32 0x80, v3
	s_cbranch_execz .LBB6_23462
; %bb.23455:                            ;   in Loop: Header=BB6_22365 Depth=3
	v_and_b32_e32 v2, 0x7c, v9
	v_and_b32_e32 v3, 3, v9
	s_delay_alu instid0(VALU_DEP_2) | instskip(SKIP_1) | instid1(SALU_CYCLE_1)
	v_cmp_ne_u32_e32 vcc_lo, 0x7c, v2
                                        ; implicit-def: $vgpr2
	s_and_saveexec_b32 s13, vcc_lo
	s_xor_b32 s13, exec_lo, s13
	s_cbranch_execz .LBB6_23459
; %bb.23456:                            ;   in Loop: Header=BB6_22365 Depth=3
	v_bfe_u32 v2, v9, 2, 5
	s_mov_b32 s76, exec_lo
	s_delay_alu instid0(VALU_DEP_1)
	v_cmpx_eq_u32_e32 0, v2
; %bb.23457:                            ;   in Loop: Header=BB6_22365 Depth=3
	v_clz_i32_u32_e32 v2, v3
	s_delay_alu instid0(VALU_DEP_1) | instskip(NEXT) | instid1(VALU_DEP_1)
	v_min_u32_e32 v2, 32, v2
	v_subrev_nc_u32_e32 v3, 29, v2
	s_delay_alu instid0(VALU_DEP_1) | instskip(NEXT) | instid1(VALU_DEP_1)
	v_lshlrev_b64_e32 v[4:5], v3, v[0:1]
	v_dual_sub_nc_u32 v2, 30, v2 :: v_dual_bitop2_b32 v3, 3, v4 bitop3:0x40
; %bb.23458:                            ;   in Loop: Header=BB6_22365 Depth=3
	s_or_b32 exec_lo, exec_lo, s76
	v_lshlrev_b32_e32 v1, 24, v9
	s_delay_alu instid0(VALU_DEP_1) | instskip(NEXT) | instid1(VALU_DEP_1)
	v_and_b32_e32 v1, 0x80000000, v1
	v_lshl_add_u32 v1, v2, 23, v1
	s_delay_alu instid0(VALU_DEP_1) | instskip(NEXT) | instid1(VALU_DEP_1)
	v_lshl_or_b32 v1, v3, 21, v1
                                        ; implicit-def: $vgpr3
	v_add_nc_u32_e32 v2, 0x38000000, v1
.LBB6_23459:                            ;   in Loop: Header=BB6_22365 Depth=3
	s_and_not1_saveexec_b32 s76, s13
; %bb.23460:                            ;   in Loop: Header=BB6_22365 Depth=3
	v_bfe_i32 v1, v9, 0, 8
	v_cmp_eq_u32_e32 vcc_lo, 0, v3
	s_delay_alu instid0(VALU_DEP_2) | instskip(SKIP_1) | instid1(VALU_DEP_1)
	v_cmp_lt_i16_e64 s13, -1, v1
	v_mov_b32_e32 v1, 0x7f800000
	v_cndmask_b32_e64 v1, 0xff800000, v1, s13
	s_delay_alu instid0(VALU_DEP_1)
	v_cndmask_b32_e32 v2, 0x7f800001, v1, vcc_lo
; %bb.23461:                            ;   in Loop: Header=BB6_22365 Depth=3
	s_or_b32 exec_lo, exec_lo, s76
.LBB6_23462:                            ;   in Loop: Header=BB6_22365 Depth=3
	s_delay_alu instid0(SALU_CYCLE_1)
	s_or_b32 exec_lo, exec_lo, s75
.LBB6_23463:                            ;   in Loop: Header=BB6_22365 Depth=3
	s_delay_alu instid0(SALU_CYCLE_1) | instskip(NEXT) | instid1(VALU_DEP_1)
	s_or_b32 exec_lo, exec_lo, s74
	v_dual_mul_f32 v4, s73, v2 :: v_dual_mov_b32 v13, v113
	v_mov_b32_e32 v3, v113
                                        ; implicit-def: $vgpr65
	s_mov_b32 s13, exec_lo
	s_delay_alu instid0(VALU_DEP_2) | instskip(SKIP_2) | instid1(VALU_DEP_3)
	v_and_b32_e32 v12, 0x7f800000, v4
	v_and_b32_e32 v2, 0x7fffff, v4
	v_lshrrev_b32_e32 v1, 24, v4
	v_cmpx_ne_u64_e32 0x7f800000, v[12:13]
	s_xor_b32 s74, exec_lo, s13
	s_cbranch_execz .LBB6_23477
; %bb.23464:                            ;   in Loop: Header=BB6_22365 Depth=3
	v_and_b32_e32 v12, 0x7fffffff, v4
	v_mov_b32_e32 v13, v113
	v_and_b32_e32 v1, 0x80, v1
                                        ; implicit-def: $vgpr65
	s_mov_b32 s13, exec_lo
	s_delay_alu instid0(VALU_DEP_2)
	v_cmpx_gt_u64_e32 0x47600001, v[12:13]
	s_xor_b32 s75, exec_lo, s13
	s_cbranch_execz .LBB6_23474
; %bb.23465:                            ;   in Loop: Header=BB6_22365 Depth=3
	v_mov_b32_e32 v65, 0
	s_mov_b32 s76, exec_lo
	v_cmpx_ne_u32_e32 0, v4
	s_cbranch_execz .LBB6_23473
; %bb.23466:                            ;   in Loop: Header=BB6_22365 Depth=3
	v_bfe_u32 v12, v4, 23, 8
	v_or_b32_e32 v5, 0x800000, v2
	s_delay_alu instid0(VALU_DEP_2) | instskip(SKIP_2) | instid1(VALU_DEP_2)
	v_cmp_gt_u32_e64 s13, 0x72, v12
	v_sub_nc_u32_e32 v4, 0x71, v12
	v_cmp_eq_u32_e32 vcc_lo, 0, v12
	v_dual_cndmask_b32 v4, 0, v4, s13 :: v_dual_cndmask_b32 v2, v5, v2, vcc_lo
	s_delay_alu instid0(VALU_DEP_1) | instskip(NEXT) | instid1(VALU_DEP_1)
	v_cndmask_b32_e64 v13, v4, 0x70, vcc_lo
	v_dual_add_nc_u32 v4, 21, v13 :: v_dual_add_nc_u32 v14, 20, v13
	s_delay_alu instid0(VALU_DEP_1) | instskip(NEXT) | instid1(VALU_DEP_2)
	v_lshlrev_b64_e64 v[4:5], v4, -1
	v_lshlrev_b64_e64 v[14:15], v14, 1
	s_delay_alu instid0(VALU_DEP_2) | instskip(SKIP_1) | instid1(VALU_DEP_4)
	v_bfi_b32 v4, v4, 0, v2
	v_lshrrev_b64 v[2:3], v13, v[2:3]
	v_bfi_b32 v5, v5, 0, 0
	s_delay_alu instid0(VALU_DEP_1) | instskip(NEXT) | instid1(VALU_DEP_3)
	v_cmp_eq_u64_e64 s13, v[4:5], v[14:15]
	v_mov_b64_e32 v[4:5], v[2:3]
	s_and_saveexec_b32 s77, s13
; %bb.23467:                            ;   in Loop: Header=BB6_22365 Depth=3
	v_bfe_u32 v4, v2, 21, 1
	v_mov_b32_e32 v5, v113
	s_delay_alu instid0(VALU_DEP_1) | instskip(NEXT) | instid1(VALU_DEP_1)
	v_add_nc_u64_e32 v[4:5], v[2:3], v[4:5]
	v_add_nc_u64_e32 v[4:5], -1, v[4:5]
; %bb.23468:                            ;   in Loop: Header=BB6_22365 Depth=3
	s_or_b32 exec_lo, exec_lo, s77
	v_add_nc_u32_e32 v3, 0xffffff81, v12
	v_lshrrev_b32_e32 v5, 23, v2
	s_mov_b32 s13, exec_lo
	s_delay_alu instid0(VALU_DEP_2) | instskip(NEXT) | instid1(VALU_DEP_1)
	v_cndmask_b32_e64 v3, v3, 0xffffff82, vcc_lo
	v_add3_u32 v12, v13, v3, v5
	v_and_b32_e32 v3, 0x1fffff, v4
                                        ; implicit-def: $vgpr4
	s_delay_alu instid0(VALU_DEP_1) | instskip(SKIP_1) | instid1(VALU_DEP_2)
	v_dual_add_nc_u32 v5, 14, v12 :: v_dual_add_nc_u32 v2, v3, v2
	v_mov_b32_e32 v3, v113
	v_cmpx_ne_u32_e32 0, v5
	s_xor_b32 s13, exec_lo, s13
; %bb.23469:                            ;   in Loop: Header=BB6_22365 Depth=3
	s_delay_alu instid0(VALU_DEP_2) | instskip(SKIP_1) | instid1(VALU_DEP_1)
	v_cmp_lt_u64_e32 vcc_lo, 0xffffff, v[2:3]
	v_add_nc_u32_e32 v4, 15, v12
	v_cndmask_b32_e32 v4, v5, v4, vcc_lo
	v_cndmask_b32_e64 v5, 0, 1, vcc_lo
	s_delay_alu instid0(VALU_DEP_1)
	v_lshrrev_b64 v[2:3], v5, v[2:3]
; %bb.23470:                            ;   in Loop: Header=BB6_22365 Depth=3
	s_and_not1_saveexec_b32 s13, s13
; %bb.23471:                            ;   in Loop: Header=BB6_22365 Depth=3
	s_delay_alu instid0(VALU_DEP_1)
	v_bfe_u32 v4, v2, 23, 1
; %bb.23472:                            ;   in Loop: Header=BB6_22365 Depth=3
	s_or_b32 exec_lo, exec_lo, s13
	s_delay_alu instid0(VALU_DEP_2) | instskip(NEXT) | instid1(VALU_DEP_2)
	v_lshrrev_b64 v[2:3], 21, v[2:3]
	v_cmp_gt_i32_e32 vcc_lo, 32, v4
	v_min_i32_e32 v5, 31, v4
	v_cmp_eq_u32_e64 s13, 0, v4
	s_delay_alu instid0(VALU_DEP_2) | instskip(SKIP_1) | instid1(VALU_DEP_2)
	v_dual_cndmask_b32 v3, 0, v3, vcc_lo :: v_dual_lshlrev_b32 v5, 2, v5
	v_cndmask_b32_e32 v2, 3, v2, vcc_lo
	v_and_b32_e32 v5, 0xfc, v5
	s_delay_alu instid0(VALU_DEP_2) | instskip(NEXT) | instid1(VALU_DEP_2)
	v_cmp_eq_u64_e32 vcc_lo, 0, v[2:3]
	v_and_or_b32 v2, v2, 3, v5
	s_and_b32 s13, s13, vcc_lo
	s_delay_alu instid0(VALU_DEP_1) | instid1(SALU_CYCLE_1)
	v_cndmask_b32_e64 v2, v2, 0, s13
	s_delay_alu instid0(VALU_DEP_1)
	v_or_b32_e32 v65, v2, v1
.LBB6_23473:                            ;   in Loop: Header=BB6_22365 Depth=3
	s_or_b32 exec_lo, exec_lo, s76
                                        ; implicit-def: $vgpr1
.LBB6_23474:                            ;   in Loop: Header=BB6_22365 Depth=3
	s_and_not1_saveexec_b32 s13, s75
; %bb.23475:                            ;   in Loop: Header=BB6_22365 Depth=3
	v_or_b32_e32 v65, 0x7b, v1
; %bb.23476:                            ;   in Loop: Header=BB6_22365 Depth=3
	s_or_b32 exec_lo, exec_lo, s13
                                        ; implicit-def: $vgpr4
                                        ; implicit-def: $vgpr2_vgpr3
                                        ; implicit-def: $vgpr1
.LBB6_23477:                            ;   in Loop: Header=BB6_22365 Depth=3
	s_and_not1_saveexec_b32 s13, s74
	s_cbranch_execz .LBB6_23483
; %bb.23478:                            ;   in Loop: Header=BB6_22365 Depth=3
	s_mov_b32 s74, exec_lo
                                        ; implicit-def: $vgpr65
	v_cmpx_ne_u64_e32 0, v[2:3]
	s_xor_b32 s74, exec_lo, s74
; %bb.23479:                            ;   in Loop: Header=BB6_22365 Depth=3
	v_or_b32_e32 v65, 0x7f, v1
                                        ; implicit-def: $vgpr4
; %bb.23480:                            ;   in Loop: Header=BB6_22365 Depth=3
	s_and_not1_saveexec_b32 s74, s74
; %bb.23481:                            ;   in Loop: Header=BB6_22365 Depth=3
	v_cmp_lt_i32_e32 vcc_lo, -1, v4
	v_mov_b32_e32 v1, 0x7c
	s_delay_alu instid0(VALU_DEP_1)
	v_cndmask_b32_e32 v65, 0xfc, v1, vcc_lo
; %bb.23482:                            ;   in Loop: Header=BB6_22365 Depth=3
	s_or_b32 exec_lo, exec_lo, s74
.LBB6_23483:                            ;   in Loop: Header=BB6_22365 Depth=3
	s_delay_alu instid0(SALU_CYCLE_1) | instskip(SKIP_3) | instid1(VALU_DEP_2)
	s_or_b32 exec_lo, exec_lo, s13
	v_lshrrev_b16 v2, 8, v0
	v_mov_b32_e32 v3, 0
	s_mov_b32 s74, exec_lo
	v_cmpx_ne_u16_e32 0, v2
	s_cbranch_execz .LBB6_23493
; %bb.23484:                            ;   in Loop: Header=BB6_22365 Depth=3
	v_bfrev_b32_e32 v3, 1
	s_mov_b32 s75, exec_lo
	v_cmpx_ne_u16_e32 0x80, v2
	s_cbranch_execz .LBB6_23492
; %bb.23485:                            ;   in Loop: Header=BB6_22365 Depth=3
	v_and_b32_e32 v1, 0xffff, v2
	s_delay_alu instid0(VALU_DEP_1) | instskip(SKIP_1) | instid1(VALU_DEP_2)
	v_and_b32_e32 v3, 0x7c, v1
	v_and_b32_e32 v4, 3, v1
	v_cmp_ne_u32_e32 vcc_lo, 0x7c, v3
                                        ; implicit-def: $vgpr3
	s_and_saveexec_b32 s13, vcc_lo
	s_delay_alu instid0(SALU_CYCLE_1)
	s_xor_b32 s13, exec_lo, s13
	s_cbranch_execz .LBB6_23489
; %bb.23486:                            ;   in Loop: Header=BB6_22365 Depth=3
	v_bfe_u32 v1, v1, 2, 5
	s_mov_b32 s76, exec_lo
	s_delay_alu instid0(VALU_DEP_1)
	v_cmpx_eq_u32_e32 0, v1
	s_cbranch_execz .LBB6_23488
; %bb.23487:                            ;   in Loop: Header=BB6_22365 Depth=3
	v_clz_i32_u32_e32 v1, v4
	s_delay_alu instid0(VALU_DEP_1) | instskip(SKIP_1) | instid1(VALU_DEP_2)
	v_min_u32_e32 v1, 32, v1
	v_mov_b32_e32 v3, v113
	v_subrev_nc_u32_e32 v4, 29, v1
	v_sub_nc_u32_e32 v1, 30, v1
	s_delay_alu instid0(VALU_DEP_2) | instskip(NEXT) | instid1(VALU_DEP_1)
	v_lshlrev_b64_e32 v[2:3], v4, v[2:3]
	v_and_b32_e32 v4, 3, v2
.LBB6_23488:                            ;   in Loop: Header=BB6_22365 Depth=3
	s_or_b32 exec_lo, exec_lo, s76
	v_lshlrev_b32_e32 v0, 16, v0
	s_delay_alu instid0(VALU_DEP_1) | instskip(NEXT) | instid1(VALU_DEP_1)
	v_and_b32_e32 v0, 0x80000000, v0
	v_lshl_add_u32 v0, v1, 23, v0
	s_delay_alu instid0(VALU_DEP_1) | instskip(NEXT) | instid1(VALU_DEP_1)
	v_lshl_or_b32 v0, v4, 21, v0
                                        ; implicit-def: $vgpr4
	v_add_nc_u32_e32 v3, 0x38000000, v0
                                        ; implicit-def: $vgpr0_vgpr1
.LBB6_23489:                            ;   in Loop: Header=BB6_22365 Depth=3
	s_and_not1_saveexec_b32 s76, s13
; %bb.23490:                            ;   in Loop: Header=BB6_22365 Depth=3
	v_cmp_lt_i16_e64 s13, -1, v0
	v_mov_b32_e32 v0, 0x7f800000
	v_cmp_eq_u32_e32 vcc_lo, 0, v4
	s_delay_alu instid0(VALU_DEP_2) | instskip(NEXT) | instid1(VALU_DEP_1)
	v_cndmask_b32_e64 v0, 0xff800000, v0, s13
	v_cndmask_b32_e32 v3, 0x7f800001, v0, vcc_lo
; %bb.23491:                            ;   in Loop: Header=BB6_22365 Depth=3
	s_or_b32 exec_lo, exec_lo, s76
.LBB6_23492:                            ;   in Loop: Header=BB6_22365 Depth=3
	s_delay_alu instid0(SALU_CYCLE_1)
	s_or_b32 exec_lo, exec_lo, s75
.LBB6_23493:                            ;   in Loop: Header=BB6_22365 Depth=3
	s_delay_alu instid0(SALU_CYCLE_1) | instskip(NEXT) | instid1(VALU_DEP_1)
	s_or_b32 exec_lo, exec_lo, s74
	v_dual_mul_f32 v2, s73, v3 :: v_dual_mov_b32 v5, v113
	v_mov_b32_e32 v1, v113
                                        ; implicit-def: $vgpr80
	s_mov_b32 s13, exec_lo
	s_delay_alu instid0(VALU_DEP_2) | instskip(SKIP_2) | instid1(VALU_DEP_3)
	v_and_b32_e32 v4, 0x7f800000, v2
	v_and_b32_e32 v0, 0x7fffff, v2
	v_lshrrev_b32_e32 v3, 24, v2
	v_cmpx_ne_u64_e32 0x7f800000, v[4:5]
	s_xor_b32 s74, exec_lo, s13
	s_cbranch_execz .LBB6_23507
; %bb.23494:                            ;   in Loop: Header=BB6_22365 Depth=3
	v_and_b32_e32 v4, 0x7fffffff, v2
	v_mov_b32_e32 v5, v113
                                        ; implicit-def: $vgpr80
	s_delay_alu instid0(VALU_DEP_1) | instskip(SKIP_2) | instid1(SALU_CYCLE_1)
	v_cmp_gt_u64_e32 vcc_lo, 0x47600001, v[4:5]
	v_and_b32_e32 v4, 0x80, v3
	s_and_saveexec_b32 s13, vcc_lo
	s_xor_b32 s75, exec_lo, s13
	s_cbranch_execz .LBB6_23504
; %bb.23495:                            ;   in Loop: Header=BB6_22365 Depth=3
	v_mov_b32_e32 v80, 0
	s_mov_b32 s76, exec_lo
	v_cmpx_ne_u32_e32 0, v2
	s_cbranch_execz .LBB6_23503
; %bb.23496:                            ;   in Loop: Header=BB6_22365 Depth=3
	v_bfe_u32 v5, v2, 23, 8
	v_or_b32_e32 v3, 0x800000, v0
	s_delay_alu instid0(VALU_DEP_2) | instskip(SKIP_2) | instid1(VALU_DEP_2)
	v_cmp_gt_u32_e64 s13, 0x72, v5
	v_sub_nc_u32_e32 v2, 0x71, v5
	v_cmp_eq_u32_e32 vcc_lo, 0, v5
	v_dual_cndmask_b32 v2, 0, v2, s13 :: v_dual_cndmask_b32 v0, v3, v0, vcc_lo
	s_delay_alu instid0(VALU_DEP_1) | instskip(NEXT) | instid1(VALU_DEP_1)
	v_cndmask_b32_e64 v12, v2, 0x70, vcc_lo
	v_dual_add_nc_u32 v2, 21, v12 :: v_dual_add_nc_u32 v13, 20, v12
	s_delay_alu instid0(VALU_DEP_1) | instskip(NEXT) | instid1(VALU_DEP_2)
	v_lshlrev_b64_e64 v[2:3], v2, -1
	v_lshlrev_b64_e64 v[14:15], v13, 1
	s_delay_alu instid0(VALU_DEP_2) | instskip(SKIP_1) | instid1(VALU_DEP_4)
	v_bfi_b32 v2, v2, 0, v0
	v_lshrrev_b64 v[0:1], v12, v[0:1]
	v_bfi_b32 v3, v3, 0, 0
	s_delay_alu instid0(VALU_DEP_1) | instskip(NEXT) | instid1(VALU_DEP_3)
	v_cmp_eq_u64_e64 s13, v[2:3], v[14:15]
	v_mov_b64_e32 v[2:3], v[0:1]
	s_and_saveexec_b32 s77, s13
; %bb.23497:                            ;   in Loop: Header=BB6_22365 Depth=3
	v_bfe_u32 v2, v0, 21, 1
	v_mov_b32_e32 v3, v113
	s_delay_alu instid0(VALU_DEP_1) | instskip(NEXT) | instid1(VALU_DEP_1)
	v_add_nc_u64_e32 v[2:3], v[0:1], v[2:3]
	v_add_nc_u64_e32 v[2:3], -1, v[2:3]
; %bb.23498:                            ;   in Loop: Header=BB6_22365 Depth=3
	s_or_b32 exec_lo, exec_lo, s77
	v_add_nc_u32_e32 v1, 0xffffff81, v5
	v_lshrrev_b32_e32 v3, 23, v0
	s_mov_b32 s13, exec_lo
	s_delay_alu instid0(VALU_DEP_2) | instskip(NEXT) | instid1(VALU_DEP_1)
	v_cndmask_b32_e64 v1, v1, 0xffffff82, vcc_lo
	v_add3_u32 v5, v12, v1, v3
	v_and_b32_e32 v1, 0x1fffff, v2
                                        ; implicit-def: $vgpr2
	s_delay_alu instid0(VALU_DEP_1) | instskip(SKIP_1) | instid1(VALU_DEP_2)
	v_dual_add_nc_u32 v3, 14, v5 :: v_dual_add_nc_u32 v0, v1, v0
	v_mov_b32_e32 v1, v113
	v_cmpx_ne_u32_e32 0, v3
	s_xor_b32 s13, exec_lo, s13
; %bb.23499:                            ;   in Loop: Header=BB6_22365 Depth=3
	s_delay_alu instid0(VALU_DEP_2) | instskip(SKIP_1) | instid1(VALU_DEP_1)
	v_cmp_lt_u64_e32 vcc_lo, 0xffffff, v[0:1]
	v_add_nc_u32_e32 v2, 15, v5
	v_cndmask_b32_e32 v2, v3, v2, vcc_lo
	v_cndmask_b32_e64 v3, 0, 1, vcc_lo
	s_delay_alu instid0(VALU_DEP_1)
	v_lshrrev_b64 v[0:1], v3, v[0:1]
; %bb.23500:                            ;   in Loop: Header=BB6_22365 Depth=3
	s_and_not1_saveexec_b32 s13, s13
; %bb.23501:                            ;   in Loop: Header=BB6_22365 Depth=3
	s_delay_alu instid0(VALU_DEP_1)
	v_bfe_u32 v2, v0, 23, 1
; %bb.23502:                            ;   in Loop: Header=BB6_22365 Depth=3
	s_or_b32 exec_lo, exec_lo, s13
	s_delay_alu instid0(VALU_DEP_2) | instskip(NEXT) | instid1(VALU_DEP_2)
	v_lshrrev_b64 v[0:1], 21, v[0:1]
	v_cmp_gt_i32_e32 vcc_lo, 32, v2
	v_min_i32_e32 v3, 31, v2
	v_cmp_eq_u32_e64 s13, 0, v2
	s_delay_alu instid0(VALU_DEP_2) | instskip(SKIP_1) | instid1(VALU_DEP_2)
	v_dual_cndmask_b32 v1, 0, v1, vcc_lo :: v_dual_lshlrev_b32 v3, 2, v3
	v_cndmask_b32_e32 v0, 3, v0, vcc_lo
	v_and_b32_e32 v3, 0xfc, v3
	s_delay_alu instid0(VALU_DEP_2) | instskip(NEXT) | instid1(VALU_DEP_2)
	v_cmp_eq_u64_e32 vcc_lo, 0, v[0:1]
	v_and_or_b32 v0, v0, 3, v3
	s_and_b32 s13, s13, vcc_lo
	s_delay_alu instid0(VALU_DEP_1) | instid1(SALU_CYCLE_1)
	v_cndmask_b32_e64 v0, v0, 0, s13
	s_delay_alu instid0(VALU_DEP_1)
	v_or_b32_e32 v80, v0, v4
.LBB6_23503:                            ;   in Loop: Header=BB6_22365 Depth=3
	s_or_b32 exec_lo, exec_lo, s76
                                        ; implicit-def: $vgpr4
.LBB6_23504:                            ;   in Loop: Header=BB6_22365 Depth=3
	s_and_not1_saveexec_b32 s13, s75
; %bb.23505:                            ;   in Loop: Header=BB6_22365 Depth=3
	v_or_b32_e32 v80, 0x7b, v4
; %bb.23506:                            ;   in Loop: Header=BB6_22365 Depth=3
	s_or_b32 exec_lo, exec_lo, s13
                                        ; implicit-def: $vgpr2
                                        ; implicit-def: $vgpr0_vgpr1
                                        ; implicit-def: $vgpr3
.LBB6_23507:                            ;   in Loop: Header=BB6_22365 Depth=3
	s_and_not1_saveexec_b32 s13, s74
	s_cbranch_execz .LBB6_23513
; %bb.23508:                            ;   in Loop: Header=BB6_22365 Depth=3
	s_mov_b32 s74, exec_lo
                                        ; implicit-def: $vgpr80
	v_cmpx_ne_u64_e32 0, v[0:1]
	s_xor_b32 s74, exec_lo, s74
; %bb.23509:                            ;   in Loop: Header=BB6_22365 Depth=3
	v_or_b32_e32 v80, 0x7f, v3
                                        ; implicit-def: $vgpr2
; %bb.23510:                            ;   in Loop: Header=BB6_22365 Depth=3
	s_and_not1_saveexec_b32 s74, s74
; %bb.23511:                            ;   in Loop: Header=BB6_22365 Depth=3
	v_cmp_lt_i32_e32 vcc_lo, -1, v2
	v_mov_b32_e32 v0, 0x7c
	s_delay_alu instid0(VALU_DEP_1)
	v_cndmask_b32_e32 v80, 0xfc, v0, vcc_lo
; %bb.23512:                            ;   in Loop: Header=BB6_22365 Depth=3
	s_or_b32 exec_lo, exec_lo, s74
.LBB6_23513:                            ;   in Loop: Header=BB6_22365 Depth=3
	s_delay_alu instid0(SALU_CYCLE_1) | instskip(SKIP_2) | instid1(VALU_DEP_1)
	s_or_b32 exec_lo, exec_lo, s13
	v_dual_mov_b32 v1, 0 :: v_dual_lshrrev_b32 v0, 16, v9
	s_mov_b32 s74, exec_lo
	v_and_b32_e32 v2, 0xff, v0
	s_delay_alu instid0(VALU_DEP_1)
	v_cmpx_ne_u16_e32 0, v2
	s_cbranch_execz .LBB6_23523
; %bb.23514:                            ;   in Loop: Header=BB6_22365 Depth=3
	v_bfrev_b32_e32 v1, 1
	s_mov_b32 s75, exec_lo
	v_cmpx_ne_u16_e32 0x80, v2
	s_cbranch_execz .LBB6_23522
; %bb.23515:                            ;   in Loop: Header=BB6_22365 Depth=3
	v_and_b32_e32 v1, 0x7c0000, v9
	v_bfe_u32 v2, v9, 16, 2
	s_delay_alu instid0(VALU_DEP_2) | instskip(SKIP_1) | instid1(SALU_CYCLE_1)
	v_cmp_ne_u32_e32 vcc_lo, 0x7c0000, v1
                                        ; implicit-def: $vgpr1
	s_and_saveexec_b32 s13, vcc_lo
	s_xor_b32 s13, exec_lo, s13
	s_cbranch_execz .LBB6_23519
; %bb.23516:                            ;   in Loop: Header=BB6_22365 Depth=3
	v_bfe_u32 v1, v9, 18, 5
	s_mov_b32 s76, exec_lo
	s_delay_alu instid0(VALU_DEP_1)
	v_cmpx_eq_u32_e32 0, v1
; %bb.23517:                            ;   in Loop: Header=BB6_22365 Depth=3
	v_clz_i32_u32_e32 v1, v2
	s_delay_alu instid0(VALU_DEP_1) | instskip(NEXT) | instid1(VALU_DEP_1)
	v_min_u32_e32 v1, 32, v1
	v_subrev_nc_u32_e32 v2, 29, v1
	s_delay_alu instid0(VALU_DEP_1) | instskip(NEXT) | instid1(VALU_DEP_1)
	v_lshlrev_b64_e32 v[2:3], v2, v[0:1]
	v_dual_sub_nc_u32 v1, 30, v1 :: v_dual_bitop2_b32 v2, 3, v2 bitop3:0x40
; %bb.23518:                            ;   in Loop: Header=BB6_22365 Depth=3
	s_or_b32 exec_lo, exec_lo, s76
	v_lshlrev_b32_e32 v0, 24, v0
	s_delay_alu instid0(VALU_DEP_1) | instskip(NEXT) | instid1(VALU_DEP_1)
	v_and_b32_e32 v0, 0x80000000, v0
	v_lshl_add_u32 v0, v1, 23, v0
	s_delay_alu instid0(VALU_DEP_1) | instskip(NEXT) | instid1(VALU_DEP_1)
	v_lshl_or_b32 v0, v2, 21, v0
                                        ; implicit-def: $vgpr2
	v_add_nc_u32_e32 v1, 0x38000000, v0
                                        ; implicit-def: $vgpr0
.LBB6_23519:                            ;   in Loop: Header=BB6_22365 Depth=3
	s_and_not1_saveexec_b32 s76, s13
; %bb.23520:                            ;   in Loop: Header=BB6_22365 Depth=3
	v_bfe_i32 v0, v0, 0, 8
	v_cmp_eq_u32_e32 vcc_lo, 0, v2
	s_delay_alu instid0(VALU_DEP_2) | instskip(SKIP_1) | instid1(VALU_DEP_1)
	v_cmp_lt_i16_e64 s13, -1, v0
	v_mov_b32_e32 v0, 0x7f800000
	v_cndmask_b32_e64 v0, 0xff800000, v0, s13
	s_delay_alu instid0(VALU_DEP_1)
	v_cndmask_b32_e32 v1, 0x7f800001, v0, vcc_lo
; %bb.23521:                            ;   in Loop: Header=BB6_22365 Depth=3
	s_or_b32 exec_lo, exec_lo, s76
.LBB6_23522:                            ;   in Loop: Header=BB6_22365 Depth=3
	s_delay_alu instid0(SALU_CYCLE_1)
	s_or_b32 exec_lo, exec_lo, s75
.LBB6_23523:                            ;   in Loop: Header=BB6_22365 Depth=3
	s_delay_alu instid0(SALU_CYCLE_1) | instskip(NEXT) | instid1(VALU_DEP_1)
	s_or_b32 exec_lo, exec_lo, s74
	v_dual_mul_f32 v2, s73, v1 :: v_dual_mov_b32 v5, v113
	v_mov_b32_e32 v1, v113
                                        ; implicit-def: $vgpr83
	s_mov_b32 s13, exec_lo
	s_delay_alu instid0(VALU_DEP_2) | instskip(SKIP_2) | instid1(VALU_DEP_3)
	v_and_b32_e32 v4, 0x7f800000, v2
	v_and_b32_e32 v0, 0x7fffff, v2
	v_lshrrev_b32_e32 v3, 24, v2
	v_cmpx_ne_u64_e32 0x7f800000, v[4:5]
	s_xor_b32 s74, exec_lo, s13
	s_cbranch_execz .LBB6_23537
; %bb.23524:                            ;   in Loop: Header=BB6_22365 Depth=3
	v_and_b32_e32 v4, 0x7fffffff, v2
	v_mov_b32_e32 v5, v113
                                        ; implicit-def: $vgpr83
	s_delay_alu instid0(VALU_DEP_1) | instskip(SKIP_2) | instid1(SALU_CYCLE_1)
	v_cmp_gt_u64_e32 vcc_lo, 0x47600001, v[4:5]
	v_and_b32_e32 v4, 0x80, v3
	s_and_saveexec_b32 s13, vcc_lo
	s_xor_b32 s75, exec_lo, s13
	s_cbranch_execz .LBB6_23534
; %bb.23525:                            ;   in Loop: Header=BB6_22365 Depth=3
	v_mov_b32_e32 v83, 0
	s_mov_b32 s76, exec_lo
	v_cmpx_ne_u32_e32 0, v2
	s_cbranch_execz .LBB6_23533
; %bb.23526:                            ;   in Loop: Header=BB6_22365 Depth=3
	v_bfe_u32 v5, v2, 23, 8
	v_or_b32_e32 v3, 0x800000, v0
	s_delay_alu instid0(VALU_DEP_2) | instskip(SKIP_2) | instid1(VALU_DEP_2)
	v_cmp_gt_u32_e64 s13, 0x72, v5
	v_sub_nc_u32_e32 v2, 0x71, v5
	v_cmp_eq_u32_e32 vcc_lo, 0, v5
	v_dual_cndmask_b32 v2, 0, v2, s13 :: v_dual_cndmask_b32 v0, v3, v0, vcc_lo
	s_delay_alu instid0(VALU_DEP_1) | instskip(NEXT) | instid1(VALU_DEP_1)
	v_cndmask_b32_e64 v12, v2, 0x70, vcc_lo
	v_dual_add_nc_u32 v2, 21, v12 :: v_dual_add_nc_u32 v13, 20, v12
	s_delay_alu instid0(VALU_DEP_1) | instskip(NEXT) | instid1(VALU_DEP_2)
	v_lshlrev_b64_e64 v[2:3], v2, -1
	v_lshlrev_b64_e64 v[14:15], v13, 1
	s_delay_alu instid0(VALU_DEP_2) | instskip(SKIP_1) | instid1(VALU_DEP_4)
	v_bfi_b32 v2, v2, 0, v0
	v_lshrrev_b64 v[0:1], v12, v[0:1]
	v_bfi_b32 v3, v3, 0, 0
	s_delay_alu instid0(VALU_DEP_1) | instskip(NEXT) | instid1(VALU_DEP_3)
	v_cmp_eq_u64_e64 s13, v[2:3], v[14:15]
	v_mov_b64_e32 v[2:3], v[0:1]
	s_and_saveexec_b32 s77, s13
; %bb.23527:                            ;   in Loop: Header=BB6_22365 Depth=3
	v_bfe_u32 v2, v0, 21, 1
	v_mov_b32_e32 v3, v113
	s_delay_alu instid0(VALU_DEP_1) | instskip(NEXT) | instid1(VALU_DEP_1)
	v_add_nc_u64_e32 v[2:3], v[0:1], v[2:3]
	v_add_nc_u64_e32 v[2:3], -1, v[2:3]
; %bb.23528:                            ;   in Loop: Header=BB6_22365 Depth=3
	s_or_b32 exec_lo, exec_lo, s77
	v_add_nc_u32_e32 v1, 0xffffff81, v5
	v_lshrrev_b32_e32 v3, 23, v0
	s_mov_b32 s13, exec_lo
	s_delay_alu instid0(VALU_DEP_2) | instskip(NEXT) | instid1(VALU_DEP_1)
	v_cndmask_b32_e64 v1, v1, 0xffffff82, vcc_lo
	v_add3_u32 v5, v12, v1, v3
	v_and_b32_e32 v1, 0x1fffff, v2
                                        ; implicit-def: $vgpr2
	s_delay_alu instid0(VALU_DEP_1) | instskip(SKIP_1) | instid1(VALU_DEP_2)
	v_dual_add_nc_u32 v3, 14, v5 :: v_dual_add_nc_u32 v0, v1, v0
	v_mov_b32_e32 v1, v113
	v_cmpx_ne_u32_e32 0, v3
	s_xor_b32 s13, exec_lo, s13
; %bb.23529:                            ;   in Loop: Header=BB6_22365 Depth=3
	s_delay_alu instid0(VALU_DEP_2) | instskip(SKIP_1) | instid1(VALU_DEP_1)
	v_cmp_lt_u64_e32 vcc_lo, 0xffffff, v[0:1]
	v_add_nc_u32_e32 v2, 15, v5
	v_cndmask_b32_e32 v2, v3, v2, vcc_lo
	v_cndmask_b32_e64 v3, 0, 1, vcc_lo
	s_delay_alu instid0(VALU_DEP_1)
	v_lshrrev_b64 v[0:1], v3, v[0:1]
; %bb.23530:                            ;   in Loop: Header=BB6_22365 Depth=3
	s_and_not1_saveexec_b32 s13, s13
; %bb.23531:                            ;   in Loop: Header=BB6_22365 Depth=3
	s_delay_alu instid0(VALU_DEP_1)
	v_bfe_u32 v2, v0, 23, 1
; %bb.23532:                            ;   in Loop: Header=BB6_22365 Depth=3
	s_or_b32 exec_lo, exec_lo, s13
	s_delay_alu instid0(VALU_DEP_2) | instskip(NEXT) | instid1(VALU_DEP_2)
	v_lshrrev_b64 v[0:1], 21, v[0:1]
	v_cmp_gt_i32_e32 vcc_lo, 32, v2
	v_min_i32_e32 v3, 31, v2
	v_cmp_eq_u32_e64 s13, 0, v2
	s_delay_alu instid0(VALU_DEP_2) | instskip(SKIP_1) | instid1(VALU_DEP_2)
	v_dual_cndmask_b32 v1, 0, v1, vcc_lo :: v_dual_lshlrev_b32 v3, 2, v3
	v_cndmask_b32_e32 v0, 3, v0, vcc_lo
	v_and_b32_e32 v3, 0xfc, v3
	s_delay_alu instid0(VALU_DEP_2) | instskip(NEXT) | instid1(VALU_DEP_2)
	v_cmp_eq_u64_e32 vcc_lo, 0, v[0:1]
	v_and_or_b32 v0, v0, 3, v3
	s_and_b32 s13, s13, vcc_lo
	s_delay_alu instid0(VALU_DEP_1) | instid1(SALU_CYCLE_1)
	v_cndmask_b32_e64 v0, v0, 0, s13
	s_delay_alu instid0(VALU_DEP_1)
	v_or_b32_e32 v83, v0, v4
.LBB6_23533:                            ;   in Loop: Header=BB6_22365 Depth=3
	s_or_b32 exec_lo, exec_lo, s76
                                        ; implicit-def: $vgpr4
.LBB6_23534:                            ;   in Loop: Header=BB6_22365 Depth=3
	s_and_not1_saveexec_b32 s13, s75
; %bb.23535:                            ;   in Loop: Header=BB6_22365 Depth=3
	v_or_b32_e32 v83, 0x7b, v4
; %bb.23536:                            ;   in Loop: Header=BB6_22365 Depth=3
	s_or_b32 exec_lo, exec_lo, s13
                                        ; implicit-def: $vgpr2
                                        ; implicit-def: $vgpr0_vgpr1
                                        ; implicit-def: $vgpr3
.LBB6_23537:                            ;   in Loop: Header=BB6_22365 Depth=3
	s_and_not1_saveexec_b32 s13, s74
	s_cbranch_execz .LBB6_23543
; %bb.23538:                            ;   in Loop: Header=BB6_22365 Depth=3
	s_mov_b32 s74, exec_lo
                                        ; implicit-def: $vgpr83
	v_cmpx_ne_u64_e32 0, v[0:1]
	s_xor_b32 s74, exec_lo, s74
; %bb.23539:                            ;   in Loop: Header=BB6_22365 Depth=3
	v_or_b32_e32 v83, 0x7f, v3
                                        ; implicit-def: $vgpr2
; %bb.23540:                            ;   in Loop: Header=BB6_22365 Depth=3
	s_and_not1_saveexec_b32 s74, s74
; %bb.23541:                            ;   in Loop: Header=BB6_22365 Depth=3
	v_cmp_lt_i32_e32 vcc_lo, -1, v2
	v_mov_b32_e32 v0, 0x7c
	s_delay_alu instid0(VALU_DEP_1)
	v_cndmask_b32_e32 v83, 0xfc, v0, vcc_lo
; %bb.23542:                            ;   in Loop: Header=BB6_22365 Depth=3
	s_or_b32 exec_lo, exec_lo, s74
.LBB6_23543:                            ;   in Loop: Header=BB6_22365 Depth=3
	s_delay_alu instid0(SALU_CYCLE_1)
	s_or_b32 exec_lo, exec_lo, s13
	v_mov_b32_e32 v1, 0
	s_mov_b32 s74, exec_lo
	v_cmpx_lt_u64_e64 s[22:23], v[8:9]
	s_cbranch_execz .LBB6_23553
; %bb.23544:                            ;   in Loop: Header=BB6_22365 Depth=3
	v_lshrrev_b32_e32 v0, 24, v9
	v_bfrev_b32_e32 v1, 1
	s_mov_b32 s75, exec_lo
	s_delay_alu instid0(VALU_DEP_2)
	v_cmpx_ne_u32_e32 0x80, v0
	s_cbranch_execz .LBB6_23552
; %bb.23545:                            ;   in Loop: Header=BB6_22365 Depth=3
	v_and_b32_e32 v1, 0x7c000000, v9
	v_bfe_u32 v2, v9, 24, 2
	s_delay_alu instid0(VALU_DEP_2) | instskip(SKIP_1) | instid1(SALU_CYCLE_1)
	v_cmp_ne_u32_e32 vcc_lo, 0x7c000000, v1
                                        ; implicit-def: $vgpr1
	s_and_saveexec_b32 s13, vcc_lo
	s_xor_b32 s13, exec_lo, s13
	s_cbranch_execz .LBB6_23549
; %bb.23546:                            ;   in Loop: Header=BB6_22365 Depth=3
	v_bfe_u32 v1, v9, 26, 5
	s_mov_b32 s76, exec_lo
	s_delay_alu instid0(VALU_DEP_1)
	v_cmpx_eq_u32_e32 0, v1
; %bb.23547:                            ;   in Loop: Header=BB6_22365 Depth=3
	v_clz_i32_u32_e32 v1, v2
	s_delay_alu instid0(VALU_DEP_1) | instskip(NEXT) | instid1(VALU_DEP_1)
	v_min_u32_e32 v2, 32, v1
	v_subrev_nc_u32_e32 v1, 29, v2
	s_delay_alu instid0(VALU_DEP_1) | instskip(NEXT) | instid1(VALU_DEP_1)
	v_lshlrev_b64_e32 v[0:1], v1, v[0:1]
	v_dual_sub_nc_u32 v1, 30, v2 :: v_dual_bitop2_b32 v2, 3, v0 bitop3:0x40
; %bb.23548:                            ;   in Loop: Header=BB6_22365 Depth=3
	s_or_b32 exec_lo, exec_lo, s76
	v_and_b32_e32 v0, 0x80000000, v9
	s_delay_alu instid0(VALU_DEP_1) | instskip(NEXT) | instid1(VALU_DEP_1)
	v_lshl_add_u32 v0, v1, 23, v0
	v_lshl_or_b32 v0, v2, 21, v0
                                        ; implicit-def: $vgpr2
	s_delay_alu instid0(VALU_DEP_1)
	v_add_nc_u32_e32 v1, 0x38000000, v0
.LBB6_23549:                            ;   in Loop: Header=BB6_22365 Depth=3
	s_and_not1_saveexec_b32 s76, s13
; %bb.23550:                            ;   in Loop: Header=BB6_22365 Depth=3
	v_cmp_lt_i64_e64 s13, -1, v[8:9]
	v_mov_b32_e32 v0, 0x7f800000
	v_cmp_eq_u32_e32 vcc_lo, 0, v2
	s_delay_alu instid0(VALU_DEP_2) | instskip(NEXT) | instid1(VALU_DEP_1)
	v_cndmask_b32_e64 v0, 0xff800000, v0, s13
	v_cndmask_b32_e32 v1, 0x7f800001, v0, vcc_lo
; %bb.23551:                            ;   in Loop: Header=BB6_22365 Depth=3
	s_or_b32 exec_lo, exec_lo, s76
.LBB6_23552:                            ;   in Loop: Header=BB6_22365 Depth=3
	s_delay_alu instid0(SALU_CYCLE_1)
	s_or_b32 exec_lo, exec_lo, s75
.LBB6_23553:                            ;   in Loop: Header=BB6_22365 Depth=3
	s_delay_alu instid0(SALU_CYCLE_1) | instskip(NEXT) | instid1(VALU_DEP_1)
	s_or_b32 exec_lo, exec_lo, s74
	v_dual_mul_f32 v2, s73, v1 :: v_dual_mov_b32 v5, v113
	v_mov_b32_e32 v1, v113
                                        ; implicit-def: $vgpr85
	s_mov_b32 s13, exec_lo
	s_delay_alu instid0(VALU_DEP_2) | instskip(SKIP_2) | instid1(VALU_DEP_3)
	v_and_b32_e32 v4, 0x7f800000, v2
	v_and_b32_e32 v0, 0x7fffff, v2
	v_lshrrev_b32_e32 v3, 24, v2
	v_cmpx_ne_u64_e32 0x7f800000, v[4:5]
	s_xor_b32 s74, exec_lo, s13
	s_cbranch_execz .LBB6_23567
; %bb.23554:                            ;   in Loop: Header=BB6_22365 Depth=3
	v_and_b32_e32 v4, 0x7fffffff, v2
	v_mov_b32_e32 v5, v113
                                        ; implicit-def: $vgpr85
	s_delay_alu instid0(VALU_DEP_1) | instskip(SKIP_2) | instid1(SALU_CYCLE_1)
	v_cmp_gt_u64_e32 vcc_lo, 0x47600001, v[4:5]
	v_and_b32_e32 v4, 0x80, v3
	s_and_saveexec_b32 s13, vcc_lo
	s_xor_b32 s75, exec_lo, s13
	s_cbranch_execz .LBB6_23564
; %bb.23555:                            ;   in Loop: Header=BB6_22365 Depth=3
	v_mov_b32_e32 v85, 0
	s_mov_b32 s76, exec_lo
	v_cmpx_ne_u32_e32 0, v2
	s_cbranch_execz .LBB6_23563
; %bb.23556:                            ;   in Loop: Header=BB6_22365 Depth=3
	v_bfe_u32 v5, v2, 23, 8
	v_or_b32_e32 v3, 0x800000, v0
	s_delay_alu instid0(VALU_DEP_2) | instskip(SKIP_2) | instid1(VALU_DEP_2)
	v_cmp_gt_u32_e64 s13, 0x72, v5
	v_sub_nc_u32_e32 v2, 0x71, v5
	v_cmp_eq_u32_e32 vcc_lo, 0, v5
	v_dual_cndmask_b32 v2, 0, v2, s13 :: v_dual_cndmask_b32 v0, v3, v0, vcc_lo
	s_delay_alu instid0(VALU_DEP_1) | instskip(NEXT) | instid1(VALU_DEP_1)
	v_cndmask_b32_e64 v8, v2, 0x70, vcc_lo
	v_dual_add_nc_u32 v2, 21, v8 :: v_dual_add_nc_u32 v9, 20, v8
	s_delay_alu instid0(VALU_DEP_1) | instskip(NEXT) | instid1(VALU_DEP_2)
	v_lshlrev_b64_e64 v[2:3], v2, -1
	v_lshlrev_b64_e64 v[12:13], v9, 1
	s_delay_alu instid0(VALU_DEP_2) | instskip(SKIP_1) | instid1(VALU_DEP_4)
	v_bfi_b32 v2, v2, 0, v0
	v_lshrrev_b64 v[0:1], v8, v[0:1]
	v_bfi_b32 v3, v3, 0, 0
	s_delay_alu instid0(VALU_DEP_1) | instskip(NEXT) | instid1(VALU_DEP_3)
	v_cmp_eq_u64_e64 s13, v[2:3], v[12:13]
	v_mov_b64_e32 v[2:3], v[0:1]
	s_and_saveexec_b32 s77, s13
; %bb.23557:                            ;   in Loop: Header=BB6_22365 Depth=3
	v_bfe_u32 v2, v0, 21, 1
	v_mov_b32_e32 v3, v113
	s_delay_alu instid0(VALU_DEP_1) | instskip(NEXT) | instid1(VALU_DEP_1)
	v_add_nc_u64_e32 v[2:3], v[0:1], v[2:3]
	v_add_nc_u64_e32 v[2:3], -1, v[2:3]
; %bb.23558:                            ;   in Loop: Header=BB6_22365 Depth=3
	s_or_b32 exec_lo, exec_lo, s77
	v_add_nc_u32_e32 v1, 0xffffff81, v5
	v_lshrrev_b32_e32 v3, 23, v0
	s_mov_b32 s13, exec_lo
	s_delay_alu instid0(VALU_DEP_2) | instskip(NEXT) | instid1(VALU_DEP_1)
	v_cndmask_b32_e64 v1, v1, 0xffffff82, vcc_lo
	v_add3_u32 v5, v8, v1, v3
	v_and_b32_e32 v1, 0x1fffff, v2
                                        ; implicit-def: $vgpr2
	s_delay_alu instid0(VALU_DEP_1) | instskip(SKIP_1) | instid1(VALU_DEP_2)
	v_dual_add_nc_u32 v3, 14, v5 :: v_dual_add_nc_u32 v0, v1, v0
	v_mov_b32_e32 v1, v113
	v_cmpx_ne_u32_e32 0, v3
	s_xor_b32 s13, exec_lo, s13
; %bb.23559:                            ;   in Loop: Header=BB6_22365 Depth=3
	s_delay_alu instid0(VALU_DEP_2) | instskip(SKIP_1) | instid1(VALU_DEP_1)
	v_cmp_lt_u64_e32 vcc_lo, 0xffffff, v[0:1]
	v_add_nc_u32_e32 v2, 15, v5
	v_cndmask_b32_e32 v2, v3, v2, vcc_lo
	v_cndmask_b32_e64 v3, 0, 1, vcc_lo
	s_delay_alu instid0(VALU_DEP_1)
	v_lshrrev_b64 v[0:1], v3, v[0:1]
; %bb.23560:                            ;   in Loop: Header=BB6_22365 Depth=3
	s_and_not1_saveexec_b32 s13, s13
; %bb.23561:                            ;   in Loop: Header=BB6_22365 Depth=3
	s_delay_alu instid0(VALU_DEP_1)
	v_bfe_u32 v2, v0, 23, 1
; %bb.23562:                            ;   in Loop: Header=BB6_22365 Depth=3
	s_or_b32 exec_lo, exec_lo, s13
	s_delay_alu instid0(VALU_DEP_2) | instskip(NEXT) | instid1(VALU_DEP_2)
	v_lshrrev_b64 v[0:1], 21, v[0:1]
	v_cmp_gt_i32_e32 vcc_lo, 32, v2
	v_min_i32_e32 v3, 31, v2
	v_cmp_eq_u32_e64 s13, 0, v2
	s_delay_alu instid0(VALU_DEP_2) | instskip(SKIP_1) | instid1(VALU_DEP_2)
	v_dual_cndmask_b32 v1, 0, v1, vcc_lo :: v_dual_lshlrev_b32 v3, 2, v3
	v_cndmask_b32_e32 v0, 3, v0, vcc_lo
	v_and_b32_e32 v3, 0xfc, v3
	s_delay_alu instid0(VALU_DEP_2) | instskip(NEXT) | instid1(VALU_DEP_2)
	v_cmp_eq_u64_e32 vcc_lo, 0, v[0:1]
	v_and_or_b32 v0, v0, 3, v3
	s_and_b32 s13, s13, vcc_lo
	s_delay_alu instid0(VALU_DEP_1) | instid1(SALU_CYCLE_1)
	v_cndmask_b32_e64 v0, v0, 0, s13
	s_delay_alu instid0(VALU_DEP_1)
	v_or_b32_e32 v85, v0, v4
.LBB6_23563:                            ;   in Loop: Header=BB6_22365 Depth=3
	s_or_b32 exec_lo, exec_lo, s76
                                        ; implicit-def: $vgpr4
.LBB6_23564:                            ;   in Loop: Header=BB6_22365 Depth=3
	s_and_not1_saveexec_b32 s13, s75
; %bb.23565:                            ;   in Loop: Header=BB6_22365 Depth=3
	v_or_b32_e32 v85, 0x7b, v4
; %bb.23566:                            ;   in Loop: Header=BB6_22365 Depth=3
	s_or_b32 exec_lo, exec_lo, s13
                                        ; implicit-def: $vgpr2
                                        ; implicit-def: $vgpr0_vgpr1
                                        ; implicit-def: $vgpr3
.LBB6_23567:                            ;   in Loop: Header=BB6_22365 Depth=3
	s_and_not1_saveexec_b32 s13, s74
	s_cbranch_execz .LBB6_23573
; %bb.23568:                            ;   in Loop: Header=BB6_22365 Depth=3
	s_mov_b32 s74, exec_lo
                                        ; implicit-def: $vgpr85
	v_cmpx_ne_u64_e32 0, v[0:1]
	s_xor_b32 s74, exec_lo, s74
; %bb.23569:                            ;   in Loop: Header=BB6_22365 Depth=3
	v_or_b32_e32 v85, 0x7f, v3
                                        ; implicit-def: $vgpr2
; %bb.23570:                            ;   in Loop: Header=BB6_22365 Depth=3
	s_and_not1_saveexec_b32 s74, s74
; %bb.23571:                            ;   in Loop: Header=BB6_22365 Depth=3
	v_cmp_lt_i32_e32 vcc_lo, -1, v2
	v_mov_b32_e32 v0, 0x7c
	s_delay_alu instid0(VALU_DEP_1)
	v_cndmask_b32_e32 v85, 0xfc, v0, vcc_lo
; %bb.23572:                            ;   in Loop: Header=BB6_22365 Depth=3
	s_or_b32 exec_lo, exec_lo, s74
.LBB6_23573:                            ;   in Loop: Header=BB6_22365 Depth=3
	s_delay_alu instid0(SALU_CYCLE_1) | instskip(SKIP_1) | instid1(VALU_DEP_1)
	s_or_b32 exec_lo, exec_lo, s13
	v_and_b32_e32 v0, 0xff, v10
	v_cmp_ne_u16_e32 vcc_lo, 0, v0
	v_mov_b32_e32 v0, 0
	s_and_saveexec_b32 s74, vcc_lo
	s_cbranch_execz .LBB6_23583
; %bb.23574:                            ;   in Loop: Header=BB6_22365 Depth=3
	v_bfe_i32 v2, v10, 0, 8
	v_bfrev_b32_e32 v0, 1
	s_mov_b32 s75, exec_lo
	s_delay_alu instid0(VALU_DEP_2)
	v_cmpx_ne_u16_e32 0xff80, v2
	s_cbranch_execz .LBB6_23582
; %bb.23575:                            ;   in Loop: Header=BB6_22365 Depth=3
	v_and_b32_e32 v0, 0x7c, v10
	v_and_b32_e32 v1, 3, v10
	s_delay_alu instid0(VALU_DEP_2) | instskip(SKIP_1) | instid1(SALU_CYCLE_1)
	v_cmp_ne_u32_e32 vcc_lo, 0x7c, v0
                                        ; implicit-def: $vgpr0
	s_and_saveexec_b32 s13, vcc_lo
	s_xor_b32 s13, exec_lo, s13
	s_cbranch_execz .LBB6_23579
; %bb.23576:                            ;   in Loop: Header=BB6_22365 Depth=3
	v_bfe_u32 v0, v10, 2, 5
	s_mov_b32 s76, exec_lo
	s_delay_alu instid0(VALU_DEP_1)
	v_cmpx_eq_u32_e32 0, v0
; %bb.23577:                            ;   in Loop: Header=BB6_22365 Depth=3
	v_clz_i32_u32_e32 v0, v1
	s_delay_alu instid0(VALU_DEP_1) | instskip(NEXT) | instid1(VALU_DEP_1)
	v_min_u32_e32 v0, 32, v0
	v_subrev_nc_u32_e32 v1, 29, v0
	s_delay_alu instid0(VALU_DEP_1) | instskip(NEXT) | instid1(VALU_DEP_1)
	v_lshlrev_b64_e32 v[2:3], v1, v[10:11]
	v_dual_sub_nc_u32 v0, 30, v0 :: v_dual_bitop2_b32 v1, 3, v2 bitop3:0x40
; %bb.23578:                            ;   in Loop: Header=BB6_22365 Depth=3
	s_or_b32 exec_lo, exec_lo, s76
	v_lshlrev_b32_e32 v2, 24, v10
	s_delay_alu instid0(VALU_DEP_1) | instskip(NEXT) | instid1(VALU_DEP_1)
	v_and_b32_e32 v2, 0x80000000, v2
	v_lshl_add_u32 v0, v0, 23, v2
                                        ; implicit-def: $vgpr2
	s_delay_alu instid0(VALU_DEP_1) | instskip(NEXT) | instid1(VALU_DEP_1)
	v_lshl_or_b32 v0, v1, 21, v0
                                        ; implicit-def: $vgpr1
	v_add_nc_u32_e32 v0, 0x38000000, v0
.LBB6_23579:                            ;   in Loop: Header=BB6_22365 Depth=3
	s_and_not1_saveexec_b32 s76, s13
; %bb.23580:                            ;   in Loop: Header=BB6_22365 Depth=3
	v_cmp_lt_i16_e64 s13, -1, v2
	v_mov_b32_e32 v0, 0x7f800000
	v_cmp_eq_u32_e32 vcc_lo, 0, v1
	s_delay_alu instid0(VALU_DEP_2) | instskip(NEXT) | instid1(VALU_DEP_1)
	v_cndmask_b32_e64 v0, 0xff800000, v0, s13
	v_cndmask_b32_e32 v0, 0x7f800001, v0, vcc_lo
; %bb.23581:                            ;   in Loop: Header=BB6_22365 Depth=3
	s_or_b32 exec_lo, exec_lo, s76
.LBB6_23582:                            ;   in Loop: Header=BB6_22365 Depth=3
	s_delay_alu instid0(SALU_CYCLE_1)
	s_or_b32 exec_lo, exec_lo, s75
.LBB6_23583:                            ;   in Loop: Header=BB6_22365 Depth=3
	s_delay_alu instid0(SALU_CYCLE_1) | instskip(NEXT) | instid1(VALU_DEP_1)
	s_or_b32 exec_lo, exec_lo, s74
	v_dual_mul_f32 v2, s73, v0 :: v_dual_mov_b32 v5, v113
	v_mov_b32_e32 v1, v113
                                        ; implicit-def: $vgpr52
	s_mov_b32 s13, exec_lo
	s_delay_alu instid0(VALU_DEP_2) | instskip(SKIP_2) | instid1(VALU_DEP_3)
	v_and_b32_e32 v4, 0x7f800000, v2
	v_and_b32_e32 v0, 0x7fffff, v2
	v_lshrrev_b32_e32 v3, 24, v2
	v_cmpx_ne_u64_e32 0x7f800000, v[4:5]
	s_xor_b32 s74, exec_lo, s13
	s_cbranch_execz .LBB6_23597
; %bb.23584:                            ;   in Loop: Header=BB6_22365 Depth=3
	v_and_b32_e32 v4, 0x7fffffff, v2
	v_mov_b32_e32 v5, v113
                                        ; implicit-def: $vgpr52
	s_delay_alu instid0(VALU_DEP_1) | instskip(SKIP_2) | instid1(SALU_CYCLE_1)
	v_cmp_gt_u64_e32 vcc_lo, 0x47600001, v[4:5]
	v_and_b32_e32 v4, 0x80, v3
	s_and_saveexec_b32 s13, vcc_lo
	s_xor_b32 s75, exec_lo, s13
	s_cbranch_execz .LBB6_23594
; %bb.23585:                            ;   in Loop: Header=BB6_22365 Depth=3
	v_mov_b32_e32 v52, 0
	s_mov_b32 s76, exec_lo
	v_cmpx_ne_u32_e32 0, v2
	s_cbranch_execz .LBB6_23593
; %bb.23586:                            ;   in Loop: Header=BB6_22365 Depth=3
	v_bfe_u32 v5, v2, 23, 8
	v_or_b32_e32 v3, 0x800000, v0
	s_delay_alu instid0(VALU_DEP_2) | instskip(SKIP_2) | instid1(VALU_DEP_2)
	v_cmp_gt_u32_e64 s13, 0x72, v5
	v_sub_nc_u32_e32 v2, 0x71, v5
	v_cmp_eq_u32_e32 vcc_lo, 0, v5
	v_dual_cndmask_b32 v2, 0, v2, s13 :: v_dual_cndmask_b32 v0, v3, v0, vcc_lo
	s_delay_alu instid0(VALU_DEP_1) | instskip(NEXT) | instid1(VALU_DEP_1)
	v_cndmask_b32_e64 v8, v2, 0x70, vcc_lo
	v_dual_add_nc_u32 v2, 21, v8 :: v_dual_add_nc_u32 v9, 20, v8
	s_delay_alu instid0(VALU_DEP_1) | instskip(NEXT) | instid1(VALU_DEP_2)
	v_lshlrev_b64_e64 v[2:3], v2, -1
	v_lshlrev_b64_e64 v[12:13], v9, 1
	s_delay_alu instid0(VALU_DEP_2) | instskip(SKIP_1) | instid1(VALU_DEP_4)
	v_bfi_b32 v2, v2, 0, v0
	v_lshrrev_b64 v[0:1], v8, v[0:1]
	v_bfi_b32 v3, v3, 0, 0
	s_delay_alu instid0(VALU_DEP_1) | instskip(NEXT) | instid1(VALU_DEP_3)
	v_cmp_eq_u64_e64 s13, v[2:3], v[12:13]
	v_mov_b64_e32 v[2:3], v[0:1]
	s_and_saveexec_b32 s77, s13
; %bb.23587:                            ;   in Loop: Header=BB6_22365 Depth=3
	v_bfe_u32 v2, v0, 21, 1
	v_mov_b32_e32 v3, v113
	s_delay_alu instid0(VALU_DEP_1) | instskip(NEXT) | instid1(VALU_DEP_1)
	v_add_nc_u64_e32 v[2:3], v[0:1], v[2:3]
	v_add_nc_u64_e32 v[2:3], -1, v[2:3]
; %bb.23588:                            ;   in Loop: Header=BB6_22365 Depth=3
	s_or_b32 exec_lo, exec_lo, s77
	v_add_nc_u32_e32 v1, 0xffffff81, v5
	v_lshrrev_b32_e32 v3, 23, v0
	s_mov_b32 s13, exec_lo
	s_delay_alu instid0(VALU_DEP_2) | instskip(NEXT) | instid1(VALU_DEP_1)
	v_cndmask_b32_e64 v1, v1, 0xffffff82, vcc_lo
	v_add3_u32 v5, v8, v1, v3
	v_and_b32_e32 v1, 0x1fffff, v2
                                        ; implicit-def: $vgpr2
	s_delay_alu instid0(VALU_DEP_1) | instskip(SKIP_1) | instid1(VALU_DEP_2)
	v_dual_add_nc_u32 v3, 14, v5 :: v_dual_add_nc_u32 v0, v1, v0
	v_mov_b32_e32 v1, v113
	v_cmpx_ne_u32_e32 0, v3
	s_xor_b32 s13, exec_lo, s13
; %bb.23589:                            ;   in Loop: Header=BB6_22365 Depth=3
	s_delay_alu instid0(VALU_DEP_2) | instskip(SKIP_1) | instid1(VALU_DEP_1)
	v_cmp_lt_u64_e32 vcc_lo, 0xffffff, v[0:1]
	v_add_nc_u32_e32 v2, 15, v5
	v_cndmask_b32_e32 v2, v3, v2, vcc_lo
	v_cndmask_b32_e64 v3, 0, 1, vcc_lo
	s_delay_alu instid0(VALU_DEP_1)
	v_lshrrev_b64 v[0:1], v3, v[0:1]
; %bb.23590:                            ;   in Loop: Header=BB6_22365 Depth=3
	s_and_not1_saveexec_b32 s13, s13
; %bb.23591:                            ;   in Loop: Header=BB6_22365 Depth=3
	s_delay_alu instid0(VALU_DEP_1)
	v_bfe_u32 v2, v0, 23, 1
; %bb.23592:                            ;   in Loop: Header=BB6_22365 Depth=3
	s_or_b32 exec_lo, exec_lo, s13
	s_delay_alu instid0(VALU_DEP_2) | instskip(NEXT) | instid1(VALU_DEP_2)
	v_lshrrev_b64 v[0:1], 21, v[0:1]
	v_cmp_gt_i32_e32 vcc_lo, 32, v2
	v_min_i32_e32 v3, 31, v2
	v_cmp_eq_u32_e64 s13, 0, v2
	s_delay_alu instid0(VALU_DEP_2) | instskip(SKIP_1) | instid1(VALU_DEP_2)
	v_dual_cndmask_b32 v1, 0, v1, vcc_lo :: v_dual_lshlrev_b32 v3, 2, v3
	v_cndmask_b32_e32 v0, 3, v0, vcc_lo
	v_and_b32_e32 v3, 0xfc, v3
	s_delay_alu instid0(VALU_DEP_2) | instskip(NEXT) | instid1(VALU_DEP_2)
	v_cmp_eq_u64_e32 vcc_lo, 0, v[0:1]
	v_and_or_b32 v0, v0, 3, v3
	s_and_b32 s13, s13, vcc_lo
	s_delay_alu instid0(VALU_DEP_1) | instid1(SALU_CYCLE_1)
	v_cndmask_b32_e64 v0, v0, 0, s13
	s_delay_alu instid0(VALU_DEP_1)
	v_or_b32_e32 v52, v0, v4
.LBB6_23593:                            ;   in Loop: Header=BB6_22365 Depth=3
	s_or_b32 exec_lo, exec_lo, s76
                                        ; implicit-def: $vgpr4
.LBB6_23594:                            ;   in Loop: Header=BB6_22365 Depth=3
	s_and_not1_saveexec_b32 s13, s75
; %bb.23595:                            ;   in Loop: Header=BB6_22365 Depth=3
	v_or_b32_e32 v52, 0x7b, v4
; %bb.23596:                            ;   in Loop: Header=BB6_22365 Depth=3
	s_or_b32 exec_lo, exec_lo, s13
                                        ; implicit-def: $vgpr2
                                        ; implicit-def: $vgpr0_vgpr1
                                        ; implicit-def: $vgpr3
.LBB6_23597:                            ;   in Loop: Header=BB6_22365 Depth=3
	s_and_not1_saveexec_b32 s13, s74
	s_cbranch_execz .LBB6_23603
; %bb.23598:                            ;   in Loop: Header=BB6_22365 Depth=3
	s_mov_b32 s74, exec_lo
                                        ; implicit-def: $vgpr52
	v_cmpx_ne_u64_e32 0, v[0:1]
	s_xor_b32 s74, exec_lo, s74
; %bb.23599:                            ;   in Loop: Header=BB6_22365 Depth=3
	v_or_b32_e32 v52, 0x7f, v3
                                        ; implicit-def: $vgpr2
; %bb.23600:                            ;   in Loop: Header=BB6_22365 Depth=3
	s_and_not1_saveexec_b32 s74, s74
; %bb.23601:                            ;   in Loop: Header=BB6_22365 Depth=3
	v_cmp_lt_i32_e32 vcc_lo, -1, v2
	v_mov_b32_e32 v0, 0x7c
	s_delay_alu instid0(VALU_DEP_1)
	v_cndmask_b32_e32 v52, 0xfc, v0, vcc_lo
; %bb.23602:                            ;   in Loop: Header=BB6_22365 Depth=3
	s_or_b32 exec_lo, exec_lo, s74
.LBB6_23603:                            ;   in Loop: Header=BB6_22365 Depth=3
	s_delay_alu instid0(SALU_CYCLE_1) | instskip(SKIP_3) | instid1(VALU_DEP_2)
	s_or_b32 exec_lo, exec_lo, s13
	v_lshrrev_b16 v0, 8, v10
	v_mov_b32_e32 v1, 0
	s_mov_b32 s74, exec_lo
	v_cmpx_ne_u16_e32 0, v0
	s_cbranch_execz .LBB6_23613
; %bb.23604:                            ;   in Loop: Header=BB6_22365 Depth=3
	v_bfrev_b32_e32 v1, 1
	s_mov_b32 s75, exec_lo
	v_cmpx_ne_u16_e32 0x80, v0
	s_cbranch_execz .LBB6_23612
; %bb.23605:                            ;   in Loop: Header=BB6_22365 Depth=3
	v_and_b32_e32 v3, 0xffff, v0
	s_delay_alu instid0(VALU_DEP_1) | instskip(SKIP_1) | instid1(VALU_DEP_2)
	v_and_b32_e32 v1, 0x7c, v3
	v_and_b32_e32 v2, 3, v3
	v_cmp_ne_u32_e32 vcc_lo, 0x7c, v1
                                        ; implicit-def: $vgpr1
	s_and_saveexec_b32 s13, vcc_lo
	s_delay_alu instid0(SALU_CYCLE_1)
	s_xor_b32 s13, exec_lo, s13
	s_cbranch_execz .LBB6_23609
; %bb.23606:                            ;   in Loop: Header=BB6_22365 Depth=3
	v_bfe_u32 v1, v3, 2, 5
	s_mov_b32 s76, exec_lo
	s_delay_alu instid0(VALU_DEP_1)
	v_cmpx_eq_u32_e32 0, v1
; %bb.23607:                            ;   in Loop: Header=BB6_22365 Depth=3
	v_clz_i32_u32_e32 v1, v2
	s_delay_alu instid0(VALU_DEP_1) | instskip(SKIP_1) | instid1(VALU_DEP_2)
	v_min_u32_e32 v2, 32, v1
	v_mov_b32_e32 v1, v113
	v_subrev_nc_u32_e32 v3, 29, v2
	s_delay_alu instid0(VALU_DEP_1) | instskip(NEXT) | instid1(VALU_DEP_1)
	v_lshlrev_b64_e32 v[0:1], v3, v[0:1]
	v_dual_sub_nc_u32 v1, 30, v2 :: v_dual_bitop2_b32 v2, 3, v0 bitop3:0x40
; %bb.23608:                            ;   in Loop: Header=BB6_22365 Depth=3
	s_or_b32 exec_lo, exec_lo, s76
	v_lshlrev_b32_e32 v0, 16, v10
	s_delay_alu instid0(VALU_DEP_1) | instskip(NEXT) | instid1(VALU_DEP_1)
	v_and_b32_e32 v0, 0x80000000, v0
	v_lshl_add_u32 v0, v1, 23, v0
	s_delay_alu instid0(VALU_DEP_1) | instskip(NEXT) | instid1(VALU_DEP_1)
	v_lshl_or_b32 v0, v2, 21, v0
                                        ; implicit-def: $vgpr2
	v_add_nc_u32_e32 v1, 0x38000000, v0
.LBB6_23609:                            ;   in Loop: Header=BB6_22365 Depth=3
	s_and_not1_saveexec_b32 s76, s13
; %bb.23610:                            ;   in Loop: Header=BB6_22365 Depth=3
	v_cmp_lt_i16_e64 s13, -1, v10
	v_mov_b32_e32 v0, 0x7f800000
	v_cmp_eq_u32_e32 vcc_lo, 0, v2
	s_delay_alu instid0(VALU_DEP_2) | instskip(NEXT) | instid1(VALU_DEP_1)
	v_cndmask_b32_e64 v0, 0xff800000, v0, s13
	v_cndmask_b32_e32 v1, 0x7f800001, v0, vcc_lo
; %bb.23611:                            ;   in Loop: Header=BB6_22365 Depth=3
	s_or_b32 exec_lo, exec_lo, s76
.LBB6_23612:                            ;   in Loop: Header=BB6_22365 Depth=3
	s_delay_alu instid0(SALU_CYCLE_1)
	s_or_b32 exec_lo, exec_lo, s75
.LBB6_23613:                            ;   in Loop: Header=BB6_22365 Depth=3
	s_delay_alu instid0(SALU_CYCLE_1) | instskip(NEXT) | instid1(VALU_DEP_1)
	s_or_b32 exec_lo, exec_lo, s74
	v_dual_mul_f32 v2, s73, v1 :: v_dual_mov_b32 v5, v113
	v_mov_b32_e32 v1, v113
                                        ; implicit-def: $vgpr67
	s_mov_b32 s13, exec_lo
	s_delay_alu instid0(VALU_DEP_2) | instskip(SKIP_2) | instid1(VALU_DEP_3)
	v_and_b32_e32 v4, 0x7f800000, v2
	v_and_b32_e32 v0, 0x7fffff, v2
	v_lshrrev_b32_e32 v3, 24, v2
	v_cmpx_ne_u64_e32 0x7f800000, v[4:5]
	s_xor_b32 s74, exec_lo, s13
	s_cbranch_execz .LBB6_23627
; %bb.23614:                            ;   in Loop: Header=BB6_22365 Depth=3
	v_and_b32_e32 v4, 0x7fffffff, v2
	v_mov_b32_e32 v5, v113
                                        ; implicit-def: $vgpr67
	s_delay_alu instid0(VALU_DEP_1) | instskip(SKIP_2) | instid1(SALU_CYCLE_1)
	v_cmp_gt_u64_e32 vcc_lo, 0x47600001, v[4:5]
	v_and_b32_e32 v4, 0x80, v3
	s_and_saveexec_b32 s13, vcc_lo
	s_xor_b32 s75, exec_lo, s13
	s_cbranch_execz .LBB6_23624
; %bb.23615:                            ;   in Loop: Header=BB6_22365 Depth=3
	v_mov_b32_e32 v67, 0
	s_mov_b32 s76, exec_lo
	v_cmpx_ne_u32_e32 0, v2
	s_cbranch_execz .LBB6_23623
; %bb.23616:                            ;   in Loop: Header=BB6_22365 Depth=3
	v_bfe_u32 v5, v2, 23, 8
	v_or_b32_e32 v3, 0x800000, v0
	s_delay_alu instid0(VALU_DEP_2) | instskip(SKIP_2) | instid1(VALU_DEP_2)
	v_cmp_gt_u32_e64 s13, 0x72, v5
	v_sub_nc_u32_e32 v2, 0x71, v5
	v_cmp_eq_u32_e32 vcc_lo, 0, v5
	v_dual_cndmask_b32 v2, 0, v2, s13 :: v_dual_cndmask_b32 v0, v3, v0, vcc_lo
	s_delay_alu instid0(VALU_DEP_1) | instskip(NEXT) | instid1(VALU_DEP_1)
	v_cndmask_b32_e64 v8, v2, 0x70, vcc_lo
	v_dual_add_nc_u32 v2, 21, v8 :: v_dual_add_nc_u32 v9, 20, v8
	s_delay_alu instid0(VALU_DEP_1) | instskip(NEXT) | instid1(VALU_DEP_2)
	v_lshlrev_b64_e64 v[2:3], v2, -1
	v_lshlrev_b64_e64 v[12:13], v9, 1
	s_delay_alu instid0(VALU_DEP_2) | instskip(SKIP_1) | instid1(VALU_DEP_4)
	v_bfi_b32 v2, v2, 0, v0
	v_lshrrev_b64 v[0:1], v8, v[0:1]
	v_bfi_b32 v3, v3, 0, 0
	s_delay_alu instid0(VALU_DEP_1) | instskip(NEXT) | instid1(VALU_DEP_3)
	v_cmp_eq_u64_e64 s13, v[2:3], v[12:13]
	v_mov_b64_e32 v[2:3], v[0:1]
	s_and_saveexec_b32 s77, s13
; %bb.23617:                            ;   in Loop: Header=BB6_22365 Depth=3
	v_bfe_u32 v2, v0, 21, 1
	v_mov_b32_e32 v3, v113
	s_delay_alu instid0(VALU_DEP_1) | instskip(NEXT) | instid1(VALU_DEP_1)
	v_add_nc_u64_e32 v[2:3], v[0:1], v[2:3]
	v_add_nc_u64_e32 v[2:3], -1, v[2:3]
; %bb.23618:                            ;   in Loop: Header=BB6_22365 Depth=3
	s_or_b32 exec_lo, exec_lo, s77
	v_add_nc_u32_e32 v1, 0xffffff81, v5
	v_lshrrev_b32_e32 v3, 23, v0
	s_mov_b32 s13, exec_lo
	s_delay_alu instid0(VALU_DEP_2) | instskip(NEXT) | instid1(VALU_DEP_1)
	v_cndmask_b32_e64 v1, v1, 0xffffff82, vcc_lo
	v_add3_u32 v5, v8, v1, v3
	v_and_b32_e32 v1, 0x1fffff, v2
                                        ; implicit-def: $vgpr2
	s_delay_alu instid0(VALU_DEP_1) | instskip(SKIP_1) | instid1(VALU_DEP_2)
	v_dual_add_nc_u32 v3, 14, v5 :: v_dual_add_nc_u32 v0, v1, v0
	v_mov_b32_e32 v1, v113
	v_cmpx_ne_u32_e32 0, v3
	s_xor_b32 s13, exec_lo, s13
; %bb.23619:                            ;   in Loop: Header=BB6_22365 Depth=3
	s_delay_alu instid0(VALU_DEP_2) | instskip(SKIP_1) | instid1(VALU_DEP_1)
	v_cmp_lt_u64_e32 vcc_lo, 0xffffff, v[0:1]
	v_add_nc_u32_e32 v2, 15, v5
	v_cndmask_b32_e32 v2, v3, v2, vcc_lo
	v_cndmask_b32_e64 v3, 0, 1, vcc_lo
	s_delay_alu instid0(VALU_DEP_1)
	v_lshrrev_b64 v[0:1], v3, v[0:1]
; %bb.23620:                            ;   in Loop: Header=BB6_22365 Depth=3
	s_and_not1_saveexec_b32 s13, s13
; %bb.23621:                            ;   in Loop: Header=BB6_22365 Depth=3
	s_delay_alu instid0(VALU_DEP_1)
	v_bfe_u32 v2, v0, 23, 1
; %bb.23622:                            ;   in Loop: Header=BB6_22365 Depth=3
	s_or_b32 exec_lo, exec_lo, s13
	s_delay_alu instid0(VALU_DEP_2) | instskip(NEXT) | instid1(VALU_DEP_2)
	v_lshrrev_b64 v[0:1], 21, v[0:1]
	v_cmp_gt_i32_e32 vcc_lo, 32, v2
	v_min_i32_e32 v3, 31, v2
	v_cmp_eq_u32_e64 s13, 0, v2
	s_delay_alu instid0(VALU_DEP_2) | instskip(SKIP_1) | instid1(VALU_DEP_2)
	v_dual_cndmask_b32 v1, 0, v1, vcc_lo :: v_dual_lshlrev_b32 v3, 2, v3
	v_cndmask_b32_e32 v0, 3, v0, vcc_lo
	v_and_b32_e32 v3, 0xfc, v3
	s_delay_alu instid0(VALU_DEP_2) | instskip(NEXT) | instid1(VALU_DEP_2)
	v_cmp_eq_u64_e32 vcc_lo, 0, v[0:1]
	v_and_or_b32 v0, v0, 3, v3
	s_and_b32 s13, s13, vcc_lo
	s_delay_alu instid0(VALU_DEP_1) | instid1(SALU_CYCLE_1)
	v_cndmask_b32_e64 v0, v0, 0, s13
	s_delay_alu instid0(VALU_DEP_1)
	v_or_b32_e32 v67, v0, v4
.LBB6_23623:                            ;   in Loop: Header=BB6_22365 Depth=3
	s_or_b32 exec_lo, exec_lo, s76
                                        ; implicit-def: $vgpr4
.LBB6_23624:                            ;   in Loop: Header=BB6_22365 Depth=3
	s_and_not1_saveexec_b32 s13, s75
; %bb.23625:                            ;   in Loop: Header=BB6_22365 Depth=3
	v_or_b32_e32 v67, 0x7b, v4
; %bb.23626:                            ;   in Loop: Header=BB6_22365 Depth=3
	s_or_b32 exec_lo, exec_lo, s13
                                        ; implicit-def: $vgpr2
                                        ; implicit-def: $vgpr0_vgpr1
                                        ; implicit-def: $vgpr3
.LBB6_23627:                            ;   in Loop: Header=BB6_22365 Depth=3
	s_and_not1_saveexec_b32 s13, s74
	s_cbranch_execz .LBB6_23633
; %bb.23628:                            ;   in Loop: Header=BB6_22365 Depth=3
	s_mov_b32 s74, exec_lo
                                        ; implicit-def: $vgpr67
	v_cmpx_ne_u64_e32 0, v[0:1]
	s_xor_b32 s74, exec_lo, s74
; %bb.23629:                            ;   in Loop: Header=BB6_22365 Depth=3
	v_or_b32_e32 v67, 0x7f, v3
                                        ; implicit-def: $vgpr2
; %bb.23630:                            ;   in Loop: Header=BB6_22365 Depth=3
	s_and_not1_saveexec_b32 s74, s74
; %bb.23631:                            ;   in Loop: Header=BB6_22365 Depth=3
	v_cmp_lt_i32_e32 vcc_lo, -1, v2
	v_mov_b32_e32 v0, 0x7c
	s_delay_alu instid0(VALU_DEP_1)
	v_cndmask_b32_e32 v67, 0xfc, v0, vcc_lo
; %bb.23632:                            ;   in Loop: Header=BB6_22365 Depth=3
	s_or_b32 exec_lo, exec_lo, s74
.LBB6_23633:                            ;   in Loop: Header=BB6_22365 Depth=3
	s_delay_alu instid0(SALU_CYCLE_1) | instskip(SKIP_2) | instid1(VALU_DEP_1)
	s_or_b32 exec_lo, exec_lo, s13
	v_dual_mov_b32 v1, 0 :: v_dual_lshrrev_b32 v0, 16, v10
	s_mov_b32 s74, exec_lo
	v_and_b32_e32 v2, 0xff, v0
	s_delay_alu instid0(VALU_DEP_1)
	v_cmpx_ne_u16_e32 0, v2
	s_cbranch_execz .LBB6_23643
; %bb.23634:                            ;   in Loop: Header=BB6_22365 Depth=3
	v_bfrev_b32_e32 v1, 1
	s_mov_b32 s75, exec_lo
	v_cmpx_ne_u16_e32 0x80, v2
	s_cbranch_execz .LBB6_23642
; %bb.23635:                            ;   in Loop: Header=BB6_22365 Depth=3
	v_and_b32_e32 v1, 0x7c0000, v10
	v_bfe_u32 v2, v10, 16, 2
	s_delay_alu instid0(VALU_DEP_2) | instskip(SKIP_1) | instid1(SALU_CYCLE_1)
	v_cmp_ne_u32_e32 vcc_lo, 0x7c0000, v1
                                        ; implicit-def: $vgpr1
	s_and_saveexec_b32 s13, vcc_lo
	s_xor_b32 s13, exec_lo, s13
	s_cbranch_execz .LBB6_23639
; %bb.23636:                            ;   in Loop: Header=BB6_22365 Depth=3
	v_bfe_u32 v1, v10, 18, 5
	s_mov_b32 s76, exec_lo
	s_delay_alu instid0(VALU_DEP_1)
	v_cmpx_eq_u32_e32 0, v1
; %bb.23637:                            ;   in Loop: Header=BB6_22365 Depth=3
	v_clz_i32_u32_e32 v1, v2
	s_delay_alu instid0(VALU_DEP_1) | instskip(NEXT) | instid1(VALU_DEP_1)
	v_min_u32_e32 v1, 32, v1
	v_subrev_nc_u32_e32 v2, 29, v1
	s_delay_alu instid0(VALU_DEP_1) | instskip(NEXT) | instid1(VALU_DEP_1)
	v_lshlrev_b64_e32 v[2:3], v2, v[0:1]
	v_dual_sub_nc_u32 v1, 30, v1 :: v_dual_bitop2_b32 v2, 3, v2 bitop3:0x40
; %bb.23638:                            ;   in Loop: Header=BB6_22365 Depth=3
	s_or_b32 exec_lo, exec_lo, s76
	v_lshlrev_b32_e32 v0, 24, v0
	s_delay_alu instid0(VALU_DEP_1) | instskip(NEXT) | instid1(VALU_DEP_1)
	v_and_b32_e32 v0, 0x80000000, v0
	v_lshl_add_u32 v0, v1, 23, v0
	s_delay_alu instid0(VALU_DEP_1) | instskip(NEXT) | instid1(VALU_DEP_1)
	v_lshl_or_b32 v0, v2, 21, v0
                                        ; implicit-def: $vgpr2
	v_add_nc_u32_e32 v1, 0x38000000, v0
                                        ; implicit-def: $vgpr0
.LBB6_23639:                            ;   in Loop: Header=BB6_22365 Depth=3
	s_and_not1_saveexec_b32 s76, s13
; %bb.23640:                            ;   in Loop: Header=BB6_22365 Depth=3
	v_bfe_i32 v0, v0, 0, 8
	v_cmp_eq_u32_e32 vcc_lo, 0, v2
	s_delay_alu instid0(VALU_DEP_2) | instskip(SKIP_1) | instid1(VALU_DEP_1)
	v_cmp_lt_i16_e64 s13, -1, v0
	v_mov_b32_e32 v0, 0x7f800000
	v_cndmask_b32_e64 v0, 0xff800000, v0, s13
	s_delay_alu instid0(VALU_DEP_1)
	v_cndmask_b32_e32 v1, 0x7f800001, v0, vcc_lo
; %bb.23641:                            ;   in Loop: Header=BB6_22365 Depth=3
	s_or_b32 exec_lo, exec_lo, s76
.LBB6_23642:                            ;   in Loop: Header=BB6_22365 Depth=3
	s_delay_alu instid0(SALU_CYCLE_1)
	s_or_b32 exec_lo, exec_lo, s75
.LBB6_23643:                            ;   in Loop: Header=BB6_22365 Depth=3
	s_delay_alu instid0(SALU_CYCLE_1) | instskip(NEXT) | instid1(VALU_DEP_1)
	s_or_b32 exec_lo, exec_lo, s74
	v_dual_mul_f32 v2, s73, v1 :: v_dual_mov_b32 v5, v113
	v_mov_b32_e32 v1, v113
                                        ; implicit-def: $vgpr71
	s_mov_b32 s13, exec_lo
	s_delay_alu instid0(VALU_DEP_2) | instskip(SKIP_2) | instid1(VALU_DEP_3)
	v_and_b32_e32 v4, 0x7f800000, v2
	v_and_b32_e32 v0, 0x7fffff, v2
	v_lshrrev_b32_e32 v3, 24, v2
	v_cmpx_ne_u64_e32 0x7f800000, v[4:5]
	s_xor_b32 s74, exec_lo, s13
	s_cbranch_execz .LBB6_23657
; %bb.23644:                            ;   in Loop: Header=BB6_22365 Depth=3
	v_and_b32_e32 v4, 0x7fffffff, v2
	v_mov_b32_e32 v5, v113
                                        ; implicit-def: $vgpr71
	s_delay_alu instid0(VALU_DEP_1) | instskip(SKIP_2) | instid1(SALU_CYCLE_1)
	v_cmp_gt_u64_e32 vcc_lo, 0x47600001, v[4:5]
	v_and_b32_e32 v4, 0x80, v3
	s_and_saveexec_b32 s13, vcc_lo
	s_xor_b32 s75, exec_lo, s13
	s_cbranch_execz .LBB6_23654
; %bb.23645:                            ;   in Loop: Header=BB6_22365 Depth=3
	v_mov_b32_e32 v71, 0
	s_mov_b32 s76, exec_lo
	v_cmpx_ne_u32_e32 0, v2
	s_cbranch_execz .LBB6_23653
; %bb.23646:                            ;   in Loop: Header=BB6_22365 Depth=3
	v_bfe_u32 v5, v2, 23, 8
	v_or_b32_e32 v3, 0x800000, v0
	s_delay_alu instid0(VALU_DEP_2) | instskip(SKIP_2) | instid1(VALU_DEP_2)
	v_cmp_gt_u32_e64 s13, 0x72, v5
	v_sub_nc_u32_e32 v2, 0x71, v5
	v_cmp_eq_u32_e32 vcc_lo, 0, v5
	v_dual_cndmask_b32 v2, 0, v2, s13 :: v_dual_cndmask_b32 v0, v3, v0, vcc_lo
	s_delay_alu instid0(VALU_DEP_1) | instskip(NEXT) | instid1(VALU_DEP_1)
	v_cndmask_b32_e64 v8, v2, 0x70, vcc_lo
	v_dual_add_nc_u32 v2, 21, v8 :: v_dual_add_nc_u32 v9, 20, v8
	s_delay_alu instid0(VALU_DEP_1) | instskip(NEXT) | instid1(VALU_DEP_2)
	v_lshlrev_b64_e64 v[2:3], v2, -1
	v_lshlrev_b64_e64 v[12:13], v9, 1
	s_delay_alu instid0(VALU_DEP_2) | instskip(SKIP_1) | instid1(VALU_DEP_4)
	v_bfi_b32 v2, v2, 0, v0
	v_lshrrev_b64 v[0:1], v8, v[0:1]
	v_bfi_b32 v3, v3, 0, 0
	s_delay_alu instid0(VALU_DEP_1) | instskip(NEXT) | instid1(VALU_DEP_3)
	v_cmp_eq_u64_e64 s13, v[2:3], v[12:13]
	v_mov_b64_e32 v[2:3], v[0:1]
	s_and_saveexec_b32 s77, s13
; %bb.23647:                            ;   in Loop: Header=BB6_22365 Depth=3
	v_bfe_u32 v2, v0, 21, 1
	v_mov_b32_e32 v3, v113
	s_delay_alu instid0(VALU_DEP_1) | instskip(NEXT) | instid1(VALU_DEP_1)
	v_add_nc_u64_e32 v[2:3], v[0:1], v[2:3]
	v_add_nc_u64_e32 v[2:3], -1, v[2:3]
; %bb.23648:                            ;   in Loop: Header=BB6_22365 Depth=3
	s_or_b32 exec_lo, exec_lo, s77
	v_add_nc_u32_e32 v1, 0xffffff81, v5
	v_lshrrev_b32_e32 v3, 23, v0
	s_mov_b32 s13, exec_lo
	s_delay_alu instid0(VALU_DEP_2) | instskip(NEXT) | instid1(VALU_DEP_1)
	v_cndmask_b32_e64 v1, v1, 0xffffff82, vcc_lo
	v_add3_u32 v5, v8, v1, v3
	v_and_b32_e32 v1, 0x1fffff, v2
                                        ; implicit-def: $vgpr2
	s_delay_alu instid0(VALU_DEP_1) | instskip(SKIP_1) | instid1(VALU_DEP_2)
	v_dual_add_nc_u32 v3, 14, v5 :: v_dual_add_nc_u32 v0, v1, v0
	v_mov_b32_e32 v1, v113
	v_cmpx_ne_u32_e32 0, v3
	s_xor_b32 s13, exec_lo, s13
; %bb.23649:                            ;   in Loop: Header=BB6_22365 Depth=3
	s_delay_alu instid0(VALU_DEP_2) | instskip(SKIP_1) | instid1(VALU_DEP_1)
	v_cmp_lt_u64_e32 vcc_lo, 0xffffff, v[0:1]
	v_add_nc_u32_e32 v2, 15, v5
	v_cndmask_b32_e32 v2, v3, v2, vcc_lo
	v_cndmask_b32_e64 v3, 0, 1, vcc_lo
	s_delay_alu instid0(VALU_DEP_1)
	v_lshrrev_b64 v[0:1], v3, v[0:1]
; %bb.23650:                            ;   in Loop: Header=BB6_22365 Depth=3
	s_and_not1_saveexec_b32 s13, s13
; %bb.23651:                            ;   in Loop: Header=BB6_22365 Depth=3
	s_delay_alu instid0(VALU_DEP_1)
	v_bfe_u32 v2, v0, 23, 1
; %bb.23652:                            ;   in Loop: Header=BB6_22365 Depth=3
	s_or_b32 exec_lo, exec_lo, s13
	s_delay_alu instid0(VALU_DEP_2) | instskip(NEXT) | instid1(VALU_DEP_2)
	v_lshrrev_b64 v[0:1], 21, v[0:1]
	v_cmp_gt_i32_e32 vcc_lo, 32, v2
	v_min_i32_e32 v3, 31, v2
	v_cmp_eq_u32_e64 s13, 0, v2
	s_delay_alu instid0(VALU_DEP_2) | instskip(SKIP_1) | instid1(VALU_DEP_2)
	v_dual_cndmask_b32 v1, 0, v1, vcc_lo :: v_dual_lshlrev_b32 v3, 2, v3
	v_cndmask_b32_e32 v0, 3, v0, vcc_lo
	v_and_b32_e32 v3, 0xfc, v3
	s_delay_alu instid0(VALU_DEP_2) | instskip(NEXT) | instid1(VALU_DEP_2)
	v_cmp_eq_u64_e32 vcc_lo, 0, v[0:1]
	v_and_or_b32 v0, v0, 3, v3
	s_and_b32 s13, s13, vcc_lo
	s_delay_alu instid0(VALU_DEP_1) | instid1(SALU_CYCLE_1)
	v_cndmask_b32_e64 v0, v0, 0, s13
	s_delay_alu instid0(VALU_DEP_1)
	v_or_b32_e32 v71, v0, v4
.LBB6_23653:                            ;   in Loop: Header=BB6_22365 Depth=3
	s_or_b32 exec_lo, exec_lo, s76
                                        ; implicit-def: $vgpr4
.LBB6_23654:                            ;   in Loop: Header=BB6_22365 Depth=3
	s_and_not1_saveexec_b32 s13, s75
; %bb.23655:                            ;   in Loop: Header=BB6_22365 Depth=3
	v_or_b32_e32 v71, 0x7b, v4
; %bb.23656:                            ;   in Loop: Header=BB6_22365 Depth=3
	s_or_b32 exec_lo, exec_lo, s13
                                        ; implicit-def: $vgpr2
                                        ; implicit-def: $vgpr0_vgpr1
                                        ; implicit-def: $vgpr3
.LBB6_23657:                            ;   in Loop: Header=BB6_22365 Depth=3
	s_and_not1_saveexec_b32 s13, s74
	s_cbranch_execz .LBB6_23663
; %bb.23658:                            ;   in Loop: Header=BB6_22365 Depth=3
	s_mov_b32 s74, exec_lo
                                        ; implicit-def: $vgpr71
	v_cmpx_ne_u64_e32 0, v[0:1]
	s_xor_b32 s74, exec_lo, s74
; %bb.23659:                            ;   in Loop: Header=BB6_22365 Depth=3
	v_or_b32_e32 v71, 0x7f, v3
                                        ; implicit-def: $vgpr2
; %bb.23660:                            ;   in Loop: Header=BB6_22365 Depth=3
	s_and_not1_saveexec_b32 s74, s74
; %bb.23661:                            ;   in Loop: Header=BB6_22365 Depth=3
	v_cmp_lt_i32_e32 vcc_lo, -1, v2
	v_mov_b32_e32 v0, 0x7c
	s_delay_alu instid0(VALU_DEP_1)
	v_cndmask_b32_e32 v71, 0xfc, v0, vcc_lo
; %bb.23662:                            ;   in Loop: Header=BB6_22365 Depth=3
	s_or_b32 exec_lo, exec_lo, s74
.LBB6_23663:                            ;   in Loop: Header=BB6_22365 Depth=3
	s_delay_alu instid0(SALU_CYCLE_1)
	s_or_b32 exec_lo, exec_lo, s13
	v_mov_b32_e32 v1, 0
	s_mov_b32 s74, exec_lo
	v_cmpx_lt_u32_e32 0xffffff, v10
	s_cbranch_execz .LBB6_23673
; %bb.23664:                            ;   in Loop: Header=BB6_22365 Depth=3
	v_lshrrev_b32_e32 v0, 24, v10
	v_bfrev_b32_e32 v1, 1
	s_mov_b32 s75, exec_lo
	s_delay_alu instid0(VALU_DEP_2)
	v_cmpx_ne_u32_e32 0x80, v0
	s_cbranch_execz .LBB6_23672
; %bb.23665:                            ;   in Loop: Header=BB6_22365 Depth=3
	v_and_b32_e32 v1, 0x7c000000, v10
	v_bfe_u32 v2, v10, 24, 2
	s_delay_alu instid0(VALU_DEP_2) | instskip(SKIP_1) | instid1(SALU_CYCLE_1)
	v_cmp_ne_u32_e32 vcc_lo, 0x7c000000, v1
                                        ; implicit-def: $vgpr1
	s_and_saveexec_b32 s13, vcc_lo
	s_xor_b32 s13, exec_lo, s13
	s_cbranch_execz .LBB6_23669
; %bb.23666:                            ;   in Loop: Header=BB6_22365 Depth=3
	v_bfe_u32 v1, v10, 26, 5
	s_mov_b32 s76, exec_lo
	s_delay_alu instid0(VALU_DEP_1)
	v_cmpx_eq_u32_e32 0, v1
; %bb.23667:                            ;   in Loop: Header=BB6_22365 Depth=3
	v_clz_i32_u32_e32 v1, v2
	s_delay_alu instid0(VALU_DEP_1) | instskip(NEXT) | instid1(VALU_DEP_1)
	v_min_u32_e32 v2, 32, v1
	v_subrev_nc_u32_e32 v1, 29, v2
	s_delay_alu instid0(VALU_DEP_1) | instskip(NEXT) | instid1(VALU_DEP_1)
	v_lshlrev_b64_e32 v[0:1], v1, v[0:1]
	v_dual_sub_nc_u32 v1, 30, v2 :: v_dual_bitop2_b32 v2, 3, v0 bitop3:0x40
; %bb.23668:                            ;   in Loop: Header=BB6_22365 Depth=3
	s_or_b32 exec_lo, exec_lo, s76
	v_and_b32_e32 v0, 0x80000000, v10
	s_delay_alu instid0(VALU_DEP_1) | instskip(NEXT) | instid1(VALU_DEP_1)
	v_lshl_add_u32 v0, v1, 23, v0
	v_lshl_or_b32 v0, v2, 21, v0
                                        ; implicit-def: $vgpr2
	s_delay_alu instid0(VALU_DEP_1)
	v_add_nc_u32_e32 v1, 0x38000000, v0
.LBB6_23669:                            ;   in Loop: Header=BB6_22365 Depth=3
	s_and_not1_saveexec_b32 s76, s13
; %bb.23670:                            ;   in Loop: Header=BB6_22365 Depth=3
	v_cmp_lt_i32_e64 s13, -1, v10
	v_mov_b32_e32 v0, 0x7f800000
	v_cmp_eq_u32_e32 vcc_lo, 0, v2
	s_delay_alu instid0(VALU_DEP_2) | instskip(NEXT) | instid1(VALU_DEP_1)
	v_cndmask_b32_e64 v0, 0xff800000, v0, s13
	v_cndmask_b32_e32 v1, 0x7f800001, v0, vcc_lo
; %bb.23671:                            ;   in Loop: Header=BB6_22365 Depth=3
	s_or_b32 exec_lo, exec_lo, s76
.LBB6_23672:                            ;   in Loop: Header=BB6_22365 Depth=3
	s_delay_alu instid0(SALU_CYCLE_1)
	s_or_b32 exec_lo, exec_lo, s75
.LBB6_23673:                            ;   in Loop: Header=BB6_22365 Depth=3
	s_delay_alu instid0(SALU_CYCLE_1) | instskip(NEXT) | instid1(VALU_DEP_1)
	s_or_b32 exec_lo, exec_lo, s74
	v_dual_mul_f32 v2, s73, v1 :: v_dual_mov_b32 v5, v113
	v_mov_b32_e32 v1, v113
                                        ; implicit-def: $vgpr81
	s_mov_b32 s13, exec_lo
	s_delay_alu instid0(VALU_DEP_2) | instskip(SKIP_2) | instid1(VALU_DEP_3)
	v_and_b32_e32 v4, 0x7f800000, v2
	v_and_b32_e32 v0, 0x7fffff, v2
	v_lshrrev_b32_e32 v3, 24, v2
	v_cmpx_ne_u64_e32 0x7f800000, v[4:5]
	s_xor_b32 s74, exec_lo, s13
	s_cbranch_execz .LBB6_23687
; %bb.23674:                            ;   in Loop: Header=BB6_22365 Depth=3
	v_and_b32_e32 v4, 0x7fffffff, v2
	v_mov_b32_e32 v5, v113
                                        ; implicit-def: $vgpr81
	s_delay_alu instid0(VALU_DEP_1) | instskip(SKIP_2) | instid1(SALU_CYCLE_1)
	v_cmp_gt_u64_e32 vcc_lo, 0x47600001, v[4:5]
	v_and_b32_e32 v4, 0x80, v3
	s_and_saveexec_b32 s13, vcc_lo
	s_xor_b32 s75, exec_lo, s13
	s_cbranch_execz .LBB6_23684
; %bb.23675:                            ;   in Loop: Header=BB6_22365 Depth=3
	v_mov_b32_e32 v81, 0
	s_mov_b32 s76, exec_lo
	v_cmpx_ne_u32_e32 0, v2
	s_cbranch_execz .LBB6_23683
; %bb.23676:                            ;   in Loop: Header=BB6_22365 Depth=3
	v_bfe_u32 v5, v2, 23, 8
	v_or_b32_e32 v3, 0x800000, v0
	s_delay_alu instid0(VALU_DEP_2) | instskip(SKIP_2) | instid1(VALU_DEP_2)
	v_cmp_gt_u32_e64 s13, 0x72, v5
	v_sub_nc_u32_e32 v2, 0x71, v5
	v_cmp_eq_u32_e32 vcc_lo, 0, v5
	v_dual_cndmask_b32 v2, 0, v2, s13 :: v_dual_cndmask_b32 v0, v3, v0, vcc_lo
	s_delay_alu instid0(VALU_DEP_1) | instskip(NEXT) | instid1(VALU_DEP_1)
	v_cndmask_b32_e64 v8, v2, 0x70, vcc_lo
	v_dual_add_nc_u32 v2, 21, v8 :: v_dual_add_nc_u32 v9, 20, v8
	s_delay_alu instid0(VALU_DEP_1) | instskip(NEXT) | instid1(VALU_DEP_2)
	v_lshlrev_b64_e64 v[2:3], v2, -1
	v_lshlrev_b64_e64 v[12:13], v9, 1
	s_delay_alu instid0(VALU_DEP_2) | instskip(SKIP_1) | instid1(VALU_DEP_4)
	v_bfi_b32 v2, v2, 0, v0
	v_lshrrev_b64 v[0:1], v8, v[0:1]
	v_bfi_b32 v3, v3, 0, 0
	s_delay_alu instid0(VALU_DEP_1) | instskip(NEXT) | instid1(VALU_DEP_3)
	v_cmp_eq_u64_e64 s13, v[2:3], v[12:13]
	v_mov_b64_e32 v[2:3], v[0:1]
	s_and_saveexec_b32 s77, s13
; %bb.23677:                            ;   in Loop: Header=BB6_22365 Depth=3
	v_bfe_u32 v2, v0, 21, 1
	v_mov_b32_e32 v3, v113
	s_delay_alu instid0(VALU_DEP_1) | instskip(NEXT) | instid1(VALU_DEP_1)
	v_add_nc_u64_e32 v[2:3], v[0:1], v[2:3]
	v_add_nc_u64_e32 v[2:3], -1, v[2:3]
; %bb.23678:                            ;   in Loop: Header=BB6_22365 Depth=3
	s_or_b32 exec_lo, exec_lo, s77
	v_add_nc_u32_e32 v1, 0xffffff81, v5
	v_lshrrev_b32_e32 v3, 23, v0
	s_mov_b32 s13, exec_lo
	s_delay_alu instid0(VALU_DEP_2) | instskip(NEXT) | instid1(VALU_DEP_1)
	v_cndmask_b32_e64 v1, v1, 0xffffff82, vcc_lo
	v_add3_u32 v5, v8, v1, v3
	v_and_b32_e32 v1, 0x1fffff, v2
                                        ; implicit-def: $vgpr2
	s_delay_alu instid0(VALU_DEP_1) | instskip(SKIP_1) | instid1(VALU_DEP_2)
	v_dual_add_nc_u32 v3, 14, v5 :: v_dual_add_nc_u32 v0, v1, v0
	v_mov_b32_e32 v1, v113
	v_cmpx_ne_u32_e32 0, v3
	s_xor_b32 s13, exec_lo, s13
; %bb.23679:                            ;   in Loop: Header=BB6_22365 Depth=3
	s_delay_alu instid0(VALU_DEP_2) | instskip(SKIP_1) | instid1(VALU_DEP_1)
	v_cmp_lt_u64_e32 vcc_lo, 0xffffff, v[0:1]
	v_add_nc_u32_e32 v2, 15, v5
	v_cndmask_b32_e32 v2, v3, v2, vcc_lo
	v_cndmask_b32_e64 v3, 0, 1, vcc_lo
	s_delay_alu instid0(VALU_DEP_1)
	v_lshrrev_b64 v[0:1], v3, v[0:1]
; %bb.23680:                            ;   in Loop: Header=BB6_22365 Depth=3
	s_and_not1_saveexec_b32 s13, s13
; %bb.23681:                            ;   in Loop: Header=BB6_22365 Depth=3
	s_delay_alu instid0(VALU_DEP_1)
	v_bfe_u32 v2, v0, 23, 1
; %bb.23682:                            ;   in Loop: Header=BB6_22365 Depth=3
	s_or_b32 exec_lo, exec_lo, s13
	s_delay_alu instid0(VALU_DEP_2) | instskip(NEXT) | instid1(VALU_DEP_2)
	v_lshrrev_b64 v[0:1], 21, v[0:1]
	v_cmp_gt_i32_e32 vcc_lo, 32, v2
	v_min_i32_e32 v3, 31, v2
	v_cmp_eq_u32_e64 s13, 0, v2
	s_delay_alu instid0(VALU_DEP_2) | instskip(SKIP_1) | instid1(VALU_DEP_2)
	v_dual_cndmask_b32 v1, 0, v1, vcc_lo :: v_dual_lshlrev_b32 v3, 2, v3
	v_cndmask_b32_e32 v0, 3, v0, vcc_lo
	v_and_b32_e32 v3, 0xfc, v3
	s_delay_alu instid0(VALU_DEP_2) | instskip(NEXT) | instid1(VALU_DEP_2)
	v_cmp_eq_u64_e32 vcc_lo, 0, v[0:1]
	v_and_or_b32 v0, v0, 3, v3
	s_and_b32 s13, s13, vcc_lo
	s_delay_alu instid0(VALU_DEP_1) | instid1(SALU_CYCLE_1)
	v_cndmask_b32_e64 v0, v0, 0, s13
	s_delay_alu instid0(VALU_DEP_1)
	v_or_b32_e32 v81, v0, v4
.LBB6_23683:                            ;   in Loop: Header=BB6_22365 Depth=3
	s_or_b32 exec_lo, exec_lo, s76
                                        ; implicit-def: $vgpr4
.LBB6_23684:                            ;   in Loop: Header=BB6_22365 Depth=3
	s_and_not1_saveexec_b32 s13, s75
; %bb.23685:                            ;   in Loop: Header=BB6_22365 Depth=3
	v_or_b32_e32 v81, 0x7b, v4
; %bb.23686:                            ;   in Loop: Header=BB6_22365 Depth=3
	s_or_b32 exec_lo, exec_lo, s13
                                        ; implicit-def: $vgpr2
                                        ; implicit-def: $vgpr0_vgpr1
                                        ; implicit-def: $vgpr3
.LBB6_23687:                            ;   in Loop: Header=BB6_22365 Depth=3
	s_and_not1_saveexec_b32 s13, s74
	s_cbranch_execz .LBB6_23693
; %bb.23688:                            ;   in Loop: Header=BB6_22365 Depth=3
	s_mov_b32 s74, exec_lo
                                        ; implicit-def: $vgpr81
	v_cmpx_ne_u64_e32 0, v[0:1]
	s_xor_b32 s74, exec_lo, s74
; %bb.23689:                            ;   in Loop: Header=BB6_22365 Depth=3
	v_or_b32_e32 v81, 0x7f, v3
                                        ; implicit-def: $vgpr2
; %bb.23690:                            ;   in Loop: Header=BB6_22365 Depth=3
	s_and_not1_saveexec_b32 s74, s74
; %bb.23691:                            ;   in Loop: Header=BB6_22365 Depth=3
	v_cmp_lt_i32_e32 vcc_lo, -1, v2
	v_mov_b32_e32 v0, 0x7c
	s_delay_alu instid0(VALU_DEP_1)
	v_cndmask_b32_e32 v81, 0xfc, v0, vcc_lo
; %bb.23692:                            ;   in Loop: Header=BB6_22365 Depth=3
	s_or_b32 exec_lo, exec_lo, s74
.LBB6_23693:                            ;   in Loop: Header=BB6_22365 Depth=3
	s_delay_alu instid0(SALU_CYCLE_1) | instskip(SKIP_4) | instid1(VALU_DEP_3)
	s_or_b32 exec_lo, exec_lo, s13
	v_and_b32_e32 v3, 0xff, v11
	v_dual_mov_b32 v0, v11 :: v_dual_mov_b32 v1, v113
	v_mov_b32_e32 v2, 0
	s_mov_b32 s74, exec_lo
	v_cmpx_ne_u16_e32 0, v3
	s_cbranch_execz .LBB6_23703
; %bb.23694:                            ;   in Loop: Header=BB6_22365 Depth=3
	v_bfrev_b32_e32 v2, 1
	s_mov_b32 s75, exec_lo
	v_cmpx_ne_u16_e32 0x80, v3
	s_cbranch_execz .LBB6_23702
; %bb.23695:                            ;   in Loop: Header=BB6_22365 Depth=3
	v_and_b32_e32 v2, 0x7c, v11
	v_and_b32_e32 v3, 3, v11
	s_delay_alu instid0(VALU_DEP_2) | instskip(SKIP_1) | instid1(SALU_CYCLE_1)
	v_cmp_ne_u32_e32 vcc_lo, 0x7c, v2
                                        ; implicit-def: $vgpr2
	s_and_saveexec_b32 s13, vcc_lo
	s_xor_b32 s13, exec_lo, s13
	s_cbranch_execz .LBB6_23699
; %bb.23696:                            ;   in Loop: Header=BB6_22365 Depth=3
	v_bfe_u32 v2, v11, 2, 5
	s_mov_b32 s76, exec_lo
	s_delay_alu instid0(VALU_DEP_1)
	v_cmpx_eq_u32_e32 0, v2
; %bb.23697:                            ;   in Loop: Header=BB6_22365 Depth=3
	v_clz_i32_u32_e32 v2, v3
	s_delay_alu instid0(VALU_DEP_1) | instskip(NEXT) | instid1(VALU_DEP_1)
	v_min_u32_e32 v2, 32, v2
	v_subrev_nc_u32_e32 v3, 29, v2
	s_delay_alu instid0(VALU_DEP_1) | instskip(NEXT) | instid1(VALU_DEP_1)
	v_lshlrev_b64_e32 v[4:5], v3, v[0:1]
	v_dual_sub_nc_u32 v2, 30, v2 :: v_dual_bitop2_b32 v3, 3, v4 bitop3:0x40
; %bb.23698:                            ;   in Loop: Header=BB6_22365 Depth=3
	s_or_b32 exec_lo, exec_lo, s76
	v_lshlrev_b32_e32 v1, 24, v11
	s_delay_alu instid0(VALU_DEP_1) | instskip(NEXT) | instid1(VALU_DEP_1)
	v_and_b32_e32 v1, 0x80000000, v1
	v_lshl_add_u32 v1, v2, 23, v1
	s_delay_alu instid0(VALU_DEP_1) | instskip(NEXT) | instid1(VALU_DEP_1)
	v_lshl_or_b32 v1, v3, 21, v1
                                        ; implicit-def: $vgpr3
	v_add_nc_u32_e32 v2, 0x38000000, v1
.LBB6_23699:                            ;   in Loop: Header=BB6_22365 Depth=3
	s_and_not1_saveexec_b32 s76, s13
; %bb.23700:                            ;   in Loop: Header=BB6_22365 Depth=3
	v_bfe_i32 v1, v11, 0, 8
	v_cmp_eq_u32_e32 vcc_lo, 0, v3
	s_delay_alu instid0(VALU_DEP_2) | instskip(SKIP_1) | instid1(VALU_DEP_1)
	v_cmp_lt_i16_e64 s13, -1, v1
	v_mov_b32_e32 v1, 0x7f800000
	v_cndmask_b32_e64 v1, 0xff800000, v1, s13
	s_delay_alu instid0(VALU_DEP_1)
	v_cndmask_b32_e32 v2, 0x7f800001, v1, vcc_lo
; %bb.23701:                            ;   in Loop: Header=BB6_22365 Depth=3
	s_or_b32 exec_lo, exec_lo, s76
.LBB6_23702:                            ;   in Loop: Header=BB6_22365 Depth=3
	s_delay_alu instid0(SALU_CYCLE_1)
	s_or_b32 exec_lo, exec_lo, s75
.LBB6_23703:                            ;   in Loop: Header=BB6_22365 Depth=3
	s_delay_alu instid0(SALU_CYCLE_1) | instskip(NEXT) | instid1(VALU_DEP_1)
	s_or_b32 exec_lo, exec_lo, s74
	v_dual_mul_f32 v4, s73, v2 :: v_dual_mov_b32 v9, v113
	v_mov_b32_e32 v3, v113
                                        ; implicit-def: $vgpr39
	s_mov_b32 s13, exec_lo
	s_delay_alu instid0(VALU_DEP_2) | instskip(SKIP_2) | instid1(VALU_DEP_3)
	v_and_b32_e32 v8, 0x7f800000, v4
	v_and_b32_e32 v2, 0x7fffff, v4
	v_lshrrev_b32_e32 v1, 24, v4
	v_cmpx_ne_u64_e32 0x7f800000, v[8:9]
	s_xor_b32 s74, exec_lo, s13
	s_cbranch_execz .LBB6_23717
; %bb.23704:                            ;   in Loop: Header=BB6_22365 Depth=3
	v_and_b32_e32 v8, 0x7fffffff, v4
	v_mov_b32_e32 v9, v113
	v_and_b32_e32 v1, 0x80, v1
                                        ; implicit-def: $vgpr39
	s_mov_b32 s13, exec_lo
	s_delay_alu instid0(VALU_DEP_2)
	v_cmpx_gt_u64_e32 0x47600001, v[8:9]
	s_xor_b32 s75, exec_lo, s13
	s_cbranch_execz .LBB6_23714
; %bb.23705:                            ;   in Loop: Header=BB6_22365 Depth=3
	v_mov_b32_e32 v39, 0
	s_mov_b32 s76, exec_lo
	v_cmpx_ne_u32_e32 0, v4
	s_cbranch_execz .LBB6_23713
; %bb.23706:                            ;   in Loop: Header=BB6_22365 Depth=3
	v_bfe_u32 v8, v4, 23, 8
	v_or_b32_e32 v5, 0x800000, v2
	s_delay_alu instid0(VALU_DEP_2) | instskip(SKIP_2) | instid1(VALU_DEP_2)
	v_cmp_gt_u32_e64 s13, 0x72, v8
	v_sub_nc_u32_e32 v4, 0x71, v8
	v_cmp_eq_u32_e32 vcc_lo, 0, v8
	v_dual_cndmask_b32 v4, 0, v4, s13 :: v_dual_cndmask_b32 v2, v5, v2, vcc_lo
	s_delay_alu instid0(VALU_DEP_1) | instskip(NEXT) | instid1(VALU_DEP_1)
	v_cndmask_b32_e64 v9, v4, 0x70, vcc_lo
	v_dual_add_nc_u32 v4, 21, v9 :: v_dual_add_nc_u32 v12, 20, v9
	s_delay_alu instid0(VALU_DEP_1) | instskip(NEXT) | instid1(VALU_DEP_2)
	v_lshlrev_b64_e64 v[4:5], v4, -1
	v_lshlrev_b64_e64 v[12:13], v12, 1
	s_delay_alu instid0(VALU_DEP_2) | instskip(SKIP_1) | instid1(VALU_DEP_4)
	v_bfi_b32 v4, v4, 0, v2
	v_lshrrev_b64 v[2:3], v9, v[2:3]
	v_bfi_b32 v5, v5, 0, 0
	s_delay_alu instid0(VALU_DEP_1) | instskip(NEXT) | instid1(VALU_DEP_3)
	v_cmp_eq_u64_e64 s13, v[4:5], v[12:13]
	v_mov_b64_e32 v[4:5], v[2:3]
	s_and_saveexec_b32 s77, s13
; %bb.23707:                            ;   in Loop: Header=BB6_22365 Depth=3
	v_bfe_u32 v4, v2, 21, 1
	v_mov_b32_e32 v5, v113
	s_delay_alu instid0(VALU_DEP_1) | instskip(NEXT) | instid1(VALU_DEP_1)
	v_add_nc_u64_e32 v[4:5], v[2:3], v[4:5]
	v_add_nc_u64_e32 v[4:5], -1, v[4:5]
; %bb.23708:                            ;   in Loop: Header=BB6_22365 Depth=3
	s_or_b32 exec_lo, exec_lo, s77
	v_add_nc_u32_e32 v3, 0xffffff81, v8
	v_lshrrev_b32_e32 v5, 23, v2
	s_mov_b32 s13, exec_lo
	s_delay_alu instid0(VALU_DEP_2) | instskip(NEXT) | instid1(VALU_DEP_1)
	v_cndmask_b32_e64 v3, v3, 0xffffff82, vcc_lo
	v_add3_u32 v8, v9, v3, v5
	v_and_b32_e32 v3, 0x1fffff, v4
                                        ; implicit-def: $vgpr4
	s_delay_alu instid0(VALU_DEP_1) | instskip(SKIP_1) | instid1(VALU_DEP_2)
	v_dual_add_nc_u32 v5, 14, v8 :: v_dual_add_nc_u32 v2, v3, v2
	v_mov_b32_e32 v3, v113
	v_cmpx_ne_u32_e32 0, v5
	s_xor_b32 s13, exec_lo, s13
; %bb.23709:                            ;   in Loop: Header=BB6_22365 Depth=3
	s_delay_alu instid0(VALU_DEP_2) | instskip(SKIP_1) | instid1(VALU_DEP_1)
	v_cmp_lt_u64_e32 vcc_lo, 0xffffff, v[2:3]
	v_add_nc_u32_e32 v4, 15, v8
	v_cndmask_b32_e32 v4, v5, v4, vcc_lo
	v_cndmask_b32_e64 v5, 0, 1, vcc_lo
	s_delay_alu instid0(VALU_DEP_1)
	v_lshrrev_b64 v[2:3], v5, v[2:3]
; %bb.23710:                            ;   in Loop: Header=BB6_22365 Depth=3
	s_and_not1_saveexec_b32 s13, s13
; %bb.23711:                            ;   in Loop: Header=BB6_22365 Depth=3
	s_delay_alu instid0(VALU_DEP_1)
	v_bfe_u32 v4, v2, 23, 1
; %bb.23712:                            ;   in Loop: Header=BB6_22365 Depth=3
	s_or_b32 exec_lo, exec_lo, s13
	s_delay_alu instid0(VALU_DEP_2) | instskip(NEXT) | instid1(VALU_DEP_2)
	v_lshrrev_b64 v[2:3], 21, v[2:3]
	v_cmp_gt_i32_e32 vcc_lo, 32, v4
	v_min_i32_e32 v5, 31, v4
	v_cmp_eq_u32_e64 s13, 0, v4
	s_delay_alu instid0(VALU_DEP_2) | instskip(SKIP_1) | instid1(VALU_DEP_2)
	v_dual_cndmask_b32 v3, 0, v3, vcc_lo :: v_dual_lshlrev_b32 v5, 2, v5
	v_cndmask_b32_e32 v2, 3, v2, vcc_lo
	v_and_b32_e32 v5, 0xfc, v5
	s_delay_alu instid0(VALU_DEP_2) | instskip(NEXT) | instid1(VALU_DEP_2)
	v_cmp_eq_u64_e32 vcc_lo, 0, v[2:3]
	v_and_or_b32 v2, v2, 3, v5
	s_and_b32 s13, s13, vcc_lo
	s_delay_alu instid0(VALU_DEP_1) | instid1(SALU_CYCLE_1)
	v_cndmask_b32_e64 v2, v2, 0, s13
	s_delay_alu instid0(VALU_DEP_1)
	v_or_b32_e32 v39, v2, v1
.LBB6_23713:                            ;   in Loop: Header=BB6_22365 Depth=3
	s_or_b32 exec_lo, exec_lo, s76
                                        ; implicit-def: $vgpr1
.LBB6_23714:                            ;   in Loop: Header=BB6_22365 Depth=3
	s_and_not1_saveexec_b32 s13, s75
; %bb.23715:                            ;   in Loop: Header=BB6_22365 Depth=3
	v_or_b32_e32 v39, 0x7b, v1
; %bb.23716:                            ;   in Loop: Header=BB6_22365 Depth=3
	s_or_b32 exec_lo, exec_lo, s13
                                        ; implicit-def: $vgpr4
                                        ; implicit-def: $vgpr2_vgpr3
                                        ; implicit-def: $vgpr1
.LBB6_23717:                            ;   in Loop: Header=BB6_22365 Depth=3
	s_and_not1_saveexec_b32 s13, s74
	s_cbranch_execz .LBB6_23723
; %bb.23718:                            ;   in Loop: Header=BB6_22365 Depth=3
	s_mov_b32 s74, exec_lo
                                        ; implicit-def: $vgpr39
	v_cmpx_ne_u64_e32 0, v[2:3]
	s_xor_b32 s74, exec_lo, s74
; %bb.23719:                            ;   in Loop: Header=BB6_22365 Depth=3
	v_or_b32_e32 v39, 0x7f, v1
                                        ; implicit-def: $vgpr4
; %bb.23720:                            ;   in Loop: Header=BB6_22365 Depth=3
	s_and_not1_saveexec_b32 s74, s74
; %bb.23721:                            ;   in Loop: Header=BB6_22365 Depth=3
	v_cmp_lt_i32_e32 vcc_lo, -1, v4
	v_mov_b32_e32 v1, 0x7c
	s_delay_alu instid0(VALU_DEP_1)
	v_cndmask_b32_e32 v39, 0xfc, v1, vcc_lo
; %bb.23722:                            ;   in Loop: Header=BB6_22365 Depth=3
	s_or_b32 exec_lo, exec_lo, s74
.LBB6_23723:                            ;   in Loop: Header=BB6_22365 Depth=3
	s_delay_alu instid0(SALU_CYCLE_1) | instskip(SKIP_3) | instid1(VALU_DEP_2)
	s_or_b32 exec_lo, exec_lo, s13
	v_lshrrev_b16 v2, 8, v0
	v_mov_b32_e32 v3, 0
	s_mov_b32 s74, exec_lo
	v_cmpx_ne_u16_e32 0, v2
	s_cbranch_execz .LBB6_23733
; %bb.23724:                            ;   in Loop: Header=BB6_22365 Depth=3
	v_bfrev_b32_e32 v3, 1
	s_mov_b32 s75, exec_lo
	v_cmpx_ne_u16_e32 0x80, v2
	s_cbranch_execz .LBB6_23732
; %bb.23725:                            ;   in Loop: Header=BB6_22365 Depth=3
	v_and_b32_e32 v1, 0xffff, v2
	s_delay_alu instid0(VALU_DEP_1) | instskip(SKIP_1) | instid1(VALU_DEP_2)
	v_and_b32_e32 v3, 0x7c, v1
	v_and_b32_e32 v4, 3, v1
	v_cmp_ne_u32_e32 vcc_lo, 0x7c, v3
                                        ; implicit-def: $vgpr3
	s_and_saveexec_b32 s13, vcc_lo
	s_delay_alu instid0(SALU_CYCLE_1)
	s_xor_b32 s13, exec_lo, s13
	s_cbranch_execz .LBB6_23729
; %bb.23726:                            ;   in Loop: Header=BB6_22365 Depth=3
	v_bfe_u32 v1, v1, 2, 5
	s_mov_b32 s76, exec_lo
	s_delay_alu instid0(VALU_DEP_1)
	v_cmpx_eq_u32_e32 0, v1
	s_cbranch_execz .LBB6_23728
; %bb.23727:                            ;   in Loop: Header=BB6_22365 Depth=3
	v_clz_i32_u32_e32 v1, v4
	s_delay_alu instid0(VALU_DEP_1) | instskip(SKIP_1) | instid1(VALU_DEP_2)
	v_min_u32_e32 v1, 32, v1
	v_mov_b32_e32 v3, v113
	v_subrev_nc_u32_e32 v4, 29, v1
	v_sub_nc_u32_e32 v1, 30, v1
	s_delay_alu instid0(VALU_DEP_2) | instskip(NEXT) | instid1(VALU_DEP_1)
	v_lshlrev_b64_e32 v[2:3], v4, v[2:3]
	v_and_b32_e32 v4, 3, v2
.LBB6_23728:                            ;   in Loop: Header=BB6_22365 Depth=3
	s_or_b32 exec_lo, exec_lo, s76
	v_lshlrev_b32_e32 v0, 16, v0
	s_delay_alu instid0(VALU_DEP_1) | instskip(NEXT) | instid1(VALU_DEP_1)
	v_and_b32_e32 v0, 0x80000000, v0
	v_lshl_add_u32 v0, v1, 23, v0
	s_delay_alu instid0(VALU_DEP_1) | instskip(NEXT) | instid1(VALU_DEP_1)
	v_lshl_or_b32 v0, v4, 21, v0
                                        ; implicit-def: $vgpr4
	v_add_nc_u32_e32 v3, 0x38000000, v0
                                        ; implicit-def: $vgpr0_vgpr1
.LBB6_23729:                            ;   in Loop: Header=BB6_22365 Depth=3
	s_and_not1_saveexec_b32 s76, s13
; %bb.23730:                            ;   in Loop: Header=BB6_22365 Depth=3
	v_cmp_lt_i16_e64 s13, -1, v0
	v_mov_b32_e32 v0, 0x7f800000
	v_cmp_eq_u32_e32 vcc_lo, 0, v4
	s_delay_alu instid0(VALU_DEP_2) | instskip(NEXT) | instid1(VALU_DEP_1)
	v_cndmask_b32_e64 v0, 0xff800000, v0, s13
	v_cndmask_b32_e32 v3, 0x7f800001, v0, vcc_lo
; %bb.23731:                            ;   in Loop: Header=BB6_22365 Depth=3
	s_or_b32 exec_lo, exec_lo, s76
.LBB6_23732:                            ;   in Loop: Header=BB6_22365 Depth=3
	s_delay_alu instid0(SALU_CYCLE_1)
	s_or_b32 exec_lo, exec_lo, s75
.LBB6_23733:                            ;   in Loop: Header=BB6_22365 Depth=3
	s_delay_alu instid0(SALU_CYCLE_1) | instskip(NEXT) | instid1(VALU_DEP_1)
	s_or_b32 exec_lo, exec_lo, s74
	v_dual_mul_f32 v2, s73, v3 :: v_dual_mov_b32 v5, v113
	v_mov_b32_e32 v1, v113
                                        ; implicit-def: $vgpr54
	s_mov_b32 s13, exec_lo
	s_delay_alu instid0(VALU_DEP_2) | instskip(SKIP_2) | instid1(VALU_DEP_3)
	v_and_b32_e32 v4, 0x7f800000, v2
	v_and_b32_e32 v0, 0x7fffff, v2
	v_lshrrev_b32_e32 v3, 24, v2
	v_cmpx_ne_u64_e32 0x7f800000, v[4:5]
	s_xor_b32 s74, exec_lo, s13
	s_cbranch_execz .LBB6_23747
; %bb.23734:                            ;   in Loop: Header=BB6_22365 Depth=3
	v_and_b32_e32 v4, 0x7fffffff, v2
	v_mov_b32_e32 v5, v113
                                        ; implicit-def: $vgpr54
	s_delay_alu instid0(VALU_DEP_1) | instskip(SKIP_2) | instid1(SALU_CYCLE_1)
	v_cmp_gt_u64_e32 vcc_lo, 0x47600001, v[4:5]
	v_and_b32_e32 v4, 0x80, v3
	s_and_saveexec_b32 s13, vcc_lo
	s_xor_b32 s75, exec_lo, s13
	s_cbranch_execz .LBB6_23744
; %bb.23735:                            ;   in Loop: Header=BB6_22365 Depth=3
	v_mov_b32_e32 v54, 0
	s_mov_b32 s76, exec_lo
	v_cmpx_ne_u32_e32 0, v2
	s_cbranch_execz .LBB6_23743
; %bb.23736:                            ;   in Loop: Header=BB6_22365 Depth=3
	v_bfe_u32 v5, v2, 23, 8
	v_or_b32_e32 v3, 0x800000, v0
	s_delay_alu instid0(VALU_DEP_2) | instskip(SKIP_2) | instid1(VALU_DEP_2)
	v_cmp_gt_u32_e64 s13, 0x72, v5
	v_sub_nc_u32_e32 v2, 0x71, v5
	v_cmp_eq_u32_e32 vcc_lo, 0, v5
	v_dual_cndmask_b32 v2, 0, v2, s13 :: v_dual_cndmask_b32 v0, v3, v0, vcc_lo
	s_delay_alu instid0(VALU_DEP_1) | instskip(NEXT) | instid1(VALU_DEP_1)
	v_cndmask_b32_e64 v8, v2, 0x70, vcc_lo
	v_dual_add_nc_u32 v2, 21, v8 :: v_dual_add_nc_u32 v9, 20, v8
	s_delay_alu instid0(VALU_DEP_1) | instskip(NEXT) | instid1(VALU_DEP_2)
	v_lshlrev_b64_e64 v[2:3], v2, -1
	v_lshlrev_b64_e64 v[12:13], v9, 1
	s_delay_alu instid0(VALU_DEP_2) | instskip(SKIP_1) | instid1(VALU_DEP_4)
	v_bfi_b32 v2, v2, 0, v0
	v_lshrrev_b64 v[0:1], v8, v[0:1]
	v_bfi_b32 v3, v3, 0, 0
	s_delay_alu instid0(VALU_DEP_1) | instskip(NEXT) | instid1(VALU_DEP_3)
	v_cmp_eq_u64_e64 s13, v[2:3], v[12:13]
	v_mov_b64_e32 v[2:3], v[0:1]
	s_and_saveexec_b32 s77, s13
; %bb.23737:                            ;   in Loop: Header=BB6_22365 Depth=3
	v_bfe_u32 v2, v0, 21, 1
	v_mov_b32_e32 v3, v113
	s_delay_alu instid0(VALU_DEP_1) | instskip(NEXT) | instid1(VALU_DEP_1)
	v_add_nc_u64_e32 v[2:3], v[0:1], v[2:3]
	v_add_nc_u64_e32 v[2:3], -1, v[2:3]
; %bb.23738:                            ;   in Loop: Header=BB6_22365 Depth=3
	s_or_b32 exec_lo, exec_lo, s77
	v_add_nc_u32_e32 v1, 0xffffff81, v5
	v_lshrrev_b32_e32 v3, 23, v0
	s_mov_b32 s13, exec_lo
	s_delay_alu instid0(VALU_DEP_2) | instskip(NEXT) | instid1(VALU_DEP_1)
	v_cndmask_b32_e64 v1, v1, 0xffffff82, vcc_lo
	v_add3_u32 v5, v8, v1, v3
	v_and_b32_e32 v1, 0x1fffff, v2
                                        ; implicit-def: $vgpr2
	s_delay_alu instid0(VALU_DEP_1) | instskip(SKIP_1) | instid1(VALU_DEP_2)
	v_dual_add_nc_u32 v3, 14, v5 :: v_dual_add_nc_u32 v0, v1, v0
	v_mov_b32_e32 v1, v113
	v_cmpx_ne_u32_e32 0, v3
	s_xor_b32 s13, exec_lo, s13
; %bb.23739:                            ;   in Loop: Header=BB6_22365 Depth=3
	s_delay_alu instid0(VALU_DEP_2) | instskip(SKIP_1) | instid1(VALU_DEP_1)
	v_cmp_lt_u64_e32 vcc_lo, 0xffffff, v[0:1]
	v_add_nc_u32_e32 v2, 15, v5
	v_cndmask_b32_e32 v2, v3, v2, vcc_lo
	v_cndmask_b32_e64 v3, 0, 1, vcc_lo
	s_delay_alu instid0(VALU_DEP_1)
	v_lshrrev_b64 v[0:1], v3, v[0:1]
; %bb.23740:                            ;   in Loop: Header=BB6_22365 Depth=3
	s_and_not1_saveexec_b32 s13, s13
; %bb.23741:                            ;   in Loop: Header=BB6_22365 Depth=3
	s_delay_alu instid0(VALU_DEP_1)
	v_bfe_u32 v2, v0, 23, 1
; %bb.23742:                            ;   in Loop: Header=BB6_22365 Depth=3
	s_or_b32 exec_lo, exec_lo, s13
	s_delay_alu instid0(VALU_DEP_2) | instskip(NEXT) | instid1(VALU_DEP_2)
	v_lshrrev_b64 v[0:1], 21, v[0:1]
	v_cmp_gt_i32_e32 vcc_lo, 32, v2
	v_min_i32_e32 v3, 31, v2
	v_cmp_eq_u32_e64 s13, 0, v2
	s_delay_alu instid0(VALU_DEP_2) | instskip(SKIP_1) | instid1(VALU_DEP_2)
	v_dual_cndmask_b32 v1, 0, v1, vcc_lo :: v_dual_lshlrev_b32 v3, 2, v3
	v_cndmask_b32_e32 v0, 3, v0, vcc_lo
	v_and_b32_e32 v3, 0xfc, v3
	s_delay_alu instid0(VALU_DEP_2) | instskip(NEXT) | instid1(VALU_DEP_2)
	v_cmp_eq_u64_e32 vcc_lo, 0, v[0:1]
	v_and_or_b32 v0, v0, 3, v3
	s_and_b32 s13, s13, vcc_lo
	s_delay_alu instid0(VALU_DEP_1) | instid1(SALU_CYCLE_1)
	v_cndmask_b32_e64 v0, v0, 0, s13
	s_delay_alu instid0(VALU_DEP_1)
	v_or_b32_e32 v54, v0, v4
.LBB6_23743:                            ;   in Loop: Header=BB6_22365 Depth=3
	s_or_b32 exec_lo, exec_lo, s76
                                        ; implicit-def: $vgpr4
.LBB6_23744:                            ;   in Loop: Header=BB6_22365 Depth=3
	s_and_not1_saveexec_b32 s13, s75
; %bb.23745:                            ;   in Loop: Header=BB6_22365 Depth=3
	v_or_b32_e32 v54, 0x7b, v4
; %bb.23746:                            ;   in Loop: Header=BB6_22365 Depth=3
	s_or_b32 exec_lo, exec_lo, s13
                                        ; implicit-def: $vgpr2
                                        ; implicit-def: $vgpr0_vgpr1
                                        ; implicit-def: $vgpr3
.LBB6_23747:                            ;   in Loop: Header=BB6_22365 Depth=3
	s_and_not1_saveexec_b32 s13, s74
	s_cbranch_execz .LBB6_23753
; %bb.23748:                            ;   in Loop: Header=BB6_22365 Depth=3
	s_mov_b32 s74, exec_lo
                                        ; implicit-def: $vgpr54
	v_cmpx_ne_u64_e32 0, v[0:1]
	s_xor_b32 s74, exec_lo, s74
; %bb.23749:                            ;   in Loop: Header=BB6_22365 Depth=3
	v_or_b32_e32 v54, 0x7f, v3
                                        ; implicit-def: $vgpr2
; %bb.23750:                            ;   in Loop: Header=BB6_22365 Depth=3
	s_and_not1_saveexec_b32 s74, s74
; %bb.23751:                            ;   in Loop: Header=BB6_22365 Depth=3
	v_cmp_lt_i32_e32 vcc_lo, -1, v2
	v_mov_b32_e32 v0, 0x7c
	s_delay_alu instid0(VALU_DEP_1)
	v_cndmask_b32_e32 v54, 0xfc, v0, vcc_lo
; %bb.23752:                            ;   in Loop: Header=BB6_22365 Depth=3
	s_or_b32 exec_lo, exec_lo, s74
.LBB6_23753:                            ;   in Loop: Header=BB6_22365 Depth=3
	s_delay_alu instid0(SALU_CYCLE_1) | instskip(SKIP_2) | instid1(VALU_DEP_1)
	s_or_b32 exec_lo, exec_lo, s13
	v_dual_mov_b32 v1, 0 :: v_dual_lshrrev_b32 v0, 16, v11
	s_mov_b32 s74, exec_lo
	v_and_b32_e32 v2, 0xff, v0
	s_delay_alu instid0(VALU_DEP_1)
	v_cmpx_ne_u16_e32 0, v2
	s_cbranch_execz .LBB6_23763
; %bb.23754:                            ;   in Loop: Header=BB6_22365 Depth=3
	v_bfrev_b32_e32 v1, 1
	s_mov_b32 s75, exec_lo
	v_cmpx_ne_u16_e32 0x80, v2
	s_cbranch_execz .LBB6_23762
; %bb.23755:                            ;   in Loop: Header=BB6_22365 Depth=3
	v_and_b32_e32 v1, 0x7c0000, v11
	v_bfe_u32 v2, v11, 16, 2
	s_delay_alu instid0(VALU_DEP_2) | instskip(SKIP_1) | instid1(SALU_CYCLE_1)
	v_cmp_ne_u32_e32 vcc_lo, 0x7c0000, v1
                                        ; implicit-def: $vgpr1
	s_and_saveexec_b32 s13, vcc_lo
	s_xor_b32 s13, exec_lo, s13
	s_cbranch_execz .LBB6_23759
; %bb.23756:                            ;   in Loop: Header=BB6_22365 Depth=3
	v_bfe_u32 v1, v11, 18, 5
	s_mov_b32 s76, exec_lo
	s_delay_alu instid0(VALU_DEP_1)
	v_cmpx_eq_u32_e32 0, v1
; %bb.23757:                            ;   in Loop: Header=BB6_22365 Depth=3
	v_clz_i32_u32_e32 v1, v2
	s_delay_alu instid0(VALU_DEP_1) | instskip(NEXT) | instid1(VALU_DEP_1)
	v_min_u32_e32 v1, 32, v1
	v_subrev_nc_u32_e32 v2, 29, v1
	s_delay_alu instid0(VALU_DEP_1) | instskip(NEXT) | instid1(VALU_DEP_1)
	v_lshlrev_b64_e32 v[2:3], v2, v[0:1]
	v_dual_sub_nc_u32 v1, 30, v1 :: v_dual_bitop2_b32 v2, 3, v2 bitop3:0x40
; %bb.23758:                            ;   in Loop: Header=BB6_22365 Depth=3
	s_or_b32 exec_lo, exec_lo, s76
	v_lshlrev_b32_e32 v0, 24, v0
	s_delay_alu instid0(VALU_DEP_1) | instskip(NEXT) | instid1(VALU_DEP_1)
	v_and_b32_e32 v0, 0x80000000, v0
	v_lshl_add_u32 v0, v1, 23, v0
	s_delay_alu instid0(VALU_DEP_1) | instskip(NEXT) | instid1(VALU_DEP_1)
	v_lshl_or_b32 v0, v2, 21, v0
                                        ; implicit-def: $vgpr2
	v_add_nc_u32_e32 v1, 0x38000000, v0
                                        ; implicit-def: $vgpr0
.LBB6_23759:                            ;   in Loop: Header=BB6_22365 Depth=3
	s_and_not1_saveexec_b32 s76, s13
; %bb.23760:                            ;   in Loop: Header=BB6_22365 Depth=3
	v_bfe_i32 v0, v0, 0, 8
	v_cmp_eq_u32_e32 vcc_lo, 0, v2
	s_delay_alu instid0(VALU_DEP_2) | instskip(SKIP_1) | instid1(VALU_DEP_1)
	v_cmp_lt_i16_e64 s13, -1, v0
	v_mov_b32_e32 v0, 0x7f800000
	v_cndmask_b32_e64 v0, 0xff800000, v0, s13
	s_delay_alu instid0(VALU_DEP_1)
	v_cndmask_b32_e32 v1, 0x7f800001, v0, vcc_lo
; %bb.23761:                            ;   in Loop: Header=BB6_22365 Depth=3
	s_or_b32 exec_lo, exec_lo, s76
.LBB6_23762:                            ;   in Loop: Header=BB6_22365 Depth=3
	s_delay_alu instid0(SALU_CYCLE_1)
	s_or_b32 exec_lo, exec_lo, s75
.LBB6_23763:                            ;   in Loop: Header=BB6_22365 Depth=3
	s_delay_alu instid0(SALU_CYCLE_1) | instskip(NEXT) | instid1(VALU_DEP_1)
	s_or_b32 exec_lo, exec_lo, s74
	v_dual_mul_f32 v2, s73, v1 :: v_dual_mov_b32 v5, v113
	v_mov_b32_e32 v1, v113
                                        ; implicit-def: $vgpr66
	s_mov_b32 s13, exec_lo
	s_delay_alu instid0(VALU_DEP_2) | instskip(SKIP_2) | instid1(VALU_DEP_3)
	v_and_b32_e32 v4, 0x7f800000, v2
	v_and_b32_e32 v0, 0x7fffff, v2
	v_lshrrev_b32_e32 v3, 24, v2
	v_cmpx_ne_u64_e32 0x7f800000, v[4:5]
	s_xor_b32 s74, exec_lo, s13
	s_cbranch_execz .LBB6_23777
; %bb.23764:                            ;   in Loop: Header=BB6_22365 Depth=3
	v_and_b32_e32 v4, 0x7fffffff, v2
	v_mov_b32_e32 v5, v113
                                        ; implicit-def: $vgpr66
	s_delay_alu instid0(VALU_DEP_1) | instskip(SKIP_2) | instid1(SALU_CYCLE_1)
	v_cmp_gt_u64_e32 vcc_lo, 0x47600001, v[4:5]
	v_and_b32_e32 v4, 0x80, v3
	s_and_saveexec_b32 s13, vcc_lo
	s_xor_b32 s75, exec_lo, s13
	s_cbranch_execz .LBB6_23774
; %bb.23765:                            ;   in Loop: Header=BB6_22365 Depth=3
	v_mov_b32_e32 v66, 0
	s_mov_b32 s76, exec_lo
	v_cmpx_ne_u32_e32 0, v2
	s_cbranch_execz .LBB6_23773
; %bb.23766:                            ;   in Loop: Header=BB6_22365 Depth=3
	v_bfe_u32 v5, v2, 23, 8
	v_or_b32_e32 v3, 0x800000, v0
	s_delay_alu instid0(VALU_DEP_2) | instskip(SKIP_2) | instid1(VALU_DEP_2)
	v_cmp_gt_u32_e64 s13, 0x72, v5
	v_sub_nc_u32_e32 v2, 0x71, v5
	v_cmp_eq_u32_e32 vcc_lo, 0, v5
	v_dual_cndmask_b32 v2, 0, v2, s13 :: v_dual_cndmask_b32 v0, v3, v0, vcc_lo
	s_delay_alu instid0(VALU_DEP_1) | instskip(NEXT) | instid1(VALU_DEP_1)
	v_cndmask_b32_e64 v8, v2, 0x70, vcc_lo
	v_dual_add_nc_u32 v2, 21, v8 :: v_dual_add_nc_u32 v9, 20, v8
	s_delay_alu instid0(VALU_DEP_1) | instskip(NEXT) | instid1(VALU_DEP_2)
	v_lshlrev_b64_e64 v[2:3], v2, -1
	v_lshlrev_b64_e64 v[12:13], v9, 1
	s_delay_alu instid0(VALU_DEP_2) | instskip(SKIP_1) | instid1(VALU_DEP_4)
	v_bfi_b32 v2, v2, 0, v0
	v_lshrrev_b64 v[0:1], v8, v[0:1]
	v_bfi_b32 v3, v3, 0, 0
	s_delay_alu instid0(VALU_DEP_1) | instskip(NEXT) | instid1(VALU_DEP_3)
	v_cmp_eq_u64_e64 s13, v[2:3], v[12:13]
	v_mov_b64_e32 v[2:3], v[0:1]
	s_and_saveexec_b32 s77, s13
; %bb.23767:                            ;   in Loop: Header=BB6_22365 Depth=3
	v_bfe_u32 v2, v0, 21, 1
	v_mov_b32_e32 v3, v113
	s_delay_alu instid0(VALU_DEP_1) | instskip(NEXT) | instid1(VALU_DEP_1)
	v_add_nc_u64_e32 v[2:3], v[0:1], v[2:3]
	v_add_nc_u64_e32 v[2:3], -1, v[2:3]
; %bb.23768:                            ;   in Loop: Header=BB6_22365 Depth=3
	s_or_b32 exec_lo, exec_lo, s77
	v_add_nc_u32_e32 v1, 0xffffff81, v5
	v_lshrrev_b32_e32 v3, 23, v0
	s_mov_b32 s13, exec_lo
	s_delay_alu instid0(VALU_DEP_2) | instskip(NEXT) | instid1(VALU_DEP_1)
	v_cndmask_b32_e64 v1, v1, 0xffffff82, vcc_lo
	v_add3_u32 v5, v8, v1, v3
	v_and_b32_e32 v1, 0x1fffff, v2
                                        ; implicit-def: $vgpr2
	s_delay_alu instid0(VALU_DEP_1) | instskip(SKIP_1) | instid1(VALU_DEP_2)
	v_dual_add_nc_u32 v3, 14, v5 :: v_dual_add_nc_u32 v0, v1, v0
	v_mov_b32_e32 v1, v113
	v_cmpx_ne_u32_e32 0, v3
	s_xor_b32 s13, exec_lo, s13
; %bb.23769:                            ;   in Loop: Header=BB6_22365 Depth=3
	s_delay_alu instid0(VALU_DEP_2) | instskip(SKIP_1) | instid1(VALU_DEP_1)
	v_cmp_lt_u64_e32 vcc_lo, 0xffffff, v[0:1]
	v_add_nc_u32_e32 v2, 15, v5
	v_cndmask_b32_e32 v2, v3, v2, vcc_lo
	v_cndmask_b32_e64 v3, 0, 1, vcc_lo
	s_delay_alu instid0(VALU_DEP_1)
	v_lshrrev_b64 v[0:1], v3, v[0:1]
; %bb.23770:                            ;   in Loop: Header=BB6_22365 Depth=3
	s_and_not1_saveexec_b32 s13, s13
; %bb.23771:                            ;   in Loop: Header=BB6_22365 Depth=3
	s_delay_alu instid0(VALU_DEP_1)
	v_bfe_u32 v2, v0, 23, 1
; %bb.23772:                            ;   in Loop: Header=BB6_22365 Depth=3
	s_or_b32 exec_lo, exec_lo, s13
	s_delay_alu instid0(VALU_DEP_2) | instskip(NEXT) | instid1(VALU_DEP_2)
	v_lshrrev_b64 v[0:1], 21, v[0:1]
	v_cmp_gt_i32_e32 vcc_lo, 32, v2
	v_min_i32_e32 v3, 31, v2
	v_cmp_eq_u32_e64 s13, 0, v2
	s_delay_alu instid0(VALU_DEP_2) | instskip(SKIP_1) | instid1(VALU_DEP_2)
	v_dual_cndmask_b32 v1, 0, v1, vcc_lo :: v_dual_lshlrev_b32 v3, 2, v3
	v_cndmask_b32_e32 v0, 3, v0, vcc_lo
	v_and_b32_e32 v3, 0xfc, v3
	s_delay_alu instid0(VALU_DEP_2) | instskip(NEXT) | instid1(VALU_DEP_2)
	v_cmp_eq_u64_e32 vcc_lo, 0, v[0:1]
	v_and_or_b32 v0, v0, 3, v3
	s_and_b32 s13, s13, vcc_lo
	s_delay_alu instid0(VALU_DEP_1) | instid1(SALU_CYCLE_1)
	v_cndmask_b32_e64 v0, v0, 0, s13
	s_delay_alu instid0(VALU_DEP_1)
	v_or_b32_e32 v66, v0, v4
.LBB6_23773:                            ;   in Loop: Header=BB6_22365 Depth=3
	s_or_b32 exec_lo, exec_lo, s76
                                        ; implicit-def: $vgpr4
.LBB6_23774:                            ;   in Loop: Header=BB6_22365 Depth=3
	s_and_not1_saveexec_b32 s13, s75
; %bb.23775:                            ;   in Loop: Header=BB6_22365 Depth=3
	v_or_b32_e32 v66, 0x7b, v4
; %bb.23776:                            ;   in Loop: Header=BB6_22365 Depth=3
	s_or_b32 exec_lo, exec_lo, s13
                                        ; implicit-def: $vgpr2
                                        ; implicit-def: $vgpr0_vgpr1
                                        ; implicit-def: $vgpr3
.LBB6_23777:                            ;   in Loop: Header=BB6_22365 Depth=3
	s_and_not1_saveexec_b32 s13, s74
	s_cbranch_execz .LBB6_23783
; %bb.23778:                            ;   in Loop: Header=BB6_22365 Depth=3
	s_mov_b32 s74, exec_lo
                                        ; implicit-def: $vgpr66
	v_cmpx_ne_u64_e32 0, v[0:1]
	s_xor_b32 s74, exec_lo, s74
; %bb.23779:                            ;   in Loop: Header=BB6_22365 Depth=3
	v_or_b32_e32 v66, 0x7f, v3
                                        ; implicit-def: $vgpr2
; %bb.23780:                            ;   in Loop: Header=BB6_22365 Depth=3
	s_and_not1_saveexec_b32 s74, s74
; %bb.23781:                            ;   in Loop: Header=BB6_22365 Depth=3
	v_cmp_lt_i32_e32 vcc_lo, -1, v2
	v_mov_b32_e32 v0, 0x7c
	s_delay_alu instid0(VALU_DEP_1)
	v_cndmask_b32_e32 v66, 0xfc, v0, vcc_lo
; %bb.23782:                            ;   in Loop: Header=BB6_22365 Depth=3
	s_or_b32 exec_lo, exec_lo, s74
.LBB6_23783:                            ;   in Loop: Header=BB6_22365 Depth=3
	s_delay_alu instid0(SALU_CYCLE_1)
	s_or_b32 exec_lo, exec_lo, s13
	v_mov_b32_e32 v1, 0
	s_mov_b32 s74, exec_lo
	v_cmpx_lt_u64_e64 s[22:23], v[10:11]
	s_cbranch_execz .LBB6_23793
; %bb.23784:                            ;   in Loop: Header=BB6_22365 Depth=3
	v_lshrrev_b32_e32 v0, 24, v11
	v_bfrev_b32_e32 v1, 1
	s_mov_b32 s75, exec_lo
	s_delay_alu instid0(VALU_DEP_2)
	v_cmpx_ne_u32_e32 0x80, v0
	s_cbranch_execz .LBB6_23792
; %bb.23785:                            ;   in Loop: Header=BB6_22365 Depth=3
	v_and_b32_e32 v1, 0x7c000000, v11
	v_bfe_u32 v2, v11, 24, 2
	s_delay_alu instid0(VALU_DEP_2) | instskip(SKIP_1) | instid1(SALU_CYCLE_1)
	v_cmp_ne_u32_e32 vcc_lo, 0x7c000000, v1
                                        ; implicit-def: $vgpr1
	s_and_saveexec_b32 s13, vcc_lo
	s_xor_b32 s13, exec_lo, s13
	s_cbranch_execz .LBB6_23789
; %bb.23786:                            ;   in Loop: Header=BB6_22365 Depth=3
	v_bfe_u32 v1, v11, 26, 5
	s_mov_b32 s76, exec_lo
	s_delay_alu instid0(VALU_DEP_1)
	v_cmpx_eq_u32_e32 0, v1
; %bb.23787:                            ;   in Loop: Header=BB6_22365 Depth=3
	v_clz_i32_u32_e32 v1, v2
	s_delay_alu instid0(VALU_DEP_1) | instskip(NEXT) | instid1(VALU_DEP_1)
	v_min_u32_e32 v2, 32, v1
	v_subrev_nc_u32_e32 v1, 29, v2
	s_delay_alu instid0(VALU_DEP_1) | instskip(NEXT) | instid1(VALU_DEP_1)
	v_lshlrev_b64_e32 v[0:1], v1, v[0:1]
	v_dual_sub_nc_u32 v1, 30, v2 :: v_dual_bitop2_b32 v2, 3, v0 bitop3:0x40
; %bb.23788:                            ;   in Loop: Header=BB6_22365 Depth=3
	s_or_b32 exec_lo, exec_lo, s76
	v_and_b32_e32 v0, 0x80000000, v11
                                        ; implicit-def: $vgpr10_vgpr11
	s_delay_alu instid0(VALU_DEP_1) | instskip(NEXT) | instid1(VALU_DEP_1)
	v_lshl_add_u32 v0, v1, 23, v0
	v_lshl_or_b32 v0, v2, 21, v0
                                        ; implicit-def: $vgpr2
	s_delay_alu instid0(VALU_DEP_1)
	v_add_nc_u32_e32 v1, 0x38000000, v0
.LBB6_23789:                            ;   in Loop: Header=BB6_22365 Depth=3
	s_and_not1_saveexec_b32 s76, s13
; %bb.23790:                            ;   in Loop: Header=BB6_22365 Depth=3
	v_cmp_lt_i64_e64 s13, -1, v[10:11]
	v_mov_b32_e32 v0, 0x7f800000
	v_cmp_eq_u32_e32 vcc_lo, 0, v2
	s_delay_alu instid0(VALU_DEP_2) | instskip(NEXT) | instid1(VALU_DEP_1)
	v_cndmask_b32_e64 v0, 0xff800000, v0, s13
	v_cndmask_b32_e32 v1, 0x7f800001, v0, vcc_lo
; %bb.23791:                            ;   in Loop: Header=BB6_22365 Depth=3
	s_or_b32 exec_lo, exec_lo, s76
.LBB6_23792:                            ;   in Loop: Header=BB6_22365 Depth=3
	s_delay_alu instid0(SALU_CYCLE_1)
	s_or_b32 exec_lo, exec_lo, s75
.LBB6_23793:                            ;   in Loop: Header=BB6_22365 Depth=3
	s_delay_alu instid0(SALU_CYCLE_1) | instskip(NEXT) | instid1(VALU_DEP_1)
	s_or_b32 exec_lo, exec_lo, s74
	v_dual_mul_f32 v2, s73, v1 :: v_dual_mov_b32 v5, v113
	v_mov_b32_e32 v1, v113
                                        ; implicit-def: $vgpr69
	s_mov_b32 s13, exec_lo
	s_delay_alu instid0(VALU_DEP_2) | instskip(SKIP_2) | instid1(VALU_DEP_3)
	v_and_b32_e32 v4, 0x7f800000, v2
	v_and_b32_e32 v0, 0x7fffff, v2
	v_lshrrev_b32_e32 v3, 24, v2
	v_cmpx_ne_u64_e32 0x7f800000, v[4:5]
	s_xor_b32 s74, exec_lo, s13
	s_cbranch_execz .LBB6_23807
; %bb.23794:                            ;   in Loop: Header=BB6_22365 Depth=3
	v_and_b32_e32 v4, 0x7fffffff, v2
	v_mov_b32_e32 v5, v113
                                        ; implicit-def: $vgpr69
	s_delay_alu instid0(VALU_DEP_1) | instskip(SKIP_2) | instid1(SALU_CYCLE_1)
	v_cmp_gt_u64_e32 vcc_lo, 0x47600001, v[4:5]
	v_and_b32_e32 v4, 0x80, v3
	s_and_saveexec_b32 s13, vcc_lo
	s_xor_b32 s75, exec_lo, s13
	s_cbranch_execz .LBB6_23804
; %bb.23795:                            ;   in Loop: Header=BB6_22365 Depth=3
	v_mov_b32_e32 v69, 0
	s_mov_b32 s76, exec_lo
	v_cmpx_ne_u32_e32 0, v2
	s_cbranch_execz .LBB6_23803
; %bb.23796:                            ;   in Loop: Header=BB6_22365 Depth=3
	v_bfe_u32 v5, v2, 23, 8
	v_or_b32_e32 v3, 0x800000, v0
	s_delay_alu instid0(VALU_DEP_2) | instskip(SKIP_2) | instid1(VALU_DEP_2)
	v_cmp_gt_u32_e64 s13, 0x72, v5
	v_sub_nc_u32_e32 v2, 0x71, v5
	v_cmp_eq_u32_e32 vcc_lo, 0, v5
	v_dual_cndmask_b32 v2, 0, v2, s13 :: v_dual_cndmask_b32 v0, v3, v0, vcc_lo
	s_delay_alu instid0(VALU_DEP_1) | instskip(NEXT) | instid1(VALU_DEP_1)
	v_cndmask_b32_e64 v8, v2, 0x70, vcc_lo
	v_dual_add_nc_u32 v2, 21, v8 :: v_dual_add_nc_u32 v9, 20, v8
	s_delay_alu instid0(VALU_DEP_1) | instskip(NEXT) | instid1(VALU_DEP_2)
	v_lshlrev_b64_e64 v[2:3], v2, -1
	v_lshlrev_b64_e64 v[10:11], v9, 1
	s_delay_alu instid0(VALU_DEP_2) | instskip(SKIP_1) | instid1(VALU_DEP_4)
	v_bfi_b32 v2, v2, 0, v0
	v_lshrrev_b64 v[0:1], v8, v[0:1]
	v_bfi_b32 v3, v3, 0, 0
	s_delay_alu instid0(VALU_DEP_1) | instskip(NEXT) | instid1(VALU_DEP_3)
	v_cmp_eq_u64_e64 s13, v[2:3], v[10:11]
	v_mov_b64_e32 v[2:3], v[0:1]
	s_and_saveexec_b32 s77, s13
; %bb.23797:                            ;   in Loop: Header=BB6_22365 Depth=3
	v_bfe_u32 v2, v0, 21, 1
	v_mov_b32_e32 v3, v113
	s_delay_alu instid0(VALU_DEP_1) | instskip(NEXT) | instid1(VALU_DEP_1)
	v_add_nc_u64_e32 v[2:3], v[0:1], v[2:3]
	v_add_nc_u64_e32 v[2:3], -1, v[2:3]
; %bb.23798:                            ;   in Loop: Header=BB6_22365 Depth=3
	s_or_b32 exec_lo, exec_lo, s77
	v_add_nc_u32_e32 v1, 0xffffff81, v5
	v_lshrrev_b32_e32 v3, 23, v0
	s_mov_b32 s13, exec_lo
	s_delay_alu instid0(VALU_DEP_2) | instskip(NEXT) | instid1(VALU_DEP_1)
	v_cndmask_b32_e64 v1, v1, 0xffffff82, vcc_lo
	v_add3_u32 v5, v8, v1, v3
	v_and_b32_e32 v1, 0x1fffff, v2
                                        ; implicit-def: $vgpr2
	s_delay_alu instid0(VALU_DEP_1) | instskip(SKIP_1) | instid1(VALU_DEP_2)
	v_dual_add_nc_u32 v3, 14, v5 :: v_dual_add_nc_u32 v0, v1, v0
	v_mov_b32_e32 v1, v113
	v_cmpx_ne_u32_e32 0, v3
	s_xor_b32 s13, exec_lo, s13
; %bb.23799:                            ;   in Loop: Header=BB6_22365 Depth=3
	s_delay_alu instid0(VALU_DEP_2) | instskip(SKIP_1) | instid1(VALU_DEP_1)
	v_cmp_lt_u64_e32 vcc_lo, 0xffffff, v[0:1]
	v_add_nc_u32_e32 v2, 15, v5
	v_cndmask_b32_e32 v2, v3, v2, vcc_lo
	v_cndmask_b32_e64 v3, 0, 1, vcc_lo
	s_delay_alu instid0(VALU_DEP_1)
	v_lshrrev_b64 v[0:1], v3, v[0:1]
; %bb.23800:                            ;   in Loop: Header=BB6_22365 Depth=3
	s_and_not1_saveexec_b32 s13, s13
; %bb.23801:                            ;   in Loop: Header=BB6_22365 Depth=3
	s_delay_alu instid0(VALU_DEP_1)
	v_bfe_u32 v2, v0, 23, 1
; %bb.23802:                            ;   in Loop: Header=BB6_22365 Depth=3
	s_or_b32 exec_lo, exec_lo, s13
	s_delay_alu instid0(VALU_DEP_2) | instskip(NEXT) | instid1(VALU_DEP_2)
	v_lshrrev_b64 v[0:1], 21, v[0:1]
	v_cmp_gt_i32_e32 vcc_lo, 32, v2
	v_min_i32_e32 v3, 31, v2
	v_cmp_eq_u32_e64 s13, 0, v2
	s_delay_alu instid0(VALU_DEP_2) | instskip(SKIP_1) | instid1(VALU_DEP_2)
	v_dual_cndmask_b32 v1, 0, v1, vcc_lo :: v_dual_lshlrev_b32 v3, 2, v3
	v_cndmask_b32_e32 v0, 3, v0, vcc_lo
	v_and_b32_e32 v3, 0xfc, v3
	s_delay_alu instid0(VALU_DEP_2) | instskip(NEXT) | instid1(VALU_DEP_2)
	v_cmp_eq_u64_e32 vcc_lo, 0, v[0:1]
	v_and_or_b32 v0, v0, 3, v3
	s_and_b32 s13, s13, vcc_lo
	s_delay_alu instid0(VALU_DEP_1) | instid1(SALU_CYCLE_1)
	v_cndmask_b32_e64 v0, v0, 0, s13
	s_delay_alu instid0(VALU_DEP_1)
	v_or_b32_e32 v69, v0, v4
.LBB6_23803:                            ;   in Loop: Header=BB6_22365 Depth=3
	s_or_b32 exec_lo, exec_lo, s76
                                        ; implicit-def: $vgpr4
.LBB6_23804:                            ;   in Loop: Header=BB6_22365 Depth=3
	s_and_not1_saveexec_b32 s13, s75
; %bb.23805:                            ;   in Loop: Header=BB6_22365 Depth=3
	v_or_b32_e32 v69, 0x7b, v4
; %bb.23806:                            ;   in Loop: Header=BB6_22365 Depth=3
	s_or_b32 exec_lo, exec_lo, s13
                                        ; implicit-def: $vgpr2
                                        ; implicit-def: $vgpr0_vgpr1
                                        ; implicit-def: $vgpr3
.LBB6_23807:                            ;   in Loop: Header=BB6_22365 Depth=3
	s_and_not1_saveexec_b32 s13, s74
	s_cbranch_execz .LBB6_23813
; %bb.23808:                            ;   in Loop: Header=BB6_22365 Depth=3
	s_mov_b32 s74, exec_lo
                                        ; implicit-def: $vgpr69
	v_cmpx_ne_u64_e32 0, v[0:1]
	s_xor_b32 s74, exec_lo, s74
; %bb.23809:                            ;   in Loop: Header=BB6_22365 Depth=3
	v_or_b32_e32 v69, 0x7f, v3
                                        ; implicit-def: $vgpr2
; %bb.23810:                            ;   in Loop: Header=BB6_22365 Depth=3
	s_and_not1_saveexec_b32 s74, s74
; %bb.23811:                            ;   in Loop: Header=BB6_22365 Depth=3
	v_cmp_lt_i32_e32 vcc_lo, -1, v2
	v_mov_b32_e32 v0, 0x7c
	s_delay_alu instid0(VALU_DEP_1)
	v_cndmask_b32_e32 v69, 0xfc, v0, vcc_lo
; %bb.23812:                            ;   in Loop: Header=BB6_22365 Depth=3
	s_or_b32 exec_lo, exec_lo, s74
.LBB6_23813:                            ;   in Loop: Header=BB6_22365 Depth=3
	s_delay_alu instid0(SALU_CYCLE_1) | instskip(SKIP_3) | instid1(VALU_DEP_1)
	s_or_b32 exec_lo, exec_lo, s13
	global_load_b128 v[8:11], v[60:61], off offset:1536 th:TH_LOAD_NT
	s_wait_loadcnt 0x0
	v_and_b32_e32 v0, 0xff, v8
	v_cmp_ne_u16_e32 vcc_lo, 0, v0
	v_mov_b32_e32 v0, 0
	s_wait_xcnt 0x0
	s_and_saveexec_b32 s74, vcc_lo
	s_cbranch_execz .LBB6_23823
; %bb.23814:                            ;   in Loop: Header=BB6_22365 Depth=3
	v_bfe_i32 v2, v8, 0, 8
	v_bfrev_b32_e32 v0, 1
	s_mov_b32 s75, exec_lo
	s_delay_alu instid0(VALU_DEP_2)
	v_cmpx_ne_u16_e32 0xff80, v2
	s_cbranch_execz .LBB6_23822
; %bb.23815:                            ;   in Loop: Header=BB6_22365 Depth=3
	v_and_b32_e32 v0, 0x7c, v8
	v_and_b32_e32 v1, 3, v8
	s_delay_alu instid0(VALU_DEP_2) | instskip(SKIP_1) | instid1(SALU_CYCLE_1)
	v_cmp_ne_u32_e32 vcc_lo, 0x7c, v0
                                        ; implicit-def: $vgpr0
	s_and_saveexec_b32 s13, vcc_lo
	s_xor_b32 s13, exec_lo, s13
	s_cbranch_execz .LBB6_23819
; %bb.23816:                            ;   in Loop: Header=BB6_22365 Depth=3
	v_bfe_u32 v0, v8, 2, 5
	s_mov_b32 s76, exec_lo
	s_delay_alu instid0(VALU_DEP_1)
	v_cmpx_eq_u32_e32 0, v0
; %bb.23817:                            ;   in Loop: Header=BB6_22365 Depth=3
	v_clz_i32_u32_e32 v0, v1
	s_delay_alu instid0(VALU_DEP_1) | instskip(NEXT) | instid1(VALU_DEP_1)
	v_min_u32_e32 v0, 32, v0
	v_subrev_nc_u32_e32 v1, 29, v0
	s_delay_alu instid0(VALU_DEP_1) | instskip(NEXT) | instid1(VALU_DEP_1)
	v_lshlrev_b64_e32 v[2:3], v1, v[8:9]
	v_dual_sub_nc_u32 v0, 30, v0 :: v_dual_bitop2_b32 v1, 3, v2 bitop3:0x40
; %bb.23818:                            ;   in Loop: Header=BB6_22365 Depth=3
	s_or_b32 exec_lo, exec_lo, s76
	v_lshlrev_b32_e32 v2, 24, v8
	s_delay_alu instid0(VALU_DEP_1) | instskip(NEXT) | instid1(VALU_DEP_1)
	v_and_b32_e32 v2, 0x80000000, v2
	v_lshl_add_u32 v0, v0, 23, v2
                                        ; implicit-def: $vgpr2
	s_delay_alu instid0(VALU_DEP_1) | instskip(NEXT) | instid1(VALU_DEP_1)
	v_lshl_or_b32 v0, v1, 21, v0
                                        ; implicit-def: $vgpr1
	v_add_nc_u32_e32 v0, 0x38000000, v0
.LBB6_23819:                            ;   in Loop: Header=BB6_22365 Depth=3
	s_and_not1_saveexec_b32 s76, s13
; %bb.23820:                            ;   in Loop: Header=BB6_22365 Depth=3
	v_cmp_lt_i16_e64 s13, -1, v2
	v_mov_b32_e32 v0, 0x7f800000
	v_cmp_eq_u32_e32 vcc_lo, 0, v1
	s_delay_alu instid0(VALU_DEP_2) | instskip(NEXT) | instid1(VALU_DEP_1)
	v_cndmask_b32_e64 v0, 0xff800000, v0, s13
	v_cndmask_b32_e32 v0, 0x7f800001, v0, vcc_lo
; %bb.23821:                            ;   in Loop: Header=BB6_22365 Depth=3
	s_or_b32 exec_lo, exec_lo, s76
.LBB6_23822:                            ;   in Loop: Header=BB6_22365 Depth=3
	s_delay_alu instid0(SALU_CYCLE_1)
	s_or_b32 exec_lo, exec_lo, s75
.LBB6_23823:                            ;   in Loop: Header=BB6_22365 Depth=3
	s_delay_alu instid0(SALU_CYCLE_1) | instskip(NEXT) | instid1(VALU_DEP_1)
	s_or_b32 exec_lo, exec_lo, s74
	v_dual_mul_f32 v2, s73, v0 :: v_dual_mov_b32 v5, v113
	v_mov_b32_e32 v1, v113
                                        ; implicit-def: $vgpr35
	s_mov_b32 s13, exec_lo
	s_delay_alu instid0(VALU_DEP_2) | instskip(SKIP_2) | instid1(VALU_DEP_3)
	v_and_b32_e32 v4, 0x7f800000, v2
	v_and_b32_e32 v0, 0x7fffff, v2
	v_lshrrev_b32_e32 v3, 24, v2
	v_cmpx_ne_u64_e32 0x7f800000, v[4:5]
	s_xor_b32 s74, exec_lo, s13
	s_cbranch_execz .LBB6_23837
; %bb.23824:                            ;   in Loop: Header=BB6_22365 Depth=3
	v_and_b32_e32 v4, 0x7fffffff, v2
	v_mov_b32_e32 v5, v113
                                        ; implicit-def: $vgpr35
	s_delay_alu instid0(VALU_DEP_1) | instskip(SKIP_2) | instid1(SALU_CYCLE_1)
	v_cmp_gt_u64_e32 vcc_lo, 0x47600001, v[4:5]
	v_and_b32_e32 v4, 0x80, v3
	s_and_saveexec_b32 s13, vcc_lo
	s_xor_b32 s75, exec_lo, s13
	s_cbranch_execz .LBB6_23834
; %bb.23825:                            ;   in Loop: Header=BB6_22365 Depth=3
	v_mov_b32_e32 v35, 0
	s_mov_b32 s76, exec_lo
	v_cmpx_ne_u32_e32 0, v2
	s_cbranch_execz .LBB6_23833
; %bb.23826:                            ;   in Loop: Header=BB6_22365 Depth=3
	v_bfe_u32 v5, v2, 23, 8
	v_or_b32_e32 v3, 0x800000, v0
	s_delay_alu instid0(VALU_DEP_2) | instskip(SKIP_2) | instid1(VALU_DEP_2)
	v_cmp_gt_u32_e64 s13, 0x72, v5
	v_sub_nc_u32_e32 v2, 0x71, v5
	v_cmp_eq_u32_e32 vcc_lo, 0, v5
	v_dual_cndmask_b32 v2, 0, v2, s13 :: v_dual_cndmask_b32 v0, v3, v0, vcc_lo
	s_delay_alu instid0(VALU_DEP_1) | instskip(NEXT) | instid1(VALU_DEP_1)
	v_cndmask_b32_e64 v12, v2, 0x70, vcc_lo
	v_dual_add_nc_u32 v2, 21, v12 :: v_dual_add_nc_u32 v13, 20, v12
	s_delay_alu instid0(VALU_DEP_1) | instskip(NEXT) | instid1(VALU_DEP_2)
	v_lshlrev_b64_e64 v[2:3], v2, -1
	v_lshlrev_b64_e64 v[14:15], v13, 1
	s_delay_alu instid0(VALU_DEP_2) | instskip(SKIP_1) | instid1(VALU_DEP_4)
	v_bfi_b32 v2, v2, 0, v0
	v_lshrrev_b64 v[0:1], v12, v[0:1]
	v_bfi_b32 v3, v3, 0, 0
	s_delay_alu instid0(VALU_DEP_1) | instskip(NEXT) | instid1(VALU_DEP_3)
	v_cmp_eq_u64_e64 s13, v[2:3], v[14:15]
	v_mov_b64_e32 v[2:3], v[0:1]
	s_and_saveexec_b32 s77, s13
; %bb.23827:                            ;   in Loop: Header=BB6_22365 Depth=3
	v_bfe_u32 v2, v0, 21, 1
	v_mov_b32_e32 v3, v113
	s_delay_alu instid0(VALU_DEP_1) | instskip(NEXT) | instid1(VALU_DEP_1)
	v_add_nc_u64_e32 v[2:3], v[0:1], v[2:3]
	v_add_nc_u64_e32 v[2:3], -1, v[2:3]
; %bb.23828:                            ;   in Loop: Header=BB6_22365 Depth=3
	s_or_b32 exec_lo, exec_lo, s77
	v_add_nc_u32_e32 v1, 0xffffff81, v5
	v_lshrrev_b32_e32 v3, 23, v0
	s_mov_b32 s13, exec_lo
	s_delay_alu instid0(VALU_DEP_2) | instskip(NEXT) | instid1(VALU_DEP_1)
	v_cndmask_b32_e64 v1, v1, 0xffffff82, vcc_lo
	v_add3_u32 v5, v12, v1, v3
	v_and_b32_e32 v1, 0x1fffff, v2
                                        ; implicit-def: $vgpr2
	s_delay_alu instid0(VALU_DEP_1) | instskip(SKIP_1) | instid1(VALU_DEP_2)
	v_dual_add_nc_u32 v3, 14, v5 :: v_dual_add_nc_u32 v0, v1, v0
	v_mov_b32_e32 v1, v113
	v_cmpx_ne_u32_e32 0, v3
	s_xor_b32 s13, exec_lo, s13
; %bb.23829:                            ;   in Loop: Header=BB6_22365 Depth=3
	s_delay_alu instid0(VALU_DEP_2) | instskip(SKIP_1) | instid1(VALU_DEP_1)
	v_cmp_lt_u64_e32 vcc_lo, 0xffffff, v[0:1]
	v_add_nc_u32_e32 v2, 15, v5
	v_cndmask_b32_e32 v2, v3, v2, vcc_lo
	v_cndmask_b32_e64 v3, 0, 1, vcc_lo
	s_delay_alu instid0(VALU_DEP_1)
	v_lshrrev_b64 v[0:1], v3, v[0:1]
; %bb.23830:                            ;   in Loop: Header=BB6_22365 Depth=3
	s_and_not1_saveexec_b32 s13, s13
; %bb.23831:                            ;   in Loop: Header=BB6_22365 Depth=3
	s_delay_alu instid0(VALU_DEP_1)
	v_bfe_u32 v2, v0, 23, 1
; %bb.23832:                            ;   in Loop: Header=BB6_22365 Depth=3
	s_or_b32 exec_lo, exec_lo, s13
	s_delay_alu instid0(VALU_DEP_2) | instskip(NEXT) | instid1(VALU_DEP_2)
	v_lshrrev_b64 v[0:1], 21, v[0:1]
	v_cmp_gt_i32_e32 vcc_lo, 32, v2
	v_min_i32_e32 v3, 31, v2
	v_cmp_eq_u32_e64 s13, 0, v2
	s_delay_alu instid0(VALU_DEP_2) | instskip(SKIP_1) | instid1(VALU_DEP_2)
	v_dual_cndmask_b32 v1, 0, v1, vcc_lo :: v_dual_lshlrev_b32 v3, 2, v3
	v_cndmask_b32_e32 v0, 3, v0, vcc_lo
	v_and_b32_e32 v3, 0xfc, v3
	s_delay_alu instid0(VALU_DEP_2) | instskip(NEXT) | instid1(VALU_DEP_2)
	v_cmp_eq_u64_e32 vcc_lo, 0, v[0:1]
	v_and_or_b32 v0, v0, 3, v3
	s_and_b32 s13, s13, vcc_lo
	s_delay_alu instid0(VALU_DEP_1) | instid1(SALU_CYCLE_1)
	v_cndmask_b32_e64 v0, v0, 0, s13
	s_delay_alu instid0(VALU_DEP_1)
	v_or_b32_e32 v35, v0, v4
.LBB6_23833:                            ;   in Loop: Header=BB6_22365 Depth=3
	s_or_b32 exec_lo, exec_lo, s76
                                        ; implicit-def: $vgpr4
.LBB6_23834:                            ;   in Loop: Header=BB6_22365 Depth=3
	s_and_not1_saveexec_b32 s13, s75
; %bb.23835:                            ;   in Loop: Header=BB6_22365 Depth=3
	v_or_b32_e32 v35, 0x7b, v4
; %bb.23836:                            ;   in Loop: Header=BB6_22365 Depth=3
	s_or_b32 exec_lo, exec_lo, s13
                                        ; implicit-def: $vgpr2
                                        ; implicit-def: $vgpr0_vgpr1
                                        ; implicit-def: $vgpr3
.LBB6_23837:                            ;   in Loop: Header=BB6_22365 Depth=3
	s_and_not1_saveexec_b32 s13, s74
	s_cbranch_execz .LBB6_23843
; %bb.23838:                            ;   in Loop: Header=BB6_22365 Depth=3
	s_mov_b32 s74, exec_lo
                                        ; implicit-def: $vgpr35
	v_cmpx_ne_u64_e32 0, v[0:1]
	s_xor_b32 s74, exec_lo, s74
; %bb.23839:                            ;   in Loop: Header=BB6_22365 Depth=3
	v_or_b32_e32 v35, 0x7f, v3
                                        ; implicit-def: $vgpr2
; %bb.23840:                            ;   in Loop: Header=BB6_22365 Depth=3
	s_and_not1_saveexec_b32 s74, s74
; %bb.23841:                            ;   in Loop: Header=BB6_22365 Depth=3
	v_cmp_lt_i32_e32 vcc_lo, -1, v2
	v_mov_b32_e32 v0, 0x7c
	s_delay_alu instid0(VALU_DEP_1)
	v_cndmask_b32_e32 v35, 0xfc, v0, vcc_lo
; %bb.23842:                            ;   in Loop: Header=BB6_22365 Depth=3
	s_or_b32 exec_lo, exec_lo, s74
.LBB6_23843:                            ;   in Loop: Header=BB6_22365 Depth=3
	s_delay_alu instid0(SALU_CYCLE_1) | instskip(SKIP_3) | instid1(VALU_DEP_2)
	s_or_b32 exec_lo, exec_lo, s13
	v_lshrrev_b16 v0, 8, v8
	v_mov_b32_e32 v1, 0
	s_mov_b32 s74, exec_lo
	v_cmpx_ne_u16_e32 0, v0
	s_cbranch_execz .LBB6_23853
; %bb.23844:                            ;   in Loop: Header=BB6_22365 Depth=3
	v_bfrev_b32_e32 v1, 1
	s_mov_b32 s75, exec_lo
	v_cmpx_ne_u16_e32 0x80, v0
	s_cbranch_execz .LBB6_23852
; %bb.23845:                            ;   in Loop: Header=BB6_22365 Depth=3
	v_and_b32_e32 v3, 0xffff, v0
	s_delay_alu instid0(VALU_DEP_1) | instskip(SKIP_1) | instid1(VALU_DEP_2)
	v_and_b32_e32 v1, 0x7c, v3
	v_and_b32_e32 v2, 3, v3
	v_cmp_ne_u32_e32 vcc_lo, 0x7c, v1
                                        ; implicit-def: $vgpr1
	s_and_saveexec_b32 s13, vcc_lo
	s_delay_alu instid0(SALU_CYCLE_1)
	s_xor_b32 s13, exec_lo, s13
	s_cbranch_execz .LBB6_23849
; %bb.23846:                            ;   in Loop: Header=BB6_22365 Depth=3
	v_bfe_u32 v1, v3, 2, 5
	s_mov_b32 s76, exec_lo
	s_delay_alu instid0(VALU_DEP_1)
	v_cmpx_eq_u32_e32 0, v1
; %bb.23847:                            ;   in Loop: Header=BB6_22365 Depth=3
	v_clz_i32_u32_e32 v1, v2
	s_delay_alu instid0(VALU_DEP_1) | instskip(SKIP_1) | instid1(VALU_DEP_2)
	v_min_u32_e32 v2, 32, v1
	v_mov_b32_e32 v1, v113
	v_subrev_nc_u32_e32 v3, 29, v2
	s_delay_alu instid0(VALU_DEP_1) | instskip(NEXT) | instid1(VALU_DEP_1)
	v_lshlrev_b64_e32 v[0:1], v3, v[0:1]
	v_dual_sub_nc_u32 v1, 30, v2 :: v_dual_bitop2_b32 v2, 3, v0 bitop3:0x40
; %bb.23848:                            ;   in Loop: Header=BB6_22365 Depth=3
	s_or_b32 exec_lo, exec_lo, s76
	v_lshlrev_b32_e32 v0, 16, v8
	s_delay_alu instid0(VALU_DEP_1) | instskip(NEXT) | instid1(VALU_DEP_1)
	v_and_b32_e32 v0, 0x80000000, v0
	v_lshl_add_u32 v0, v1, 23, v0
	s_delay_alu instid0(VALU_DEP_1) | instskip(NEXT) | instid1(VALU_DEP_1)
	v_lshl_or_b32 v0, v2, 21, v0
                                        ; implicit-def: $vgpr2
	v_add_nc_u32_e32 v1, 0x38000000, v0
.LBB6_23849:                            ;   in Loop: Header=BB6_22365 Depth=3
	s_and_not1_saveexec_b32 s76, s13
; %bb.23850:                            ;   in Loop: Header=BB6_22365 Depth=3
	v_cmp_lt_i16_e64 s13, -1, v8
	v_mov_b32_e32 v0, 0x7f800000
	v_cmp_eq_u32_e32 vcc_lo, 0, v2
	s_delay_alu instid0(VALU_DEP_2) | instskip(NEXT) | instid1(VALU_DEP_1)
	v_cndmask_b32_e64 v0, 0xff800000, v0, s13
	v_cndmask_b32_e32 v1, 0x7f800001, v0, vcc_lo
; %bb.23851:                            ;   in Loop: Header=BB6_22365 Depth=3
	s_or_b32 exec_lo, exec_lo, s76
.LBB6_23852:                            ;   in Loop: Header=BB6_22365 Depth=3
	s_delay_alu instid0(SALU_CYCLE_1)
	s_or_b32 exec_lo, exec_lo, s75
.LBB6_23853:                            ;   in Loop: Header=BB6_22365 Depth=3
	s_delay_alu instid0(SALU_CYCLE_1) | instskip(NEXT) | instid1(VALU_DEP_1)
	s_or_b32 exec_lo, exec_lo, s74
	v_dual_mul_f32 v2, s73, v1 :: v_dual_mov_b32 v5, v113
	v_mov_b32_e32 v1, v113
                                        ; implicit-def: $vgpr49
	s_mov_b32 s13, exec_lo
	s_delay_alu instid0(VALU_DEP_2) | instskip(SKIP_2) | instid1(VALU_DEP_3)
	v_and_b32_e32 v4, 0x7f800000, v2
	v_and_b32_e32 v0, 0x7fffff, v2
	v_lshrrev_b32_e32 v3, 24, v2
	v_cmpx_ne_u64_e32 0x7f800000, v[4:5]
	s_xor_b32 s74, exec_lo, s13
	s_cbranch_execz .LBB6_23867
; %bb.23854:                            ;   in Loop: Header=BB6_22365 Depth=3
	v_and_b32_e32 v4, 0x7fffffff, v2
	v_mov_b32_e32 v5, v113
                                        ; implicit-def: $vgpr49
	s_delay_alu instid0(VALU_DEP_1) | instskip(SKIP_2) | instid1(SALU_CYCLE_1)
	v_cmp_gt_u64_e32 vcc_lo, 0x47600001, v[4:5]
	v_and_b32_e32 v4, 0x80, v3
	s_and_saveexec_b32 s13, vcc_lo
	s_xor_b32 s75, exec_lo, s13
	s_cbranch_execz .LBB6_23864
; %bb.23855:                            ;   in Loop: Header=BB6_22365 Depth=3
	v_mov_b32_e32 v49, 0
	s_mov_b32 s76, exec_lo
	v_cmpx_ne_u32_e32 0, v2
	s_cbranch_execz .LBB6_23863
; %bb.23856:                            ;   in Loop: Header=BB6_22365 Depth=3
	v_bfe_u32 v5, v2, 23, 8
	v_or_b32_e32 v3, 0x800000, v0
	s_delay_alu instid0(VALU_DEP_2) | instskip(SKIP_2) | instid1(VALU_DEP_2)
	v_cmp_gt_u32_e64 s13, 0x72, v5
	v_sub_nc_u32_e32 v2, 0x71, v5
	v_cmp_eq_u32_e32 vcc_lo, 0, v5
	v_dual_cndmask_b32 v2, 0, v2, s13 :: v_dual_cndmask_b32 v0, v3, v0, vcc_lo
	s_delay_alu instid0(VALU_DEP_1) | instskip(NEXT) | instid1(VALU_DEP_1)
	v_cndmask_b32_e64 v12, v2, 0x70, vcc_lo
	v_dual_add_nc_u32 v2, 21, v12 :: v_dual_add_nc_u32 v13, 20, v12
	s_delay_alu instid0(VALU_DEP_1) | instskip(NEXT) | instid1(VALU_DEP_2)
	v_lshlrev_b64_e64 v[2:3], v2, -1
	v_lshlrev_b64_e64 v[14:15], v13, 1
	s_delay_alu instid0(VALU_DEP_2) | instskip(SKIP_1) | instid1(VALU_DEP_4)
	v_bfi_b32 v2, v2, 0, v0
	v_lshrrev_b64 v[0:1], v12, v[0:1]
	v_bfi_b32 v3, v3, 0, 0
	s_delay_alu instid0(VALU_DEP_1) | instskip(NEXT) | instid1(VALU_DEP_3)
	v_cmp_eq_u64_e64 s13, v[2:3], v[14:15]
	v_mov_b64_e32 v[2:3], v[0:1]
	s_and_saveexec_b32 s77, s13
; %bb.23857:                            ;   in Loop: Header=BB6_22365 Depth=3
	v_bfe_u32 v2, v0, 21, 1
	v_mov_b32_e32 v3, v113
	s_delay_alu instid0(VALU_DEP_1) | instskip(NEXT) | instid1(VALU_DEP_1)
	v_add_nc_u64_e32 v[2:3], v[0:1], v[2:3]
	v_add_nc_u64_e32 v[2:3], -1, v[2:3]
; %bb.23858:                            ;   in Loop: Header=BB6_22365 Depth=3
	s_or_b32 exec_lo, exec_lo, s77
	v_add_nc_u32_e32 v1, 0xffffff81, v5
	v_lshrrev_b32_e32 v3, 23, v0
	s_mov_b32 s13, exec_lo
	s_delay_alu instid0(VALU_DEP_2) | instskip(NEXT) | instid1(VALU_DEP_1)
	v_cndmask_b32_e64 v1, v1, 0xffffff82, vcc_lo
	v_add3_u32 v5, v12, v1, v3
	v_and_b32_e32 v1, 0x1fffff, v2
                                        ; implicit-def: $vgpr2
	s_delay_alu instid0(VALU_DEP_1) | instskip(SKIP_1) | instid1(VALU_DEP_2)
	v_dual_add_nc_u32 v3, 14, v5 :: v_dual_add_nc_u32 v0, v1, v0
	v_mov_b32_e32 v1, v113
	v_cmpx_ne_u32_e32 0, v3
	s_xor_b32 s13, exec_lo, s13
; %bb.23859:                            ;   in Loop: Header=BB6_22365 Depth=3
	s_delay_alu instid0(VALU_DEP_2) | instskip(SKIP_1) | instid1(VALU_DEP_1)
	v_cmp_lt_u64_e32 vcc_lo, 0xffffff, v[0:1]
	v_add_nc_u32_e32 v2, 15, v5
	v_cndmask_b32_e32 v2, v3, v2, vcc_lo
	v_cndmask_b32_e64 v3, 0, 1, vcc_lo
	s_delay_alu instid0(VALU_DEP_1)
	v_lshrrev_b64 v[0:1], v3, v[0:1]
; %bb.23860:                            ;   in Loop: Header=BB6_22365 Depth=3
	s_and_not1_saveexec_b32 s13, s13
; %bb.23861:                            ;   in Loop: Header=BB6_22365 Depth=3
	s_delay_alu instid0(VALU_DEP_1)
	v_bfe_u32 v2, v0, 23, 1
; %bb.23862:                            ;   in Loop: Header=BB6_22365 Depth=3
	s_or_b32 exec_lo, exec_lo, s13
	s_delay_alu instid0(VALU_DEP_2) | instskip(NEXT) | instid1(VALU_DEP_2)
	v_lshrrev_b64 v[0:1], 21, v[0:1]
	v_cmp_gt_i32_e32 vcc_lo, 32, v2
	v_min_i32_e32 v3, 31, v2
	v_cmp_eq_u32_e64 s13, 0, v2
	s_delay_alu instid0(VALU_DEP_2) | instskip(SKIP_1) | instid1(VALU_DEP_2)
	v_dual_cndmask_b32 v1, 0, v1, vcc_lo :: v_dual_lshlrev_b32 v3, 2, v3
	v_cndmask_b32_e32 v0, 3, v0, vcc_lo
	v_and_b32_e32 v3, 0xfc, v3
	s_delay_alu instid0(VALU_DEP_2) | instskip(NEXT) | instid1(VALU_DEP_2)
	v_cmp_eq_u64_e32 vcc_lo, 0, v[0:1]
	v_and_or_b32 v0, v0, 3, v3
	s_and_b32 s13, s13, vcc_lo
	s_delay_alu instid0(VALU_DEP_1) | instid1(SALU_CYCLE_1)
	v_cndmask_b32_e64 v0, v0, 0, s13
	s_delay_alu instid0(VALU_DEP_1)
	v_or_b32_e32 v49, v0, v4
.LBB6_23863:                            ;   in Loop: Header=BB6_22365 Depth=3
	s_or_b32 exec_lo, exec_lo, s76
                                        ; implicit-def: $vgpr4
.LBB6_23864:                            ;   in Loop: Header=BB6_22365 Depth=3
	s_and_not1_saveexec_b32 s13, s75
; %bb.23865:                            ;   in Loop: Header=BB6_22365 Depth=3
	v_or_b32_e32 v49, 0x7b, v4
; %bb.23866:                            ;   in Loop: Header=BB6_22365 Depth=3
	s_or_b32 exec_lo, exec_lo, s13
                                        ; implicit-def: $vgpr2
                                        ; implicit-def: $vgpr0_vgpr1
                                        ; implicit-def: $vgpr3
.LBB6_23867:                            ;   in Loop: Header=BB6_22365 Depth=3
	s_and_not1_saveexec_b32 s13, s74
	s_cbranch_execz .LBB6_23873
; %bb.23868:                            ;   in Loop: Header=BB6_22365 Depth=3
	s_mov_b32 s74, exec_lo
                                        ; implicit-def: $vgpr49
	v_cmpx_ne_u64_e32 0, v[0:1]
	s_xor_b32 s74, exec_lo, s74
; %bb.23869:                            ;   in Loop: Header=BB6_22365 Depth=3
	v_or_b32_e32 v49, 0x7f, v3
                                        ; implicit-def: $vgpr2
; %bb.23870:                            ;   in Loop: Header=BB6_22365 Depth=3
	s_and_not1_saveexec_b32 s74, s74
; %bb.23871:                            ;   in Loop: Header=BB6_22365 Depth=3
	v_cmp_lt_i32_e32 vcc_lo, -1, v2
	v_mov_b32_e32 v0, 0x7c
	s_delay_alu instid0(VALU_DEP_1)
	v_cndmask_b32_e32 v49, 0xfc, v0, vcc_lo
; %bb.23872:                            ;   in Loop: Header=BB6_22365 Depth=3
	s_or_b32 exec_lo, exec_lo, s74
.LBB6_23873:                            ;   in Loop: Header=BB6_22365 Depth=3
	s_delay_alu instid0(SALU_CYCLE_1) | instskip(SKIP_2) | instid1(VALU_DEP_1)
	s_or_b32 exec_lo, exec_lo, s13
	v_dual_mov_b32 v1, 0 :: v_dual_lshrrev_b32 v0, 16, v8
	s_mov_b32 s74, exec_lo
	v_and_b32_e32 v2, 0xff, v0
	s_delay_alu instid0(VALU_DEP_1)
	v_cmpx_ne_u16_e32 0, v2
	s_cbranch_execz .LBB6_23883
; %bb.23874:                            ;   in Loop: Header=BB6_22365 Depth=3
	v_bfrev_b32_e32 v1, 1
	s_mov_b32 s75, exec_lo
	v_cmpx_ne_u16_e32 0x80, v2
	s_cbranch_execz .LBB6_23882
; %bb.23875:                            ;   in Loop: Header=BB6_22365 Depth=3
	v_and_b32_e32 v1, 0x7c0000, v8
	v_bfe_u32 v2, v8, 16, 2
	s_delay_alu instid0(VALU_DEP_2) | instskip(SKIP_1) | instid1(SALU_CYCLE_1)
	v_cmp_ne_u32_e32 vcc_lo, 0x7c0000, v1
                                        ; implicit-def: $vgpr1
	s_and_saveexec_b32 s13, vcc_lo
	s_xor_b32 s13, exec_lo, s13
	s_cbranch_execz .LBB6_23879
; %bb.23876:                            ;   in Loop: Header=BB6_22365 Depth=3
	v_bfe_u32 v1, v8, 18, 5
	s_mov_b32 s76, exec_lo
	s_delay_alu instid0(VALU_DEP_1)
	v_cmpx_eq_u32_e32 0, v1
; %bb.23877:                            ;   in Loop: Header=BB6_22365 Depth=3
	v_clz_i32_u32_e32 v1, v2
	s_delay_alu instid0(VALU_DEP_1) | instskip(NEXT) | instid1(VALU_DEP_1)
	v_min_u32_e32 v1, 32, v1
	v_subrev_nc_u32_e32 v2, 29, v1
	s_delay_alu instid0(VALU_DEP_1) | instskip(NEXT) | instid1(VALU_DEP_1)
	v_lshlrev_b64_e32 v[2:3], v2, v[0:1]
	v_dual_sub_nc_u32 v1, 30, v1 :: v_dual_bitop2_b32 v2, 3, v2 bitop3:0x40
; %bb.23878:                            ;   in Loop: Header=BB6_22365 Depth=3
	s_or_b32 exec_lo, exec_lo, s76
	v_lshlrev_b32_e32 v0, 24, v0
	s_delay_alu instid0(VALU_DEP_1) | instskip(NEXT) | instid1(VALU_DEP_1)
	v_and_b32_e32 v0, 0x80000000, v0
	v_lshl_add_u32 v0, v1, 23, v0
	s_delay_alu instid0(VALU_DEP_1) | instskip(NEXT) | instid1(VALU_DEP_1)
	v_lshl_or_b32 v0, v2, 21, v0
                                        ; implicit-def: $vgpr2
	v_add_nc_u32_e32 v1, 0x38000000, v0
                                        ; implicit-def: $vgpr0
.LBB6_23879:                            ;   in Loop: Header=BB6_22365 Depth=3
	s_and_not1_saveexec_b32 s76, s13
; %bb.23880:                            ;   in Loop: Header=BB6_22365 Depth=3
	v_bfe_i32 v0, v0, 0, 8
	v_cmp_eq_u32_e32 vcc_lo, 0, v2
	s_delay_alu instid0(VALU_DEP_2) | instskip(SKIP_1) | instid1(VALU_DEP_1)
	v_cmp_lt_i16_e64 s13, -1, v0
	v_mov_b32_e32 v0, 0x7f800000
	v_cndmask_b32_e64 v0, 0xff800000, v0, s13
	s_delay_alu instid0(VALU_DEP_1)
	v_cndmask_b32_e32 v1, 0x7f800001, v0, vcc_lo
; %bb.23881:                            ;   in Loop: Header=BB6_22365 Depth=3
	s_or_b32 exec_lo, exec_lo, s76
.LBB6_23882:                            ;   in Loop: Header=BB6_22365 Depth=3
	s_delay_alu instid0(SALU_CYCLE_1)
	s_or_b32 exec_lo, exec_lo, s75
.LBB6_23883:                            ;   in Loop: Header=BB6_22365 Depth=3
	s_delay_alu instid0(SALU_CYCLE_1) | instskip(NEXT) | instid1(VALU_DEP_1)
	s_or_b32 exec_lo, exec_lo, s74
	v_dual_mul_f32 v2, s73, v1 :: v_dual_mov_b32 v5, v113
	v_mov_b32_e32 v1, v113
                                        ; implicit-def: $vgpr53
	s_mov_b32 s13, exec_lo
	s_delay_alu instid0(VALU_DEP_2) | instskip(SKIP_2) | instid1(VALU_DEP_3)
	v_and_b32_e32 v4, 0x7f800000, v2
	v_and_b32_e32 v0, 0x7fffff, v2
	v_lshrrev_b32_e32 v3, 24, v2
	v_cmpx_ne_u64_e32 0x7f800000, v[4:5]
	s_xor_b32 s74, exec_lo, s13
	s_cbranch_execz .LBB6_23897
; %bb.23884:                            ;   in Loop: Header=BB6_22365 Depth=3
	v_and_b32_e32 v4, 0x7fffffff, v2
	v_mov_b32_e32 v5, v113
                                        ; implicit-def: $vgpr53
	s_delay_alu instid0(VALU_DEP_1) | instskip(SKIP_2) | instid1(SALU_CYCLE_1)
	v_cmp_gt_u64_e32 vcc_lo, 0x47600001, v[4:5]
	v_and_b32_e32 v4, 0x80, v3
	s_and_saveexec_b32 s13, vcc_lo
	s_xor_b32 s75, exec_lo, s13
	s_cbranch_execz .LBB6_23894
; %bb.23885:                            ;   in Loop: Header=BB6_22365 Depth=3
	v_mov_b32_e32 v53, 0
	s_mov_b32 s76, exec_lo
	v_cmpx_ne_u32_e32 0, v2
	s_cbranch_execz .LBB6_23893
; %bb.23886:                            ;   in Loop: Header=BB6_22365 Depth=3
	v_bfe_u32 v5, v2, 23, 8
	v_or_b32_e32 v3, 0x800000, v0
	s_delay_alu instid0(VALU_DEP_2) | instskip(SKIP_2) | instid1(VALU_DEP_2)
	v_cmp_gt_u32_e64 s13, 0x72, v5
	v_sub_nc_u32_e32 v2, 0x71, v5
	v_cmp_eq_u32_e32 vcc_lo, 0, v5
	v_dual_cndmask_b32 v2, 0, v2, s13 :: v_dual_cndmask_b32 v0, v3, v0, vcc_lo
	s_delay_alu instid0(VALU_DEP_1) | instskip(NEXT) | instid1(VALU_DEP_1)
	v_cndmask_b32_e64 v12, v2, 0x70, vcc_lo
	v_dual_add_nc_u32 v2, 21, v12 :: v_dual_add_nc_u32 v13, 20, v12
	s_delay_alu instid0(VALU_DEP_1) | instskip(NEXT) | instid1(VALU_DEP_2)
	v_lshlrev_b64_e64 v[2:3], v2, -1
	v_lshlrev_b64_e64 v[14:15], v13, 1
	s_delay_alu instid0(VALU_DEP_2) | instskip(SKIP_1) | instid1(VALU_DEP_4)
	v_bfi_b32 v2, v2, 0, v0
	v_lshrrev_b64 v[0:1], v12, v[0:1]
	v_bfi_b32 v3, v3, 0, 0
	s_delay_alu instid0(VALU_DEP_1) | instskip(NEXT) | instid1(VALU_DEP_3)
	v_cmp_eq_u64_e64 s13, v[2:3], v[14:15]
	v_mov_b64_e32 v[2:3], v[0:1]
	s_and_saveexec_b32 s77, s13
; %bb.23887:                            ;   in Loop: Header=BB6_22365 Depth=3
	v_bfe_u32 v2, v0, 21, 1
	v_mov_b32_e32 v3, v113
	s_delay_alu instid0(VALU_DEP_1) | instskip(NEXT) | instid1(VALU_DEP_1)
	v_add_nc_u64_e32 v[2:3], v[0:1], v[2:3]
	v_add_nc_u64_e32 v[2:3], -1, v[2:3]
; %bb.23888:                            ;   in Loop: Header=BB6_22365 Depth=3
	s_or_b32 exec_lo, exec_lo, s77
	v_add_nc_u32_e32 v1, 0xffffff81, v5
	v_lshrrev_b32_e32 v3, 23, v0
	s_mov_b32 s13, exec_lo
	s_delay_alu instid0(VALU_DEP_2) | instskip(NEXT) | instid1(VALU_DEP_1)
	v_cndmask_b32_e64 v1, v1, 0xffffff82, vcc_lo
	v_add3_u32 v5, v12, v1, v3
	v_and_b32_e32 v1, 0x1fffff, v2
                                        ; implicit-def: $vgpr2
	s_delay_alu instid0(VALU_DEP_1) | instskip(SKIP_1) | instid1(VALU_DEP_2)
	v_dual_add_nc_u32 v3, 14, v5 :: v_dual_add_nc_u32 v0, v1, v0
	v_mov_b32_e32 v1, v113
	v_cmpx_ne_u32_e32 0, v3
	s_xor_b32 s13, exec_lo, s13
; %bb.23889:                            ;   in Loop: Header=BB6_22365 Depth=3
	s_delay_alu instid0(VALU_DEP_2) | instskip(SKIP_1) | instid1(VALU_DEP_1)
	v_cmp_lt_u64_e32 vcc_lo, 0xffffff, v[0:1]
	v_add_nc_u32_e32 v2, 15, v5
	v_cndmask_b32_e32 v2, v3, v2, vcc_lo
	v_cndmask_b32_e64 v3, 0, 1, vcc_lo
	s_delay_alu instid0(VALU_DEP_1)
	v_lshrrev_b64 v[0:1], v3, v[0:1]
; %bb.23890:                            ;   in Loop: Header=BB6_22365 Depth=3
	s_and_not1_saveexec_b32 s13, s13
; %bb.23891:                            ;   in Loop: Header=BB6_22365 Depth=3
	s_delay_alu instid0(VALU_DEP_1)
	v_bfe_u32 v2, v0, 23, 1
; %bb.23892:                            ;   in Loop: Header=BB6_22365 Depth=3
	s_or_b32 exec_lo, exec_lo, s13
	s_delay_alu instid0(VALU_DEP_2) | instskip(NEXT) | instid1(VALU_DEP_2)
	v_lshrrev_b64 v[0:1], 21, v[0:1]
	v_cmp_gt_i32_e32 vcc_lo, 32, v2
	v_min_i32_e32 v3, 31, v2
	v_cmp_eq_u32_e64 s13, 0, v2
	s_delay_alu instid0(VALU_DEP_2) | instskip(SKIP_1) | instid1(VALU_DEP_2)
	v_dual_cndmask_b32 v1, 0, v1, vcc_lo :: v_dual_lshlrev_b32 v3, 2, v3
	v_cndmask_b32_e32 v0, 3, v0, vcc_lo
	v_and_b32_e32 v3, 0xfc, v3
	s_delay_alu instid0(VALU_DEP_2) | instskip(NEXT) | instid1(VALU_DEP_2)
	v_cmp_eq_u64_e32 vcc_lo, 0, v[0:1]
	v_and_or_b32 v0, v0, 3, v3
	s_and_b32 s13, s13, vcc_lo
	s_delay_alu instid0(VALU_DEP_1) | instid1(SALU_CYCLE_1)
	v_cndmask_b32_e64 v0, v0, 0, s13
	s_delay_alu instid0(VALU_DEP_1)
	v_or_b32_e32 v53, v0, v4
.LBB6_23893:                            ;   in Loop: Header=BB6_22365 Depth=3
	s_or_b32 exec_lo, exec_lo, s76
                                        ; implicit-def: $vgpr4
.LBB6_23894:                            ;   in Loop: Header=BB6_22365 Depth=3
	s_and_not1_saveexec_b32 s13, s75
; %bb.23895:                            ;   in Loop: Header=BB6_22365 Depth=3
	v_or_b32_e32 v53, 0x7b, v4
; %bb.23896:                            ;   in Loop: Header=BB6_22365 Depth=3
	s_or_b32 exec_lo, exec_lo, s13
                                        ; implicit-def: $vgpr2
                                        ; implicit-def: $vgpr0_vgpr1
                                        ; implicit-def: $vgpr3
.LBB6_23897:                            ;   in Loop: Header=BB6_22365 Depth=3
	s_and_not1_saveexec_b32 s13, s74
	s_cbranch_execz .LBB6_23903
; %bb.23898:                            ;   in Loop: Header=BB6_22365 Depth=3
	s_mov_b32 s74, exec_lo
                                        ; implicit-def: $vgpr53
	v_cmpx_ne_u64_e32 0, v[0:1]
	s_xor_b32 s74, exec_lo, s74
; %bb.23899:                            ;   in Loop: Header=BB6_22365 Depth=3
	v_or_b32_e32 v53, 0x7f, v3
                                        ; implicit-def: $vgpr2
; %bb.23900:                            ;   in Loop: Header=BB6_22365 Depth=3
	s_and_not1_saveexec_b32 s74, s74
; %bb.23901:                            ;   in Loop: Header=BB6_22365 Depth=3
	v_cmp_lt_i32_e32 vcc_lo, -1, v2
	v_mov_b32_e32 v0, 0x7c
	s_delay_alu instid0(VALU_DEP_1)
	v_cndmask_b32_e32 v53, 0xfc, v0, vcc_lo
; %bb.23902:                            ;   in Loop: Header=BB6_22365 Depth=3
	s_or_b32 exec_lo, exec_lo, s74
.LBB6_23903:                            ;   in Loop: Header=BB6_22365 Depth=3
	s_delay_alu instid0(SALU_CYCLE_1)
	s_or_b32 exec_lo, exec_lo, s13
	v_mov_b32_e32 v1, 0
	s_mov_b32 s74, exec_lo
	v_cmpx_lt_u32_e32 0xffffff, v8
	s_cbranch_execz .LBB6_23913
; %bb.23904:                            ;   in Loop: Header=BB6_22365 Depth=3
	v_lshrrev_b32_e32 v0, 24, v8
	v_bfrev_b32_e32 v1, 1
	s_mov_b32 s75, exec_lo
	s_delay_alu instid0(VALU_DEP_2)
	v_cmpx_ne_u32_e32 0x80, v0
	s_cbranch_execz .LBB6_23912
; %bb.23905:                            ;   in Loop: Header=BB6_22365 Depth=3
	v_and_b32_e32 v1, 0x7c000000, v8
	v_bfe_u32 v2, v8, 24, 2
	s_delay_alu instid0(VALU_DEP_2) | instskip(SKIP_1) | instid1(SALU_CYCLE_1)
	v_cmp_ne_u32_e32 vcc_lo, 0x7c000000, v1
                                        ; implicit-def: $vgpr1
	s_and_saveexec_b32 s13, vcc_lo
	s_xor_b32 s13, exec_lo, s13
	s_cbranch_execz .LBB6_23909
; %bb.23906:                            ;   in Loop: Header=BB6_22365 Depth=3
	v_bfe_u32 v1, v8, 26, 5
	s_mov_b32 s76, exec_lo
	s_delay_alu instid0(VALU_DEP_1)
	v_cmpx_eq_u32_e32 0, v1
; %bb.23907:                            ;   in Loop: Header=BB6_22365 Depth=3
	v_clz_i32_u32_e32 v1, v2
	s_delay_alu instid0(VALU_DEP_1) | instskip(NEXT) | instid1(VALU_DEP_1)
	v_min_u32_e32 v2, 32, v1
	v_subrev_nc_u32_e32 v1, 29, v2
	s_delay_alu instid0(VALU_DEP_1) | instskip(NEXT) | instid1(VALU_DEP_1)
	v_lshlrev_b64_e32 v[0:1], v1, v[0:1]
	v_dual_sub_nc_u32 v1, 30, v2 :: v_dual_bitop2_b32 v2, 3, v0 bitop3:0x40
; %bb.23908:                            ;   in Loop: Header=BB6_22365 Depth=3
	s_or_b32 exec_lo, exec_lo, s76
	v_and_b32_e32 v0, 0x80000000, v8
	s_delay_alu instid0(VALU_DEP_1) | instskip(NEXT) | instid1(VALU_DEP_1)
	v_lshl_add_u32 v0, v1, 23, v0
	v_lshl_or_b32 v0, v2, 21, v0
                                        ; implicit-def: $vgpr2
	s_delay_alu instid0(VALU_DEP_1)
	v_add_nc_u32_e32 v1, 0x38000000, v0
.LBB6_23909:                            ;   in Loop: Header=BB6_22365 Depth=3
	s_and_not1_saveexec_b32 s76, s13
; %bb.23910:                            ;   in Loop: Header=BB6_22365 Depth=3
	v_cmp_lt_i32_e64 s13, -1, v8
	v_mov_b32_e32 v0, 0x7f800000
	v_cmp_eq_u32_e32 vcc_lo, 0, v2
	s_delay_alu instid0(VALU_DEP_2) | instskip(NEXT) | instid1(VALU_DEP_1)
	v_cndmask_b32_e64 v0, 0xff800000, v0, s13
	v_cndmask_b32_e32 v1, 0x7f800001, v0, vcc_lo
; %bb.23911:                            ;   in Loop: Header=BB6_22365 Depth=3
	s_or_b32 exec_lo, exec_lo, s76
.LBB6_23912:                            ;   in Loop: Header=BB6_22365 Depth=3
	s_delay_alu instid0(SALU_CYCLE_1)
	s_or_b32 exec_lo, exec_lo, s75
.LBB6_23913:                            ;   in Loop: Header=BB6_22365 Depth=3
	s_delay_alu instid0(SALU_CYCLE_1) | instskip(NEXT) | instid1(VALU_DEP_1)
	s_or_b32 exec_lo, exec_lo, s74
	v_dual_mul_f32 v2, s73, v1 :: v_dual_mov_b32 v5, v113
	v_mov_b32_e32 v1, v113
                                        ; implicit-def: $vgpr64
	s_mov_b32 s13, exec_lo
	s_delay_alu instid0(VALU_DEP_2) | instskip(SKIP_2) | instid1(VALU_DEP_3)
	v_and_b32_e32 v4, 0x7f800000, v2
	v_and_b32_e32 v0, 0x7fffff, v2
	v_lshrrev_b32_e32 v3, 24, v2
	v_cmpx_ne_u64_e32 0x7f800000, v[4:5]
	s_xor_b32 s74, exec_lo, s13
	s_cbranch_execz .LBB6_23927
; %bb.23914:                            ;   in Loop: Header=BB6_22365 Depth=3
	v_and_b32_e32 v4, 0x7fffffff, v2
	v_mov_b32_e32 v5, v113
                                        ; implicit-def: $vgpr64
	s_delay_alu instid0(VALU_DEP_1) | instskip(SKIP_2) | instid1(SALU_CYCLE_1)
	v_cmp_gt_u64_e32 vcc_lo, 0x47600001, v[4:5]
	v_and_b32_e32 v4, 0x80, v3
	s_and_saveexec_b32 s13, vcc_lo
	s_xor_b32 s75, exec_lo, s13
	s_cbranch_execz .LBB6_23924
; %bb.23915:                            ;   in Loop: Header=BB6_22365 Depth=3
	v_mov_b32_e32 v64, 0
	s_mov_b32 s76, exec_lo
	v_cmpx_ne_u32_e32 0, v2
	s_cbranch_execz .LBB6_23923
; %bb.23916:                            ;   in Loop: Header=BB6_22365 Depth=3
	v_bfe_u32 v5, v2, 23, 8
	v_or_b32_e32 v3, 0x800000, v0
	s_delay_alu instid0(VALU_DEP_2) | instskip(SKIP_2) | instid1(VALU_DEP_2)
	v_cmp_gt_u32_e64 s13, 0x72, v5
	v_sub_nc_u32_e32 v2, 0x71, v5
	v_cmp_eq_u32_e32 vcc_lo, 0, v5
	v_dual_cndmask_b32 v2, 0, v2, s13 :: v_dual_cndmask_b32 v0, v3, v0, vcc_lo
	s_delay_alu instid0(VALU_DEP_1) | instskip(NEXT) | instid1(VALU_DEP_1)
	v_cndmask_b32_e64 v12, v2, 0x70, vcc_lo
	v_dual_add_nc_u32 v2, 21, v12 :: v_dual_add_nc_u32 v13, 20, v12
	s_delay_alu instid0(VALU_DEP_1) | instskip(NEXT) | instid1(VALU_DEP_2)
	v_lshlrev_b64_e64 v[2:3], v2, -1
	v_lshlrev_b64_e64 v[14:15], v13, 1
	s_delay_alu instid0(VALU_DEP_2) | instskip(SKIP_1) | instid1(VALU_DEP_4)
	v_bfi_b32 v2, v2, 0, v0
	v_lshrrev_b64 v[0:1], v12, v[0:1]
	v_bfi_b32 v3, v3, 0, 0
	s_delay_alu instid0(VALU_DEP_1) | instskip(NEXT) | instid1(VALU_DEP_3)
	v_cmp_eq_u64_e64 s13, v[2:3], v[14:15]
	v_mov_b64_e32 v[2:3], v[0:1]
	s_and_saveexec_b32 s77, s13
; %bb.23917:                            ;   in Loop: Header=BB6_22365 Depth=3
	v_bfe_u32 v2, v0, 21, 1
	v_mov_b32_e32 v3, v113
	s_delay_alu instid0(VALU_DEP_1) | instskip(NEXT) | instid1(VALU_DEP_1)
	v_add_nc_u64_e32 v[2:3], v[0:1], v[2:3]
	v_add_nc_u64_e32 v[2:3], -1, v[2:3]
; %bb.23918:                            ;   in Loop: Header=BB6_22365 Depth=3
	s_or_b32 exec_lo, exec_lo, s77
	v_add_nc_u32_e32 v1, 0xffffff81, v5
	v_lshrrev_b32_e32 v3, 23, v0
	s_mov_b32 s13, exec_lo
	s_delay_alu instid0(VALU_DEP_2) | instskip(NEXT) | instid1(VALU_DEP_1)
	v_cndmask_b32_e64 v1, v1, 0xffffff82, vcc_lo
	v_add3_u32 v5, v12, v1, v3
	v_and_b32_e32 v1, 0x1fffff, v2
                                        ; implicit-def: $vgpr2
	s_delay_alu instid0(VALU_DEP_1) | instskip(SKIP_1) | instid1(VALU_DEP_2)
	v_dual_add_nc_u32 v3, 14, v5 :: v_dual_add_nc_u32 v0, v1, v0
	v_mov_b32_e32 v1, v113
	v_cmpx_ne_u32_e32 0, v3
	s_xor_b32 s13, exec_lo, s13
; %bb.23919:                            ;   in Loop: Header=BB6_22365 Depth=3
	s_delay_alu instid0(VALU_DEP_2) | instskip(SKIP_1) | instid1(VALU_DEP_1)
	v_cmp_lt_u64_e32 vcc_lo, 0xffffff, v[0:1]
	v_add_nc_u32_e32 v2, 15, v5
	v_cndmask_b32_e32 v2, v3, v2, vcc_lo
	v_cndmask_b32_e64 v3, 0, 1, vcc_lo
	s_delay_alu instid0(VALU_DEP_1)
	v_lshrrev_b64 v[0:1], v3, v[0:1]
; %bb.23920:                            ;   in Loop: Header=BB6_22365 Depth=3
	s_and_not1_saveexec_b32 s13, s13
; %bb.23921:                            ;   in Loop: Header=BB6_22365 Depth=3
	s_delay_alu instid0(VALU_DEP_1)
	v_bfe_u32 v2, v0, 23, 1
; %bb.23922:                            ;   in Loop: Header=BB6_22365 Depth=3
	s_or_b32 exec_lo, exec_lo, s13
	s_delay_alu instid0(VALU_DEP_2) | instskip(NEXT) | instid1(VALU_DEP_2)
	v_lshrrev_b64 v[0:1], 21, v[0:1]
	v_cmp_gt_i32_e32 vcc_lo, 32, v2
	v_min_i32_e32 v3, 31, v2
	v_cmp_eq_u32_e64 s13, 0, v2
	s_delay_alu instid0(VALU_DEP_2) | instskip(SKIP_1) | instid1(VALU_DEP_2)
	v_dual_cndmask_b32 v1, 0, v1, vcc_lo :: v_dual_lshlrev_b32 v3, 2, v3
	v_cndmask_b32_e32 v0, 3, v0, vcc_lo
	v_and_b32_e32 v3, 0xfc, v3
	s_delay_alu instid0(VALU_DEP_2) | instskip(NEXT) | instid1(VALU_DEP_2)
	v_cmp_eq_u64_e32 vcc_lo, 0, v[0:1]
	v_and_or_b32 v0, v0, 3, v3
	s_and_b32 s13, s13, vcc_lo
	s_delay_alu instid0(VALU_DEP_1) | instid1(SALU_CYCLE_1)
	v_cndmask_b32_e64 v0, v0, 0, s13
	s_delay_alu instid0(VALU_DEP_1)
	v_or_b32_e32 v64, v0, v4
.LBB6_23923:                            ;   in Loop: Header=BB6_22365 Depth=3
	s_or_b32 exec_lo, exec_lo, s76
                                        ; implicit-def: $vgpr4
.LBB6_23924:                            ;   in Loop: Header=BB6_22365 Depth=3
	s_and_not1_saveexec_b32 s13, s75
; %bb.23925:                            ;   in Loop: Header=BB6_22365 Depth=3
	v_or_b32_e32 v64, 0x7b, v4
; %bb.23926:                            ;   in Loop: Header=BB6_22365 Depth=3
	s_or_b32 exec_lo, exec_lo, s13
                                        ; implicit-def: $vgpr2
                                        ; implicit-def: $vgpr0_vgpr1
                                        ; implicit-def: $vgpr3
.LBB6_23927:                            ;   in Loop: Header=BB6_22365 Depth=3
	s_and_not1_saveexec_b32 s13, s74
	s_cbranch_execz .LBB6_23933
; %bb.23928:                            ;   in Loop: Header=BB6_22365 Depth=3
	s_mov_b32 s74, exec_lo
                                        ; implicit-def: $vgpr64
	v_cmpx_ne_u64_e32 0, v[0:1]
	s_xor_b32 s74, exec_lo, s74
; %bb.23929:                            ;   in Loop: Header=BB6_22365 Depth=3
	v_or_b32_e32 v64, 0x7f, v3
                                        ; implicit-def: $vgpr2
; %bb.23930:                            ;   in Loop: Header=BB6_22365 Depth=3
	s_and_not1_saveexec_b32 s74, s74
; %bb.23931:                            ;   in Loop: Header=BB6_22365 Depth=3
	v_cmp_lt_i32_e32 vcc_lo, -1, v2
	v_mov_b32_e32 v0, 0x7c
	s_delay_alu instid0(VALU_DEP_1)
	v_cndmask_b32_e32 v64, 0xfc, v0, vcc_lo
; %bb.23932:                            ;   in Loop: Header=BB6_22365 Depth=3
	s_or_b32 exec_lo, exec_lo, s74
.LBB6_23933:                            ;   in Loop: Header=BB6_22365 Depth=3
	s_delay_alu instid0(SALU_CYCLE_1) | instskip(SKIP_4) | instid1(VALU_DEP_3)
	s_or_b32 exec_lo, exec_lo, s13
	v_and_b32_e32 v3, 0xff, v9
	v_dual_mov_b32 v0, v9 :: v_dual_mov_b32 v1, v113
	v_mov_b32_e32 v2, 0
	s_mov_b32 s74, exec_lo
	v_cmpx_ne_u16_e32 0, v3
	s_cbranch_execz .LBB6_23943
; %bb.23934:                            ;   in Loop: Header=BB6_22365 Depth=3
	v_bfrev_b32_e32 v2, 1
	s_mov_b32 s75, exec_lo
	v_cmpx_ne_u16_e32 0x80, v3
	s_cbranch_execz .LBB6_23942
; %bb.23935:                            ;   in Loop: Header=BB6_22365 Depth=3
	v_and_b32_e32 v2, 0x7c, v9
	v_and_b32_e32 v3, 3, v9
	s_delay_alu instid0(VALU_DEP_2) | instskip(SKIP_1) | instid1(SALU_CYCLE_1)
	v_cmp_ne_u32_e32 vcc_lo, 0x7c, v2
                                        ; implicit-def: $vgpr2
	s_and_saveexec_b32 s13, vcc_lo
	s_xor_b32 s13, exec_lo, s13
	s_cbranch_execz .LBB6_23939
; %bb.23936:                            ;   in Loop: Header=BB6_22365 Depth=3
	v_bfe_u32 v2, v9, 2, 5
	s_mov_b32 s76, exec_lo
	s_delay_alu instid0(VALU_DEP_1)
	v_cmpx_eq_u32_e32 0, v2
; %bb.23937:                            ;   in Loop: Header=BB6_22365 Depth=3
	v_clz_i32_u32_e32 v2, v3
	s_delay_alu instid0(VALU_DEP_1) | instskip(NEXT) | instid1(VALU_DEP_1)
	v_min_u32_e32 v2, 32, v2
	v_subrev_nc_u32_e32 v3, 29, v2
	s_delay_alu instid0(VALU_DEP_1) | instskip(NEXT) | instid1(VALU_DEP_1)
	v_lshlrev_b64_e32 v[4:5], v3, v[0:1]
	v_dual_sub_nc_u32 v2, 30, v2 :: v_dual_bitop2_b32 v3, 3, v4 bitop3:0x40
; %bb.23938:                            ;   in Loop: Header=BB6_22365 Depth=3
	s_or_b32 exec_lo, exec_lo, s76
	v_lshlrev_b32_e32 v1, 24, v9
	s_delay_alu instid0(VALU_DEP_1) | instskip(NEXT) | instid1(VALU_DEP_1)
	v_and_b32_e32 v1, 0x80000000, v1
	v_lshl_add_u32 v1, v2, 23, v1
	s_delay_alu instid0(VALU_DEP_1) | instskip(NEXT) | instid1(VALU_DEP_1)
	v_lshl_or_b32 v1, v3, 21, v1
                                        ; implicit-def: $vgpr3
	v_add_nc_u32_e32 v2, 0x38000000, v1
.LBB6_23939:                            ;   in Loop: Header=BB6_22365 Depth=3
	s_and_not1_saveexec_b32 s76, s13
; %bb.23940:                            ;   in Loop: Header=BB6_22365 Depth=3
	v_bfe_i32 v1, v9, 0, 8
	v_cmp_eq_u32_e32 vcc_lo, 0, v3
	s_delay_alu instid0(VALU_DEP_2) | instskip(SKIP_1) | instid1(VALU_DEP_1)
	v_cmp_lt_i16_e64 s13, -1, v1
	v_mov_b32_e32 v1, 0x7f800000
	v_cndmask_b32_e64 v1, 0xff800000, v1, s13
	s_delay_alu instid0(VALU_DEP_1)
	v_cndmask_b32_e32 v2, 0x7f800001, v1, vcc_lo
; %bb.23941:                            ;   in Loop: Header=BB6_22365 Depth=3
	s_or_b32 exec_lo, exec_lo, s76
.LBB6_23942:                            ;   in Loop: Header=BB6_22365 Depth=3
	s_delay_alu instid0(SALU_CYCLE_1)
	s_or_b32 exec_lo, exec_lo, s75
.LBB6_23943:                            ;   in Loop: Header=BB6_22365 Depth=3
	s_delay_alu instid0(SALU_CYCLE_1) | instskip(NEXT) | instid1(VALU_DEP_1)
	s_or_b32 exec_lo, exec_lo, s74
	v_dual_mul_f32 v4, s73, v2 :: v_dual_mov_b32 v13, v113
	v_mov_b32_e32 v3, v113
                                        ; implicit-def: $vgpr30
	s_mov_b32 s13, exec_lo
	s_delay_alu instid0(VALU_DEP_2) | instskip(SKIP_2) | instid1(VALU_DEP_3)
	v_and_b32_e32 v12, 0x7f800000, v4
	v_and_b32_e32 v2, 0x7fffff, v4
	v_lshrrev_b32_e32 v1, 24, v4
	v_cmpx_ne_u64_e32 0x7f800000, v[12:13]
	s_xor_b32 s74, exec_lo, s13
	s_cbranch_execz .LBB6_23957
; %bb.23944:                            ;   in Loop: Header=BB6_22365 Depth=3
	v_and_b32_e32 v12, 0x7fffffff, v4
	v_mov_b32_e32 v13, v113
	v_and_b32_e32 v1, 0x80, v1
                                        ; implicit-def: $vgpr30
	s_mov_b32 s13, exec_lo
	s_delay_alu instid0(VALU_DEP_2)
	v_cmpx_gt_u64_e32 0x47600001, v[12:13]
	s_xor_b32 s75, exec_lo, s13
	s_cbranch_execz .LBB6_23954
; %bb.23945:                            ;   in Loop: Header=BB6_22365 Depth=3
	v_mov_b32_e32 v30, 0
	s_mov_b32 s76, exec_lo
	v_cmpx_ne_u32_e32 0, v4
	s_cbranch_execz .LBB6_23953
; %bb.23946:                            ;   in Loop: Header=BB6_22365 Depth=3
	v_bfe_u32 v12, v4, 23, 8
	v_or_b32_e32 v5, 0x800000, v2
	s_delay_alu instid0(VALU_DEP_2) | instskip(SKIP_2) | instid1(VALU_DEP_2)
	v_cmp_gt_u32_e64 s13, 0x72, v12
	v_sub_nc_u32_e32 v4, 0x71, v12
	v_cmp_eq_u32_e32 vcc_lo, 0, v12
	v_dual_cndmask_b32 v4, 0, v4, s13 :: v_dual_cndmask_b32 v2, v5, v2, vcc_lo
	s_delay_alu instid0(VALU_DEP_1) | instskip(NEXT) | instid1(VALU_DEP_1)
	v_cndmask_b32_e64 v13, v4, 0x70, vcc_lo
	v_dual_add_nc_u32 v4, 21, v13 :: v_dual_add_nc_u32 v14, 20, v13
	s_delay_alu instid0(VALU_DEP_1) | instskip(NEXT) | instid1(VALU_DEP_2)
	v_lshlrev_b64_e64 v[4:5], v4, -1
	v_lshlrev_b64_e64 v[14:15], v14, 1
	s_delay_alu instid0(VALU_DEP_2) | instskip(SKIP_1) | instid1(VALU_DEP_4)
	v_bfi_b32 v4, v4, 0, v2
	v_lshrrev_b64 v[2:3], v13, v[2:3]
	v_bfi_b32 v5, v5, 0, 0
	s_delay_alu instid0(VALU_DEP_1) | instskip(NEXT) | instid1(VALU_DEP_3)
	v_cmp_eq_u64_e64 s13, v[4:5], v[14:15]
	v_mov_b64_e32 v[4:5], v[2:3]
	s_and_saveexec_b32 s77, s13
; %bb.23947:                            ;   in Loop: Header=BB6_22365 Depth=3
	v_bfe_u32 v4, v2, 21, 1
	v_mov_b32_e32 v5, v113
	s_delay_alu instid0(VALU_DEP_1) | instskip(NEXT) | instid1(VALU_DEP_1)
	v_add_nc_u64_e32 v[4:5], v[2:3], v[4:5]
	v_add_nc_u64_e32 v[4:5], -1, v[4:5]
; %bb.23948:                            ;   in Loop: Header=BB6_22365 Depth=3
	s_or_b32 exec_lo, exec_lo, s77
	v_add_nc_u32_e32 v3, 0xffffff81, v12
	v_lshrrev_b32_e32 v5, 23, v2
	s_mov_b32 s13, exec_lo
	s_delay_alu instid0(VALU_DEP_2) | instskip(NEXT) | instid1(VALU_DEP_1)
	v_cndmask_b32_e64 v3, v3, 0xffffff82, vcc_lo
	v_add3_u32 v12, v13, v3, v5
	v_and_b32_e32 v3, 0x1fffff, v4
                                        ; implicit-def: $vgpr4
	s_delay_alu instid0(VALU_DEP_1) | instskip(SKIP_1) | instid1(VALU_DEP_2)
	v_dual_add_nc_u32 v5, 14, v12 :: v_dual_add_nc_u32 v2, v3, v2
	v_mov_b32_e32 v3, v113
	v_cmpx_ne_u32_e32 0, v5
	s_xor_b32 s13, exec_lo, s13
; %bb.23949:                            ;   in Loop: Header=BB6_22365 Depth=3
	s_delay_alu instid0(VALU_DEP_2) | instskip(SKIP_1) | instid1(VALU_DEP_1)
	v_cmp_lt_u64_e32 vcc_lo, 0xffffff, v[2:3]
	v_add_nc_u32_e32 v4, 15, v12
	v_cndmask_b32_e32 v4, v5, v4, vcc_lo
	v_cndmask_b32_e64 v5, 0, 1, vcc_lo
	s_delay_alu instid0(VALU_DEP_1)
	v_lshrrev_b64 v[2:3], v5, v[2:3]
; %bb.23950:                            ;   in Loop: Header=BB6_22365 Depth=3
	s_and_not1_saveexec_b32 s13, s13
; %bb.23951:                            ;   in Loop: Header=BB6_22365 Depth=3
	s_delay_alu instid0(VALU_DEP_1)
	v_bfe_u32 v4, v2, 23, 1
; %bb.23952:                            ;   in Loop: Header=BB6_22365 Depth=3
	s_or_b32 exec_lo, exec_lo, s13
	s_delay_alu instid0(VALU_DEP_2) | instskip(NEXT) | instid1(VALU_DEP_2)
	v_lshrrev_b64 v[2:3], 21, v[2:3]
	v_cmp_gt_i32_e32 vcc_lo, 32, v4
	v_min_i32_e32 v5, 31, v4
	v_cmp_eq_u32_e64 s13, 0, v4
	s_delay_alu instid0(VALU_DEP_2) | instskip(SKIP_1) | instid1(VALU_DEP_2)
	v_dual_cndmask_b32 v3, 0, v3, vcc_lo :: v_dual_lshlrev_b32 v5, 2, v5
	v_cndmask_b32_e32 v2, 3, v2, vcc_lo
	v_and_b32_e32 v5, 0xfc, v5
	s_delay_alu instid0(VALU_DEP_2) | instskip(NEXT) | instid1(VALU_DEP_2)
	v_cmp_eq_u64_e32 vcc_lo, 0, v[2:3]
	v_and_or_b32 v2, v2, 3, v5
	s_and_b32 s13, s13, vcc_lo
	s_delay_alu instid0(VALU_DEP_1) | instid1(SALU_CYCLE_1)
	v_cndmask_b32_e64 v2, v2, 0, s13
	s_delay_alu instid0(VALU_DEP_1)
	v_or_b32_e32 v30, v2, v1
.LBB6_23953:                            ;   in Loop: Header=BB6_22365 Depth=3
	s_or_b32 exec_lo, exec_lo, s76
                                        ; implicit-def: $vgpr1
.LBB6_23954:                            ;   in Loop: Header=BB6_22365 Depth=3
	s_and_not1_saveexec_b32 s13, s75
; %bb.23955:                            ;   in Loop: Header=BB6_22365 Depth=3
	v_or_b32_e32 v30, 0x7b, v1
; %bb.23956:                            ;   in Loop: Header=BB6_22365 Depth=3
	s_or_b32 exec_lo, exec_lo, s13
                                        ; implicit-def: $vgpr4
                                        ; implicit-def: $vgpr2_vgpr3
                                        ; implicit-def: $vgpr1
.LBB6_23957:                            ;   in Loop: Header=BB6_22365 Depth=3
	s_and_not1_saveexec_b32 s13, s74
	s_cbranch_execz .LBB6_23963
; %bb.23958:                            ;   in Loop: Header=BB6_22365 Depth=3
	s_mov_b32 s74, exec_lo
                                        ; implicit-def: $vgpr30
	v_cmpx_ne_u64_e32 0, v[2:3]
	s_xor_b32 s74, exec_lo, s74
; %bb.23959:                            ;   in Loop: Header=BB6_22365 Depth=3
	v_or_b32_e32 v30, 0x7f, v1
                                        ; implicit-def: $vgpr4
; %bb.23960:                            ;   in Loop: Header=BB6_22365 Depth=3
	s_and_not1_saveexec_b32 s74, s74
; %bb.23961:                            ;   in Loop: Header=BB6_22365 Depth=3
	v_cmp_lt_i32_e32 vcc_lo, -1, v4
	v_mov_b32_e32 v1, 0x7c
	s_delay_alu instid0(VALU_DEP_1)
	v_cndmask_b32_e32 v30, 0xfc, v1, vcc_lo
; %bb.23962:                            ;   in Loop: Header=BB6_22365 Depth=3
	s_or_b32 exec_lo, exec_lo, s74
.LBB6_23963:                            ;   in Loop: Header=BB6_22365 Depth=3
	s_delay_alu instid0(SALU_CYCLE_1) | instskip(SKIP_3) | instid1(VALU_DEP_2)
	s_or_b32 exec_lo, exec_lo, s13
	v_lshrrev_b16 v2, 8, v0
	v_mov_b32_e32 v3, 0
	s_mov_b32 s74, exec_lo
	v_cmpx_ne_u16_e32 0, v2
	s_cbranch_execz .LBB6_23973
; %bb.23964:                            ;   in Loop: Header=BB6_22365 Depth=3
	v_bfrev_b32_e32 v3, 1
	s_mov_b32 s75, exec_lo
	v_cmpx_ne_u16_e32 0x80, v2
	s_cbranch_execz .LBB6_23972
; %bb.23965:                            ;   in Loop: Header=BB6_22365 Depth=3
	v_and_b32_e32 v1, 0xffff, v2
	s_delay_alu instid0(VALU_DEP_1) | instskip(SKIP_1) | instid1(VALU_DEP_2)
	v_and_b32_e32 v3, 0x7c, v1
	v_and_b32_e32 v4, 3, v1
	v_cmp_ne_u32_e32 vcc_lo, 0x7c, v3
                                        ; implicit-def: $vgpr3
	s_and_saveexec_b32 s13, vcc_lo
	s_delay_alu instid0(SALU_CYCLE_1)
	s_xor_b32 s13, exec_lo, s13
	s_cbranch_execz .LBB6_23969
; %bb.23966:                            ;   in Loop: Header=BB6_22365 Depth=3
	v_bfe_u32 v1, v1, 2, 5
	s_mov_b32 s76, exec_lo
	s_delay_alu instid0(VALU_DEP_1)
	v_cmpx_eq_u32_e32 0, v1
	s_cbranch_execz .LBB6_23968
; %bb.23967:                            ;   in Loop: Header=BB6_22365 Depth=3
	v_clz_i32_u32_e32 v1, v4
	s_delay_alu instid0(VALU_DEP_1) | instskip(SKIP_1) | instid1(VALU_DEP_2)
	v_min_u32_e32 v1, 32, v1
	v_mov_b32_e32 v3, v113
	v_subrev_nc_u32_e32 v4, 29, v1
	v_sub_nc_u32_e32 v1, 30, v1
	s_delay_alu instid0(VALU_DEP_2) | instskip(NEXT) | instid1(VALU_DEP_1)
	v_lshlrev_b64_e32 v[2:3], v4, v[2:3]
	v_and_b32_e32 v4, 3, v2
.LBB6_23968:                            ;   in Loop: Header=BB6_22365 Depth=3
	s_or_b32 exec_lo, exec_lo, s76
	v_lshlrev_b32_e32 v0, 16, v0
	s_delay_alu instid0(VALU_DEP_1) | instskip(NEXT) | instid1(VALU_DEP_1)
	v_and_b32_e32 v0, 0x80000000, v0
	v_lshl_add_u32 v0, v1, 23, v0
	s_delay_alu instid0(VALU_DEP_1) | instskip(NEXT) | instid1(VALU_DEP_1)
	v_lshl_or_b32 v0, v4, 21, v0
                                        ; implicit-def: $vgpr4
	v_add_nc_u32_e32 v3, 0x38000000, v0
                                        ; implicit-def: $vgpr0_vgpr1
.LBB6_23969:                            ;   in Loop: Header=BB6_22365 Depth=3
	s_and_not1_saveexec_b32 s76, s13
; %bb.23970:                            ;   in Loop: Header=BB6_22365 Depth=3
	v_cmp_lt_i16_e64 s13, -1, v0
	v_mov_b32_e32 v0, 0x7f800000
	v_cmp_eq_u32_e32 vcc_lo, 0, v4
	s_delay_alu instid0(VALU_DEP_2) | instskip(NEXT) | instid1(VALU_DEP_1)
	v_cndmask_b32_e64 v0, 0xff800000, v0, s13
	v_cndmask_b32_e32 v3, 0x7f800001, v0, vcc_lo
; %bb.23971:                            ;   in Loop: Header=BB6_22365 Depth=3
	s_or_b32 exec_lo, exec_lo, s76
.LBB6_23972:                            ;   in Loop: Header=BB6_22365 Depth=3
	s_delay_alu instid0(SALU_CYCLE_1)
	s_or_b32 exec_lo, exec_lo, s75
.LBB6_23973:                            ;   in Loop: Header=BB6_22365 Depth=3
	s_delay_alu instid0(SALU_CYCLE_1) | instskip(NEXT) | instid1(VALU_DEP_1)
	s_or_b32 exec_lo, exec_lo, s74
	v_dual_mul_f32 v2, s73, v3 :: v_dual_mov_b32 v5, v113
	v_mov_b32_e32 v1, v113
                                        ; implicit-def: $vgpr37
	s_mov_b32 s13, exec_lo
	s_delay_alu instid0(VALU_DEP_2) | instskip(SKIP_2) | instid1(VALU_DEP_3)
	v_and_b32_e32 v4, 0x7f800000, v2
	v_and_b32_e32 v0, 0x7fffff, v2
	v_lshrrev_b32_e32 v3, 24, v2
	v_cmpx_ne_u64_e32 0x7f800000, v[4:5]
	s_xor_b32 s74, exec_lo, s13
	s_cbranch_execz .LBB6_23987
; %bb.23974:                            ;   in Loop: Header=BB6_22365 Depth=3
	v_and_b32_e32 v4, 0x7fffffff, v2
	v_mov_b32_e32 v5, v113
                                        ; implicit-def: $vgpr37
	s_delay_alu instid0(VALU_DEP_1) | instskip(SKIP_2) | instid1(SALU_CYCLE_1)
	v_cmp_gt_u64_e32 vcc_lo, 0x47600001, v[4:5]
	v_and_b32_e32 v4, 0x80, v3
	s_and_saveexec_b32 s13, vcc_lo
	s_xor_b32 s75, exec_lo, s13
	s_cbranch_execz .LBB6_23984
; %bb.23975:                            ;   in Loop: Header=BB6_22365 Depth=3
	v_mov_b32_e32 v37, 0
	s_mov_b32 s76, exec_lo
	v_cmpx_ne_u32_e32 0, v2
	s_cbranch_execz .LBB6_23983
; %bb.23976:                            ;   in Loop: Header=BB6_22365 Depth=3
	v_bfe_u32 v5, v2, 23, 8
	v_or_b32_e32 v3, 0x800000, v0
	s_delay_alu instid0(VALU_DEP_2) | instskip(SKIP_2) | instid1(VALU_DEP_2)
	v_cmp_gt_u32_e64 s13, 0x72, v5
	v_sub_nc_u32_e32 v2, 0x71, v5
	v_cmp_eq_u32_e32 vcc_lo, 0, v5
	v_dual_cndmask_b32 v2, 0, v2, s13 :: v_dual_cndmask_b32 v0, v3, v0, vcc_lo
	s_delay_alu instid0(VALU_DEP_1) | instskip(NEXT) | instid1(VALU_DEP_1)
	v_cndmask_b32_e64 v12, v2, 0x70, vcc_lo
	v_dual_add_nc_u32 v2, 21, v12 :: v_dual_add_nc_u32 v13, 20, v12
	s_delay_alu instid0(VALU_DEP_1) | instskip(NEXT) | instid1(VALU_DEP_2)
	v_lshlrev_b64_e64 v[2:3], v2, -1
	v_lshlrev_b64_e64 v[14:15], v13, 1
	s_delay_alu instid0(VALU_DEP_2) | instskip(SKIP_1) | instid1(VALU_DEP_4)
	v_bfi_b32 v2, v2, 0, v0
	v_lshrrev_b64 v[0:1], v12, v[0:1]
	v_bfi_b32 v3, v3, 0, 0
	s_delay_alu instid0(VALU_DEP_1) | instskip(NEXT) | instid1(VALU_DEP_3)
	v_cmp_eq_u64_e64 s13, v[2:3], v[14:15]
	v_mov_b64_e32 v[2:3], v[0:1]
	s_and_saveexec_b32 s77, s13
; %bb.23977:                            ;   in Loop: Header=BB6_22365 Depth=3
	v_bfe_u32 v2, v0, 21, 1
	v_mov_b32_e32 v3, v113
	s_delay_alu instid0(VALU_DEP_1) | instskip(NEXT) | instid1(VALU_DEP_1)
	v_add_nc_u64_e32 v[2:3], v[0:1], v[2:3]
	v_add_nc_u64_e32 v[2:3], -1, v[2:3]
; %bb.23978:                            ;   in Loop: Header=BB6_22365 Depth=3
	s_or_b32 exec_lo, exec_lo, s77
	v_add_nc_u32_e32 v1, 0xffffff81, v5
	v_lshrrev_b32_e32 v3, 23, v0
	s_mov_b32 s13, exec_lo
	s_delay_alu instid0(VALU_DEP_2) | instskip(NEXT) | instid1(VALU_DEP_1)
	v_cndmask_b32_e64 v1, v1, 0xffffff82, vcc_lo
	v_add3_u32 v5, v12, v1, v3
	v_and_b32_e32 v1, 0x1fffff, v2
                                        ; implicit-def: $vgpr2
	s_delay_alu instid0(VALU_DEP_1) | instskip(SKIP_1) | instid1(VALU_DEP_2)
	v_dual_add_nc_u32 v3, 14, v5 :: v_dual_add_nc_u32 v0, v1, v0
	v_mov_b32_e32 v1, v113
	v_cmpx_ne_u32_e32 0, v3
	s_xor_b32 s13, exec_lo, s13
; %bb.23979:                            ;   in Loop: Header=BB6_22365 Depth=3
	s_delay_alu instid0(VALU_DEP_2) | instskip(SKIP_1) | instid1(VALU_DEP_1)
	v_cmp_lt_u64_e32 vcc_lo, 0xffffff, v[0:1]
	v_add_nc_u32_e32 v2, 15, v5
	v_cndmask_b32_e32 v2, v3, v2, vcc_lo
	v_cndmask_b32_e64 v3, 0, 1, vcc_lo
	s_delay_alu instid0(VALU_DEP_1)
	v_lshrrev_b64 v[0:1], v3, v[0:1]
; %bb.23980:                            ;   in Loop: Header=BB6_22365 Depth=3
	s_and_not1_saveexec_b32 s13, s13
; %bb.23981:                            ;   in Loop: Header=BB6_22365 Depth=3
	s_delay_alu instid0(VALU_DEP_1)
	v_bfe_u32 v2, v0, 23, 1
; %bb.23982:                            ;   in Loop: Header=BB6_22365 Depth=3
	s_or_b32 exec_lo, exec_lo, s13
	s_delay_alu instid0(VALU_DEP_2) | instskip(NEXT) | instid1(VALU_DEP_2)
	v_lshrrev_b64 v[0:1], 21, v[0:1]
	v_cmp_gt_i32_e32 vcc_lo, 32, v2
	v_min_i32_e32 v3, 31, v2
	v_cmp_eq_u32_e64 s13, 0, v2
	s_delay_alu instid0(VALU_DEP_2) | instskip(SKIP_1) | instid1(VALU_DEP_2)
	v_dual_cndmask_b32 v1, 0, v1, vcc_lo :: v_dual_lshlrev_b32 v3, 2, v3
	v_cndmask_b32_e32 v0, 3, v0, vcc_lo
	v_and_b32_e32 v3, 0xfc, v3
	s_delay_alu instid0(VALU_DEP_2) | instskip(NEXT) | instid1(VALU_DEP_2)
	v_cmp_eq_u64_e32 vcc_lo, 0, v[0:1]
	v_and_or_b32 v0, v0, 3, v3
	s_and_b32 s13, s13, vcc_lo
	s_delay_alu instid0(VALU_DEP_1) | instid1(SALU_CYCLE_1)
	v_cndmask_b32_e64 v0, v0, 0, s13
	s_delay_alu instid0(VALU_DEP_1)
	v_or_b32_e32 v37, v0, v4
.LBB6_23983:                            ;   in Loop: Header=BB6_22365 Depth=3
	s_or_b32 exec_lo, exec_lo, s76
                                        ; implicit-def: $vgpr4
.LBB6_23984:                            ;   in Loop: Header=BB6_22365 Depth=3
	s_and_not1_saveexec_b32 s13, s75
; %bb.23985:                            ;   in Loop: Header=BB6_22365 Depth=3
	v_or_b32_e32 v37, 0x7b, v4
; %bb.23986:                            ;   in Loop: Header=BB6_22365 Depth=3
	s_or_b32 exec_lo, exec_lo, s13
                                        ; implicit-def: $vgpr2
                                        ; implicit-def: $vgpr0_vgpr1
                                        ; implicit-def: $vgpr3
.LBB6_23987:                            ;   in Loop: Header=BB6_22365 Depth=3
	s_and_not1_saveexec_b32 s13, s74
	s_cbranch_execz .LBB6_23993
; %bb.23988:                            ;   in Loop: Header=BB6_22365 Depth=3
	s_mov_b32 s74, exec_lo
                                        ; implicit-def: $vgpr37
	v_cmpx_ne_u64_e32 0, v[0:1]
	s_xor_b32 s74, exec_lo, s74
; %bb.23989:                            ;   in Loop: Header=BB6_22365 Depth=3
	v_or_b32_e32 v37, 0x7f, v3
                                        ; implicit-def: $vgpr2
; %bb.23990:                            ;   in Loop: Header=BB6_22365 Depth=3
	s_and_not1_saveexec_b32 s74, s74
; %bb.23991:                            ;   in Loop: Header=BB6_22365 Depth=3
	v_cmp_lt_i32_e32 vcc_lo, -1, v2
	v_mov_b32_e32 v0, 0x7c
	s_delay_alu instid0(VALU_DEP_1)
	v_cndmask_b32_e32 v37, 0xfc, v0, vcc_lo
; %bb.23992:                            ;   in Loop: Header=BB6_22365 Depth=3
	s_or_b32 exec_lo, exec_lo, s74
.LBB6_23993:                            ;   in Loop: Header=BB6_22365 Depth=3
	s_delay_alu instid0(SALU_CYCLE_1) | instskip(SKIP_2) | instid1(VALU_DEP_1)
	s_or_b32 exec_lo, exec_lo, s13
	v_dual_mov_b32 v1, 0 :: v_dual_lshrrev_b32 v0, 16, v9
	s_mov_b32 s74, exec_lo
	v_and_b32_e32 v2, 0xff, v0
	s_delay_alu instid0(VALU_DEP_1)
	v_cmpx_ne_u16_e32 0, v2
	s_cbranch_execz .LBB6_24003
; %bb.23994:                            ;   in Loop: Header=BB6_22365 Depth=3
	v_bfrev_b32_e32 v1, 1
	s_mov_b32 s75, exec_lo
	v_cmpx_ne_u16_e32 0x80, v2
	s_cbranch_execz .LBB6_24002
; %bb.23995:                            ;   in Loop: Header=BB6_22365 Depth=3
	v_and_b32_e32 v1, 0x7c0000, v9
	v_bfe_u32 v2, v9, 16, 2
	s_delay_alu instid0(VALU_DEP_2) | instskip(SKIP_1) | instid1(SALU_CYCLE_1)
	v_cmp_ne_u32_e32 vcc_lo, 0x7c0000, v1
                                        ; implicit-def: $vgpr1
	s_and_saveexec_b32 s13, vcc_lo
	s_xor_b32 s13, exec_lo, s13
	s_cbranch_execz .LBB6_23999
; %bb.23996:                            ;   in Loop: Header=BB6_22365 Depth=3
	v_bfe_u32 v1, v9, 18, 5
	s_mov_b32 s76, exec_lo
	s_delay_alu instid0(VALU_DEP_1)
	v_cmpx_eq_u32_e32 0, v1
; %bb.23997:                            ;   in Loop: Header=BB6_22365 Depth=3
	v_clz_i32_u32_e32 v1, v2
	s_delay_alu instid0(VALU_DEP_1) | instskip(NEXT) | instid1(VALU_DEP_1)
	v_min_u32_e32 v1, 32, v1
	v_subrev_nc_u32_e32 v2, 29, v1
	s_delay_alu instid0(VALU_DEP_1) | instskip(NEXT) | instid1(VALU_DEP_1)
	v_lshlrev_b64_e32 v[2:3], v2, v[0:1]
	v_dual_sub_nc_u32 v1, 30, v1 :: v_dual_bitop2_b32 v2, 3, v2 bitop3:0x40
; %bb.23998:                            ;   in Loop: Header=BB6_22365 Depth=3
	s_or_b32 exec_lo, exec_lo, s76
	v_lshlrev_b32_e32 v0, 24, v0
	s_delay_alu instid0(VALU_DEP_1) | instskip(NEXT) | instid1(VALU_DEP_1)
	v_and_b32_e32 v0, 0x80000000, v0
	v_lshl_add_u32 v0, v1, 23, v0
	s_delay_alu instid0(VALU_DEP_1) | instskip(NEXT) | instid1(VALU_DEP_1)
	v_lshl_or_b32 v0, v2, 21, v0
                                        ; implicit-def: $vgpr2
	v_add_nc_u32_e32 v1, 0x38000000, v0
                                        ; implicit-def: $vgpr0
.LBB6_23999:                            ;   in Loop: Header=BB6_22365 Depth=3
	s_and_not1_saveexec_b32 s76, s13
; %bb.24000:                            ;   in Loop: Header=BB6_22365 Depth=3
	v_bfe_i32 v0, v0, 0, 8
	v_cmp_eq_u32_e32 vcc_lo, 0, v2
	s_delay_alu instid0(VALU_DEP_2) | instskip(SKIP_1) | instid1(VALU_DEP_1)
	v_cmp_lt_i16_e64 s13, -1, v0
	v_mov_b32_e32 v0, 0x7f800000
	v_cndmask_b32_e64 v0, 0xff800000, v0, s13
	s_delay_alu instid0(VALU_DEP_1)
	v_cndmask_b32_e32 v1, 0x7f800001, v0, vcc_lo
; %bb.24001:                            ;   in Loop: Header=BB6_22365 Depth=3
	s_or_b32 exec_lo, exec_lo, s76
.LBB6_24002:                            ;   in Loop: Header=BB6_22365 Depth=3
	s_delay_alu instid0(SALU_CYCLE_1)
	s_or_b32 exec_lo, exec_lo, s75
.LBB6_24003:                            ;   in Loop: Header=BB6_22365 Depth=3
	s_delay_alu instid0(SALU_CYCLE_1) | instskip(NEXT) | instid1(VALU_DEP_1)
	s_or_b32 exec_lo, exec_lo, s74
	v_dual_mul_f32 v2, s73, v1 :: v_dual_mov_b32 v5, v113
	v_mov_b32_e32 v1, v113
                                        ; implicit-def: $vgpr48
	s_mov_b32 s13, exec_lo
	s_delay_alu instid0(VALU_DEP_2) | instskip(SKIP_2) | instid1(VALU_DEP_3)
	v_and_b32_e32 v4, 0x7f800000, v2
	v_and_b32_e32 v0, 0x7fffff, v2
	v_lshrrev_b32_e32 v3, 24, v2
	v_cmpx_ne_u64_e32 0x7f800000, v[4:5]
	s_xor_b32 s74, exec_lo, s13
	s_cbranch_execz .LBB6_24017
; %bb.24004:                            ;   in Loop: Header=BB6_22365 Depth=3
	v_and_b32_e32 v4, 0x7fffffff, v2
	v_mov_b32_e32 v5, v113
                                        ; implicit-def: $vgpr48
	s_delay_alu instid0(VALU_DEP_1) | instskip(SKIP_2) | instid1(SALU_CYCLE_1)
	v_cmp_gt_u64_e32 vcc_lo, 0x47600001, v[4:5]
	v_and_b32_e32 v4, 0x80, v3
	s_and_saveexec_b32 s13, vcc_lo
	s_xor_b32 s75, exec_lo, s13
	s_cbranch_execz .LBB6_24014
; %bb.24005:                            ;   in Loop: Header=BB6_22365 Depth=3
	v_mov_b32_e32 v48, 0
	s_mov_b32 s76, exec_lo
	v_cmpx_ne_u32_e32 0, v2
	s_cbranch_execz .LBB6_24013
; %bb.24006:                            ;   in Loop: Header=BB6_22365 Depth=3
	v_bfe_u32 v5, v2, 23, 8
	v_or_b32_e32 v3, 0x800000, v0
	s_delay_alu instid0(VALU_DEP_2) | instskip(SKIP_2) | instid1(VALU_DEP_2)
	v_cmp_gt_u32_e64 s13, 0x72, v5
	v_sub_nc_u32_e32 v2, 0x71, v5
	v_cmp_eq_u32_e32 vcc_lo, 0, v5
	v_dual_cndmask_b32 v2, 0, v2, s13 :: v_dual_cndmask_b32 v0, v3, v0, vcc_lo
	s_delay_alu instid0(VALU_DEP_1) | instskip(NEXT) | instid1(VALU_DEP_1)
	v_cndmask_b32_e64 v12, v2, 0x70, vcc_lo
	v_dual_add_nc_u32 v2, 21, v12 :: v_dual_add_nc_u32 v13, 20, v12
	s_delay_alu instid0(VALU_DEP_1) | instskip(NEXT) | instid1(VALU_DEP_2)
	v_lshlrev_b64_e64 v[2:3], v2, -1
	v_lshlrev_b64_e64 v[14:15], v13, 1
	s_delay_alu instid0(VALU_DEP_2) | instskip(SKIP_1) | instid1(VALU_DEP_4)
	v_bfi_b32 v2, v2, 0, v0
	v_lshrrev_b64 v[0:1], v12, v[0:1]
	v_bfi_b32 v3, v3, 0, 0
	s_delay_alu instid0(VALU_DEP_1) | instskip(NEXT) | instid1(VALU_DEP_3)
	v_cmp_eq_u64_e64 s13, v[2:3], v[14:15]
	v_mov_b64_e32 v[2:3], v[0:1]
	s_and_saveexec_b32 s77, s13
; %bb.24007:                            ;   in Loop: Header=BB6_22365 Depth=3
	v_bfe_u32 v2, v0, 21, 1
	v_mov_b32_e32 v3, v113
	s_delay_alu instid0(VALU_DEP_1) | instskip(NEXT) | instid1(VALU_DEP_1)
	v_add_nc_u64_e32 v[2:3], v[0:1], v[2:3]
	v_add_nc_u64_e32 v[2:3], -1, v[2:3]
; %bb.24008:                            ;   in Loop: Header=BB6_22365 Depth=3
	s_or_b32 exec_lo, exec_lo, s77
	v_add_nc_u32_e32 v1, 0xffffff81, v5
	v_lshrrev_b32_e32 v3, 23, v0
	s_mov_b32 s13, exec_lo
	s_delay_alu instid0(VALU_DEP_2) | instskip(NEXT) | instid1(VALU_DEP_1)
	v_cndmask_b32_e64 v1, v1, 0xffffff82, vcc_lo
	v_add3_u32 v5, v12, v1, v3
	v_and_b32_e32 v1, 0x1fffff, v2
                                        ; implicit-def: $vgpr2
	s_delay_alu instid0(VALU_DEP_1) | instskip(SKIP_1) | instid1(VALU_DEP_2)
	v_dual_add_nc_u32 v3, 14, v5 :: v_dual_add_nc_u32 v0, v1, v0
	v_mov_b32_e32 v1, v113
	v_cmpx_ne_u32_e32 0, v3
	s_xor_b32 s13, exec_lo, s13
; %bb.24009:                            ;   in Loop: Header=BB6_22365 Depth=3
	s_delay_alu instid0(VALU_DEP_2) | instskip(SKIP_1) | instid1(VALU_DEP_1)
	v_cmp_lt_u64_e32 vcc_lo, 0xffffff, v[0:1]
	v_add_nc_u32_e32 v2, 15, v5
	v_cndmask_b32_e32 v2, v3, v2, vcc_lo
	v_cndmask_b32_e64 v3, 0, 1, vcc_lo
	s_delay_alu instid0(VALU_DEP_1)
	v_lshrrev_b64 v[0:1], v3, v[0:1]
; %bb.24010:                            ;   in Loop: Header=BB6_22365 Depth=3
	s_and_not1_saveexec_b32 s13, s13
; %bb.24011:                            ;   in Loop: Header=BB6_22365 Depth=3
	s_delay_alu instid0(VALU_DEP_1)
	v_bfe_u32 v2, v0, 23, 1
; %bb.24012:                            ;   in Loop: Header=BB6_22365 Depth=3
	s_or_b32 exec_lo, exec_lo, s13
	s_delay_alu instid0(VALU_DEP_2) | instskip(NEXT) | instid1(VALU_DEP_2)
	v_lshrrev_b64 v[0:1], 21, v[0:1]
	v_cmp_gt_i32_e32 vcc_lo, 32, v2
	v_min_i32_e32 v3, 31, v2
	v_cmp_eq_u32_e64 s13, 0, v2
	s_delay_alu instid0(VALU_DEP_2) | instskip(SKIP_1) | instid1(VALU_DEP_2)
	v_dual_cndmask_b32 v1, 0, v1, vcc_lo :: v_dual_lshlrev_b32 v3, 2, v3
	v_cndmask_b32_e32 v0, 3, v0, vcc_lo
	v_and_b32_e32 v3, 0xfc, v3
	s_delay_alu instid0(VALU_DEP_2) | instskip(NEXT) | instid1(VALU_DEP_2)
	v_cmp_eq_u64_e32 vcc_lo, 0, v[0:1]
	v_and_or_b32 v0, v0, 3, v3
	s_and_b32 s13, s13, vcc_lo
	s_delay_alu instid0(VALU_DEP_1) | instid1(SALU_CYCLE_1)
	v_cndmask_b32_e64 v0, v0, 0, s13
	s_delay_alu instid0(VALU_DEP_1)
	v_or_b32_e32 v48, v0, v4
.LBB6_24013:                            ;   in Loop: Header=BB6_22365 Depth=3
	s_or_b32 exec_lo, exec_lo, s76
                                        ; implicit-def: $vgpr4
.LBB6_24014:                            ;   in Loop: Header=BB6_22365 Depth=3
	s_and_not1_saveexec_b32 s13, s75
; %bb.24015:                            ;   in Loop: Header=BB6_22365 Depth=3
	v_or_b32_e32 v48, 0x7b, v4
; %bb.24016:                            ;   in Loop: Header=BB6_22365 Depth=3
	s_or_b32 exec_lo, exec_lo, s13
                                        ; implicit-def: $vgpr2
                                        ; implicit-def: $vgpr0_vgpr1
                                        ; implicit-def: $vgpr3
.LBB6_24017:                            ;   in Loop: Header=BB6_22365 Depth=3
	s_and_not1_saveexec_b32 s13, s74
	s_cbranch_execz .LBB6_24023
; %bb.24018:                            ;   in Loop: Header=BB6_22365 Depth=3
	s_mov_b32 s74, exec_lo
                                        ; implicit-def: $vgpr48
	v_cmpx_ne_u64_e32 0, v[0:1]
	s_xor_b32 s74, exec_lo, s74
; %bb.24019:                            ;   in Loop: Header=BB6_22365 Depth=3
	v_or_b32_e32 v48, 0x7f, v3
                                        ; implicit-def: $vgpr2
; %bb.24020:                            ;   in Loop: Header=BB6_22365 Depth=3
	s_and_not1_saveexec_b32 s74, s74
; %bb.24021:                            ;   in Loop: Header=BB6_22365 Depth=3
	v_cmp_lt_i32_e32 vcc_lo, -1, v2
	v_mov_b32_e32 v0, 0x7c
	s_delay_alu instid0(VALU_DEP_1)
	v_cndmask_b32_e32 v48, 0xfc, v0, vcc_lo
; %bb.24022:                            ;   in Loop: Header=BB6_22365 Depth=3
	s_or_b32 exec_lo, exec_lo, s74
.LBB6_24023:                            ;   in Loop: Header=BB6_22365 Depth=3
	s_delay_alu instid0(SALU_CYCLE_1)
	s_or_b32 exec_lo, exec_lo, s13
	v_mov_b32_e32 v1, 0
	s_mov_b32 s74, exec_lo
	v_cmpx_lt_u64_e64 s[22:23], v[8:9]
	s_cbranch_execz .LBB6_24033
; %bb.24024:                            ;   in Loop: Header=BB6_22365 Depth=3
	v_lshrrev_b32_e32 v0, 24, v9
	v_bfrev_b32_e32 v1, 1
	s_mov_b32 s75, exec_lo
	s_delay_alu instid0(VALU_DEP_2)
	v_cmpx_ne_u32_e32 0x80, v0
	s_cbranch_execz .LBB6_24032
; %bb.24025:                            ;   in Loop: Header=BB6_22365 Depth=3
	v_and_b32_e32 v1, 0x7c000000, v9
	v_bfe_u32 v2, v9, 24, 2
	s_delay_alu instid0(VALU_DEP_2) | instskip(SKIP_1) | instid1(SALU_CYCLE_1)
	v_cmp_ne_u32_e32 vcc_lo, 0x7c000000, v1
                                        ; implicit-def: $vgpr1
	s_and_saveexec_b32 s13, vcc_lo
	s_xor_b32 s13, exec_lo, s13
	s_cbranch_execz .LBB6_24029
; %bb.24026:                            ;   in Loop: Header=BB6_22365 Depth=3
	v_bfe_u32 v1, v9, 26, 5
	s_mov_b32 s76, exec_lo
	s_delay_alu instid0(VALU_DEP_1)
	v_cmpx_eq_u32_e32 0, v1
; %bb.24027:                            ;   in Loop: Header=BB6_22365 Depth=3
	v_clz_i32_u32_e32 v1, v2
	s_delay_alu instid0(VALU_DEP_1) | instskip(NEXT) | instid1(VALU_DEP_1)
	v_min_u32_e32 v2, 32, v1
	v_subrev_nc_u32_e32 v1, 29, v2
	s_delay_alu instid0(VALU_DEP_1) | instskip(NEXT) | instid1(VALU_DEP_1)
	v_lshlrev_b64_e32 v[0:1], v1, v[0:1]
	v_dual_sub_nc_u32 v1, 30, v2 :: v_dual_bitop2_b32 v2, 3, v0 bitop3:0x40
; %bb.24028:                            ;   in Loop: Header=BB6_22365 Depth=3
	s_or_b32 exec_lo, exec_lo, s76
	v_and_b32_e32 v0, 0x80000000, v9
	s_delay_alu instid0(VALU_DEP_1) | instskip(NEXT) | instid1(VALU_DEP_1)
	v_lshl_add_u32 v0, v1, 23, v0
	v_lshl_or_b32 v0, v2, 21, v0
                                        ; implicit-def: $vgpr2
	s_delay_alu instid0(VALU_DEP_1)
	v_add_nc_u32_e32 v1, 0x38000000, v0
.LBB6_24029:                            ;   in Loop: Header=BB6_22365 Depth=3
	s_and_not1_saveexec_b32 s76, s13
; %bb.24030:                            ;   in Loop: Header=BB6_22365 Depth=3
	v_cmp_lt_i64_e64 s13, -1, v[8:9]
	v_mov_b32_e32 v0, 0x7f800000
	v_cmp_eq_u32_e32 vcc_lo, 0, v2
	s_delay_alu instid0(VALU_DEP_2) | instskip(NEXT) | instid1(VALU_DEP_1)
	v_cndmask_b32_e64 v0, 0xff800000, v0, s13
	v_cndmask_b32_e32 v1, 0x7f800001, v0, vcc_lo
; %bb.24031:                            ;   in Loop: Header=BB6_22365 Depth=3
	s_or_b32 exec_lo, exec_lo, s76
.LBB6_24032:                            ;   in Loop: Header=BB6_22365 Depth=3
	s_delay_alu instid0(SALU_CYCLE_1)
	s_or_b32 exec_lo, exec_lo, s75
.LBB6_24033:                            ;   in Loop: Header=BB6_22365 Depth=3
	s_delay_alu instid0(SALU_CYCLE_1) | instskip(NEXT) | instid1(VALU_DEP_1)
	s_or_b32 exec_lo, exec_lo, s74
	v_dual_mul_f32 v2, s73, v1 :: v_dual_mov_b32 v5, v113
	v_mov_b32_e32 v1, v113
                                        ; implicit-def: $vgpr51
	s_mov_b32 s13, exec_lo
	s_delay_alu instid0(VALU_DEP_2) | instskip(SKIP_2) | instid1(VALU_DEP_3)
	v_and_b32_e32 v4, 0x7f800000, v2
	v_and_b32_e32 v0, 0x7fffff, v2
	v_lshrrev_b32_e32 v3, 24, v2
	v_cmpx_ne_u64_e32 0x7f800000, v[4:5]
	s_xor_b32 s74, exec_lo, s13
	s_cbranch_execz .LBB6_24047
; %bb.24034:                            ;   in Loop: Header=BB6_22365 Depth=3
	v_and_b32_e32 v4, 0x7fffffff, v2
	v_mov_b32_e32 v5, v113
                                        ; implicit-def: $vgpr51
	s_delay_alu instid0(VALU_DEP_1) | instskip(SKIP_2) | instid1(SALU_CYCLE_1)
	v_cmp_gt_u64_e32 vcc_lo, 0x47600001, v[4:5]
	v_and_b32_e32 v4, 0x80, v3
	s_and_saveexec_b32 s13, vcc_lo
	s_xor_b32 s75, exec_lo, s13
	s_cbranch_execz .LBB6_24044
; %bb.24035:                            ;   in Loop: Header=BB6_22365 Depth=3
	v_mov_b32_e32 v51, 0
	s_mov_b32 s76, exec_lo
	v_cmpx_ne_u32_e32 0, v2
	s_cbranch_execz .LBB6_24043
; %bb.24036:                            ;   in Loop: Header=BB6_22365 Depth=3
	v_bfe_u32 v5, v2, 23, 8
	v_or_b32_e32 v3, 0x800000, v0
	s_delay_alu instid0(VALU_DEP_2) | instskip(SKIP_2) | instid1(VALU_DEP_2)
	v_cmp_gt_u32_e64 s13, 0x72, v5
	v_sub_nc_u32_e32 v2, 0x71, v5
	v_cmp_eq_u32_e32 vcc_lo, 0, v5
	v_dual_cndmask_b32 v2, 0, v2, s13 :: v_dual_cndmask_b32 v0, v3, v0, vcc_lo
	s_delay_alu instid0(VALU_DEP_1) | instskip(NEXT) | instid1(VALU_DEP_1)
	v_cndmask_b32_e64 v8, v2, 0x70, vcc_lo
	v_dual_add_nc_u32 v2, 21, v8 :: v_dual_add_nc_u32 v9, 20, v8
	s_delay_alu instid0(VALU_DEP_1) | instskip(NEXT) | instid1(VALU_DEP_2)
	v_lshlrev_b64_e64 v[2:3], v2, -1
	v_lshlrev_b64_e64 v[12:13], v9, 1
	s_delay_alu instid0(VALU_DEP_2) | instskip(SKIP_1) | instid1(VALU_DEP_4)
	v_bfi_b32 v2, v2, 0, v0
	v_lshrrev_b64 v[0:1], v8, v[0:1]
	v_bfi_b32 v3, v3, 0, 0
	s_delay_alu instid0(VALU_DEP_1) | instskip(NEXT) | instid1(VALU_DEP_3)
	v_cmp_eq_u64_e64 s13, v[2:3], v[12:13]
	v_mov_b64_e32 v[2:3], v[0:1]
	s_and_saveexec_b32 s77, s13
; %bb.24037:                            ;   in Loop: Header=BB6_22365 Depth=3
	v_bfe_u32 v2, v0, 21, 1
	v_mov_b32_e32 v3, v113
	s_delay_alu instid0(VALU_DEP_1) | instskip(NEXT) | instid1(VALU_DEP_1)
	v_add_nc_u64_e32 v[2:3], v[0:1], v[2:3]
	v_add_nc_u64_e32 v[2:3], -1, v[2:3]
; %bb.24038:                            ;   in Loop: Header=BB6_22365 Depth=3
	s_or_b32 exec_lo, exec_lo, s77
	v_add_nc_u32_e32 v1, 0xffffff81, v5
	v_lshrrev_b32_e32 v3, 23, v0
	s_mov_b32 s13, exec_lo
	s_delay_alu instid0(VALU_DEP_2) | instskip(NEXT) | instid1(VALU_DEP_1)
	v_cndmask_b32_e64 v1, v1, 0xffffff82, vcc_lo
	v_add3_u32 v5, v8, v1, v3
	v_and_b32_e32 v1, 0x1fffff, v2
                                        ; implicit-def: $vgpr2
	s_delay_alu instid0(VALU_DEP_1) | instskip(SKIP_1) | instid1(VALU_DEP_2)
	v_dual_add_nc_u32 v3, 14, v5 :: v_dual_add_nc_u32 v0, v1, v0
	v_mov_b32_e32 v1, v113
	v_cmpx_ne_u32_e32 0, v3
	s_xor_b32 s13, exec_lo, s13
; %bb.24039:                            ;   in Loop: Header=BB6_22365 Depth=3
	s_delay_alu instid0(VALU_DEP_2) | instskip(SKIP_1) | instid1(VALU_DEP_1)
	v_cmp_lt_u64_e32 vcc_lo, 0xffffff, v[0:1]
	v_add_nc_u32_e32 v2, 15, v5
	v_cndmask_b32_e32 v2, v3, v2, vcc_lo
	v_cndmask_b32_e64 v3, 0, 1, vcc_lo
	s_delay_alu instid0(VALU_DEP_1)
	v_lshrrev_b64 v[0:1], v3, v[0:1]
; %bb.24040:                            ;   in Loop: Header=BB6_22365 Depth=3
	s_and_not1_saveexec_b32 s13, s13
; %bb.24041:                            ;   in Loop: Header=BB6_22365 Depth=3
	s_delay_alu instid0(VALU_DEP_1)
	v_bfe_u32 v2, v0, 23, 1
; %bb.24042:                            ;   in Loop: Header=BB6_22365 Depth=3
	s_or_b32 exec_lo, exec_lo, s13
	s_delay_alu instid0(VALU_DEP_2) | instskip(NEXT) | instid1(VALU_DEP_2)
	v_lshrrev_b64 v[0:1], 21, v[0:1]
	v_cmp_gt_i32_e32 vcc_lo, 32, v2
	v_min_i32_e32 v3, 31, v2
	v_cmp_eq_u32_e64 s13, 0, v2
	s_delay_alu instid0(VALU_DEP_2) | instskip(SKIP_1) | instid1(VALU_DEP_2)
	v_dual_cndmask_b32 v1, 0, v1, vcc_lo :: v_dual_lshlrev_b32 v3, 2, v3
	v_cndmask_b32_e32 v0, 3, v0, vcc_lo
	v_and_b32_e32 v3, 0xfc, v3
	s_delay_alu instid0(VALU_DEP_2) | instskip(NEXT) | instid1(VALU_DEP_2)
	v_cmp_eq_u64_e32 vcc_lo, 0, v[0:1]
	v_and_or_b32 v0, v0, 3, v3
	s_and_b32 s13, s13, vcc_lo
	s_delay_alu instid0(VALU_DEP_1) | instid1(SALU_CYCLE_1)
	v_cndmask_b32_e64 v0, v0, 0, s13
	s_delay_alu instid0(VALU_DEP_1)
	v_or_b32_e32 v51, v0, v4
.LBB6_24043:                            ;   in Loop: Header=BB6_22365 Depth=3
	s_or_b32 exec_lo, exec_lo, s76
                                        ; implicit-def: $vgpr4
.LBB6_24044:                            ;   in Loop: Header=BB6_22365 Depth=3
	s_and_not1_saveexec_b32 s13, s75
; %bb.24045:                            ;   in Loop: Header=BB6_22365 Depth=3
	v_or_b32_e32 v51, 0x7b, v4
; %bb.24046:                            ;   in Loop: Header=BB6_22365 Depth=3
	s_or_b32 exec_lo, exec_lo, s13
                                        ; implicit-def: $vgpr2
                                        ; implicit-def: $vgpr0_vgpr1
                                        ; implicit-def: $vgpr3
.LBB6_24047:                            ;   in Loop: Header=BB6_22365 Depth=3
	s_and_not1_saveexec_b32 s13, s74
	s_cbranch_execz .LBB6_24053
; %bb.24048:                            ;   in Loop: Header=BB6_22365 Depth=3
	s_mov_b32 s74, exec_lo
                                        ; implicit-def: $vgpr51
	v_cmpx_ne_u64_e32 0, v[0:1]
	s_xor_b32 s74, exec_lo, s74
; %bb.24049:                            ;   in Loop: Header=BB6_22365 Depth=3
	v_or_b32_e32 v51, 0x7f, v3
                                        ; implicit-def: $vgpr2
; %bb.24050:                            ;   in Loop: Header=BB6_22365 Depth=3
	s_and_not1_saveexec_b32 s74, s74
; %bb.24051:                            ;   in Loop: Header=BB6_22365 Depth=3
	v_cmp_lt_i32_e32 vcc_lo, -1, v2
	v_mov_b32_e32 v0, 0x7c
	s_delay_alu instid0(VALU_DEP_1)
	v_cndmask_b32_e32 v51, 0xfc, v0, vcc_lo
; %bb.24052:                            ;   in Loop: Header=BB6_22365 Depth=3
	s_or_b32 exec_lo, exec_lo, s74
.LBB6_24053:                            ;   in Loop: Header=BB6_22365 Depth=3
	s_delay_alu instid0(SALU_CYCLE_1) | instskip(SKIP_1) | instid1(VALU_DEP_1)
	s_or_b32 exec_lo, exec_lo, s13
	v_and_b32_e32 v0, 0xff, v10
	v_cmp_ne_u16_e32 vcc_lo, 0, v0
	v_mov_b32_e32 v0, 0
	s_and_saveexec_b32 s74, vcc_lo
	s_cbranch_execz .LBB6_24063
; %bb.24054:                            ;   in Loop: Header=BB6_22365 Depth=3
	v_bfe_i32 v2, v10, 0, 8
	v_bfrev_b32_e32 v0, 1
	s_mov_b32 s75, exec_lo
	s_delay_alu instid0(VALU_DEP_2)
	v_cmpx_ne_u16_e32 0xff80, v2
	s_cbranch_execz .LBB6_24062
; %bb.24055:                            ;   in Loop: Header=BB6_22365 Depth=3
	v_and_b32_e32 v0, 0x7c, v10
	v_and_b32_e32 v1, 3, v10
	s_delay_alu instid0(VALU_DEP_2) | instskip(SKIP_1) | instid1(SALU_CYCLE_1)
	v_cmp_ne_u32_e32 vcc_lo, 0x7c, v0
                                        ; implicit-def: $vgpr0
	s_and_saveexec_b32 s13, vcc_lo
	s_xor_b32 s13, exec_lo, s13
	s_cbranch_execz .LBB6_24059
; %bb.24056:                            ;   in Loop: Header=BB6_22365 Depth=3
	v_bfe_u32 v0, v10, 2, 5
	s_mov_b32 s76, exec_lo
	s_delay_alu instid0(VALU_DEP_1)
	v_cmpx_eq_u32_e32 0, v0
; %bb.24057:                            ;   in Loop: Header=BB6_22365 Depth=3
	v_clz_i32_u32_e32 v0, v1
	s_delay_alu instid0(VALU_DEP_1) | instskip(NEXT) | instid1(VALU_DEP_1)
	v_min_u32_e32 v0, 32, v0
	v_subrev_nc_u32_e32 v1, 29, v0
	s_delay_alu instid0(VALU_DEP_1) | instskip(NEXT) | instid1(VALU_DEP_1)
	v_lshlrev_b64_e32 v[2:3], v1, v[10:11]
	v_dual_sub_nc_u32 v0, 30, v0 :: v_dual_bitop2_b32 v1, 3, v2 bitop3:0x40
; %bb.24058:                            ;   in Loop: Header=BB6_22365 Depth=3
	s_or_b32 exec_lo, exec_lo, s76
	v_lshlrev_b32_e32 v2, 24, v10
	s_delay_alu instid0(VALU_DEP_1) | instskip(NEXT) | instid1(VALU_DEP_1)
	v_and_b32_e32 v2, 0x80000000, v2
	v_lshl_add_u32 v0, v0, 23, v2
                                        ; implicit-def: $vgpr2
	s_delay_alu instid0(VALU_DEP_1) | instskip(NEXT) | instid1(VALU_DEP_1)
	v_lshl_or_b32 v0, v1, 21, v0
                                        ; implicit-def: $vgpr1
	v_add_nc_u32_e32 v0, 0x38000000, v0
.LBB6_24059:                            ;   in Loop: Header=BB6_22365 Depth=3
	s_and_not1_saveexec_b32 s76, s13
; %bb.24060:                            ;   in Loop: Header=BB6_22365 Depth=3
	v_cmp_lt_i16_e64 s13, -1, v2
	v_mov_b32_e32 v0, 0x7f800000
	v_cmp_eq_u32_e32 vcc_lo, 0, v1
	s_delay_alu instid0(VALU_DEP_2) | instskip(NEXT) | instid1(VALU_DEP_1)
	v_cndmask_b32_e64 v0, 0xff800000, v0, s13
	v_cndmask_b32_e32 v0, 0x7f800001, v0, vcc_lo
; %bb.24061:                            ;   in Loop: Header=BB6_22365 Depth=3
	s_or_b32 exec_lo, exec_lo, s76
.LBB6_24062:                            ;   in Loop: Header=BB6_22365 Depth=3
	s_delay_alu instid0(SALU_CYCLE_1)
	s_or_b32 exec_lo, exec_lo, s75
.LBB6_24063:                            ;   in Loop: Header=BB6_22365 Depth=3
	s_delay_alu instid0(SALU_CYCLE_1) | instskip(NEXT) | instid1(VALU_DEP_1)
	s_or_b32 exec_lo, exec_lo, s74
	v_dual_mul_f32 v2, s73, v0 :: v_dual_mov_b32 v5, v113
	v_mov_b32_e32 v1, v113
                                        ; implicit-def: $vgpr27
	s_mov_b32 s13, exec_lo
	s_delay_alu instid0(VALU_DEP_2) | instskip(SKIP_2) | instid1(VALU_DEP_3)
	v_and_b32_e32 v4, 0x7f800000, v2
	v_and_b32_e32 v0, 0x7fffff, v2
	v_lshrrev_b32_e32 v3, 24, v2
	v_cmpx_ne_u64_e32 0x7f800000, v[4:5]
	s_xor_b32 s74, exec_lo, s13
	s_cbranch_execz .LBB6_24077
; %bb.24064:                            ;   in Loop: Header=BB6_22365 Depth=3
	v_and_b32_e32 v4, 0x7fffffff, v2
	v_mov_b32_e32 v5, v113
                                        ; implicit-def: $vgpr27
	s_delay_alu instid0(VALU_DEP_1) | instskip(SKIP_2) | instid1(SALU_CYCLE_1)
	v_cmp_gt_u64_e32 vcc_lo, 0x47600001, v[4:5]
	v_and_b32_e32 v4, 0x80, v3
	s_and_saveexec_b32 s13, vcc_lo
	s_xor_b32 s75, exec_lo, s13
	s_cbranch_execz .LBB6_24074
; %bb.24065:                            ;   in Loop: Header=BB6_22365 Depth=3
	v_mov_b32_e32 v27, 0
	s_mov_b32 s76, exec_lo
	v_cmpx_ne_u32_e32 0, v2
	s_cbranch_execz .LBB6_24073
; %bb.24066:                            ;   in Loop: Header=BB6_22365 Depth=3
	v_bfe_u32 v5, v2, 23, 8
	v_or_b32_e32 v3, 0x800000, v0
	s_delay_alu instid0(VALU_DEP_2) | instskip(SKIP_2) | instid1(VALU_DEP_2)
	v_cmp_gt_u32_e64 s13, 0x72, v5
	v_sub_nc_u32_e32 v2, 0x71, v5
	v_cmp_eq_u32_e32 vcc_lo, 0, v5
	v_dual_cndmask_b32 v2, 0, v2, s13 :: v_dual_cndmask_b32 v0, v3, v0, vcc_lo
	s_delay_alu instid0(VALU_DEP_1) | instskip(NEXT) | instid1(VALU_DEP_1)
	v_cndmask_b32_e64 v8, v2, 0x70, vcc_lo
	v_dual_add_nc_u32 v2, 21, v8 :: v_dual_add_nc_u32 v9, 20, v8
	s_delay_alu instid0(VALU_DEP_1) | instskip(NEXT) | instid1(VALU_DEP_2)
	v_lshlrev_b64_e64 v[2:3], v2, -1
	v_lshlrev_b64_e64 v[12:13], v9, 1
	s_delay_alu instid0(VALU_DEP_2) | instskip(SKIP_1) | instid1(VALU_DEP_4)
	v_bfi_b32 v2, v2, 0, v0
	v_lshrrev_b64 v[0:1], v8, v[0:1]
	v_bfi_b32 v3, v3, 0, 0
	s_delay_alu instid0(VALU_DEP_1) | instskip(NEXT) | instid1(VALU_DEP_3)
	v_cmp_eq_u64_e64 s13, v[2:3], v[12:13]
	v_mov_b64_e32 v[2:3], v[0:1]
	s_and_saveexec_b32 s77, s13
; %bb.24067:                            ;   in Loop: Header=BB6_22365 Depth=3
	v_bfe_u32 v2, v0, 21, 1
	v_mov_b32_e32 v3, v113
	s_delay_alu instid0(VALU_DEP_1) | instskip(NEXT) | instid1(VALU_DEP_1)
	v_add_nc_u64_e32 v[2:3], v[0:1], v[2:3]
	v_add_nc_u64_e32 v[2:3], -1, v[2:3]
; %bb.24068:                            ;   in Loop: Header=BB6_22365 Depth=3
	s_or_b32 exec_lo, exec_lo, s77
	v_add_nc_u32_e32 v1, 0xffffff81, v5
	v_lshrrev_b32_e32 v3, 23, v0
	s_mov_b32 s13, exec_lo
	s_delay_alu instid0(VALU_DEP_2) | instskip(NEXT) | instid1(VALU_DEP_1)
	v_cndmask_b32_e64 v1, v1, 0xffffff82, vcc_lo
	v_add3_u32 v5, v8, v1, v3
	v_and_b32_e32 v1, 0x1fffff, v2
                                        ; implicit-def: $vgpr2
	s_delay_alu instid0(VALU_DEP_1) | instskip(SKIP_1) | instid1(VALU_DEP_2)
	v_dual_add_nc_u32 v3, 14, v5 :: v_dual_add_nc_u32 v0, v1, v0
	v_mov_b32_e32 v1, v113
	v_cmpx_ne_u32_e32 0, v3
	s_xor_b32 s13, exec_lo, s13
; %bb.24069:                            ;   in Loop: Header=BB6_22365 Depth=3
	s_delay_alu instid0(VALU_DEP_2) | instskip(SKIP_1) | instid1(VALU_DEP_1)
	v_cmp_lt_u64_e32 vcc_lo, 0xffffff, v[0:1]
	v_add_nc_u32_e32 v2, 15, v5
	v_cndmask_b32_e32 v2, v3, v2, vcc_lo
	v_cndmask_b32_e64 v3, 0, 1, vcc_lo
	s_delay_alu instid0(VALU_DEP_1)
	v_lshrrev_b64 v[0:1], v3, v[0:1]
; %bb.24070:                            ;   in Loop: Header=BB6_22365 Depth=3
	s_and_not1_saveexec_b32 s13, s13
; %bb.24071:                            ;   in Loop: Header=BB6_22365 Depth=3
	s_delay_alu instid0(VALU_DEP_1)
	v_bfe_u32 v2, v0, 23, 1
; %bb.24072:                            ;   in Loop: Header=BB6_22365 Depth=3
	s_or_b32 exec_lo, exec_lo, s13
	s_delay_alu instid0(VALU_DEP_2) | instskip(NEXT) | instid1(VALU_DEP_2)
	v_lshrrev_b64 v[0:1], 21, v[0:1]
	v_cmp_gt_i32_e32 vcc_lo, 32, v2
	v_min_i32_e32 v3, 31, v2
	v_cmp_eq_u32_e64 s13, 0, v2
	s_delay_alu instid0(VALU_DEP_2) | instskip(SKIP_1) | instid1(VALU_DEP_2)
	v_dual_cndmask_b32 v1, 0, v1, vcc_lo :: v_dual_lshlrev_b32 v3, 2, v3
	v_cndmask_b32_e32 v0, 3, v0, vcc_lo
	v_and_b32_e32 v3, 0xfc, v3
	s_delay_alu instid0(VALU_DEP_2) | instskip(NEXT) | instid1(VALU_DEP_2)
	v_cmp_eq_u64_e32 vcc_lo, 0, v[0:1]
	v_and_or_b32 v0, v0, 3, v3
	s_and_b32 s13, s13, vcc_lo
	s_delay_alu instid0(VALU_DEP_1) | instid1(SALU_CYCLE_1)
	v_cndmask_b32_e64 v0, v0, 0, s13
	s_delay_alu instid0(VALU_DEP_1)
	v_or_b32_e32 v27, v0, v4
.LBB6_24073:                            ;   in Loop: Header=BB6_22365 Depth=3
	s_or_b32 exec_lo, exec_lo, s76
                                        ; implicit-def: $vgpr4
.LBB6_24074:                            ;   in Loop: Header=BB6_22365 Depth=3
	s_and_not1_saveexec_b32 s13, s75
; %bb.24075:                            ;   in Loop: Header=BB6_22365 Depth=3
	v_or_b32_e32 v27, 0x7b, v4
; %bb.24076:                            ;   in Loop: Header=BB6_22365 Depth=3
	s_or_b32 exec_lo, exec_lo, s13
                                        ; implicit-def: $vgpr2
                                        ; implicit-def: $vgpr0_vgpr1
                                        ; implicit-def: $vgpr3
.LBB6_24077:                            ;   in Loop: Header=BB6_22365 Depth=3
	s_and_not1_saveexec_b32 s13, s74
	s_cbranch_execz .LBB6_24083
; %bb.24078:                            ;   in Loop: Header=BB6_22365 Depth=3
	s_mov_b32 s74, exec_lo
                                        ; implicit-def: $vgpr27
	v_cmpx_ne_u64_e32 0, v[0:1]
	s_xor_b32 s74, exec_lo, s74
; %bb.24079:                            ;   in Loop: Header=BB6_22365 Depth=3
	v_or_b32_e32 v27, 0x7f, v3
                                        ; implicit-def: $vgpr2
; %bb.24080:                            ;   in Loop: Header=BB6_22365 Depth=3
	s_and_not1_saveexec_b32 s74, s74
; %bb.24081:                            ;   in Loop: Header=BB6_22365 Depth=3
	v_cmp_lt_i32_e32 vcc_lo, -1, v2
	v_mov_b32_e32 v0, 0x7c
	s_delay_alu instid0(VALU_DEP_1)
	v_cndmask_b32_e32 v27, 0xfc, v0, vcc_lo
; %bb.24082:                            ;   in Loop: Header=BB6_22365 Depth=3
	s_or_b32 exec_lo, exec_lo, s74
.LBB6_24083:                            ;   in Loop: Header=BB6_22365 Depth=3
	s_delay_alu instid0(SALU_CYCLE_1) | instskip(SKIP_3) | instid1(VALU_DEP_2)
	s_or_b32 exec_lo, exec_lo, s13
	v_lshrrev_b16 v0, 8, v10
	v_mov_b32_e32 v1, 0
	s_mov_b32 s74, exec_lo
	v_cmpx_ne_u16_e32 0, v0
	s_cbranch_execz .LBB6_24093
; %bb.24084:                            ;   in Loop: Header=BB6_22365 Depth=3
	v_bfrev_b32_e32 v1, 1
	s_mov_b32 s75, exec_lo
	v_cmpx_ne_u16_e32 0x80, v0
	s_cbranch_execz .LBB6_24092
; %bb.24085:                            ;   in Loop: Header=BB6_22365 Depth=3
	v_and_b32_e32 v3, 0xffff, v0
	s_delay_alu instid0(VALU_DEP_1) | instskip(SKIP_1) | instid1(VALU_DEP_2)
	v_and_b32_e32 v1, 0x7c, v3
	v_and_b32_e32 v2, 3, v3
	v_cmp_ne_u32_e32 vcc_lo, 0x7c, v1
                                        ; implicit-def: $vgpr1
	s_and_saveexec_b32 s13, vcc_lo
	s_delay_alu instid0(SALU_CYCLE_1)
	s_xor_b32 s13, exec_lo, s13
	s_cbranch_execz .LBB6_24089
; %bb.24086:                            ;   in Loop: Header=BB6_22365 Depth=3
	v_bfe_u32 v1, v3, 2, 5
	s_mov_b32 s76, exec_lo
	s_delay_alu instid0(VALU_DEP_1)
	v_cmpx_eq_u32_e32 0, v1
; %bb.24087:                            ;   in Loop: Header=BB6_22365 Depth=3
	v_clz_i32_u32_e32 v1, v2
	s_delay_alu instid0(VALU_DEP_1) | instskip(SKIP_1) | instid1(VALU_DEP_2)
	v_min_u32_e32 v2, 32, v1
	v_mov_b32_e32 v1, v113
	v_subrev_nc_u32_e32 v3, 29, v2
	s_delay_alu instid0(VALU_DEP_1) | instskip(NEXT) | instid1(VALU_DEP_1)
	v_lshlrev_b64_e32 v[0:1], v3, v[0:1]
	v_dual_sub_nc_u32 v1, 30, v2 :: v_dual_bitop2_b32 v2, 3, v0 bitop3:0x40
; %bb.24088:                            ;   in Loop: Header=BB6_22365 Depth=3
	s_or_b32 exec_lo, exec_lo, s76
	v_lshlrev_b32_e32 v0, 16, v10
	s_delay_alu instid0(VALU_DEP_1) | instskip(NEXT) | instid1(VALU_DEP_1)
	v_and_b32_e32 v0, 0x80000000, v0
	v_lshl_add_u32 v0, v1, 23, v0
	s_delay_alu instid0(VALU_DEP_1) | instskip(NEXT) | instid1(VALU_DEP_1)
	v_lshl_or_b32 v0, v2, 21, v0
                                        ; implicit-def: $vgpr2
	v_add_nc_u32_e32 v1, 0x38000000, v0
.LBB6_24089:                            ;   in Loop: Header=BB6_22365 Depth=3
	s_and_not1_saveexec_b32 s76, s13
; %bb.24090:                            ;   in Loop: Header=BB6_22365 Depth=3
	v_cmp_lt_i16_e64 s13, -1, v10
	v_mov_b32_e32 v0, 0x7f800000
	v_cmp_eq_u32_e32 vcc_lo, 0, v2
	s_delay_alu instid0(VALU_DEP_2) | instskip(NEXT) | instid1(VALU_DEP_1)
	v_cndmask_b32_e64 v0, 0xff800000, v0, s13
	v_cndmask_b32_e32 v1, 0x7f800001, v0, vcc_lo
; %bb.24091:                            ;   in Loop: Header=BB6_22365 Depth=3
	s_or_b32 exec_lo, exec_lo, s76
.LBB6_24092:                            ;   in Loop: Header=BB6_22365 Depth=3
	s_delay_alu instid0(SALU_CYCLE_1)
	s_or_b32 exec_lo, exec_lo, s75
.LBB6_24093:                            ;   in Loop: Header=BB6_22365 Depth=3
	s_delay_alu instid0(SALU_CYCLE_1) | instskip(NEXT) | instid1(VALU_DEP_1)
	s_or_b32 exec_lo, exec_lo, s74
	v_dual_mul_f32 v2, s73, v1 :: v_dual_mov_b32 v5, v113
	v_mov_b32_e32 v1, v113
                                        ; implicit-def: $vgpr32
	s_mov_b32 s13, exec_lo
	s_delay_alu instid0(VALU_DEP_2) | instskip(SKIP_2) | instid1(VALU_DEP_3)
	v_and_b32_e32 v4, 0x7f800000, v2
	v_and_b32_e32 v0, 0x7fffff, v2
	v_lshrrev_b32_e32 v3, 24, v2
	v_cmpx_ne_u64_e32 0x7f800000, v[4:5]
	s_xor_b32 s74, exec_lo, s13
	s_cbranch_execz .LBB6_24107
; %bb.24094:                            ;   in Loop: Header=BB6_22365 Depth=3
	v_and_b32_e32 v4, 0x7fffffff, v2
	v_mov_b32_e32 v5, v113
                                        ; implicit-def: $vgpr32
	s_delay_alu instid0(VALU_DEP_1) | instskip(SKIP_2) | instid1(SALU_CYCLE_1)
	v_cmp_gt_u64_e32 vcc_lo, 0x47600001, v[4:5]
	v_and_b32_e32 v4, 0x80, v3
	s_and_saveexec_b32 s13, vcc_lo
	s_xor_b32 s75, exec_lo, s13
	s_cbranch_execz .LBB6_24104
; %bb.24095:                            ;   in Loop: Header=BB6_22365 Depth=3
	v_mov_b32_e32 v32, 0
	s_mov_b32 s76, exec_lo
	v_cmpx_ne_u32_e32 0, v2
	s_cbranch_execz .LBB6_24103
; %bb.24096:                            ;   in Loop: Header=BB6_22365 Depth=3
	v_bfe_u32 v5, v2, 23, 8
	v_or_b32_e32 v3, 0x800000, v0
	s_delay_alu instid0(VALU_DEP_2) | instskip(SKIP_2) | instid1(VALU_DEP_2)
	v_cmp_gt_u32_e64 s13, 0x72, v5
	v_sub_nc_u32_e32 v2, 0x71, v5
	v_cmp_eq_u32_e32 vcc_lo, 0, v5
	v_dual_cndmask_b32 v2, 0, v2, s13 :: v_dual_cndmask_b32 v0, v3, v0, vcc_lo
	s_delay_alu instid0(VALU_DEP_1) | instskip(NEXT) | instid1(VALU_DEP_1)
	v_cndmask_b32_e64 v8, v2, 0x70, vcc_lo
	v_dual_add_nc_u32 v2, 21, v8 :: v_dual_add_nc_u32 v9, 20, v8
	s_delay_alu instid0(VALU_DEP_1) | instskip(NEXT) | instid1(VALU_DEP_2)
	v_lshlrev_b64_e64 v[2:3], v2, -1
	v_lshlrev_b64_e64 v[12:13], v9, 1
	s_delay_alu instid0(VALU_DEP_2) | instskip(SKIP_1) | instid1(VALU_DEP_4)
	v_bfi_b32 v2, v2, 0, v0
	v_lshrrev_b64 v[0:1], v8, v[0:1]
	v_bfi_b32 v3, v3, 0, 0
	s_delay_alu instid0(VALU_DEP_1) | instskip(NEXT) | instid1(VALU_DEP_3)
	v_cmp_eq_u64_e64 s13, v[2:3], v[12:13]
	v_mov_b64_e32 v[2:3], v[0:1]
	s_and_saveexec_b32 s77, s13
; %bb.24097:                            ;   in Loop: Header=BB6_22365 Depth=3
	v_bfe_u32 v2, v0, 21, 1
	v_mov_b32_e32 v3, v113
	s_delay_alu instid0(VALU_DEP_1) | instskip(NEXT) | instid1(VALU_DEP_1)
	v_add_nc_u64_e32 v[2:3], v[0:1], v[2:3]
	v_add_nc_u64_e32 v[2:3], -1, v[2:3]
; %bb.24098:                            ;   in Loop: Header=BB6_22365 Depth=3
	s_or_b32 exec_lo, exec_lo, s77
	v_add_nc_u32_e32 v1, 0xffffff81, v5
	v_lshrrev_b32_e32 v3, 23, v0
	s_mov_b32 s13, exec_lo
	s_delay_alu instid0(VALU_DEP_2) | instskip(NEXT) | instid1(VALU_DEP_1)
	v_cndmask_b32_e64 v1, v1, 0xffffff82, vcc_lo
	v_add3_u32 v5, v8, v1, v3
	v_and_b32_e32 v1, 0x1fffff, v2
                                        ; implicit-def: $vgpr2
	s_delay_alu instid0(VALU_DEP_1) | instskip(SKIP_1) | instid1(VALU_DEP_2)
	v_dual_add_nc_u32 v3, 14, v5 :: v_dual_add_nc_u32 v0, v1, v0
	v_mov_b32_e32 v1, v113
	v_cmpx_ne_u32_e32 0, v3
	s_xor_b32 s13, exec_lo, s13
; %bb.24099:                            ;   in Loop: Header=BB6_22365 Depth=3
	s_delay_alu instid0(VALU_DEP_2) | instskip(SKIP_1) | instid1(VALU_DEP_1)
	v_cmp_lt_u64_e32 vcc_lo, 0xffffff, v[0:1]
	v_add_nc_u32_e32 v2, 15, v5
	v_cndmask_b32_e32 v2, v3, v2, vcc_lo
	v_cndmask_b32_e64 v3, 0, 1, vcc_lo
	s_delay_alu instid0(VALU_DEP_1)
	v_lshrrev_b64 v[0:1], v3, v[0:1]
; %bb.24100:                            ;   in Loop: Header=BB6_22365 Depth=3
	s_and_not1_saveexec_b32 s13, s13
; %bb.24101:                            ;   in Loop: Header=BB6_22365 Depth=3
	s_delay_alu instid0(VALU_DEP_1)
	v_bfe_u32 v2, v0, 23, 1
; %bb.24102:                            ;   in Loop: Header=BB6_22365 Depth=3
	s_or_b32 exec_lo, exec_lo, s13
	s_delay_alu instid0(VALU_DEP_2) | instskip(NEXT) | instid1(VALU_DEP_2)
	v_lshrrev_b64 v[0:1], 21, v[0:1]
	v_cmp_gt_i32_e32 vcc_lo, 32, v2
	v_min_i32_e32 v3, 31, v2
	v_cmp_eq_u32_e64 s13, 0, v2
	s_delay_alu instid0(VALU_DEP_2) | instskip(SKIP_1) | instid1(VALU_DEP_2)
	v_dual_cndmask_b32 v1, 0, v1, vcc_lo :: v_dual_lshlrev_b32 v3, 2, v3
	v_cndmask_b32_e32 v0, 3, v0, vcc_lo
	v_and_b32_e32 v3, 0xfc, v3
	s_delay_alu instid0(VALU_DEP_2) | instskip(NEXT) | instid1(VALU_DEP_2)
	v_cmp_eq_u64_e32 vcc_lo, 0, v[0:1]
	v_and_or_b32 v0, v0, 3, v3
	s_and_b32 s13, s13, vcc_lo
	s_delay_alu instid0(VALU_DEP_1) | instid1(SALU_CYCLE_1)
	v_cndmask_b32_e64 v0, v0, 0, s13
	s_delay_alu instid0(VALU_DEP_1)
	v_or_b32_e32 v32, v0, v4
.LBB6_24103:                            ;   in Loop: Header=BB6_22365 Depth=3
	s_or_b32 exec_lo, exec_lo, s76
                                        ; implicit-def: $vgpr4
.LBB6_24104:                            ;   in Loop: Header=BB6_22365 Depth=3
	s_and_not1_saveexec_b32 s13, s75
; %bb.24105:                            ;   in Loop: Header=BB6_22365 Depth=3
	v_or_b32_e32 v32, 0x7b, v4
; %bb.24106:                            ;   in Loop: Header=BB6_22365 Depth=3
	s_or_b32 exec_lo, exec_lo, s13
                                        ; implicit-def: $vgpr2
                                        ; implicit-def: $vgpr0_vgpr1
                                        ; implicit-def: $vgpr3
.LBB6_24107:                            ;   in Loop: Header=BB6_22365 Depth=3
	s_and_not1_saveexec_b32 s13, s74
	s_cbranch_execz .LBB6_24113
; %bb.24108:                            ;   in Loop: Header=BB6_22365 Depth=3
	s_mov_b32 s74, exec_lo
                                        ; implicit-def: $vgpr32
	v_cmpx_ne_u64_e32 0, v[0:1]
	s_xor_b32 s74, exec_lo, s74
; %bb.24109:                            ;   in Loop: Header=BB6_22365 Depth=3
	v_or_b32_e32 v32, 0x7f, v3
                                        ; implicit-def: $vgpr2
; %bb.24110:                            ;   in Loop: Header=BB6_22365 Depth=3
	s_and_not1_saveexec_b32 s74, s74
; %bb.24111:                            ;   in Loop: Header=BB6_22365 Depth=3
	v_cmp_lt_i32_e32 vcc_lo, -1, v2
	v_mov_b32_e32 v0, 0x7c
	s_delay_alu instid0(VALU_DEP_1)
	v_cndmask_b32_e32 v32, 0xfc, v0, vcc_lo
; %bb.24112:                            ;   in Loop: Header=BB6_22365 Depth=3
	s_or_b32 exec_lo, exec_lo, s74
.LBB6_24113:                            ;   in Loop: Header=BB6_22365 Depth=3
	s_delay_alu instid0(SALU_CYCLE_1) | instskip(SKIP_2) | instid1(VALU_DEP_1)
	s_or_b32 exec_lo, exec_lo, s13
	v_dual_mov_b32 v1, 0 :: v_dual_lshrrev_b32 v0, 16, v10
	s_mov_b32 s74, exec_lo
	v_and_b32_e32 v2, 0xff, v0
	s_delay_alu instid0(VALU_DEP_1)
	v_cmpx_ne_u16_e32 0, v2
	s_cbranch_execz .LBB6_24123
; %bb.24114:                            ;   in Loop: Header=BB6_22365 Depth=3
	v_bfrev_b32_e32 v1, 1
	s_mov_b32 s75, exec_lo
	v_cmpx_ne_u16_e32 0x80, v2
	s_cbranch_execz .LBB6_24122
; %bb.24115:                            ;   in Loop: Header=BB6_22365 Depth=3
	v_and_b32_e32 v1, 0x7c0000, v10
	v_bfe_u32 v2, v10, 16, 2
	s_delay_alu instid0(VALU_DEP_2) | instskip(SKIP_1) | instid1(SALU_CYCLE_1)
	v_cmp_ne_u32_e32 vcc_lo, 0x7c0000, v1
                                        ; implicit-def: $vgpr1
	s_and_saveexec_b32 s13, vcc_lo
	s_xor_b32 s13, exec_lo, s13
	s_cbranch_execz .LBB6_24119
; %bb.24116:                            ;   in Loop: Header=BB6_22365 Depth=3
	v_bfe_u32 v1, v10, 18, 5
	s_mov_b32 s76, exec_lo
	s_delay_alu instid0(VALU_DEP_1)
	v_cmpx_eq_u32_e32 0, v1
; %bb.24117:                            ;   in Loop: Header=BB6_22365 Depth=3
	v_clz_i32_u32_e32 v1, v2
	s_delay_alu instid0(VALU_DEP_1) | instskip(NEXT) | instid1(VALU_DEP_1)
	v_min_u32_e32 v1, 32, v1
	v_subrev_nc_u32_e32 v2, 29, v1
	s_delay_alu instid0(VALU_DEP_1) | instskip(NEXT) | instid1(VALU_DEP_1)
	v_lshlrev_b64_e32 v[2:3], v2, v[0:1]
	v_dual_sub_nc_u32 v1, 30, v1 :: v_dual_bitop2_b32 v2, 3, v2 bitop3:0x40
; %bb.24118:                            ;   in Loop: Header=BB6_22365 Depth=3
	s_or_b32 exec_lo, exec_lo, s76
	v_lshlrev_b32_e32 v0, 24, v0
	s_delay_alu instid0(VALU_DEP_1) | instskip(NEXT) | instid1(VALU_DEP_1)
	v_and_b32_e32 v0, 0x80000000, v0
	v_lshl_add_u32 v0, v1, 23, v0
	s_delay_alu instid0(VALU_DEP_1) | instskip(NEXT) | instid1(VALU_DEP_1)
	v_lshl_or_b32 v0, v2, 21, v0
                                        ; implicit-def: $vgpr2
	v_add_nc_u32_e32 v1, 0x38000000, v0
                                        ; implicit-def: $vgpr0
.LBB6_24119:                            ;   in Loop: Header=BB6_22365 Depth=3
	s_and_not1_saveexec_b32 s76, s13
; %bb.24120:                            ;   in Loop: Header=BB6_22365 Depth=3
	v_bfe_i32 v0, v0, 0, 8
	v_cmp_eq_u32_e32 vcc_lo, 0, v2
	s_delay_alu instid0(VALU_DEP_2) | instskip(SKIP_1) | instid1(VALU_DEP_1)
	v_cmp_lt_i16_e64 s13, -1, v0
	v_mov_b32_e32 v0, 0x7f800000
	v_cndmask_b32_e64 v0, 0xff800000, v0, s13
	s_delay_alu instid0(VALU_DEP_1)
	v_cndmask_b32_e32 v1, 0x7f800001, v0, vcc_lo
; %bb.24121:                            ;   in Loop: Header=BB6_22365 Depth=3
	s_or_b32 exec_lo, exec_lo, s76
.LBB6_24122:                            ;   in Loop: Header=BB6_22365 Depth=3
	s_delay_alu instid0(SALU_CYCLE_1)
	s_or_b32 exec_lo, exec_lo, s75
.LBB6_24123:                            ;   in Loop: Header=BB6_22365 Depth=3
	s_delay_alu instid0(SALU_CYCLE_1) | instskip(NEXT) | instid1(VALU_DEP_1)
	s_or_b32 exec_lo, exec_lo, s74
	v_dual_mul_f32 v2, s73, v1 :: v_dual_mov_b32 v5, v113
	v_mov_b32_e32 v1, v113
                                        ; implicit-def: $vgpr36
	s_mov_b32 s13, exec_lo
	s_delay_alu instid0(VALU_DEP_2) | instskip(SKIP_2) | instid1(VALU_DEP_3)
	v_and_b32_e32 v4, 0x7f800000, v2
	v_and_b32_e32 v0, 0x7fffff, v2
	v_lshrrev_b32_e32 v3, 24, v2
	v_cmpx_ne_u64_e32 0x7f800000, v[4:5]
	s_xor_b32 s74, exec_lo, s13
	s_cbranch_execz .LBB6_24137
; %bb.24124:                            ;   in Loop: Header=BB6_22365 Depth=3
	v_and_b32_e32 v4, 0x7fffffff, v2
	v_mov_b32_e32 v5, v113
                                        ; implicit-def: $vgpr36
	s_delay_alu instid0(VALU_DEP_1) | instskip(SKIP_2) | instid1(SALU_CYCLE_1)
	v_cmp_gt_u64_e32 vcc_lo, 0x47600001, v[4:5]
	v_and_b32_e32 v4, 0x80, v3
	s_and_saveexec_b32 s13, vcc_lo
	s_xor_b32 s75, exec_lo, s13
	s_cbranch_execz .LBB6_24134
; %bb.24125:                            ;   in Loop: Header=BB6_22365 Depth=3
	v_mov_b32_e32 v36, 0
	s_mov_b32 s76, exec_lo
	v_cmpx_ne_u32_e32 0, v2
	s_cbranch_execz .LBB6_24133
; %bb.24126:                            ;   in Loop: Header=BB6_22365 Depth=3
	v_bfe_u32 v5, v2, 23, 8
	v_or_b32_e32 v3, 0x800000, v0
	s_delay_alu instid0(VALU_DEP_2) | instskip(SKIP_2) | instid1(VALU_DEP_2)
	v_cmp_gt_u32_e64 s13, 0x72, v5
	v_sub_nc_u32_e32 v2, 0x71, v5
	v_cmp_eq_u32_e32 vcc_lo, 0, v5
	v_dual_cndmask_b32 v2, 0, v2, s13 :: v_dual_cndmask_b32 v0, v3, v0, vcc_lo
	s_delay_alu instid0(VALU_DEP_1) | instskip(NEXT) | instid1(VALU_DEP_1)
	v_cndmask_b32_e64 v8, v2, 0x70, vcc_lo
	v_dual_add_nc_u32 v2, 21, v8 :: v_dual_add_nc_u32 v9, 20, v8
	s_delay_alu instid0(VALU_DEP_1) | instskip(NEXT) | instid1(VALU_DEP_2)
	v_lshlrev_b64_e64 v[2:3], v2, -1
	v_lshlrev_b64_e64 v[12:13], v9, 1
	s_delay_alu instid0(VALU_DEP_2) | instskip(SKIP_1) | instid1(VALU_DEP_4)
	v_bfi_b32 v2, v2, 0, v0
	v_lshrrev_b64 v[0:1], v8, v[0:1]
	v_bfi_b32 v3, v3, 0, 0
	s_delay_alu instid0(VALU_DEP_1) | instskip(NEXT) | instid1(VALU_DEP_3)
	v_cmp_eq_u64_e64 s13, v[2:3], v[12:13]
	v_mov_b64_e32 v[2:3], v[0:1]
	s_and_saveexec_b32 s77, s13
; %bb.24127:                            ;   in Loop: Header=BB6_22365 Depth=3
	v_bfe_u32 v2, v0, 21, 1
	v_mov_b32_e32 v3, v113
	s_delay_alu instid0(VALU_DEP_1) | instskip(NEXT) | instid1(VALU_DEP_1)
	v_add_nc_u64_e32 v[2:3], v[0:1], v[2:3]
	v_add_nc_u64_e32 v[2:3], -1, v[2:3]
; %bb.24128:                            ;   in Loop: Header=BB6_22365 Depth=3
	s_or_b32 exec_lo, exec_lo, s77
	v_add_nc_u32_e32 v1, 0xffffff81, v5
	v_lshrrev_b32_e32 v3, 23, v0
	s_mov_b32 s13, exec_lo
	s_delay_alu instid0(VALU_DEP_2) | instskip(NEXT) | instid1(VALU_DEP_1)
	v_cndmask_b32_e64 v1, v1, 0xffffff82, vcc_lo
	v_add3_u32 v5, v8, v1, v3
	v_and_b32_e32 v1, 0x1fffff, v2
                                        ; implicit-def: $vgpr2
	s_delay_alu instid0(VALU_DEP_1) | instskip(SKIP_1) | instid1(VALU_DEP_2)
	v_dual_add_nc_u32 v3, 14, v5 :: v_dual_add_nc_u32 v0, v1, v0
	v_mov_b32_e32 v1, v113
	v_cmpx_ne_u32_e32 0, v3
	s_xor_b32 s13, exec_lo, s13
; %bb.24129:                            ;   in Loop: Header=BB6_22365 Depth=3
	s_delay_alu instid0(VALU_DEP_2) | instskip(SKIP_1) | instid1(VALU_DEP_1)
	v_cmp_lt_u64_e32 vcc_lo, 0xffffff, v[0:1]
	v_add_nc_u32_e32 v2, 15, v5
	v_cndmask_b32_e32 v2, v3, v2, vcc_lo
	v_cndmask_b32_e64 v3, 0, 1, vcc_lo
	s_delay_alu instid0(VALU_DEP_1)
	v_lshrrev_b64 v[0:1], v3, v[0:1]
; %bb.24130:                            ;   in Loop: Header=BB6_22365 Depth=3
	s_and_not1_saveexec_b32 s13, s13
; %bb.24131:                            ;   in Loop: Header=BB6_22365 Depth=3
	s_delay_alu instid0(VALU_DEP_1)
	v_bfe_u32 v2, v0, 23, 1
; %bb.24132:                            ;   in Loop: Header=BB6_22365 Depth=3
	s_or_b32 exec_lo, exec_lo, s13
	s_delay_alu instid0(VALU_DEP_2) | instskip(NEXT) | instid1(VALU_DEP_2)
	v_lshrrev_b64 v[0:1], 21, v[0:1]
	v_cmp_gt_i32_e32 vcc_lo, 32, v2
	v_min_i32_e32 v3, 31, v2
	v_cmp_eq_u32_e64 s13, 0, v2
	s_delay_alu instid0(VALU_DEP_2) | instskip(SKIP_1) | instid1(VALU_DEP_2)
	v_dual_cndmask_b32 v1, 0, v1, vcc_lo :: v_dual_lshlrev_b32 v3, 2, v3
	v_cndmask_b32_e32 v0, 3, v0, vcc_lo
	v_and_b32_e32 v3, 0xfc, v3
	s_delay_alu instid0(VALU_DEP_2) | instskip(NEXT) | instid1(VALU_DEP_2)
	v_cmp_eq_u64_e32 vcc_lo, 0, v[0:1]
	v_and_or_b32 v0, v0, 3, v3
	s_and_b32 s13, s13, vcc_lo
	s_delay_alu instid0(VALU_DEP_1) | instid1(SALU_CYCLE_1)
	v_cndmask_b32_e64 v0, v0, 0, s13
	s_delay_alu instid0(VALU_DEP_1)
	v_or_b32_e32 v36, v0, v4
.LBB6_24133:                            ;   in Loop: Header=BB6_22365 Depth=3
	s_or_b32 exec_lo, exec_lo, s76
                                        ; implicit-def: $vgpr4
.LBB6_24134:                            ;   in Loop: Header=BB6_22365 Depth=3
	s_and_not1_saveexec_b32 s13, s75
; %bb.24135:                            ;   in Loop: Header=BB6_22365 Depth=3
	v_or_b32_e32 v36, 0x7b, v4
; %bb.24136:                            ;   in Loop: Header=BB6_22365 Depth=3
	s_or_b32 exec_lo, exec_lo, s13
                                        ; implicit-def: $vgpr2
                                        ; implicit-def: $vgpr0_vgpr1
                                        ; implicit-def: $vgpr3
.LBB6_24137:                            ;   in Loop: Header=BB6_22365 Depth=3
	s_and_not1_saveexec_b32 s13, s74
	s_cbranch_execz .LBB6_24143
; %bb.24138:                            ;   in Loop: Header=BB6_22365 Depth=3
	s_mov_b32 s74, exec_lo
                                        ; implicit-def: $vgpr36
	v_cmpx_ne_u64_e32 0, v[0:1]
	s_xor_b32 s74, exec_lo, s74
; %bb.24139:                            ;   in Loop: Header=BB6_22365 Depth=3
	v_or_b32_e32 v36, 0x7f, v3
                                        ; implicit-def: $vgpr2
; %bb.24140:                            ;   in Loop: Header=BB6_22365 Depth=3
	s_and_not1_saveexec_b32 s74, s74
; %bb.24141:                            ;   in Loop: Header=BB6_22365 Depth=3
	v_cmp_lt_i32_e32 vcc_lo, -1, v2
	v_mov_b32_e32 v0, 0x7c
	s_delay_alu instid0(VALU_DEP_1)
	v_cndmask_b32_e32 v36, 0xfc, v0, vcc_lo
; %bb.24142:                            ;   in Loop: Header=BB6_22365 Depth=3
	s_or_b32 exec_lo, exec_lo, s74
.LBB6_24143:                            ;   in Loop: Header=BB6_22365 Depth=3
	s_delay_alu instid0(SALU_CYCLE_1)
	s_or_b32 exec_lo, exec_lo, s13
	v_mov_b32_e32 v1, 0
	s_mov_b32 s74, exec_lo
	v_cmpx_lt_u32_e32 0xffffff, v10
	s_cbranch_execz .LBB6_24153
; %bb.24144:                            ;   in Loop: Header=BB6_22365 Depth=3
	v_lshrrev_b32_e32 v0, 24, v10
	v_bfrev_b32_e32 v1, 1
	s_mov_b32 s75, exec_lo
	s_delay_alu instid0(VALU_DEP_2)
	v_cmpx_ne_u32_e32 0x80, v0
	s_cbranch_execz .LBB6_24152
; %bb.24145:                            ;   in Loop: Header=BB6_22365 Depth=3
	v_and_b32_e32 v1, 0x7c000000, v10
	v_bfe_u32 v2, v10, 24, 2
	s_delay_alu instid0(VALU_DEP_2) | instskip(SKIP_1) | instid1(SALU_CYCLE_1)
	v_cmp_ne_u32_e32 vcc_lo, 0x7c000000, v1
                                        ; implicit-def: $vgpr1
	s_and_saveexec_b32 s13, vcc_lo
	s_xor_b32 s13, exec_lo, s13
	s_cbranch_execz .LBB6_24149
; %bb.24146:                            ;   in Loop: Header=BB6_22365 Depth=3
	v_bfe_u32 v1, v10, 26, 5
	s_mov_b32 s76, exec_lo
	s_delay_alu instid0(VALU_DEP_1)
	v_cmpx_eq_u32_e32 0, v1
; %bb.24147:                            ;   in Loop: Header=BB6_22365 Depth=3
	v_clz_i32_u32_e32 v1, v2
	s_delay_alu instid0(VALU_DEP_1) | instskip(NEXT) | instid1(VALU_DEP_1)
	v_min_u32_e32 v2, 32, v1
	v_subrev_nc_u32_e32 v1, 29, v2
	s_delay_alu instid0(VALU_DEP_1) | instskip(NEXT) | instid1(VALU_DEP_1)
	v_lshlrev_b64_e32 v[0:1], v1, v[0:1]
	v_dual_sub_nc_u32 v1, 30, v2 :: v_dual_bitop2_b32 v2, 3, v0 bitop3:0x40
; %bb.24148:                            ;   in Loop: Header=BB6_22365 Depth=3
	s_or_b32 exec_lo, exec_lo, s76
	v_and_b32_e32 v0, 0x80000000, v10
	s_delay_alu instid0(VALU_DEP_1) | instskip(NEXT) | instid1(VALU_DEP_1)
	v_lshl_add_u32 v0, v1, 23, v0
	v_lshl_or_b32 v0, v2, 21, v0
                                        ; implicit-def: $vgpr2
	s_delay_alu instid0(VALU_DEP_1)
	v_add_nc_u32_e32 v1, 0x38000000, v0
.LBB6_24149:                            ;   in Loop: Header=BB6_22365 Depth=3
	s_and_not1_saveexec_b32 s76, s13
; %bb.24150:                            ;   in Loop: Header=BB6_22365 Depth=3
	v_cmp_lt_i32_e64 s13, -1, v10
	v_mov_b32_e32 v0, 0x7f800000
	v_cmp_eq_u32_e32 vcc_lo, 0, v2
	s_delay_alu instid0(VALU_DEP_2) | instskip(NEXT) | instid1(VALU_DEP_1)
	v_cndmask_b32_e64 v0, 0xff800000, v0, s13
	v_cndmask_b32_e32 v1, 0x7f800001, v0, vcc_lo
; %bb.24151:                            ;   in Loop: Header=BB6_22365 Depth=3
	s_or_b32 exec_lo, exec_lo, s76
.LBB6_24152:                            ;   in Loop: Header=BB6_22365 Depth=3
	s_delay_alu instid0(SALU_CYCLE_1)
	s_or_b32 exec_lo, exec_lo, s75
.LBB6_24153:                            ;   in Loop: Header=BB6_22365 Depth=3
	s_delay_alu instid0(SALU_CYCLE_1) | instskip(NEXT) | instid1(VALU_DEP_1)
	s_or_b32 exec_lo, exec_lo, s74
	v_dual_mul_f32 v2, s73, v1 :: v_dual_mov_b32 v5, v113
	v_mov_b32_e32 v1, v113
                                        ; implicit-def: $vgpr38
	s_mov_b32 s13, exec_lo
	s_delay_alu instid0(VALU_DEP_2) | instskip(SKIP_2) | instid1(VALU_DEP_3)
	v_and_b32_e32 v4, 0x7f800000, v2
	v_and_b32_e32 v0, 0x7fffff, v2
	v_lshrrev_b32_e32 v3, 24, v2
	v_cmpx_ne_u64_e32 0x7f800000, v[4:5]
	s_xor_b32 s74, exec_lo, s13
	s_cbranch_execz .LBB6_24167
; %bb.24154:                            ;   in Loop: Header=BB6_22365 Depth=3
	v_and_b32_e32 v4, 0x7fffffff, v2
	v_mov_b32_e32 v5, v113
                                        ; implicit-def: $vgpr38
	s_delay_alu instid0(VALU_DEP_1) | instskip(SKIP_2) | instid1(SALU_CYCLE_1)
	v_cmp_gt_u64_e32 vcc_lo, 0x47600001, v[4:5]
	v_and_b32_e32 v4, 0x80, v3
	s_and_saveexec_b32 s13, vcc_lo
	s_xor_b32 s75, exec_lo, s13
	s_cbranch_execz .LBB6_24164
; %bb.24155:                            ;   in Loop: Header=BB6_22365 Depth=3
	v_mov_b32_e32 v38, 0
	s_mov_b32 s76, exec_lo
	v_cmpx_ne_u32_e32 0, v2
	s_cbranch_execz .LBB6_24163
; %bb.24156:                            ;   in Loop: Header=BB6_22365 Depth=3
	v_bfe_u32 v5, v2, 23, 8
	v_or_b32_e32 v3, 0x800000, v0
	s_delay_alu instid0(VALU_DEP_2) | instskip(SKIP_2) | instid1(VALU_DEP_2)
	v_cmp_gt_u32_e64 s13, 0x72, v5
	v_sub_nc_u32_e32 v2, 0x71, v5
	v_cmp_eq_u32_e32 vcc_lo, 0, v5
	v_dual_cndmask_b32 v2, 0, v2, s13 :: v_dual_cndmask_b32 v0, v3, v0, vcc_lo
	s_delay_alu instid0(VALU_DEP_1) | instskip(NEXT) | instid1(VALU_DEP_1)
	v_cndmask_b32_e64 v8, v2, 0x70, vcc_lo
	v_dual_add_nc_u32 v2, 21, v8 :: v_dual_add_nc_u32 v9, 20, v8
	s_delay_alu instid0(VALU_DEP_1) | instskip(NEXT) | instid1(VALU_DEP_2)
	v_lshlrev_b64_e64 v[2:3], v2, -1
	v_lshlrev_b64_e64 v[12:13], v9, 1
	s_delay_alu instid0(VALU_DEP_2) | instskip(SKIP_1) | instid1(VALU_DEP_4)
	v_bfi_b32 v2, v2, 0, v0
	v_lshrrev_b64 v[0:1], v8, v[0:1]
	v_bfi_b32 v3, v3, 0, 0
	s_delay_alu instid0(VALU_DEP_1) | instskip(NEXT) | instid1(VALU_DEP_3)
	v_cmp_eq_u64_e64 s13, v[2:3], v[12:13]
	v_mov_b64_e32 v[2:3], v[0:1]
	s_and_saveexec_b32 s77, s13
; %bb.24157:                            ;   in Loop: Header=BB6_22365 Depth=3
	v_bfe_u32 v2, v0, 21, 1
	v_mov_b32_e32 v3, v113
	s_delay_alu instid0(VALU_DEP_1) | instskip(NEXT) | instid1(VALU_DEP_1)
	v_add_nc_u64_e32 v[2:3], v[0:1], v[2:3]
	v_add_nc_u64_e32 v[2:3], -1, v[2:3]
; %bb.24158:                            ;   in Loop: Header=BB6_22365 Depth=3
	s_or_b32 exec_lo, exec_lo, s77
	v_add_nc_u32_e32 v1, 0xffffff81, v5
	v_lshrrev_b32_e32 v3, 23, v0
	s_mov_b32 s13, exec_lo
	s_delay_alu instid0(VALU_DEP_2) | instskip(NEXT) | instid1(VALU_DEP_1)
	v_cndmask_b32_e64 v1, v1, 0xffffff82, vcc_lo
	v_add3_u32 v5, v8, v1, v3
	v_and_b32_e32 v1, 0x1fffff, v2
                                        ; implicit-def: $vgpr2
	s_delay_alu instid0(VALU_DEP_1) | instskip(SKIP_1) | instid1(VALU_DEP_2)
	v_dual_add_nc_u32 v3, 14, v5 :: v_dual_add_nc_u32 v0, v1, v0
	v_mov_b32_e32 v1, v113
	v_cmpx_ne_u32_e32 0, v3
	s_xor_b32 s13, exec_lo, s13
; %bb.24159:                            ;   in Loop: Header=BB6_22365 Depth=3
	s_delay_alu instid0(VALU_DEP_2) | instskip(SKIP_1) | instid1(VALU_DEP_1)
	v_cmp_lt_u64_e32 vcc_lo, 0xffffff, v[0:1]
	v_add_nc_u32_e32 v2, 15, v5
	v_cndmask_b32_e32 v2, v3, v2, vcc_lo
	v_cndmask_b32_e64 v3, 0, 1, vcc_lo
	s_delay_alu instid0(VALU_DEP_1)
	v_lshrrev_b64 v[0:1], v3, v[0:1]
; %bb.24160:                            ;   in Loop: Header=BB6_22365 Depth=3
	s_and_not1_saveexec_b32 s13, s13
; %bb.24161:                            ;   in Loop: Header=BB6_22365 Depth=3
	s_delay_alu instid0(VALU_DEP_1)
	v_bfe_u32 v2, v0, 23, 1
; %bb.24162:                            ;   in Loop: Header=BB6_22365 Depth=3
	s_or_b32 exec_lo, exec_lo, s13
	s_delay_alu instid0(VALU_DEP_2) | instskip(NEXT) | instid1(VALU_DEP_2)
	v_lshrrev_b64 v[0:1], 21, v[0:1]
	v_cmp_gt_i32_e32 vcc_lo, 32, v2
	v_min_i32_e32 v3, 31, v2
	v_cmp_eq_u32_e64 s13, 0, v2
	s_delay_alu instid0(VALU_DEP_2) | instskip(SKIP_1) | instid1(VALU_DEP_2)
	v_dual_cndmask_b32 v1, 0, v1, vcc_lo :: v_dual_lshlrev_b32 v3, 2, v3
	v_cndmask_b32_e32 v0, 3, v0, vcc_lo
	v_and_b32_e32 v3, 0xfc, v3
	s_delay_alu instid0(VALU_DEP_2) | instskip(NEXT) | instid1(VALU_DEP_2)
	v_cmp_eq_u64_e32 vcc_lo, 0, v[0:1]
	v_and_or_b32 v0, v0, 3, v3
	s_and_b32 s13, s13, vcc_lo
	s_delay_alu instid0(VALU_DEP_1) | instid1(SALU_CYCLE_1)
	v_cndmask_b32_e64 v0, v0, 0, s13
	s_delay_alu instid0(VALU_DEP_1)
	v_or_b32_e32 v38, v0, v4
.LBB6_24163:                            ;   in Loop: Header=BB6_22365 Depth=3
	s_or_b32 exec_lo, exec_lo, s76
                                        ; implicit-def: $vgpr4
.LBB6_24164:                            ;   in Loop: Header=BB6_22365 Depth=3
	s_and_not1_saveexec_b32 s13, s75
; %bb.24165:                            ;   in Loop: Header=BB6_22365 Depth=3
	v_or_b32_e32 v38, 0x7b, v4
; %bb.24166:                            ;   in Loop: Header=BB6_22365 Depth=3
	s_or_b32 exec_lo, exec_lo, s13
                                        ; implicit-def: $vgpr2
                                        ; implicit-def: $vgpr0_vgpr1
                                        ; implicit-def: $vgpr3
.LBB6_24167:                            ;   in Loop: Header=BB6_22365 Depth=3
	s_and_not1_saveexec_b32 s13, s74
	s_cbranch_execz .LBB6_24173
; %bb.24168:                            ;   in Loop: Header=BB6_22365 Depth=3
	s_mov_b32 s74, exec_lo
                                        ; implicit-def: $vgpr38
	v_cmpx_ne_u64_e32 0, v[0:1]
	s_xor_b32 s74, exec_lo, s74
; %bb.24169:                            ;   in Loop: Header=BB6_22365 Depth=3
	v_or_b32_e32 v38, 0x7f, v3
                                        ; implicit-def: $vgpr2
; %bb.24170:                            ;   in Loop: Header=BB6_22365 Depth=3
	s_and_not1_saveexec_b32 s74, s74
; %bb.24171:                            ;   in Loop: Header=BB6_22365 Depth=3
	v_cmp_lt_i32_e32 vcc_lo, -1, v2
	v_mov_b32_e32 v0, 0x7c
	s_delay_alu instid0(VALU_DEP_1)
	v_cndmask_b32_e32 v38, 0xfc, v0, vcc_lo
; %bb.24172:                            ;   in Loop: Header=BB6_22365 Depth=3
	s_or_b32 exec_lo, exec_lo, s74
.LBB6_24173:                            ;   in Loop: Header=BB6_22365 Depth=3
	s_delay_alu instid0(SALU_CYCLE_1) | instskip(SKIP_4) | instid1(VALU_DEP_3)
	s_or_b32 exec_lo, exec_lo, s13
	v_and_b32_e32 v3, 0xff, v11
	v_dual_mov_b32 v0, v11 :: v_dual_mov_b32 v1, v113
	v_mov_b32_e32 v2, 0
	s_mov_b32 s74, exec_lo
	v_cmpx_ne_u16_e32 0, v3
	s_cbranch_execz .LBB6_24183
; %bb.24174:                            ;   in Loop: Header=BB6_22365 Depth=3
	v_bfrev_b32_e32 v2, 1
	s_mov_b32 s75, exec_lo
	v_cmpx_ne_u16_e32 0x80, v3
	s_cbranch_execz .LBB6_24182
; %bb.24175:                            ;   in Loop: Header=BB6_22365 Depth=3
	v_and_b32_e32 v2, 0x7c, v11
	v_and_b32_e32 v3, 3, v11
	s_delay_alu instid0(VALU_DEP_2) | instskip(SKIP_1) | instid1(SALU_CYCLE_1)
	v_cmp_ne_u32_e32 vcc_lo, 0x7c, v2
                                        ; implicit-def: $vgpr2
	s_and_saveexec_b32 s13, vcc_lo
	s_xor_b32 s13, exec_lo, s13
	s_cbranch_execz .LBB6_24179
; %bb.24176:                            ;   in Loop: Header=BB6_22365 Depth=3
	v_bfe_u32 v2, v11, 2, 5
	s_mov_b32 s76, exec_lo
	s_delay_alu instid0(VALU_DEP_1)
	v_cmpx_eq_u32_e32 0, v2
; %bb.24177:                            ;   in Loop: Header=BB6_22365 Depth=3
	v_clz_i32_u32_e32 v2, v3
	s_delay_alu instid0(VALU_DEP_1) | instskip(NEXT) | instid1(VALU_DEP_1)
	v_min_u32_e32 v2, 32, v2
	v_subrev_nc_u32_e32 v3, 29, v2
	s_delay_alu instid0(VALU_DEP_1) | instskip(NEXT) | instid1(VALU_DEP_1)
	v_lshlrev_b64_e32 v[4:5], v3, v[0:1]
	v_dual_sub_nc_u32 v2, 30, v2 :: v_dual_bitop2_b32 v3, 3, v4 bitop3:0x40
; %bb.24178:                            ;   in Loop: Header=BB6_22365 Depth=3
	s_or_b32 exec_lo, exec_lo, s76
	v_lshlrev_b32_e32 v1, 24, v11
	s_delay_alu instid0(VALU_DEP_1) | instskip(NEXT) | instid1(VALU_DEP_1)
	v_and_b32_e32 v1, 0x80000000, v1
	v_lshl_add_u32 v1, v2, 23, v1
	s_delay_alu instid0(VALU_DEP_1) | instskip(NEXT) | instid1(VALU_DEP_1)
	v_lshl_or_b32 v1, v3, 21, v1
                                        ; implicit-def: $vgpr3
	v_add_nc_u32_e32 v2, 0x38000000, v1
.LBB6_24179:                            ;   in Loop: Header=BB6_22365 Depth=3
	s_and_not1_saveexec_b32 s76, s13
; %bb.24180:                            ;   in Loop: Header=BB6_22365 Depth=3
	v_bfe_i32 v1, v11, 0, 8
	v_cmp_eq_u32_e32 vcc_lo, 0, v3
	s_delay_alu instid0(VALU_DEP_2) | instskip(SKIP_1) | instid1(VALU_DEP_1)
	v_cmp_lt_i16_e64 s13, -1, v1
	v_mov_b32_e32 v1, 0x7f800000
	v_cndmask_b32_e64 v1, 0xff800000, v1, s13
	s_delay_alu instid0(VALU_DEP_1)
	v_cndmask_b32_e32 v2, 0x7f800001, v1, vcc_lo
; %bb.24181:                            ;   in Loop: Header=BB6_22365 Depth=3
	s_or_b32 exec_lo, exec_lo, s76
.LBB6_24182:                            ;   in Loop: Header=BB6_22365 Depth=3
	s_delay_alu instid0(SALU_CYCLE_1)
	s_or_b32 exec_lo, exec_lo, s75
.LBB6_24183:                            ;   in Loop: Header=BB6_22365 Depth=3
	s_delay_alu instid0(SALU_CYCLE_1) | instskip(NEXT) | instid1(VALU_DEP_1)
	s_or_b32 exec_lo, exec_lo, s74
	v_dual_mul_f32 v4, s73, v2 :: v_dual_mov_b32 v9, v113
	v_mov_b32_e32 v3, v113
                                        ; implicit-def: $vgpr25
	s_mov_b32 s13, exec_lo
	s_delay_alu instid0(VALU_DEP_2) | instskip(SKIP_2) | instid1(VALU_DEP_3)
	v_and_b32_e32 v8, 0x7f800000, v4
	v_and_b32_e32 v2, 0x7fffff, v4
	v_lshrrev_b32_e32 v1, 24, v4
	v_cmpx_ne_u64_e32 0x7f800000, v[8:9]
	s_xor_b32 s74, exec_lo, s13
	s_cbranch_execz .LBB6_24197
; %bb.24184:                            ;   in Loop: Header=BB6_22365 Depth=3
	v_and_b32_e32 v8, 0x7fffffff, v4
	v_mov_b32_e32 v9, v113
	v_and_b32_e32 v1, 0x80, v1
                                        ; implicit-def: $vgpr25
	s_mov_b32 s13, exec_lo
	s_delay_alu instid0(VALU_DEP_2)
	v_cmpx_gt_u64_e32 0x47600001, v[8:9]
	s_xor_b32 s75, exec_lo, s13
	s_cbranch_execz .LBB6_24194
; %bb.24185:                            ;   in Loop: Header=BB6_22365 Depth=3
	v_mov_b32_e32 v25, 0
	s_mov_b32 s76, exec_lo
	v_cmpx_ne_u32_e32 0, v4
	s_cbranch_execz .LBB6_24193
; %bb.24186:                            ;   in Loop: Header=BB6_22365 Depth=3
	v_bfe_u32 v8, v4, 23, 8
	v_or_b32_e32 v5, 0x800000, v2
	s_delay_alu instid0(VALU_DEP_2) | instskip(SKIP_2) | instid1(VALU_DEP_2)
	v_cmp_gt_u32_e64 s13, 0x72, v8
	v_sub_nc_u32_e32 v4, 0x71, v8
	v_cmp_eq_u32_e32 vcc_lo, 0, v8
	v_dual_cndmask_b32 v4, 0, v4, s13 :: v_dual_cndmask_b32 v2, v5, v2, vcc_lo
	s_delay_alu instid0(VALU_DEP_1) | instskip(NEXT) | instid1(VALU_DEP_1)
	v_cndmask_b32_e64 v9, v4, 0x70, vcc_lo
	v_dual_add_nc_u32 v4, 21, v9 :: v_dual_add_nc_u32 v12, 20, v9
	s_delay_alu instid0(VALU_DEP_1) | instskip(NEXT) | instid1(VALU_DEP_2)
	v_lshlrev_b64_e64 v[4:5], v4, -1
	v_lshlrev_b64_e64 v[12:13], v12, 1
	s_delay_alu instid0(VALU_DEP_2) | instskip(SKIP_1) | instid1(VALU_DEP_4)
	v_bfi_b32 v4, v4, 0, v2
	v_lshrrev_b64 v[2:3], v9, v[2:3]
	v_bfi_b32 v5, v5, 0, 0
	s_delay_alu instid0(VALU_DEP_1) | instskip(NEXT) | instid1(VALU_DEP_3)
	v_cmp_eq_u64_e64 s13, v[4:5], v[12:13]
	v_mov_b64_e32 v[4:5], v[2:3]
	s_and_saveexec_b32 s77, s13
; %bb.24187:                            ;   in Loop: Header=BB6_22365 Depth=3
	v_bfe_u32 v4, v2, 21, 1
	v_mov_b32_e32 v5, v113
	s_delay_alu instid0(VALU_DEP_1) | instskip(NEXT) | instid1(VALU_DEP_1)
	v_add_nc_u64_e32 v[4:5], v[2:3], v[4:5]
	v_add_nc_u64_e32 v[4:5], -1, v[4:5]
; %bb.24188:                            ;   in Loop: Header=BB6_22365 Depth=3
	s_or_b32 exec_lo, exec_lo, s77
	v_add_nc_u32_e32 v3, 0xffffff81, v8
	v_lshrrev_b32_e32 v5, 23, v2
	s_mov_b32 s13, exec_lo
	s_delay_alu instid0(VALU_DEP_2) | instskip(NEXT) | instid1(VALU_DEP_1)
	v_cndmask_b32_e64 v3, v3, 0xffffff82, vcc_lo
	v_add3_u32 v8, v9, v3, v5
	v_and_b32_e32 v3, 0x1fffff, v4
                                        ; implicit-def: $vgpr4
	s_delay_alu instid0(VALU_DEP_1) | instskip(SKIP_1) | instid1(VALU_DEP_2)
	v_dual_add_nc_u32 v5, 14, v8 :: v_dual_add_nc_u32 v2, v3, v2
	v_mov_b32_e32 v3, v113
	v_cmpx_ne_u32_e32 0, v5
	s_xor_b32 s13, exec_lo, s13
; %bb.24189:                            ;   in Loop: Header=BB6_22365 Depth=3
	s_delay_alu instid0(VALU_DEP_2) | instskip(SKIP_1) | instid1(VALU_DEP_1)
	v_cmp_lt_u64_e32 vcc_lo, 0xffffff, v[2:3]
	v_add_nc_u32_e32 v4, 15, v8
	v_cndmask_b32_e32 v4, v5, v4, vcc_lo
	v_cndmask_b32_e64 v5, 0, 1, vcc_lo
	s_delay_alu instid0(VALU_DEP_1)
	v_lshrrev_b64 v[2:3], v5, v[2:3]
; %bb.24190:                            ;   in Loop: Header=BB6_22365 Depth=3
	s_and_not1_saveexec_b32 s13, s13
; %bb.24191:                            ;   in Loop: Header=BB6_22365 Depth=3
	s_delay_alu instid0(VALU_DEP_1)
	v_bfe_u32 v4, v2, 23, 1
; %bb.24192:                            ;   in Loop: Header=BB6_22365 Depth=3
	s_or_b32 exec_lo, exec_lo, s13
	s_delay_alu instid0(VALU_DEP_2) | instskip(NEXT) | instid1(VALU_DEP_2)
	v_lshrrev_b64 v[2:3], 21, v[2:3]
	v_cmp_gt_i32_e32 vcc_lo, 32, v4
	v_min_i32_e32 v5, 31, v4
	v_cmp_eq_u32_e64 s13, 0, v4
	s_delay_alu instid0(VALU_DEP_2) | instskip(SKIP_1) | instid1(VALU_DEP_2)
	v_dual_cndmask_b32 v3, 0, v3, vcc_lo :: v_dual_lshlrev_b32 v5, 2, v5
	v_cndmask_b32_e32 v2, 3, v2, vcc_lo
	v_and_b32_e32 v5, 0xfc, v5
	s_delay_alu instid0(VALU_DEP_2) | instskip(NEXT) | instid1(VALU_DEP_2)
	v_cmp_eq_u64_e32 vcc_lo, 0, v[2:3]
	v_and_or_b32 v2, v2, 3, v5
	s_and_b32 s13, s13, vcc_lo
	s_delay_alu instid0(VALU_DEP_1) | instid1(SALU_CYCLE_1)
	v_cndmask_b32_e64 v2, v2, 0, s13
	s_delay_alu instid0(VALU_DEP_1)
	v_or_b32_e32 v25, v2, v1
.LBB6_24193:                            ;   in Loop: Header=BB6_22365 Depth=3
	s_or_b32 exec_lo, exec_lo, s76
                                        ; implicit-def: $vgpr1
.LBB6_24194:                            ;   in Loop: Header=BB6_22365 Depth=3
	s_and_not1_saveexec_b32 s13, s75
; %bb.24195:                            ;   in Loop: Header=BB6_22365 Depth=3
	v_or_b32_e32 v25, 0x7b, v1
; %bb.24196:                            ;   in Loop: Header=BB6_22365 Depth=3
	s_or_b32 exec_lo, exec_lo, s13
                                        ; implicit-def: $vgpr4
                                        ; implicit-def: $vgpr2_vgpr3
                                        ; implicit-def: $vgpr1
.LBB6_24197:                            ;   in Loop: Header=BB6_22365 Depth=3
	s_and_not1_saveexec_b32 s13, s74
	s_cbranch_execz .LBB6_24203
; %bb.24198:                            ;   in Loop: Header=BB6_22365 Depth=3
	s_mov_b32 s74, exec_lo
                                        ; implicit-def: $vgpr25
	v_cmpx_ne_u64_e32 0, v[2:3]
	s_xor_b32 s74, exec_lo, s74
; %bb.24199:                            ;   in Loop: Header=BB6_22365 Depth=3
	v_or_b32_e32 v25, 0x7f, v1
                                        ; implicit-def: $vgpr4
; %bb.24200:                            ;   in Loop: Header=BB6_22365 Depth=3
	s_and_not1_saveexec_b32 s74, s74
; %bb.24201:                            ;   in Loop: Header=BB6_22365 Depth=3
	v_cmp_lt_i32_e32 vcc_lo, -1, v4
	v_mov_b32_e32 v1, 0x7c
	s_delay_alu instid0(VALU_DEP_1)
	v_cndmask_b32_e32 v25, 0xfc, v1, vcc_lo
; %bb.24202:                            ;   in Loop: Header=BB6_22365 Depth=3
	s_or_b32 exec_lo, exec_lo, s74
.LBB6_24203:                            ;   in Loop: Header=BB6_22365 Depth=3
	s_delay_alu instid0(SALU_CYCLE_1) | instskip(SKIP_3) | instid1(VALU_DEP_2)
	s_or_b32 exec_lo, exec_lo, s13
	v_lshrrev_b16 v2, 8, v0
	v_mov_b32_e32 v3, 0
	s_mov_b32 s74, exec_lo
	v_cmpx_ne_u16_e32 0, v2
	s_cbranch_execz .LBB6_24213
; %bb.24204:                            ;   in Loop: Header=BB6_22365 Depth=3
	v_bfrev_b32_e32 v3, 1
	s_mov_b32 s75, exec_lo
	v_cmpx_ne_u16_e32 0x80, v2
	s_cbranch_execz .LBB6_24212
; %bb.24205:                            ;   in Loop: Header=BB6_22365 Depth=3
	v_and_b32_e32 v1, 0xffff, v2
	s_delay_alu instid0(VALU_DEP_1) | instskip(SKIP_1) | instid1(VALU_DEP_2)
	v_and_b32_e32 v3, 0x7c, v1
	v_and_b32_e32 v4, 3, v1
	v_cmp_ne_u32_e32 vcc_lo, 0x7c, v3
                                        ; implicit-def: $vgpr3
	s_and_saveexec_b32 s13, vcc_lo
	s_delay_alu instid0(SALU_CYCLE_1)
	s_xor_b32 s13, exec_lo, s13
	s_cbranch_execz .LBB6_24209
; %bb.24206:                            ;   in Loop: Header=BB6_22365 Depth=3
	v_bfe_u32 v1, v1, 2, 5
	s_mov_b32 s76, exec_lo
	s_delay_alu instid0(VALU_DEP_1)
	v_cmpx_eq_u32_e32 0, v1
	s_cbranch_execz .LBB6_24208
; %bb.24207:                            ;   in Loop: Header=BB6_22365 Depth=3
	v_clz_i32_u32_e32 v1, v4
	s_delay_alu instid0(VALU_DEP_1) | instskip(SKIP_1) | instid1(VALU_DEP_2)
	v_min_u32_e32 v1, 32, v1
	v_mov_b32_e32 v3, v113
	v_subrev_nc_u32_e32 v4, 29, v1
	v_sub_nc_u32_e32 v1, 30, v1
	s_delay_alu instid0(VALU_DEP_2) | instskip(NEXT) | instid1(VALU_DEP_1)
	v_lshlrev_b64_e32 v[2:3], v4, v[2:3]
	v_and_b32_e32 v4, 3, v2
.LBB6_24208:                            ;   in Loop: Header=BB6_22365 Depth=3
	s_or_b32 exec_lo, exec_lo, s76
	v_lshlrev_b32_e32 v0, 16, v0
	s_delay_alu instid0(VALU_DEP_1) | instskip(NEXT) | instid1(VALU_DEP_1)
	v_and_b32_e32 v0, 0x80000000, v0
	v_lshl_add_u32 v0, v1, 23, v0
	s_delay_alu instid0(VALU_DEP_1) | instskip(NEXT) | instid1(VALU_DEP_1)
	v_lshl_or_b32 v0, v4, 21, v0
                                        ; implicit-def: $vgpr4
	v_add_nc_u32_e32 v3, 0x38000000, v0
                                        ; implicit-def: $vgpr0_vgpr1
.LBB6_24209:                            ;   in Loop: Header=BB6_22365 Depth=3
	s_and_not1_saveexec_b32 s76, s13
; %bb.24210:                            ;   in Loop: Header=BB6_22365 Depth=3
	v_cmp_lt_i16_e64 s13, -1, v0
	v_mov_b32_e32 v0, 0x7f800000
	v_cmp_eq_u32_e32 vcc_lo, 0, v4
	s_delay_alu instid0(VALU_DEP_2) | instskip(NEXT) | instid1(VALU_DEP_1)
	v_cndmask_b32_e64 v0, 0xff800000, v0, s13
	v_cndmask_b32_e32 v3, 0x7f800001, v0, vcc_lo
; %bb.24211:                            ;   in Loop: Header=BB6_22365 Depth=3
	s_or_b32 exec_lo, exec_lo, s76
.LBB6_24212:                            ;   in Loop: Header=BB6_22365 Depth=3
	s_delay_alu instid0(SALU_CYCLE_1)
	s_or_b32 exec_lo, exec_lo, s75
.LBB6_24213:                            ;   in Loop: Header=BB6_22365 Depth=3
	s_delay_alu instid0(SALU_CYCLE_1) | instskip(NEXT) | instid1(VALU_DEP_1)
	s_or_b32 exec_lo, exec_lo, s74
	v_dual_mul_f32 v2, s73, v3 :: v_dual_mov_b32 v5, v113
	v_mov_b32_e32 v1, v113
                                        ; implicit-def: $vgpr28
	s_mov_b32 s13, exec_lo
	s_delay_alu instid0(VALU_DEP_2) | instskip(SKIP_2) | instid1(VALU_DEP_3)
	v_and_b32_e32 v4, 0x7f800000, v2
	v_and_b32_e32 v0, 0x7fffff, v2
	v_lshrrev_b32_e32 v3, 24, v2
	v_cmpx_ne_u64_e32 0x7f800000, v[4:5]
	s_xor_b32 s74, exec_lo, s13
	s_cbranch_execz .LBB6_24227
; %bb.24214:                            ;   in Loop: Header=BB6_22365 Depth=3
	v_and_b32_e32 v4, 0x7fffffff, v2
	v_mov_b32_e32 v5, v113
                                        ; implicit-def: $vgpr28
	s_delay_alu instid0(VALU_DEP_1) | instskip(SKIP_2) | instid1(SALU_CYCLE_1)
	v_cmp_gt_u64_e32 vcc_lo, 0x47600001, v[4:5]
	v_and_b32_e32 v4, 0x80, v3
	s_and_saveexec_b32 s13, vcc_lo
	s_xor_b32 s75, exec_lo, s13
	s_cbranch_execz .LBB6_24224
; %bb.24215:                            ;   in Loop: Header=BB6_22365 Depth=3
	v_mov_b32_e32 v28, 0
	s_mov_b32 s76, exec_lo
	v_cmpx_ne_u32_e32 0, v2
	s_cbranch_execz .LBB6_24223
; %bb.24216:                            ;   in Loop: Header=BB6_22365 Depth=3
	v_bfe_u32 v5, v2, 23, 8
	v_or_b32_e32 v3, 0x800000, v0
	s_delay_alu instid0(VALU_DEP_2) | instskip(SKIP_2) | instid1(VALU_DEP_2)
	v_cmp_gt_u32_e64 s13, 0x72, v5
	v_sub_nc_u32_e32 v2, 0x71, v5
	v_cmp_eq_u32_e32 vcc_lo, 0, v5
	v_dual_cndmask_b32 v2, 0, v2, s13 :: v_dual_cndmask_b32 v0, v3, v0, vcc_lo
	s_delay_alu instid0(VALU_DEP_1) | instskip(NEXT) | instid1(VALU_DEP_1)
	v_cndmask_b32_e64 v8, v2, 0x70, vcc_lo
	v_dual_add_nc_u32 v2, 21, v8 :: v_dual_add_nc_u32 v9, 20, v8
	s_delay_alu instid0(VALU_DEP_1) | instskip(NEXT) | instid1(VALU_DEP_2)
	v_lshlrev_b64_e64 v[2:3], v2, -1
	v_lshlrev_b64_e64 v[12:13], v9, 1
	s_delay_alu instid0(VALU_DEP_2) | instskip(SKIP_1) | instid1(VALU_DEP_4)
	v_bfi_b32 v2, v2, 0, v0
	v_lshrrev_b64 v[0:1], v8, v[0:1]
	v_bfi_b32 v3, v3, 0, 0
	s_delay_alu instid0(VALU_DEP_1) | instskip(NEXT) | instid1(VALU_DEP_3)
	v_cmp_eq_u64_e64 s13, v[2:3], v[12:13]
	v_mov_b64_e32 v[2:3], v[0:1]
	s_and_saveexec_b32 s77, s13
; %bb.24217:                            ;   in Loop: Header=BB6_22365 Depth=3
	v_bfe_u32 v2, v0, 21, 1
	v_mov_b32_e32 v3, v113
	s_delay_alu instid0(VALU_DEP_1) | instskip(NEXT) | instid1(VALU_DEP_1)
	v_add_nc_u64_e32 v[2:3], v[0:1], v[2:3]
	v_add_nc_u64_e32 v[2:3], -1, v[2:3]
; %bb.24218:                            ;   in Loop: Header=BB6_22365 Depth=3
	s_or_b32 exec_lo, exec_lo, s77
	v_add_nc_u32_e32 v1, 0xffffff81, v5
	v_lshrrev_b32_e32 v3, 23, v0
	s_mov_b32 s13, exec_lo
	s_delay_alu instid0(VALU_DEP_2) | instskip(NEXT) | instid1(VALU_DEP_1)
	v_cndmask_b32_e64 v1, v1, 0xffffff82, vcc_lo
	v_add3_u32 v5, v8, v1, v3
	v_and_b32_e32 v1, 0x1fffff, v2
                                        ; implicit-def: $vgpr2
	s_delay_alu instid0(VALU_DEP_1) | instskip(SKIP_1) | instid1(VALU_DEP_2)
	v_dual_add_nc_u32 v3, 14, v5 :: v_dual_add_nc_u32 v0, v1, v0
	v_mov_b32_e32 v1, v113
	v_cmpx_ne_u32_e32 0, v3
	s_xor_b32 s13, exec_lo, s13
; %bb.24219:                            ;   in Loop: Header=BB6_22365 Depth=3
	s_delay_alu instid0(VALU_DEP_2) | instskip(SKIP_1) | instid1(VALU_DEP_1)
	v_cmp_lt_u64_e32 vcc_lo, 0xffffff, v[0:1]
	v_add_nc_u32_e32 v2, 15, v5
	v_cndmask_b32_e32 v2, v3, v2, vcc_lo
	v_cndmask_b32_e64 v3, 0, 1, vcc_lo
	s_delay_alu instid0(VALU_DEP_1)
	v_lshrrev_b64 v[0:1], v3, v[0:1]
; %bb.24220:                            ;   in Loop: Header=BB6_22365 Depth=3
	s_and_not1_saveexec_b32 s13, s13
; %bb.24221:                            ;   in Loop: Header=BB6_22365 Depth=3
	s_delay_alu instid0(VALU_DEP_1)
	v_bfe_u32 v2, v0, 23, 1
; %bb.24222:                            ;   in Loop: Header=BB6_22365 Depth=3
	s_or_b32 exec_lo, exec_lo, s13
	s_delay_alu instid0(VALU_DEP_2) | instskip(NEXT) | instid1(VALU_DEP_2)
	v_lshrrev_b64 v[0:1], 21, v[0:1]
	v_cmp_gt_i32_e32 vcc_lo, 32, v2
	v_min_i32_e32 v3, 31, v2
	v_cmp_eq_u32_e64 s13, 0, v2
	s_delay_alu instid0(VALU_DEP_2) | instskip(SKIP_1) | instid1(VALU_DEP_2)
	v_dual_cndmask_b32 v1, 0, v1, vcc_lo :: v_dual_lshlrev_b32 v3, 2, v3
	v_cndmask_b32_e32 v0, 3, v0, vcc_lo
	v_and_b32_e32 v3, 0xfc, v3
	s_delay_alu instid0(VALU_DEP_2) | instskip(NEXT) | instid1(VALU_DEP_2)
	v_cmp_eq_u64_e32 vcc_lo, 0, v[0:1]
	v_and_or_b32 v0, v0, 3, v3
	s_and_b32 s13, s13, vcc_lo
	s_delay_alu instid0(VALU_DEP_1) | instid1(SALU_CYCLE_1)
	v_cndmask_b32_e64 v0, v0, 0, s13
	s_delay_alu instid0(VALU_DEP_1)
	v_or_b32_e32 v28, v0, v4
.LBB6_24223:                            ;   in Loop: Header=BB6_22365 Depth=3
	s_or_b32 exec_lo, exec_lo, s76
                                        ; implicit-def: $vgpr4
.LBB6_24224:                            ;   in Loop: Header=BB6_22365 Depth=3
	s_and_not1_saveexec_b32 s13, s75
; %bb.24225:                            ;   in Loop: Header=BB6_22365 Depth=3
	v_or_b32_e32 v28, 0x7b, v4
; %bb.24226:                            ;   in Loop: Header=BB6_22365 Depth=3
	s_or_b32 exec_lo, exec_lo, s13
                                        ; implicit-def: $vgpr2
                                        ; implicit-def: $vgpr0_vgpr1
                                        ; implicit-def: $vgpr3
.LBB6_24227:                            ;   in Loop: Header=BB6_22365 Depth=3
	s_and_not1_saveexec_b32 s13, s74
	s_cbranch_execz .LBB6_24233
; %bb.24228:                            ;   in Loop: Header=BB6_22365 Depth=3
	s_mov_b32 s74, exec_lo
                                        ; implicit-def: $vgpr28
	v_cmpx_ne_u64_e32 0, v[0:1]
	s_xor_b32 s74, exec_lo, s74
; %bb.24229:                            ;   in Loop: Header=BB6_22365 Depth=3
	v_or_b32_e32 v28, 0x7f, v3
                                        ; implicit-def: $vgpr2
; %bb.24230:                            ;   in Loop: Header=BB6_22365 Depth=3
	s_and_not1_saveexec_b32 s74, s74
; %bb.24231:                            ;   in Loop: Header=BB6_22365 Depth=3
	v_cmp_lt_i32_e32 vcc_lo, -1, v2
	v_mov_b32_e32 v0, 0x7c
	s_delay_alu instid0(VALU_DEP_1)
	v_cndmask_b32_e32 v28, 0xfc, v0, vcc_lo
; %bb.24232:                            ;   in Loop: Header=BB6_22365 Depth=3
	s_or_b32 exec_lo, exec_lo, s74
.LBB6_24233:                            ;   in Loop: Header=BB6_22365 Depth=3
	s_delay_alu instid0(SALU_CYCLE_1) | instskip(SKIP_2) | instid1(VALU_DEP_1)
	s_or_b32 exec_lo, exec_lo, s13
	v_dual_mov_b32 v1, 0 :: v_dual_lshrrev_b32 v0, 16, v11
	s_mov_b32 s74, exec_lo
	v_and_b32_e32 v2, 0xff, v0
	s_delay_alu instid0(VALU_DEP_1)
	v_cmpx_ne_u16_e32 0, v2
	s_cbranch_execz .LBB6_24243
; %bb.24234:                            ;   in Loop: Header=BB6_22365 Depth=3
	v_bfrev_b32_e32 v1, 1
	s_mov_b32 s75, exec_lo
	v_cmpx_ne_u16_e32 0x80, v2
	s_cbranch_execz .LBB6_24242
; %bb.24235:                            ;   in Loop: Header=BB6_22365 Depth=3
	v_and_b32_e32 v1, 0x7c0000, v11
	v_bfe_u32 v2, v11, 16, 2
	s_delay_alu instid0(VALU_DEP_2) | instskip(SKIP_1) | instid1(SALU_CYCLE_1)
	v_cmp_ne_u32_e32 vcc_lo, 0x7c0000, v1
                                        ; implicit-def: $vgpr1
	s_and_saveexec_b32 s13, vcc_lo
	s_xor_b32 s13, exec_lo, s13
	s_cbranch_execz .LBB6_24239
; %bb.24236:                            ;   in Loop: Header=BB6_22365 Depth=3
	v_bfe_u32 v1, v11, 18, 5
	s_mov_b32 s76, exec_lo
	s_delay_alu instid0(VALU_DEP_1)
	v_cmpx_eq_u32_e32 0, v1
; %bb.24237:                            ;   in Loop: Header=BB6_22365 Depth=3
	v_clz_i32_u32_e32 v1, v2
	s_delay_alu instid0(VALU_DEP_1) | instskip(NEXT) | instid1(VALU_DEP_1)
	v_min_u32_e32 v1, 32, v1
	v_subrev_nc_u32_e32 v2, 29, v1
	s_delay_alu instid0(VALU_DEP_1) | instskip(NEXT) | instid1(VALU_DEP_1)
	v_lshlrev_b64_e32 v[2:3], v2, v[0:1]
	v_dual_sub_nc_u32 v1, 30, v1 :: v_dual_bitop2_b32 v2, 3, v2 bitop3:0x40
; %bb.24238:                            ;   in Loop: Header=BB6_22365 Depth=3
	s_or_b32 exec_lo, exec_lo, s76
	v_lshlrev_b32_e32 v0, 24, v0
	s_delay_alu instid0(VALU_DEP_1) | instskip(NEXT) | instid1(VALU_DEP_1)
	v_and_b32_e32 v0, 0x80000000, v0
	v_lshl_add_u32 v0, v1, 23, v0
	s_delay_alu instid0(VALU_DEP_1) | instskip(NEXT) | instid1(VALU_DEP_1)
	v_lshl_or_b32 v0, v2, 21, v0
                                        ; implicit-def: $vgpr2
	v_add_nc_u32_e32 v1, 0x38000000, v0
                                        ; implicit-def: $vgpr0
.LBB6_24239:                            ;   in Loop: Header=BB6_22365 Depth=3
	s_and_not1_saveexec_b32 s76, s13
; %bb.24240:                            ;   in Loop: Header=BB6_22365 Depth=3
	v_bfe_i32 v0, v0, 0, 8
	v_cmp_eq_u32_e32 vcc_lo, 0, v2
	s_delay_alu instid0(VALU_DEP_2) | instskip(SKIP_1) | instid1(VALU_DEP_1)
	v_cmp_lt_i16_e64 s13, -1, v0
	v_mov_b32_e32 v0, 0x7f800000
	v_cndmask_b32_e64 v0, 0xff800000, v0, s13
	s_delay_alu instid0(VALU_DEP_1)
	v_cndmask_b32_e32 v1, 0x7f800001, v0, vcc_lo
; %bb.24241:                            ;   in Loop: Header=BB6_22365 Depth=3
	s_or_b32 exec_lo, exec_lo, s76
.LBB6_24242:                            ;   in Loop: Header=BB6_22365 Depth=3
	s_delay_alu instid0(SALU_CYCLE_1)
	s_or_b32 exec_lo, exec_lo, s75
.LBB6_24243:                            ;   in Loop: Header=BB6_22365 Depth=3
	s_delay_alu instid0(SALU_CYCLE_1) | instskip(NEXT) | instid1(VALU_DEP_1)
	s_or_b32 exec_lo, exec_lo, s74
	v_dual_mul_f32 v2, s73, v1 :: v_dual_mov_b32 v5, v113
	v_mov_b32_e32 v1, v113
                                        ; implicit-def: $vgpr31
	s_mov_b32 s13, exec_lo
	s_delay_alu instid0(VALU_DEP_2) | instskip(SKIP_2) | instid1(VALU_DEP_3)
	v_and_b32_e32 v4, 0x7f800000, v2
	v_and_b32_e32 v0, 0x7fffff, v2
	v_lshrrev_b32_e32 v3, 24, v2
	v_cmpx_ne_u64_e32 0x7f800000, v[4:5]
	s_xor_b32 s74, exec_lo, s13
	s_cbranch_execz .LBB6_24257
; %bb.24244:                            ;   in Loop: Header=BB6_22365 Depth=3
	v_and_b32_e32 v4, 0x7fffffff, v2
	v_mov_b32_e32 v5, v113
                                        ; implicit-def: $vgpr31
	s_delay_alu instid0(VALU_DEP_1) | instskip(SKIP_2) | instid1(SALU_CYCLE_1)
	v_cmp_gt_u64_e32 vcc_lo, 0x47600001, v[4:5]
	v_and_b32_e32 v4, 0x80, v3
	s_and_saveexec_b32 s13, vcc_lo
	s_xor_b32 s75, exec_lo, s13
	s_cbranch_execz .LBB6_24254
; %bb.24245:                            ;   in Loop: Header=BB6_22365 Depth=3
	v_mov_b32_e32 v31, 0
	s_mov_b32 s76, exec_lo
	v_cmpx_ne_u32_e32 0, v2
	s_cbranch_execz .LBB6_24253
; %bb.24246:                            ;   in Loop: Header=BB6_22365 Depth=3
	v_bfe_u32 v5, v2, 23, 8
	v_or_b32_e32 v3, 0x800000, v0
	s_delay_alu instid0(VALU_DEP_2) | instskip(SKIP_2) | instid1(VALU_DEP_2)
	v_cmp_gt_u32_e64 s13, 0x72, v5
	v_sub_nc_u32_e32 v2, 0x71, v5
	v_cmp_eq_u32_e32 vcc_lo, 0, v5
	v_dual_cndmask_b32 v2, 0, v2, s13 :: v_dual_cndmask_b32 v0, v3, v0, vcc_lo
	s_delay_alu instid0(VALU_DEP_1) | instskip(NEXT) | instid1(VALU_DEP_1)
	v_cndmask_b32_e64 v8, v2, 0x70, vcc_lo
	v_dual_add_nc_u32 v2, 21, v8 :: v_dual_add_nc_u32 v9, 20, v8
	s_delay_alu instid0(VALU_DEP_1) | instskip(NEXT) | instid1(VALU_DEP_2)
	v_lshlrev_b64_e64 v[2:3], v2, -1
	v_lshlrev_b64_e64 v[12:13], v9, 1
	s_delay_alu instid0(VALU_DEP_2) | instskip(SKIP_1) | instid1(VALU_DEP_4)
	v_bfi_b32 v2, v2, 0, v0
	v_lshrrev_b64 v[0:1], v8, v[0:1]
	v_bfi_b32 v3, v3, 0, 0
	s_delay_alu instid0(VALU_DEP_1) | instskip(NEXT) | instid1(VALU_DEP_3)
	v_cmp_eq_u64_e64 s13, v[2:3], v[12:13]
	v_mov_b64_e32 v[2:3], v[0:1]
	s_and_saveexec_b32 s77, s13
; %bb.24247:                            ;   in Loop: Header=BB6_22365 Depth=3
	v_bfe_u32 v2, v0, 21, 1
	v_mov_b32_e32 v3, v113
	s_delay_alu instid0(VALU_DEP_1) | instskip(NEXT) | instid1(VALU_DEP_1)
	v_add_nc_u64_e32 v[2:3], v[0:1], v[2:3]
	v_add_nc_u64_e32 v[2:3], -1, v[2:3]
; %bb.24248:                            ;   in Loop: Header=BB6_22365 Depth=3
	s_or_b32 exec_lo, exec_lo, s77
	v_add_nc_u32_e32 v1, 0xffffff81, v5
	v_lshrrev_b32_e32 v3, 23, v0
	s_mov_b32 s13, exec_lo
	s_delay_alu instid0(VALU_DEP_2) | instskip(NEXT) | instid1(VALU_DEP_1)
	v_cndmask_b32_e64 v1, v1, 0xffffff82, vcc_lo
	v_add3_u32 v5, v8, v1, v3
	v_and_b32_e32 v1, 0x1fffff, v2
                                        ; implicit-def: $vgpr2
	s_delay_alu instid0(VALU_DEP_1) | instskip(SKIP_1) | instid1(VALU_DEP_2)
	v_dual_add_nc_u32 v3, 14, v5 :: v_dual_add_nc_u32 v0, v1, v0
	v_mov_b32_e32 v1, v113
	v_cmpx_ne_u32_e32 0, v3
	s_xor_b32 s13, exec_lo, s13
; %bb.24249:                            ;   in Loop: Header=BB6_22365 Depth=3
	s_delay_alu instid0(VALU_DEP_2) | instskip(SKIP_1) | instid1(VALU_DEP_1)
	v_cmp_lt_u64_e32 vcc_lo, 0xffffff, v[0:1]
	v_add_nc_u32_e32 v2, 15, v5
	v_cndmask_b32_e32 v2, v3, v2, vcc_lo
	v_cndmask_b32_e64 v3, 0, 1, vcc_lo
	s_delay_alu instid0(VALU_DEP_1)
	v_lshrrev_b64 v[0:1], v3, v[0:1]
; %bb.24250:                            ;   in Loop: Header=BB6_22365 Depth=3
	s_and_not1_saveexec_b32 s13, s13
; %bb.24251:                            ;   in Loop: Header=BB6_22365 Depth=3
	s_delay_alu instid0(VALU_DEP_1)
	v_bfe_u32 v2, v0, 23, 1
; %bb.24252:                            ;   in Loop: Header=BB6_22365 Depth=3
	s_or_b32 exec_lo, exec_lo, s13
	s_delay_alu instid0(VALU_DEP_2) | instskip(NEXT) | instid1(VALU_DEP_2)
	v_lshrrev_b64 v[0:1], 21, v[0:1]
	v_cmp_gt_i32_e32 vcc_lo, 32, v2
	v_min_i32_e32 v3, 31, v2
	v_cmp_eq_u32_e64 s13, 0, v2
	s_delay_alu instid0(VALU_DEP_2) | instskip(SKIP_1) | instid1(VALU_DEP_2)
	v_dual_cndmask_b32 v1, 0, v1, vcc_lo :: v_dual_lshlrev_b32 v3, 2, v3
	v_cndmask_b32_e32 v0, 3, v0, vcc_lo
	v_and_b32_e32 v3, 0xfc, v3
	s_delay_alu instid0(VALU_DEP_2) | instskip(NEXT) | instid1(VALU_DEP_2)
	v_cmp_eq_u64_e32 vcc_lo, 0, v[0:1]
	v_and_or_b32 v0, v0, 3, v3
	s_and_b32 s13, s13, vcc_lo
	s_delay_alu instid0(VALU_DEP_1) | instid1(SALU_CYCLE_1)
	v_cndmask_b32_e64 v0, v0, 0, s13
	s_delay_alu instid0(VALU_DEP_1)
	v_or_b32_e32 v31, v0, v4
.LBB6_24253:                            ;   in Loop: Header=BB6_22365 Depth=3
	s_or_b32 exec_lo, exec_lo, s76
                                        ; implicit-def: $vgpr4
.LBB6_24254:                            ;   in Loop: Header=BB6_22365 Depth=3
	s_and_not1_saveexec_b32 s13, s75
; %bb.24255:                            ;   in Loop: Header=BB6_22365 Depth=3
	v_or_b32_e32 v31, 0x7b, v4
; %bb.24256:                            ;   in Loop: Header=BB6_22365 Depth=3
	s_or_b32 exec_lo, exec_lo, s13
                                        ; implicit-def: $vgpr2
                                        ; implicit-def: $vgpr0_vgpr1
                                        ; implicit-def: $vgpr3
.LBB6_24257:                            ;   in Loop: Header=BB6_22365 Depth=3
	s_and_not1_saveexec_b32 s13, s74
	s_cbranch_execz .LBB6_24263
; %bb.24258:                            ;   in Loop: Header=BB6_22365 Depth=3
	s_mov_b32 s74, exec_lo
                                        ; implicit-def: $vgpr31
	v_cmpx_ne_u64_e32 0, v[0:1]
	s_xor_b32 s74, exec_lo, s74
; %bb.24259:                            ;   in Loop: Header=BB6_22365 Depth=3
	v_or_b32_e32 v31, 0x7f, v3
                                        ; implicit-def: $vgpr2
; %bb.24260:                            ;   in Loop: Header=BB6_22365 Depth=3
	s_and_not1_saveexec_b32 s74, s74
; %bb.24261:                            ;   in Loop: Header=BB6_22365 Depth=3
	v_cmp_lt_i32_e32 vcc_lo, -1, v2
	v_mov_b32_e32 v0, 0x7c
	s_delay_alu instid0(VALU_DEP_1)
	v_cndmask_b32_e32 v31, 0xfc, v0, vcc_lo
; %bb.24262:                            ;   in Loop: Header=BB6_22365 Depth=3
	s_or_b32 exec_lo, exec_lo, s74
.LBB6_24263:                            ;   in Loop: Header=BB6_22365 Depth=3
	s_delay_alu instid0(SALU_CYCLE_1)
	s_or_b32 exec_lo, exec_lo, s13
	v_mov_b32_e32 v1, 0
	s_mov_b32 s74, exec_lo
	v_cmpx_lt_u64_e64 s[22:23], v[10:11]
	s_cbranch_execz .LBB6_24273
; %bb.24264:                            ;   in Loop: Header=BB6_22365 Depth=3
	v_lshrrev_b32_e32 v0, 24, v11
	v_bfrev_b32_e32 v1, 1
	s_mov_b32 s75, exec_lo
	s_delay_alu instid0(VALU_DEP_2)
	v_cmpx_ne_u32_e32 0x80, v0
	s_cbranch_execz .LBB6_24272
; %bb.24265:                            ;   in Loop: Header=BB6_22365 Depth=3
	v_and_b32_e32 v1, 0x7c000000, v11
	v_bfe_u32 v2, v11, 24, 2
	s_delay_alu instid0(VALU_DEP_2) | instskip(SKIP_1) | instid1(SALU_CYCLE_1)
	v_cmp_ne_u32_e32 vcc_lo, 0x7c000000, v1
                                        ; implicit-def: $vgpr1
	s_and_saveexec_b32 s13, vcc_lo
	s_xor_b32 s13, exec_lo, s13
	s_cbranch_execz .LBB6_24269
; %bb.24266:                            ;   in Loop: Header=BB6_22365 Depth=3
	v_bfe_u32 v1, v11, 26, 5
	s_mov_b32 s76, exec_lo
	s_delay_alu instid0(VALU_DEP_1)
	v_cmpx_eq_u32_e32 0, v1
; %bb.24267:                            ;   in Loop: Header=BB6_22365 Depth=3
	v_clz_i32_u32_e32 v1, v2
	s_delay_alu instid0(VALU_DEP_1) | instskip(NEXT) | instid1(VALU_DEP_1)
	v_min_u32_e32 v2, 32, v1
	v_subrev_nc_u32_e32 v1, 29, v2
	s_delay_alu instid0(VALU_DEP_1) | instskip(NEXT) | instid1(VALU_DEP_1)
	v_lshlrev_b64_e32 v[0:1], v1, v[0:1]
	v_dual_sub_nc_u32 v1, 30, v2 :: v_dual_bitop2_b32 v2, 3, v0 bitop3:0x40
; %bb.24268:                            ;   in Loop: Header=BB6_22365 Depth=3
	s_or_b32 exec_lo, exec_lo, s76
	v_and_b32_e32 v0, 0x80000000, v11
                                        ; implicit-def: $vgpr10_vgpr11
	s_delay_alu instid0(VALU_DEP_1) | instskip(NEXT) | instid1(VALU_DEP_1)
	v_lshl_add_u32 v0, v1, 23, v0
	v_lshl_or_b32 v0, v2, 21, v0
                                        ; implicit-def: $vgpr2
	s_delay_alu instid0(VALU_DEP_1)
	v_add_nc_u32_e32 v1, 0x38000000, v0
.LBB6_24269:                            ;   in Loop: Header=BB6_22365 Depth=3
	s_and_not1_saveexec_b32 s76, s13
; %bb.24270:                            ;   in Loop: Header=BB6_22365 Depth=3
	v_cmp_lt_i64_e64 s13, -1, v[10:11]
	v_mov_b32_e32 v0, 0x7f800000
	v_cmp_eq_u32_e32 vcc_lo, 0, v2
	s_delay_alu instid0(VALU_DEP_2) | instskip(NEXT) | instid1(VALU_DEP_1)
	v_cndmask_b32_e64 v0, 0xff800000, v0, s13
	v_cndmask_b32_e32 v1, 0x7f800001, v0, vcc_lo
; %bb.24271:                            ;   in Loop: Header=BB6_22365 Depth=3
	s_or_b32 exec_lo, exec_lo, s76
.LBB6_24272:                            ;   in Loop: Header=BB6_22365 Depth=3
	s_delay_alu instid0(SALU_CYCLE_1)
	s_or_b32 exec_lo, exec_lo, s75
.LBB6_24273:                            ;   in Loop: Header=BB6_22365 Depth=3
	s_delay_alu instid0(SALU_CYCLE_1) | instskip(NEXT) | instid1(VALU_DEP_1)
	s_or_b32 exec_lo, exec_lo, s74
	v_dual_mul_f32 v2, s73, v1 :: v_dual_mov_b32 v5, v113
	v_mov_b32_e32 v1, v113
                                        ; implicit-def: $vgpr34
	s_mov_b32 s13, exec_lo
	s_delay_alu instid0(VALU_DEP_2) | instskip(SKIP_2) | instid1(VALU_DEP_3)
	v_and_b32_e32 v4, 0x7f800000, v2
	v_and_b32_e32 v0, 0x7fffff, v2
	v_lshrrev_b32_e32 v3, 24, v2
	v_cmpx_ne_u64_e32 0x7f800000, v[4:5]
	s_xor_b32 s73, exec_lo, s13
	s_cbranch_execz .LBB6_24287
; %bb.24274:                            ;   in Loop: Header=BB6_22365 Depth=3
	v_and_b32_e32 v4, 0x7fffffff, v2
	v_mov_b32_e32 v5, v113
                                        ; implicit-def: $vgpr34
	s_delay_alu instid0(VALU_DEP_1) | instskip(SKIP_2) | instid1(SALU_CYCLE_1)
	v_cmp_gt_u64_e32 vcc_lo, 0x47600001, v[4:5]
	v_and_b32_e32 v4, 0x80, v3
	s_and_saveexec_b32 s13, vcc_lo
	s_xor_b32 s74, exec_lo, s13
	s_cbranch_execz .LBB6_24284
; %bb.24275:                            ;   in Loop: Header=BB6_22365 Depth=3
	v_mov_b32_e32 v34, 0
	s_mov_b32 s75, exec_lo
	v_cmpx_ne_u32_e32 0, v2
	s_cbranch_execz .LBB6_24283
; %bb.24276:                            ;   in Loop: Header=BB6_22365 Depth=3
	v_bfe_u32 v5, v2, 23, 8
	v_or_b32_e32 v3, 0x800000, v0
	s_delay_alu instid0(VALU_DEP_2) | instskip(SKIP_2) | instid1(VALU_DEP_2)
	v_cmp_gt_u32_e64 s13, 0x72, v5
	v_sub_nc_u32_e32 v2, 0x71, v5
	v_cmp_eq_u32_e32 vcc_lo, 0, v5
	v_dual_cndmask_b32 v2, 0, v2, s13 :: v_dual_cndmask_b32 v0, v3, v0, vcc_lo
	s_delay_alu instid0(VALU_DEP_1) | instskip(NEXT) | instid1(VALU_DEP_1)
	v_cndmask_b32_e64 v8, v2, 0x70, vcc_lo
	v_dual_add_nc_u32 v2, 21, v8 :: v_dual_add_nc_u32 v9, 20, v8
	s_delay_alu instid0(VALU_DEP_1) | instskip(NEXT) | instid1(VALU_DEP_2)
	v_lshlrev_b64_e64 v[2:3], v2, -1
	v_lshlrev_b64_e64 v[10:11], v9, 1
	s_delay_alu instid0(VALU_DEP_2) | instskip(SKIP_1) | instid1(VALU_DEP_4)
	v_bfi_b32 v2, v2, 0, v0
	v_lshrrev_b64 v[0:1], v8, v[0:1]
	v_bfi_b32 v3, v3, 0, 0
	s_delay_alu instid0(VALU_DEP_1) | instskip(NEXT) | instid1(VALU_DEP_3)
	v_cmp_eq_u64_e64 s13, v[2:3], v[10:11]
	v_mov_b64_e32 v[2:3], v[0:1]
	s_and_saveexec_b32 s76, s13
; %bb.24277:                            ;   in Loop: Header=BB6_22365 Depth=3
	v_bfe_u32 v2, v0, 21, 1
	v_mov_b32_e32 v3, v113
	s_delay_alu instid0(VALU_DEP_1) | instskip(NEXT) | instid1(VALU_DEP_1)
	v_add_nc_u64_e32 v[2:3], v[0:1], v[2:3]
	v_add_nc_u64_e32 v[2:3], -1, v[2:3]
; %bb.24278:                            ;   in Loop: Header=BB6_22365 Depth=3
	s_or_b32 exec_lo, exec_lo, s76
	v_add_nc_u32_e32 v1, 0xffffff81, v5
	v_lshrrev_b32_e32 v3, 23, v0
	s_mov_b32 s13, exec_lo
	s_delay_alu instid0(VALU_DEP_2) | instskip(NEXT) | instid1(VALU_DEP_1)
	v_cndmask_b32_e64 v1, v1, 0xffffff82, vcc_lo
	v_add3_u32 v5, v8, v1, v3
	v_and_b32_e32 v1, 0x1fffff, v2
                                        ; implicit-def: $vgpr2
	s_delay_alu instid0(VALU_DEP_1) | instskip(SKIP_1) | instid1(VALU_DEP_2)
	v_dual_add_nc_u32 v3, 14, v5 :: v_dual_add_nc_u32 v0, v1, v0
	v_mov_b32_e32 v1, v113
	v_cmpx_ne_u32_e32 0, v3
	s_xor_b32 s13, exec_lo, s13
; %bb.24279:                            ;   in Loop: Header=BB6_22365 Depth=3
	s_delay_alu instid0(VALU_DEP_2) | instskip(SKIP_1) | instid1(VALU_DEP_1)
	v_cmp_lt_u64_e32 vcc_lo, 0xffffff, v[0:1]
	v_add_nc_u32_e32 v2, 15, v5
	v_cndmask_b32_e32 v2, v3, v2, vcc_lo
	v_cndmask_b32_e64 v3, 0, 1, vcc_lo
	s_delay_alu instid0(VALU_DEP_1)
	v_lshrrev_b64 v[0:1], v3, v[0:1]
; %bb.24280:                            ;   in Loop: Header=BB6_22365 Depth=3
	s_and_not1_saveexec_b32 s13, s13
; %bb.24281:                            ;   in Loop: Header=BB6_22365 Depth=3
	s_delay_alu instid0(VALU_DEP_1)
	v_bfe_u32 v2, v0, 23, 1
; %bb.24282:                            ;   in Loop: Header=BB6_22365 Depth=3
	s_or_b32 exec_lo, exec_lo, s13
	s_delay_alu instid0(VALU_DEP_2) | instskip(NEXT) | instid1(VALU_DEP_2)
	v_lshrrev_b64 v[0:1], 21, v[0:1]
	v_cmp_gt_i32_e32 vcc_lo, 32, v2
	v_min_i32_e32 v3, 31, v2
	v_cmp_eq_u32_e64 s13, 0, v2
	s_delay_alu instid0(VALU_DEP_2) | instskip(SKIP_1) | instid1(VALU_DEP_2)
	v_dual_cndmask_b32 v1, 0, v1, vcc_lo :: v_dual_lshlrev_b32 v3, 2, v3
	v_cndmask_b32_e32 v0, 3, v0, vcc_lo
	v_and_b32_e32 v3, 0xfc, v3
	s_delay_alu instid0(VALU_DEP_2) | instskip(NEXT) | instid1(VALU_DEP_2)
	v_cmp_eq_u64_e32 vcc_lo, 0, v[0:1]
	v_and_or_b32 v0, v0, 3, v3
	s_and_b32 s13, s13, vcc_lo
	s_delay_alu instid0(VALU_DEP_1) | instid1(SALU_CYCLE_1)
	v_cndmask_b32_e64 v0, v0, 0, s13
	s_delay_alu instid0(VALU_DEP_1)
	v_or_b32_e32 v34, v0, v4
.LBB6_24283:                            ;   in Loop: Header=BB6_22365 Depth=3
	s_or_b32 exec_lo, exec_lo, s75
                                        ; implicit-def: $vgpr4
.LBB6_24284:                            ;   in Loop: Header=BB6_22365 Depth=3
	s_and_not1_saveexec_b32 s13, s74
; %bb.24285:                            ;   in Loop: Header=BB6_22365 Depth=3
	v_or_b32_e32 v34, 0x7b, v4
; %bb.24286:                            ;   in Loop: Header=BB6_22365 Depth=3
	s_or_b32 exec_lo, exec_lo, s13
                                        ; implicit-def: $vgpr2
                                        ; implicit-def: $vgpr0_vgpr1
                                        ; implicit-def: $vgpr3
.LBB6_24287:                            ;   in Loop: Header=BB6_22365 Depth=3
	s_and_not1_saveexec_b32 s13, s73
	s_cbranch_execz .LBB6_24293
; %bb.24288:                            ;   in Loop: Header=BB6_22365 Depth=3
	s_mov_b32 s73, exec_lo
                                        ; implicit-def: $vgpr34
	v_cmpx_ne_u64_e32 0, v[0:1]
	s_xor_b32 s73, exec_lo, s73
; %bb.24289:                            ;   in Loop: Header=BB6_22365 Depth=3
	v_or_b32_e32 v34, 0x7f, v3
                                        ; implicit-def: $vgpr2
; %bb.24290:                            ;   in Loop: Header=BB6_22365 Depth=3
	s_and_not1_saveexec_b32 s73, s73
; %bb.24291:                            ;   in Loop: Header=BB6_22365 Depth=3
	v_cmp_lt_i32_e32 vcc_lo, -1, v2
	v_mov_b32_e32 v0, 0x7c
	s_delay_alu instid0(VALU_DEP_1)
	v_cndmask_b32_e32 v34, 0xfc, v0, vcc_lo
; %bb.24292:                            ;   in Loop: Header=BB6_22365 Depth=3
	s_or_b32 exec_lo, exec_lo, s73
.LBB6_24293:                            ;   in Loop: Header=BB6_22365 Depth=3
	s_delay_alu instid0(SALU_CYCLE_1)
	s_or_b32 exec_lo, exec_lo, s13
	s_clause 0x3
	global_load_b128 v[20:23], v[72:73], off th:TH_LOAD_NT
	global_load_b128 v[16:19], v[72:73], off offset:512 th:TH_LOAD_NT
	global_load_b128 v[12:15], v[72:73], off offset:1024 th:TH_LOAD_NT
	;; [unrolled: 1-line block ×3, first 2 shown]
	v_lshl_or_b32 v26, v26, 8, v24
	v_lshlrev_b32_e32 v0, 16, v29
	v_dual_mov_b32 v2, 0 :: v_dual_lshlrev_b32 v1, 24, v33
	v_mov_b32_e32 v3, 0
	s_mov_b32 s73, exec_lo
	s_delay_alu instid0(VALU_DEP_2)
	v_or3_b32 v0, v0, v1, v26
	v_mov_b32_e32 v1, v113
	s_wait_xcnt 0x0
	v_cmpx_ne_u32_e32 0, v24
	s_cbranch_execz .LBB6_24303
; %bb.24294:                            ;   in Loop: Header=BB6_22365 Depth=3
	v_bfrev_b32_e32 v3, 1
	s_mov_b32 s74, exec_lo
	v_cmpx_ne_u32_e32 0x80, v24
	s_cbranch_execz .LBB6_24302
; %bb.24295:                            ;   in Loop: Header=BB6_22365 Depth=3
	v_and_b32_e32 v3, 0x7c, v24
	v_and_b32_e32 v4, 3, v24
	s_delay_alu instid0(VALU_DEP_2) | instskip(SKIP_1) | instid1(SALU_CYCLE_1)
	v_cmp_ne_u32_e32 vcc_lo, 0x7c, v3
                                        ; implicit-def: $vgpr3
	s_and_saveexec_b32 s13, vcc_lo
	s_xor_b32 s13, exec_lo, s13
	s_cbranch_execz .LBB6_24299
; %bb.24296:                            ;   in Loop: Header=BB6_22365 Depth=3
	v_bfe_u32 v3, v24, 2, 5
	s_mov_b32 s75, exec_lo
	s_delay_alu instid0(VALU_DEP_1)
	v_cmpx_eq_u32_e32 0, v3
; %bb.24297:                            ;   in Loop: Header=BB6_22365 Depth=3
	v_clz_i32_u32_e32 v3, v4
	s_delay_alu instid0(VALU_DEP_1) | instskip(NEXT) | instid1(VALU_DEP_1)
	v_min_u32_e32 v3, 32, v3
	v_subrev_nc_u32_e32 v4, 29, v3
	s_delay_alu instid0(VALU_DEP_1) | instskip(NEXT) | instid1(VALU_DEP_1)
	v_lshlrev_b64_e32 v[4:5], v4, v[0:1]
	v_dual_sub_nc_u32 v3, 30, v3 :: v_dual_bitop2_b32 v4, 3, v4 bitop3:0x40
; %bb.24298:                            ;   in Loop: Header=BB6_22365 Depth=3
	s_or_b32 exec_lo, exec_lo, s75
	v_lshlrev_b32_e32 v1, 24, v24
                                        ; implicit-def: $vgpr24
	s_delay_alu instid0(VALU_DEP_1) | instskip(NEXT) | instid1(VALU_DEP_1)
	v_and_b32_e32 v1, 0x80000000, v1
	v_lshl_add_u32 v1, v3, 23, v1
	s_delay_alu instid0(VALU_DEP_1) | instskip(NEXT) | instid1(VALU_DEP_1)
	v_lshl_or_b32 v1, v4, 21, v1
                                        ; implicit-def: $vgpr4
	v_add_nc_u32_e32 v3, 0x38000000, v1
.LBB6_24299:                            ;   in Loop: Header=BB6_22365 Depth=3
	s_and_not1_saveexec_b32 s75, s13
; %bb.24300:                            ;   in Loop: Header=BB6_22365 Depth=3
	v_and_b32_e32 v1, 0x80, v24
	v_cmp_eq_u32_e32 vcc_lo, 0, v4
	s_delay_alu instid0(VALU_DEP_2) | instskip(SKIP_1) | instid1(VALU_DEP_1)
	v_cmp_eq_u32_e64 s13, 0, v1
	v_mov_b32_e32 v1, 0x7f800000
	v_cndmask_b32_e64 v1, 0xff800000, v1, s13
	s_delay_alu instid0(VALU_DEP_1)
	v_cndmask_b32_e32 v3, 0x7f800001, v1, vcc_lo
; %bb.24301:                            ;   in Loop: Header=BB6_22365 Depth=3
	s_or_b32 exec_lo, exec_lo, s75
.LBB6_24302:                            ;   in Loop: Header=BB6_22365 Depth=3
	s_delay_alu instid0(SALU_CYCLE_1)
	s_or_b32 exec_lo, exec_lo, s74
.LBB6_24303:                            ;   in Loop: Header=BB6_22365 Depth=3
	s_delay_alu instid0(SALU_CYCLE_1) | instskip(SKIP_3) | instid1(VALU_DEP_1)
	s_or_b32 exec_lo, exec_lo, s73
	s_wait_loadcnt 0x3
	v_and_b32_e32 v1, 0xff, v20
	s_mov_b32 s73, exec_lo
	v_cmpx_ne_u16_e32 0, v1
	s_cbranch_execz .LBB6_24313
; %bb.24304:                            ;   in Loop: Header=BB6_22365 Depth=3
	v_bfe_i32 v4, v20, 0, 8
	v_bfrev_b32_e32 v2, 1
	s_mov_b32 s74, exec_lo
	s_delay_alu instid0(VALU_DEP_2)
	v_cmpx_ne_u16_e32 0xff80, v4
	s_cbranch_execz .LBB6_24312
; %bb.24305:                            ;   in Loop: Header=BB6_22365 Depth=3
	v_and_b32_e32 v2, 0x7c, v20
	v_and_b32_e32 v1, 3, v20
	s_delay_alu instid0(VALU_DEP_2) | instskip(SKIP_1) | instid1(SALU_CYCLE_1)
	v_cmp_ne_u32_e32 vcc_lo, 0x7c, v2
                                        ; implicit-def: $vgpr2
	s_and_saveexec_b32 s13, vcc_lo
	s_xor_b32 s13, exec_lo, s13
	s_cbranch_execz .LBB6_24309
; %bb.24306:                            ;   in Loop: Header=BB6_22365 Depth=3
	v_bfe_u32 v2, v20, 2, 5
	s_mov_b32 s75, exec_lo
	s_delay_alu instid0(VALU_DEP_1)
	v_cmpx_eq_u32_e32 0, v2
; %bb.24307:                            ;   in Loop: Header=BB6_22365 Depth=3
	v_clz_i32_u32_e32 v1, v1
	s_delay_alu instid0(VALU_DEP_1) | instskip(NEXT) | instid1(VALU_DEP_1)
	v_min_u32_e32 v1, 32, v1
	v_subrev_nc_u32_e32 v2, 29, v1
	s_delay_alu instid0(VALU_DEP_1) | instskip(NEXT) | instid1(VALU_DEP_1)
	v_lshlrev_b64_e32 v[4:5], v2, v[20:21]
	v_dual_sub_nc_u32 v2, 30, v1 :: v_dual_bitop2_b32 v1, 3, v4 bitop3:0x40
; %bb.24308:                            ;   in Loop: Header=BB6_22365 Depth=3
	s_or_b32 exec_lo, exec_lo, s75
	v_lshlrev_b32_e32 v4, 24, v20
	s_delay_alu instid0(VALU_DEP_1) | instskip(NEXT) | instid1(VALU_DEP_1)
	v_and_b32_e32 v4, 0x80000000, v4
	v_lshl_add_u32 v2, v2, 23, v4
                                        ; implicit-def: $vgpr4
	s_delay_alu instid0(VALU_DEP_1) | instskip(NEXT) | instid1(VALU_DEP_1)
	v_lshl_or_b32 v1, v1, 21, v2
	v_add_nc_u32_e32 v2, 0x38000000, v1
                                        ; implicit-def: $vgpr1
.LBB6_24309:                            ;   in Loop: Header=BB6_22365 Depth=3
	s_and_not1_saveexec_b32 s75, s13
; %bb.24310:                            ;   in Loop: Header=BB6_22365 Depth=3
	v_cmp_eq_u32_e32 vcc_lo, 0, v1
	v_cmp_lt_i16_e64 s13, -1, v4
	v_mov_b32_e32 v1, 0x7f800000
	s_delay_alu instid0(VALU_DEP_1) | instskip(NEXT) | instid1(VALU_DEP_1)
	v_cndmask_b32_e64 v1, 0xff800000, v1, s13
	v_cndmask_b32_e32 v2, 0x7f800001, v1, vcc_lo
; %bb.24311:                            ;   in Loop: Header=BB6_22365 Depth=3
	s_or_b32 exec_lo, exec_lo, s75
.LBB6_24312:                            ;   in Loop: Header=BB6_22365 Depth=3
	s_delay_alu instid0(SALU_CYCLE_1)
	s_or_b32 exec_lo, exec_lo, s74
.LBB6_24313:                            ;   in Loop: Header=BB6_22365 Depth=3
	s_delay_alu instid0(SALU_CYCLE_1) | instskip(NEXT) | instid1(VALU_DEP_1)
	s_or_b32 exec_lo, exec_lo, s73
	v_dual_add_f32 v4, v3, v2 :: v_dual_mov_b32 v59, v113
	v_mov_b32_e32 v3, v113
                                        ; implicit-def: $vgpr24
	s_mov_b32 s13, exec_lo
	s_delay_alu instid0(VALU_DEP_2) | instskip(SKIP_2) | instid1(VALU_DEP_3)
	v_and_b32_e32 v58, 0x7f800000, v4
	v_and_b32_e32 v2, 0x7fffff, v4
	v_lshrrev_b32_e32 v1, 24, v4
	v_cmpx_ne_u64_e32 0x7f800000, v[58:59]
	s_xor_b32 s73, exec_lo, s13
	s_cbranch_execz .LBB6_24327
; %bb.24314:                            ;   in Loop: Header=BB6_22365 Depth=3
	v_and_b32_e32 v58, 0x7fffffff, v4
	v_mov_b32_e32 v59, v113
	v_and_b32_e32 v1, 0x80, v1
                                        ; implicit-def: $vgpr24
	s_mov_b32 s13, exec_lo
	s_delay_alu instid0(VALU_DEP_2)
	v_cmpx_gt_u64_e32 0x47600001, v[58:59]
	s_xor_b32 s74, exec_lo, s13
	s_cbranch_execz .LBB6_24324
; %bb.24315:                            ;   in Loop: Header=BB6_22365 Depth=3
	v_mov_b32_e32 v24, 0
	s_mov_b32 s75, exec_lo
	v_cmpx_ne_u32_e32 0, v4
	s_cbranch_execz .LBB6_24323
; %bb.24316:                            ;   in Loop: Header=BB6_22365 Depth=3
	v_bfe_u32 v24, v4, 23, 8
	v_or_b32_e32 v5, 0x800000, v2
	s_delay_alu instid0(VALU_DEP_2) | instskip(SKIP_2) | instid1(VALU_DEP_2)
	v_cmp_gt_u32_e64 s13, 0x72, v24
	v_sub_nc_u32_e32 v4, 0x71, v24
	v_cmp_eq_u32_e32 vcc_lo, 0, v24
	v_dual_cndmask_b32 v4, 0, v4, s13 :: v_dual_cndmask_b32 v2, v5, v2, vcc_lo
	s_delay_alu instid0(VALU_DEP_1) | instskip(NEXT) | instid1(VALU_DEP_1)
	v_cndmask_b32_e64 v29, v4, 0x70, vcc_lo
	v_dual_add_nc_u32 v4, 21, v29 :: v_dual_add_nc_u32 v33, 20, v29
	s_delay_alu instid0(VALU_DEP_1) | instskip(NEXT) | instid1(VALU_DEP_2)
	v_lshlrev_b64_e64 v[4:5], v4, -1
	v_lshlrev_b64_e64 v[58:59], v33, 1
	s_delay_alu instid0(VALU_DEP_2) | instskip(SKIP_1) | instid1(VALU_DEP_4)
	v_bfi_b32 v4, v4, 0, v2
	v_lshrrev_b64 v[2:3], v29, v[2:3]
	v_bfi_b32 v5, v5, 0, 0
	s_delay_alu instid0(VALU_DEP_1) | instskip(NEXT) | instid1(VALU_DEP_3)
	v_cmp_eq_u64_e64 s13, v[4:5], v[58:59]
	v_mov_b64_e32 v[4:5], v[2:3]
	s_and_saveexec_b32 s76, s13
; %bb.24317:                            ;   in Loop: Header=BB6_22365 Depth=3
	v_bfe_u32 v4, v2, 21, 1
	v_mov_b32_e32 v5, v113
	s_delay_alu instid0(VALU_DEP_1) | instskip(NEXT) | instid1(VALU_DEP_1)
	v_add_nc_u64_e32 v[4:5], v[2:3], v[4:5]
	v_add_nc_u64_e32 v[4:5], -1, v[4:5]
; %bb.24318:                            ;   in Loop: Header=BB6_22365 Depth=3
	s_or_b32 exec_lo, exec_lo, s76
	v_add_nc_u32_e32 v3, 0xffffff81, v24
	v_lshrrev_b32_e32 v5, 23, v2
	s_mov_b32 s13, exec_lo
	s_delay_alu instid0(VALU_DEP_2) | instskip(NEXT) | instid1(VALU_DEP_1)
	v_cndmask_b32_e64 v3, v3, 0xffffff82, vcc_lo
	v_add3_u32 v24, v29, v3, v5
	v_and_b32_e32 v3, 0x1fffff, v4
                                        ; implicit-def: $vgpr4
	s_delay_alu instid0(VALU_DEP_1) | instskip(SKIP_1) | instid1(VALU_DEP_2)
	v_dual_add_nc_u32 v5, 14, v24 :: v_dual_add_nc_u32 v2, v3, v2
	v_mov_b32_e32 v3, v113
	v_cmpx_ne_u32_e32 0, v5
	s_xor_b32 s13, exec_lo, s13
; %bb.24319:                            ;   in Loop: Header=BB6_22365 Depth=3
	s_delay_alu instid0(VALU_DEP_2) | instskip(SKIP_1) | instid1(VALU_DEP_1)
	v_cmp_lt_u64_e32 vcc_lo, 0xffffff, v[2:3]
	v_add_nc_u32_e32 v4, 15, v24
	v_cndmask_b32_e32 v4, v5, v4, vcc_lo
	v_cndmask_b32_e64 v5, 0, 1, vcc_lo
	s_delay_alu instid0(VALU_DEP_1)
	v_lshrrev_b64 v[2:3], v5, v[2:3]
; %bb.24320:                            ;   in Loop: Header=BB6_22365 Depth=3
	s_and_not1_saveexec_b32 s13, s13
; %bb.24321:                            ;   in Loop: Header=BB6_22365 Depth=3
	s_delay_alu instid0(VALU_DEP_1)
	v_bfe_u32 v4, v2, 23, 1
; %bb.24322:                            ;   in Loop: Header=BB6_22365 Depth=3
	s_or_b32 exec_lo, exec_lo, s13
	s_delay_alu instid0(VALU_DEP_2) | instskip(NEXT) | instid1(VALU_DEP_2)
	v_lshrrev_b64 v[2:3], 21, v[2:3]
	v_cmp_gt_i32_e32 vcc_lo, 32, v4
	v_min_i32_e32 v5, 31, v4
	v_cmp_eq_u32_e64 s13, 0, v4
	s_delay_alu instid0(VALU_DEP_2) | instskip(SKIP_1) | instid1(VALU_DEP_2)
	v_dual_cndmask_b32 v3, 0, v3, vcc_lo :: v_dual_lshlrev_b32 v5, 2, v5
	v_cndmask_b32_e32 v2, 3, v2, vcc_lo
	v_and_b32_e32 v5, 0xfc, v5
	s_delay_alu instid0(VALU_DEP_2) | instskip(NEXT) | instid1(VALU_DEP_2)
	v_cmp_eq_u64_e32 vcc_lo, 0, v[2:3]
	v_and_or_b32 v2, v2, 3, v5
	s_and_b32 s13, s13, vcc_lo
	s_delay_alu instid0(VALU_DEP_1) | instid1(SALU_CYCLE_1)
	v_cndmask_b32_e64 v2, v2, 0, s13
	s_delay_alu instid0(VALU_DEP_1)
	v_or_b32_e32 v24, v2, v1
.LBB6_24323:                            ;   in Loop: Header=BB6_22365 Depth=3
	s_or_b32 exec_lo, exec_lo, s75
                                        ; implicit-def: $vgpr1
.LBB6_24324:                            ;   in Loop: Header=BB6_22365 Depth=3
	s_and_not1_saveexec_b32 s13, s74
; %bb.24325:                            ;   in Loop: Header=BB6_22365 Depth=3
	v_or_b32_e32 v24, 0x7b, v1
; %bb.24326:                            ;   in Loop: Header=BB6_22365 Depth=3
	s_or_b32 exec_lo, exec_lo, s13
                                        ; implicit-def: $vgpr4
                                        ; implicit-def: $vgpr2_vgpr3
                                        ; implicit-def: $vgpr1
.LBB6_24327:                            ;   in Loop: Header=BB6_22365 Depth=3
	s_and_not1_saveexec_b32 s13, s73
	s_cbranch_execz .LBB6_24333
; %bb.24328:                            ;   in Loop: Header=BB6_22365 Depth=3
	s_mov_b32 s73, exec_lo
                                        ; implicit-def: $vgpr24
	v_cmpx_ne_u64_e32 0, v[2:3]
	s_xor_b32 s73, exec_lo, s73
; %bb.24329:                            ;   in Loop: Header=BB6_22365 Depth=3
	v_or_b32_e32 v24, 0x7f, v1
                                        ; implicit-def: $vgpr4
; %bb.24330:                            ;   in Loop: Header=BB6_22365 Depth=3
	s_and_not1_saveexec_b32 s73, s73
; %bb.24331:                            ;   in Loop: Header=BB6_22365 Depth=3
	v_cmp_lt_i32_e32 vcc_lo, -1, v4
	v_mov_b32_e32 v1, 0x7c
	s_delay_alu instid0(VALU_DEP_1)
	v_cndmask_b32_e32 v24, 0xfc, v1, vcc_lo
; %bb.24332:                            ;   in Loop: Header=BB6_22365 Depth=3
	s_or_b32 exec_lo, exec_lo, s73
.LBB6_24333:                            ;   in Loop: Header=BB6_22365 Depth=3
	s_delay_alu instid0(SALU_CYCLE_1) | instskip(SKIP_3) | instid1(VALU_DEP_2)
	s_or_b32 exec_lo, exec_lo, s13
	v_lshrrev_b16 v2, 8, v26
	v_dual_mov_b32 v1, 0 :: v_dual_mov_b32 v4, 0
	s_mov_b32 s73, exec_lo
	v_cmpx_ne_u16_e32 0, v2
	s_cbranch_execz .LBB6_24343
; %bb.24334:                            ;   in Loop: Header=BB6_22365 Depth=3
	v_bfrev_b32_e32 v4, 1
	s_mov_b32 s74, exec_lo
	v_cmpx_ne_u16_e32 0x80, v2
	s_cbranch_execz .LBB6_24342
; %bb.24335:                            ;   in Loop: Header=BB6_22365 Depth=3
	v_and_b32_e32 v5, 0xffff, v2
	s_delay_alu instid0(VALU_DEP_1) | instskip(SKIP_1) | instid1(VALU_DEP_2)
	v_and_b32_e32 v4, 0x7c, v5
	v_and_b32_e32 v3, 3, v5
	v_cmp_ne_u32_e32 vcc_lo, 0x7c, v4
                                        ; implicit-def: $vgpr4
	s_and_saveexec_b32 s13, vcc_lo
	s_delay_alu instid0(SALU_CYCLE_1)
	s_xor_b32 s13, exec_lo, s13
	s_cbranch_execz .LBB6_24339
; %bb.24336:                            ;   in Loop: Header=BB6_22365 Depth=3
	v_bfe_u32 v4, v5, 2, 5
	s_mov_b32 s75, exec_lo
	s_delay_alu instid0(VALU_DEP_1)
	v_cmpx_eq_u32_e32 0, v4
	s_cbranch_execz .LBB6_24338
; %bb.24337:                            ;   in Loop: Header=BB6_22365 Depth=3
	v_clz_i32_u32_e32 v3, v3
	s_delay_alu instid0(VALU_DEP_1) | instskip(SKIP_1) | instid1(VALU_DEP_2)
	v_min_u32_e32 v4, 32, v3
	v_mov_b32_e32 v3, v113
	v_subrev_nc_u32_e32 v5, 29, v4
	v_sub_nc_u32_e32 v4, 30, v4
	s_delay_alu instid0(VALU_DEP_2) | instskip(NEXT) | instid1(VALU_DEP_1)
	v_lshlrev_b64_e32 v[2:3], v5, v[2:3]
	v_and_b32_e32 v3, 3, v2
.LBB6_24338:                            ;   in Loop: Header=BB6_22365 Depth=3
	s_or_b32 exec_lo, exec_lo, s75
	v_lshlrev_b32_e32 v2, 16, v26
                                        ; implicit-def: $vgpr26
	s_delay_alu instid0(VALU_DEP_1) | instskip(NEXT) | instid1(VALU_DEP_1)
	v_and_b32_e32 v2, 0x80000000, v2
	v_lshl_add_u32 v2, v4, 23, v2
	s_delay_alu instid0(VALU_DEP_1) | instskip(NEXT) | instid1(VALU_DEP_1)
	v_lshl_or_b32 v2, v3, 21, v2
                                        ; implicit-def: $vgpr3
	v_add_nc_u32_e32 v4, 0x38000000, v2
.LBB6_24339:                            ;   in Loop: Header=BB6_22365 Depth=3
	s_and_not1_saveexec_b32 s75, s13
; %bb.24340:                            ;   in Loop: Header=BB6_22365 Depth=3
	v_cmp_lt_i16_e64 s13, -1, v26
	v_mov_b32_e32 v2, 0x7f800000
	v_cmp_eq_u32_e32 vcc_lo, 0, v3
	s_delay_alu instid0(VALU_DEP_2) | instskip(NEXT) | instid1(VALU_DEP_1)
	v_cndmask_b32_e64 v2, 0xff800000, v2, s13
	v_cndmask_b32_e32 v4, 0x7f800001, v2, vcc_lo
; %bb.24341:                            ;   in Loop: Header=BB6_22365 Depth=3
	s_or_b32 exec_lo, exec_lo, s75
.LBB6_24342:                            ;   in Loop: Header=BB6_22365 Depth=3
	s_delay_alu instid0(SALU_CYCLE_1)
	s_or_b32 exec_lo, exec_lo, s74
.LBB6_24343:                            ;   in Loop: Header=BB6_22365 Depth=3
	s_delay_alu instid0(SALU_CYCLE_1) | instskip(SKIP_2) | instid1(VALU_DEP_1)
	s_or_b32 exec_lo, exec_lo, s73
	v_lshrrev_b16 v2, 8, v20
	s_mov_b32 s73, exec_lo
	v_cmpx_ne_u16_e32 0, v2
	s_cbranch_execz .LBB6_24353
; %bb.24344:                            ;   in Loop: Header=BB6_22365 Depth=3
	v_bfrev_b32_e32 v1, 1
	s_mov_b32 s74, exec_lo
	v_cmpx_ne_u16_e32 0x80, v2
	s_cbranch_execz .LBB6_24352
; %bb.24345:                            ;   in Loop: Header=BB6_22365 Depth=3
	v_and_b32_e32 v5, 0xffff, v2
	s_delay_alu instid0(VALU_DEP_1) | instskip(SKIP_1) | instid1(VALU_DEP_2)
	v_and_b32_e32 v1, 0x7c, v5
	v_and_b32_e32 v3, 3, v5
	v_cmp_ne_u32_e32 vcc_lo, 0x7c, v1
                                        ; implicit-def: $vgpr1
	s_and_saveexec_b32 s13, vcc_lo
	s_delay_alu instid0(SALU_CYCLE_1)
	s_xor_b32 s13, exec_lo, s13
	s_cbranch_execz .LBB6_24349
; %bb.24346:                            ;   in Loop: Header=BB6_22365 Depth=3
	v_bfe_u32 v1, v5, 2, 5
	s_mov_b32 s75, exec_lo
	s_delay_alu instid0(VALU_DEP_1)
	v_cmpx_eq_u32_e32 0, v1
	s_cbranch_execz .LBB6_24348
; %bb.24347:                            ;   in Loop: Header=BB6_22365 Depth=3
	v_clz_i32_u32_e32 v1, v3
	s_delay_alu instid0(VALU_DEP_1) | instskip(SKIP_1) | instid1(VALU_DEP_2)
	v_min_u32_e32 v1, 32, v1
	v_mov_b32_e32 v3, v113
	v_subrev_nc_u32_e32 v5, 29, v1
	v_sub_nc_u32_e32 v1, 30, v1
	s_delay_alu instid0(VALU_DEP_2) | instskip(NEXT) | instid1(VALU_DEP_1)
	v_lshlrev_b64_e32 v[2:3], v5, v[2:3]
	v_and_b32_e32 v3, 3, v2
.LBB6_24348:                            ;   in Loop: Header=BB6_22365 Depth=3
	s_or_b32 exec_lo, exec_lo, s75
	v_lshlrev_b32_e32 v2, 16, v20
	s_delay_alu instid0(VALU_DEP_1) | instskip(NEXT) | instid1(VALU_DEP_1)
	v_and_b32_e32 v2, 0x80000000, v2
	v_lshl_add_u32 v1, v1, 23, v2
	s_delay_alu instid0(VALU_DEP_1) | instskip(NEXT) | instid1(VALU_DEP_1)
	v_lshl_or_b32 v1, v3, 21, v1
                                        ; implicit-def: $vgpr3
	v_add_nc_u32_e32 v1, 0x38000000, v1
.LBB6_24349:                            ;   in Loop: Header=BB6_22365 Depth=3
	s_and_not1_saveexec_b32 s75, s13
; %bb.24350:                            ;   in Loop: Header=BB6_22365 Depth=3
	v_cmp_lt_i16_e64 s13, -1, v20
	v_mov_b32_e32 v1, 0x7f800000
	v_cmp_eq_u32_e32 vcc_lo, 0, v3
	s_delay_alu instid0(VALU_DEP_2) | instskip(NEXT) | instid1(VALU_DEP_1)
	v_cndmask_b32_e64 v1, 0xff800000, v1, s13
	v_cndmask_b32_e32 v1, 0x7f800001, v1, vcc_lo
; %bb.24351:                            ;   in Loop: Header=BB6_22365 Depth=3
	s_or_b32 exec_lo, exec_lo, s75
.LBB6_24352:                            ;   in Loop: Header=BB6_22365 Depth=3
	s_delay_alu instid0(SALU_CYCLE_1)
	s_or_b32 exec_lo, exec_lo, s74
.LBB6_24353:                            ;   in Loop: Header=BB6_22365 Depth=3
	s_delay_alu instid0(SALU_CYCLE_1) | instskip(NEXT) | instid1(VALU_DEP_1)
	s_or_b32 exec_lo, exec_lo, s73
	v_dual_add_f32 v4, v4, v1 :: v_dual_mov_b32 v59, v113
	v_mov_b32_e32 v3, v113
                                        ; implicit-def: $vgpr26
	s_mov_b32 s13, exec_lo
	s_delay_alu instid0(VALU_DEP_2) | instskip(SKIP_2) | instid1(VALU_DEP_3)
	v_and_b32_e32 v58, 0x7f800000, v4
	v_and_b32_e32 v2, 0x7fffff, v4
	v_lshrrev_b32_e32 v1, 24, v4
	v_cmpx_ne_u64_e32 0x7f800000, v[58:59]
	s_xor_b32 s73, exec_lo, s13
	s_cbranch_execz .LBB6_24367
; %bb.24354:                            ;   in Loop: Header=BB6_22365 Depth=3
	v_and_b32_e32 v58, 0x7fffffff, v4
	v_mov_b32_e32 v59, v113
	v_and_b32_e32 v1, 0x80, v1
                                        ; implicit-def: $vgpr26
	s_mov_b32 s13, exec_lo
	s_delay_alu instid0(VALU_DEP_2)
	v_cmpx_gt_u64_e32 0x47600001, v[58:59]
	s_xor_b32 s74, exec_lo, s13
	s_cbranch_execz .LBB6_24364
; %bb.24355:                            ;   in Loop: Header=BB6_22365 Depth=3
	v_mov_b32_e32 v26, 0
	s_mov_b32 s75, exec_lo
	v_cmpx_ne_u32_e32 0, v4
	s_cbranch_execz .LBB6_24363
; %bb.24356:                            ;   in Loop: Header=BB6_22365 Depth=3
	v_bfe_u32 v26, v4, 23, 8
	v_or_b32_e32 v5, 0x800000, v2
	s_delay_alu instid0(VALU_DEP_2) | instskip(SKIP_2) | instid1(VALU_DEP_2)
	v_cmp_gt_u32_e64 s13, 0x72, v26
	v_sub_nc_u32_e32 v4, 0x71, v26
	v_cmp_eq_u32_e32 vcc_lo, 0, v26
	v_dual_cndmask_b32 v4, 0, v4, s13 :: v_dual_cndmask_b32 v2, v5, v2, vcc_lo
	s_delay_alu instid0(VALU_DEP_1) | instskip(NEXT) | instid1(VALU_DEP_1)
	v_cndmask_b32_e64 v29, v4, 0x70, vcc_lo
	v_dual_add_nc_u32 v4, 21, v29 :: v_dual_add_nc_u32 v33, 20, v29
	s_delay_alu instid0(VALU_DEP_1) | instskip(NEXT) | instid1(VALU_DEP_2)
	v_lshlrev_b64_e64 v[4:5], v4, -1
	v_lshlrev_b64_e64 v[58:59], v33, 1
	s_delay_alu instid0(VALU_DEP_2) | instskip(SKIP_1) | instid1(VALU_DEP_4)
	v_bfi_b32 v4, v4, 0, v2
	v_lshrrev_b64 v[2:3], v29, v[2:3]
	v_bfi_b32 v5, v5, 0, 0
	s_delay_alu instid0(VALU_DEP_1) | instskip(NEXT) | instid1(VALU_DEP_3)
	v_cmp_eq_u64_e64 s13, v[4:5], v[58:59]
	v_mov_b64_e32 v[4:5], v[2:3]
	s_and_saveexec_b32 s76, s13
; %bb.24357:                            ;   in Loop: Header=BB6_22365 Depth=3
	v_bfe_u32 v4, v2, 21, 1
	v_mov_b32_e32 v5, v113
	s_delay_alu instid0(VALU_DEP_1) | instskip(NEXT) | instid1(VALU_DEP_1)
	v_add_nc_u64_e32 v[4:5], v[2:3], v[4:5]
	v_add_nc_u64_e32 v[4:5], -1, v[4:5]
; %bb.24358:                            ;   in Loop: Header=BB6_22365 Depth=3
	s_or_b32 exec_lo, exec_lo, s76
	v_add_nc_u32_e32 v3, 0xffffff81, v26
	v_lshrrev_b32_e32 v5, 23, v2
	s_mov_b32 s13, exec_lo
	s_delay_alu instid0(VALU_DEP_2) | instskip(NEXT) | instid1(VALU_DEP_1)
	v_cndmask_b32_e64 v3, v3, 0xffffff82, vcc_lo
	v_add3_u32 v26, v29, v3, v5
	v_and_b32_e32 v3, 0x1fffff, v4
                                        ; implicit-def: $vgpr4
	s_delay_alu instid0(VALU_DEP_2) | instskip(NEXT) | instid1(VALU_DEP_2)
	v_add_nc_u32_e32 v5, 14, v26
	v_dual_mov_b32 v3, v113 :: v_dual_add_nc_u32 v2, v3, v2
	s_delay_alu instid0(VALU_DEP_2)
	v_cmpx_ne_u32_e32 0, v5
	s_xor_b32 s13, exec_lo, s13
; %bb.24359:                            ;   in Loop: Header=BB6_22365 Depth=3
	s_delay_alu instid0(VALU_DEP_2) | instskip(SKIP_1) | instid1(VALU_DEP_1)
	v_cmp_lt_u64_e32 vcc_lo, 0xffffff, v[2:3]
	v_add_nc_u32_e32 v4, 15, v26
	v_cndmask_b32_e32 v4, v5, v4, vcc_lo
	v_cndmask_b32_e64 v5, 0, 1, vcc_lo
	s_delay_alu instid0(VALU_DEP_1)
	v_lshrrev_b64 v[2:3], v5, v[2:3]
; %bb.24360:                            ;   in Loop: Header=BB6_22365 Depth=3
	s_and_not1_saveexec_b32 s13, s13
; %bb.24361:                            ;   in Loop: Header=BB6_22365 Depth=3
	s_delay_alu instid0(VALU_DEP_1)
	v_bfe_u32 v4, v2, 23, 1
; %bb.24362:                            ;   in Loop: Header=BB6_22365 Depth=3
	s_or_b32 exec_lo, exec_lo, s13
	s_delay_alu instid0(VALU_DEP_2) | instskip(NEXT) | instid1(VALU_DEP_2)
	v_lshrrev_b64 v[2:3], 21, v[2:3]
	v_cmp_gt_i32_e32 vcc_lo, 32, v4
	v_min_i32_e32 v5, 31, v4
	v_cmp_eq_u32_e64 s13, 0, v4
	s_delay_alu instid0(VALU_DEP_2) | instskip(SKIP_1) | instid1(VALU_DEP_2)
	v_dual_cndmask_b32 v3, 0, v3, vcc_lo :: v_dual_lshlrev_b32 v5, 2, v5
	v_cndmask_b32_e32 v2, 3, v2, vcc_lo
	v_and_b32_e32 v5, 0xfc, v5
	s_delay_alu instid0(VALU_DEP_2) | instskip(NEXT) | instid1(VALU_DEP_2)
	v_cmp_eq_u64_e32 vcc_lo, 0, v[2:3]
	v_and_or_b32 v2, v2, 3, v5
	s_and_b32 s13, s13, vcc_lo
	s_delay_alu instid0(VALU_DEP_1) | instid1(SALU_CYCLE_1)
	v_cndmask_b32_e64 v2, v2, 0, s13
	s_delay_alu instid0(VALU_DEP_1)
	v_or_b32_e32 v26, v2, v1
.LBB6_24363:                            ;   in Loop: Header=BB6_22365 Depth=3
	s_or_b32 exec_lo, exec_lo, s75
                                        ; implicit-def: $vgpr1
.LBB6_24364:                            ;   in Loop: Header=BB6_22365 Depth=3
	s_and_not1_saveexec_b32 s13, s74
; %bb.24365:                            ;   in Loop: Header=BB6_22365 Depth=3
	v_or_b32_e32 v26, 0x7b, v1
; %bb.24366:                            ;   in Loop: Header=BB6_22365 Depth=3
	s_or_b32 exec_lo, exec_lo, s13
                                        ; implicit-def: $vgpr4
                                        ; implicit-def: $vgpr2_vgpr3
                                        ; implicit-def: $vgpr1
.LBB6_24367:                            ;   in Loop: Header=BB6_22365 Depth=3
	s_and_not1_saveexec_b32 s13, s73
	s_cbranch_execz .LBB6_24373
; %bb.24368:                            ;   in Loop: Header=BB6_22365 Depth=3
	s_mov_b32 s73, exec_lo
                                        ; implicit-def: $vgpr26
	v_cmpx_ne_u64_e32 0, v[2:3]
	s_xor_b32 s73, exec_lo, s73
; %bb.24369:                            ;   in Loop: Header=BB6_22365 Depth=3
	v_or_b32_e32 v26, 0x7f, v1
                                        ; implicit-def: $vgpr4
; %bb.24370:                            ;   in Loop: Header=BB6_22365 Depth=3
	s_and_not1_saveexec_b32 s73, s73
; %bb.24371:                            ;   in Loop: Header=BB6_22365 Depth=3
	v_cmp_lt_i32_e32 vcc_lo, -1, v4
	v_mov_b32_e32 v1, 0x7c
	s_delay_alu instid0(VALU_DEP_1)
	v_cndmask_b32_e32 v26, 0xfc, v1, vcc_lo
; %bb.24372:                            ;   in Loop: Header=BB6_22365 Depth=3
	s_or_b32 exec_lo, exec_lo, s73
.LBB6_24373:                            ;   in Loop: Header=BB6_22365 Depth=3
	s_delay_alu instid0(SALU_CYCLE_1) | instskip(SKIP_3) | instid1(VALU_DEP_2)
	s_or_b32 exec_lo, exec_lo, s13
	v_dual_mov_b32 v1, 0 :: v_dual_lshrrev_b32 v2, 16, v0
	v_mov_b32_e32 v3, 0
	s_mov_b32 s73, exec_lo
	v_and_b32_e32 v4, 0xff, v2
	s_delay_alu instid0(VALU_DEP_1)
	v_cmpx_ne_u16_e32 0, v4
	s_cbranch_execz .LBB6_24383
; %bb.24374:                            ;   in Loop: Header=BB6_22365 Depth=3
	v_bfrev_b32_e32 v3, 1
	s_mov_b32 s74, exec_lo
	v_cmpx_ne_u16_e32 0x80, v4
	s_cbranch_execz .LBB6_24382
; %bb.24375:                            ;   in Loop: Header=BB6_22365 Depth=3
	v_and_b32_e32 v3, 0x7c0000, v0
	v_bfe_u32 v4, v0, 16, 2
	s_delay_alu instid0(VALU_DEP_2) | instskip(SKIP_1) | instid1(SALU_CYCLE_1)
	v_cmp_ne_u32_e32 vcc_lo, 0x7c0000, v3
                                        ; implicit-def: $vgpr3
	s_and_saveexec_b32 s13, vcc_lo
	s_xor_b32 s13, exec_lo, s13
	s_cbranch_execz .LBB6_24379
; %bb.24376:                            ;   in Loop: Header=BB6_22365 Depth=3
	v_bfe_u32 v3, v0, 18, 5
	s_mov_b32 s75, exec_lo
	s_delay_alu instid0(VALU_DEP_1)
	v_cmpx_eq_u32_e32 0, v3
; %bb.24377:                            ;   in Loop: Header=BB6_22365 Depth=3
	v_clz_i32_u32_e32 v3, v4
	s_delay_alu instid0(VALU_DEP_1) | instskip(NEXT) | instid1(VALU_DEP_1)
	v_min_u32_e32 v3, 32, v3
	v_subrev_nc_u32_e32 v4, 29, v3
	s_delay_alu instid0(VALU_DEP_1) | instskip(NEXT) | instid1(VALU_DEP_1)
	v_lshlrev_b64_e32 v[4:5], v4, v[2:3]
	v_dual_sub_nc_u32 v3, 30, v3 :: v_dual_bitop2_b32 v4, 3, v4 bitop3:0x40
; %bb.24378:                            ;   in Loop: Header=BB6_22365 Depth=3
	s_or_b32 exec_lo, exec_lo, s75
	v_lshlrev_b32_e32 v2, 24, v2
	s_delay_alu instid0(VALU_DEP_1) | instskip(NEXT) | instid1(VALU_DEP_1)
	v_and_b32_e32 v2, 0x80000000, v2
	v_lshl_add_u32 v2, v3, 23, v2
	s_delay_alu instid0(VALU_DEP_1) | instskip(NEXT) | instid1(VALU_DEP_1)
	v_lshl_or_b32 v2, v4, 21, v2
                                        ; implicit-def: $vgpr4
	v_add_nc_u32_e32 v3, 0x38000000, v2
                                        ; implicit-def: $vgpr2
.LBB6_24379:                            ;   in Loop: Header=BB6_22365 Depth=3
	s_and_not1_saveexec_b32 s75, s13
; %bb.24380:                            ;   in Loop: Header=BB6_22365 Depth=3
	v_bfe_i32 v2, v2, 0, 8
	v_cmp_eq_u32_e32 vcc_lo, 0, v4
	s_delay_alu instid0(VALU_DEP_2) | instskip(SKIP_1) | instid1(VALU_DEP_1)
	v_cmp_lt_i16_e64 s13, -1, v2
	v_mov_b32_e32 v2, 0x7f800000
	v_cndmask_b32_e64 v2, 0xff800000, v2, s13
	s_delay_alu instid0(VALU_DEP_1)
	v_cndmask_b32_e32 v3, 0x7f800001, v2, vcc_lo
; %bb.24381:                            ;   in Loop: Header=BB6_22365 Depth=3
	s_or_b32 exec_lo, exec_lo, s75
.LBB6_24382:                            ;   in Loop: Header=BB6_22365 Depth=3
	s_delay_alu instid0(SALU_CYCLE_1)
	s_or_b32 exec_lo, exec_lo, s74
.LBB6_24383:                            ;   in Loop: Header=BB6_22365 Depth=3
	s_delay_alu instid0(SALU_CYCLE_1) | instskip(SKIP_2) | instid1(VALU_DEP_1)
	s_or_b32 exec_lo, exec_lo, s73
	v_lshrrev_b32_e32 v2, 16, v20
	s_mov_b32 s73, exec_lo
	v_and_b32_e32 v4, 0xff, v2
	s_delay_alu instid0(VALU_DEP_1)
	v_cmpx_ne_u16_e32 0, v4
	s_cbranch_execz .LBB6_24393
; %bb.24384:                            ;   in Loop: Header=BB6_22365 Depth=3
	v_bfrev_b32_e32 v1, 1
	s_mov_b32 s74, exec_lo
	v_cmpx_ne_u16_e32 0x80, v4
	s_cbranch_execz .LBB6_24392
; %bb.24385:                            ;   in Loop: Header=BB6_22365 Depth=3
	v_and_b32_e32 v1, 0x7c0000, v20
	v_bfe_u32 v4, v20, 16, 2
	s_delay_alu instid0(VALU_DEP_2) | instskip(SKIP_1) | instid1(SALU_CYCLE_1)
	v_cmp_ne_u32_e32 vcc_lo, 0x7c0000, v1
                                        ; implicit-def: $vgpr1
	s_and_saveexec_b32 s13, vcc_lo
	s_xor_b32 s13, exec_lo, s13
	s_cbranch_execz .LBB6_24389
; %bb.24386:                            ;   in Loop: Header=BB6_22365 Depth=3
	v_bfe_u32 v1, v20, 18, 5
	s_mov_b32 s75, exec_lo
	s_delay_alu instid0(VALU_DEP_1)
	v_cmpx_eq_u32_e32 0, v1
; %bb.24387:                            ;   in Loop: Header=BB6_22365 Depth=3
	v_clz_i32_u32_e32 v1, v4
	s_delay_alu instid0(VALU_DEP_1) | instskip(NEXT) | instid1(VALU_DEP_1)
	v_min_u32_e32 v1, 32, v1
	v_subrev_nc_u32_e32 v4, 29, v1
	s_delay_alu instid0(VALU_DEP_1) | instskip(NEXT) | instid1(VALU_DEP_1)
	v_lshlrev_b64_e32 v[4:5], v4, v[2:3]
	v_dual_sub_nc_u32 v1, 30, v1 :: v_dual_bitop2_b32 v4, 3, v4 bitop3:0x40
; %bb.24388:                            ;   in Loop: Header=BB6_22365 Depth=3
	s_or_b32 exec_lo, exec_lo, s75
	v_lshlrev_b32_e32 v2, 24, v2
	s_delay_alu instid0(VALU_DEP_1) | instskip(NEXT) | instid1(VALU_DEP_1)
	v_and_b32_e32 v2, 0x80000000, v2
	v_lshl_add_u32 v1, v1, 23, v2
                                        ; implicit-def: $vgpr2
	s_delay_alu instid0(VALU_DEP_1) | instskip(NEXT) | instid1(VALU_DEP_1)
	v_lshl_or_b32 v1, v4, 21, v1
                                        ; implicit-def: $vgpr4
	v_add_nc_u32_e32 v1, 0x38000000, v1
.LBB6_24389:                            ;   in Loop: Header=BB6_22365 Depth=3
	s_and_not1_saveexec_b32 s75, s13
; %bb.24390:                            ;   in Loop: Header=BB6_22365 Depth=3
	v_bfe_i32 v1, v2, 0, 8
	v_cmp_eq_u32_e32 vcc_lo, 0, v4
	s_delay_alu instid0(VALU_DEP_2) | instskip(SKIP_1) | instid1(VALU_DEP_1)
	v_cmp_lt_i16_e64 s13, -1, v1
	v_mov_b32_e32 v1, 0x7f800000
	v_cndmask_b32_e64 v1, 0xff800000, v1, s13
	s_delay_alu instid0(VALU_DEP_1)
	v_cndmask_b32_e32 v1, 0x7f800001, v1, vcc_lo
; %bb.24391:                            ;   in Loop: Header=BB6_22365 Depth=3
	s_or_b32 exec_lo, exec_lo, s75
.LBB6_24392:                            ;   in Loop: Header=BB6_22365 Depth=3
	s_delay_alu instid0(SALU_CYCLE_1)
	s_or_b32 exec_lo, exec_lo, s74
.LBB6_24393:                            ;   in Loop: Header=BB6_22365 Depth=3
	s_delay_alu instid0(SALU_CYCLE_1) | instskip(NEXT) | instid1(VALU_DEP_1)
	s_or_b32 exec_lo, exec_lo, s73
	v_dual_add_f32 v4, v3, v1 :: v_dual_mov_b32 v59, v113
	v_mov_b32_e32 v3, v113
                                        ; implicit-def: $vgpr29
	s_mov_b32 s13, exec_lo
	s_delay_alu instid0(VALU_DEP_2) | instskip(SKIP_2) | instid1(VALU_DEP_3)
	v_and_b32_e32 v58, 0x7f800000, v4
	v_and_b32_e32 v2, 0x7fffff, v4
	v_lshrrev_b32_e32 v1, 24, v4
	v_cmpx_ne_u64_e32 0x7f800000, v[58:59]
	s_xor_b32 s73, exec_lo, s13
	s_cbranch_execz .LBB6_24407
; %bb.24394:                            ;   in Loop: Header=BB6_22365 Depth=3
	v_and_b32_e32 v58, 0x7fffffff, v4
	v_mov_b32_e32 v59, v113
	v_and_b32_e32 v1, 0x80, v1
                                        ; implicit-def: $vgpr29
	s_mov_b32 s13, exec_lo
	s_delay_alu instid0(VALU_DEP_2)
	v_cmpx_gt_u64_e32 0x47600001, v[58:59]
	s_xor_b32 s74, exec_lo, s13
	s_cbranch_execz .LBB6_24404
; %bb.24395:                            ;   in Loop: Header=BB6_22365 Depth=3
	v_mov_b32_e32 v29, 0
	s_mov_b32 s75, exec_lo
	v_cmpx_ne_u32_e32 0, v4
	s_cbranch_execz .LBB6_24403
; %bb.24396:                            ;   in Loop: Header=BB6_22365 Depth=3
	v_bfe_u32 v29, v4, 23, 8
	v_or_b32_e32 v5, 0x800000, v2
	s_delay_alu instid0(VALU_DEP_2) | instskip(SKIP_2) | instid1(VALU_DEP_2)
	v_cmp_gt_u32_e64 s13, 0x72, v29
	v_sub_nc_u32_e32 v4, 0x71, v29
	v_cmp_eq_u32_e32 vcc_lo, 0, v29
	v_dual_cndmask_b32 v4, 0, v4, s13 :: v_dual_cndmask_b32 v2, v5, v2, vcc_lo
	s_delay_alu instid0(VALU_DEP_1) | instskip(NEXT) | instid1(VALU_DEP_1)
	v_cndmask_b32_e64 v33, v4, 0x70, vcc_lo
	v_dual_add_nc_u32 v4, 21, v33 :: v_dual_add_nc_u32 v57, 20, v33
	s_delay_alu instid0(VALU_DEP_1) | instskip(NEXT) | instid1(VALU_DEP_2)
	v_lshlrev_b64_e64 v[4:5], v4, -1
	v_lshlrev_b64_e64 v[58:59], v57, 1
	s_delay_alu instid0(VALU_DEP_2) | instskip(SKIP_1) | instid1(VALU_DEP_4)
	v_bfi_b32 v4, v4, 0, v2
	v_lshrrev_b64 v[2:3], v33, v[2:3]
	v_bfi_b32 v5, v5, 0, 0
	s_delay_alu instid0(VALU_DEP_1) | instskip(NEXT) | instid1(VALU_DEP_3)
	v_cmp_eq_u64_e64 s13, v[4:5], v[58:59]
	v_mov_b64_e32 v[4:5], v[2:3]
	s_and_saveexec_b32 s76, s13
; %bb.24397:                            ;   in Loop: Header=BB6_22365 Depth=3
	v_bfe_u32 v4, v2, 21, 1
	v_mov_b32_e32 v5, v113
	s_delay_alu instid0(VALU_DEP_1) | instskip(NEXT) | instid1(VALU_DEP_1)
	v_add_nc_u64_e32 v[4:5], v[2:3], v[4:5]
	v_add_nc_u64_e32 v[4:5], -1, v[4:5]
; %bb.24398:                            ;   in Loop: Header=BB6_22365 Depth=3
	s_or_b32 exec_lo, exec_lo, s76
	v_add_nc_u32_e32 v3, 0xffffff81, v29
	v_lshrrev_b32_e32 v5, 23, v2
	s_mov_b32 s13, exec_lo
	s_delay_alu instid0(VALU_DEP_2) | instskip(NEXT) | instid1(VALU_DEP_1)
	v_cndmask_b32_e64 v3, v3, 0xffffff82, vcc_lo
	v_add3_u32 v29, v33, v3, v5
	v_and_b32_e32 v3, 0x1fffff, v4
                                        ; implicit-def: $vgpr4
	s_delay_alu instid0(VALU_DEP_1) | instskip(SKIP_1) | instid1(VALU_DEP_2)
	v_dual_add_nc_u32 v5, 14, v29 :: v_dual_add_nc_u32 v2, v3, v2
	v_mov_b32_e32 v3, v113
	v_cmpx_ne_u32_e32 0, v5
	s_xor_b32 s13, exec_lo, s13
; %bb.24399:                            ;   in Loop: Header=BB6_22365 Depth=3
	s_delay_alu instid0(VALU_DEP_2) | instskip(SKIP_1) | instid1(VALU_DEP_1)
	v_cmp_lt_u64_e32 vcc_lo, 0xffffff, v[2:3]
	v_add_nc_u32_e32 v4, 15, v29
	v_cndmask_b32_e32 v4, v5, v4, vcc_lo
	v_cndmask_b32_e64 v5, 0, 1, vcc_lo
	s_delay_alu instid0(VALU_DEP_1)
	v_lshrrev_b64 v[2:3], v5, v[2:3]
; %bb.24400:                            ;   in Loop: Header=BB6_22365 Depth=3
	s_and_not1_saveexec_b32 s13, s13
; %bb.24401:                            ;   in Loop: Header=BB6_22365 Depth=3
	s_delay_alu instid0(VALU_DEP_1)
	v_bfe_u32 v4, v2, 23, 1
; %bb.24402:                            ;   in Loop: Header=BB6_22365 Depth=3
	s_or_b32 exec_lo, exec_lo, s13
	s_delay_alu instid0(VALU_DEP_2) | instskip(NEXT) | instid1(VALU_DEP_2)
	v_lshrrev_b64 v[2:3], 21, v[2:3]
	v_cmp_gt_i32_e32 vcc_lo, 32, v4
	v_min_i32_e32 v5, 31, v4
	v_cmp_eq_u32_e64 s13, 0, v4
	s_delay_alu instid0(VALU_DEP_2) | instskip(SKIP_1) | instid1(VALU_DEP_2)
	v_dual_cndmask_b32 v3, 0, v3, vcc_lo :: v_dual_lshlrev_b32 v5, 2, v5
	v_cndmask_b32_e32 v2, 3, v2, vcc_lo
	v_and_b32_e32 v5, 0xfc, v5
	s_delay_alu instid0(VALU_DEP_2) | instskip(NEXT) | instid1(VALU_DEP_2)
	v_cmp_eq_u64_e32 vcc_lo, 0, v[2:3]
	v_and_or_b32 v2, v2, 3, v5
	s_and_b32 s13, s13, vcc_lo
	s_delay_alu instid0(VALU_DEP_1) | instid1(SALU_CYCLE_1)
	v_cndmask_b32_e64 v2, v2, 0, s13
	s_delay_alu instid0(VALU_DEP_1)
	v_or_b32_e32 v29, v2, v1
.LBB6_24403:                            ;   in Loop: Header=BB6_22365 Depth=3
	s_or_b32 exec_lo, exec_lo, s75
                                        ; implicit-def: $vgpr1
.LBB6_24404:                            ;   in Loop: Header=BB6_22365 Depth=3
	s_and_not1_saveexec_b32 s13, s74
; %bb.24405:                            ;   in Loop: Header=BB6_22365 Depth=3
	v_or_b32_e32 v29, 0x7b, v1
; %bb.24406:                            ;   in Loop: Header=BB6_22365 Depth=3
	s_or_b32 exec_lo, exec_lo, s13
                                        ; implicit-def: $vgpr4
                                        ; implicit-def: $vgpr2_vgpr3
                                        ; implicit-def: $vgpr1
.LBB6_24407:                            ;   in Loop: Header=BB6_22365 Depth=3
	s_and_not1_saveexec_b32 s13, s73
	s_cbranch_execz .LBB6_24413
; %bb.24408:                            ;   in Loop: Header=BB6_22365 Depth=3
	s_mov_b32 s73, exec_lo
                                        ; implicit-def: $vgpr29
	v_cmpx_ne_u64_e32 0, v[2:3]
	s_xor_b32 s73, exec_lo, s73
; %bb.24409:                            ;   in Loop: Header=BB6_22365 Depth=3
	v_or_b32_e32 v29, 0x7f, v1
                                        ; implicit-def: $vgpr4
; %bb.24410:                            ;   in Loop: Header=BB6_22365 Depth=3
	s_and_not1_saveexec_b32 s73, s73
; %bb.24411:                            ;   in Loop: Header=BB6_22365 Depth=3
	v_cmp_lt_i32_e32 vcc_lo, -1, v4
	v_mov_b32_e32 v1, 0x7c
	s_delay_alu instid0(VALU_DEP_1)
	v_cndmask_b32_e32 v29, 0xfc, v1, vcc_lo
; %bb.24412:                            ;   in Loop: Header=BB6_22365 Depth=3
	s_or_b32 exec_lo, exec_lo, s73
.LBB6_24413:                            ;   in Loop: Header=BB6_22365 Depth=3
	s_delay_alu instid0(SALU_CYCLE_1)
	s_or_b32 exec_lo, exec_lo, s13
	v_dual_mov_b32 v3, 0 :: v_dual_mov_b32 v4, 0
	s_mov_b32 s73, exec_lo
	v_cmpx_lt_u32_e32 0xffffff, v0
	s_cbranch_execz .LBB6_24423
; %bb.24414:                            ;   in Loop: Header=BB6_22365 Depth=3
	v_lshrrev_b32_e32 v2, 24, v0
	v_bfrev_b32_e32 v4, 1
	s_mov_b32 s74, exec_lo
	s_delay_alu instid0(VALU_DEP_2)
	v_cmpx_ne_u32_e32 0x80, v2
	s_cbranch_execz .LBB6_24422
; %bb.24415:                            ;   in Loop: Header=BB6_22365 Depth=3
	v_and_b32_e32 v1, 0x7c000000, v0
	v_bfe_u32 v5, v0, 24, 2
	s_mov_b32 s13, exec_lo
                                        ; implicit-def: $vgpr4
	s_delay_alu instid0(VALU_DEP_2)
	v_cmpx_ne_u32_e32 0x7c000000, v1
	s_xor_b32 s13, exec_lo, s13
	s_cbranch_execz .LBB6_24419
; %bb.24416:                            ;   in Loop: Header=BB6_22365 Depth=3
	v_bfe_u32 v1, v0, 26, 5
	s_mov_b32 s75, exec_lo
	s_delay_alu instid0(VALU_DEP_1)
	v_cmpx_eq_u32_e32 0, v1
; %bb.24417:                            ;   in Loop: Header=BB6_22365 Depth=3
	v_clz_i32_u32_e32 v1, v5
	s_delay_alu instid0(VALU_DEP_1) | instskip(NEXT) | instid1(VALU_DEP_1)
	v_min_u32_e32 v1, 32, v1
	v_subrev_nc_u32_e32 v4, 29, v1
	s_delay_alu instid0(VALU_DEP_1) | instskip(NEXT) | instid1(VALU_DEP_1)
	v_lshlrev_b64_e32 v[4:5], v4, v[2:3]
	v_dual_sub_nc_u32 v1, 30, v1 :: v_dual_bitop2_b32 v5, 3, v4 bitop3:0x40
; %bb.24418:                            ;   in Loop: Header=BB6_22365 Depth=3
	s_or_b32 exec_lo, exec_lo, s75
	v_and_b32_e32 v0, 0x80000000, v0
	s_delay_alu instid0(VALU_DEP_1) | instskip(NEXT) | instid1(VALU_DEP_1)
	v_lshl_add_u32 v0, v1, 23, v0
	v_lshl_or_b32 v0, v5, 21, v0
                                        ; implicit-def: $vgpr5
	s_delay_alu instid0(VALU_DEP_1)
	v_add_nc_u32_e32 v4, 0x38000000, v0
                                        ; implicit-def: $vgpr0_vgpr1
.LBB6_24419:                            ;   in Loop: Header=BB6_22365 Depth=3
	s_and_not1_saveexec_b32 s75, s13
; %bb.24420:                            ;   in Loop: Header=BB6_22365 Depth=3
	v_cmp_lt_i32_e64 s13, -1, v0
	v_mov_b32_e32 v0, 0x7f800000
	v_cmp_eq_u32_e32 vcc_lo, 0, v5
	s_delay_alu instid0(VALU_DEP_2) | instskip(NEXT) | instid1(VALU_DEP_1)
	v_cndmask_b32_e64 v0, 0xff800000, v0, s13
	v_cndmask_b32_e32 v4, 0x7f800001, v0, vcc_lo
; %bb.24421:                            ;   in Loop: Header=BB6_22365 Depth=3
	s_or_b32 exec_lo, exec_lo, s75
.LBB6_24422:                            ;   in Loop: Header=BB6_22365 Depth=3
	s_delay_alu instid0(SALU_CYCLE_1)
	s_or_b32 exec_lo, exec_lo, s74
.LBB6_24423:                            ;   in Loop: Header=BB6_22365 Depth=3
	s_delay_alu instid0(SALU_CYCLE_1) | instskip(NEXT) | instid1(SALU_CYCLE_1)
	s_or_b32 exec_lo, exec_lo, s73
	s_mov_b32 s73, exec_lo
	v_cmpx_lt_u32_e32 0xffffff, v20
	s_cbranch_execz .LBB6_24433
; %bb.24424:                            ;   in Loop: Header=BB6_22365 Depth=3
	v_lshrrev_b32_e32 v0, 24, v20
	v_bfrev_b32_e32 v3, 1
	s_mov_b32 s74, exec_lo
	s_delay_alu instid0(VALU_DEP_2)
	v_cmpx_ne_u32_e32 0x80, v0
	s_cbranch_execz .LBB6_24432
; %bb.24425:                            ;   in Loop: Header=BB6_22365 Depth=3
	v_and_b32_e32 v2, 0x7c000000, v20
	v_bfe_u32 v1, v20, 24, 2
	s_mov_b32 s13, exec_lo
                                        ; implicit-def: $vgpr3
	s_delay_alu instid0(VALU_DEP_2)
	v_cmpx_ne_u32_e32 0x7c000000, v2
	s_xor_b32 s13, exec_lo, s13
	s_cbranch_execz .LBB6_24429
; %bb.24426:                            ;   in Loop: Header=BB6_22365 Depth=3
	v_bfe_u32 v2, v20, 26, 5
	s_mov_b32 s75, exec_lo
	s_delay_alu instid0(VALU_DEP_1)
	v_cmpx_eq_u32_e32 0, v2
; %bb.24427:                            ;   in Loop: Header=BB6_22365 Depth=3
	v_clz_i32_u32_e32 v1, v1
	s_delay_alu instid0(VALU_DEP_1) | instskip(NEXT) | instid1(VALU_DEP_1)
	v_min_u32_e32 v2, 32, v1
	v_subrev_nc_u32_e32 v1, 29, v2
	s_delay_alu instid0(VALU_DEP_1) | instskip(NEXT) | instid1(VALU_DEP_1)
	v_lshlrev_b64_e32 v[0:1], v1, v[0:1]
	v_dual_sub_nc_u32 v2, 30, v2 :: v_dual_bitop2_b32 v1, 3, v0 bitop3:0x40
; %bb.24428:                            ;   in Loop: Header=BB6_22365 Depth=3
	s_or_b32 exec_lo, exec_lo, s75
	v_and_b32_e32 v0, 0x80000000, v20
	s_delay_alu instid0(VALU_DEP_1) | instskip(NEXT) | instid1(VALU_DEP_1)
	v_lshl_add_u32 v0, v2, 23, v0
	v_lshl_or_b32 v0, v1, 21, v0
                                        ; implicit-def: $vgpr1
	s_delay_alu instid0(VALU_DEP_1)
	v_add_nc_u32_e32 v3, 0x38000000, v0
.LBB6_24429:                            ;   in Loop: Header=BB6_22365 Depth=3
	s_and_not1_saveexec_b32 s75, s13
; %bb.24430:                            ;   in Loop: Header=BB6_22365 Depth=3
	v_cmp_lt_i32_e64 s13, -1, v20
	v_mov_b32_e32 v0, 0x7f800000
	v_cmp_eq_u32_e32 vcc_lo, 0, v1
	s_delay_alu instid0(VALU_DEP_2) | instskip(NEXT) | instid1(VALU_DEP_1)
	v_cndmask_b32_e64 v0, 0xff800000, v0, s13
	v_cndmask_b32_e32 v3, 0x7f800001, v0, vcc_lo
; %bb.24431:                            ;   in Loop: Header=BB6_22365 Depth=3
	s_or_b32 exec_lo, exec_lo, s75
.LBB6_24432:                            ;   in Loop: Header=BB6_22365 Depth=3
	s_delay_alu instid0(SALU_CYCLE_1)
	s_or_b32 exec_lo, exec_lo, s74
.LBB6_24433:                            ;   in Loop: Header=BB6_22365 Depth=3
	s_delay_alu instid0(SALU_CYCLE_1) | instskip(NEXT) | instid1(VALU_DEP_1)
	s_or_b32 exec_lo, exec_lo, s73
	v_dual_add_f32 v2, v4, v3 :: v_dual_mov_b32 v5, v113
	v_mov_b32_e32 v1, v113
                                        ; implicit-def: $vgpr33
	s_mov_b32 s13, exec_lo
	s_delay_alu instid0(VALU_DEP_2) | instskip(SKIP_2) | instid1(VALU_DEP_3)
	v_and_b32_e32 v4, 0x7f800000, v2
	v_and_b32_e32 v0, 0x7fffff, v2
	v_lshrrev_b32_e32 v3, 24, v2
	v_cmpx_ne_u64_e32 0x7f800000, v[4:5]
	s_xor_b32 s73, exec_lo, s13
	s_cbranch_execz .LBB6_24447
; %bb.24434:                            ;   in Loop: Header=BB6_22365 Depth=3
	v_and_b32_e32 v4, 0x7fffffff, v2
	v_mov_b32_e32 v5, v113
                                        ; implicit-def: $vgpr33
	s_delay_alu instid0(VALU_DEP_1) | instskip(SKIP_2) | instid1(SALU_CYCLE_1)
	v_cmp_gt_u64_e32 vcc_lo, 0x47600001, v[4:5]
	v_and_b32_e32 v4, 0x80, v3
	s_and_saveexec_b32 s13, vcc_lo
	s_xor_b32 s74, exec_lo, s13
	s_cbranch_execz .LBB6_24444
; %bb.24435:                            ;   in Loop: Header=BB6_22365 Depth=3
	v_mov_b32_e32 v33, 0
	s_mov_b32 s75, exec_lo
	v_cmpx_ne_u32_e32 0, v2
	s_cbranch_execz .LBB6_24443
; %bb.24436:                            ;   in Loop: Header=BB6_22365 Depth=3
	v_bfe_u32 v5, v2, 23, 8
	v_or_b32_e32 v3, 0x800000, v0
	s_delay_alu instid0(VALU_DEP_2) | instskip(SKIP_2) | instid1(VALU_DEP_2)
	v_cmp_gt_u32_e64 s13, 0x72, v5
	v_sub_nc_u32_e32 v2, 0x71, v5
	v_cmp_eq_u32_e32 vcc_lo, 0, v5
	v_dual_cndmask_b32 v2, 0, v2, s13 :: v_dual_cndmask_b32 v0, v3, v0, vcc_lo
	s_delay_alu instid0(VALU_DEP_1) | instskip(NEXT) | instid1(VALU_DEP_1)
	v_cndmask_b32_e64 v33, v2, 0x70, vcc_lo
	v_dual_add_nc_u32 v2, 21, v33 :: v_dual_add_nc_u32 v57, 20, v33
	s_delay_alu instid0(VALU_DEP_1) | instskip(NEXT) | instid1(VALU_DEP_2)
	v_lshlrev_b64_e64 v[2:3], v2, -1
	v_lshlrev_b64_e64 v[58:59], v57, 1
	s_delay_alu instid0(VALU_DEP_2) | instskip(SKIP_1) | instid1(VALU_DEP_4)
	v_bfi_b32 v2, v2, 0, v0
	v_lshrrev_b64 v[0:1], v33, v[0:1]
	v_bfi_b32 v3, v3, 0, 0
	s_delay_alu instid0(VALU_DEP_1) | instskip(NEXT) | instid1(VALU_DEP_3)
	v_cmp_eq_u64_e64 s13, v[2:3], v[58:59]
	v_mov_b64_e32 v[2:3], v[0:1]
	s_and_saveexec_b32 s76, s13
; %bb.24437:                            ;   in Loop: Header=BB6_22365 Depth=3
	v_bfe_u32 v2, v0, 21, 1
	v_mov_b32_e32 v3, v113
	s_delay_alu instid0(VALU_DEP_1) | instskip(NEXT) | instid1(VALU_DEP_1)
	v_add_nc_u64_e32 v[2:3], v[0:1], v[2:3]
	v_add_nc_u64_e32 v[2:3], -1, v[2:3]
; %bb.24438:                            ;   in Loop: Header=BB6_22365 Depth=3
	s_or_b32 exec_lo, exec_lo, s76
	v_add_nc_u32_e32 v1, 0xffffff81, v5
	v_lshrrev_b32_e32 v3, 23, v0
	s_mov_b32 s13, exec_lo
	s_delay_alu instid0(VALU_DEP_2) | instskip(NEXT) | instid1(VALU_DEP_1)
	v_cndmask_b32_e64 v1, v1, 0xffffff82, vcc_lo
	v_add3_u32 v5, v33, v1, v3
	v_and_b32_e32 v1, 0x1fffff, v2
                                        ; implicit-def: $vgpr2
	s_delay_alu instid0(VALU_DEP_1) | instskip(SKIP_1) | instid1(VALU_DEP_2)
	v_dual_add_nc_u32 v3, 14, v5 :: v_dual_add_nc_u32 v0, v1, v0
	v_mov_b32_e32 v1, v113
	v_cmpx_ne_u32_e32 0, v3
	s_xor_b32 s13, exec_lo, s13
; %bb.24439:                            ;   in Loop: Header=BB6_22365 Depth=3
	s_delay_alu instid0(VALU_DEP_2) | instskip(SKIP_1) | instid1(VALU_DEP_1)
	v_cmp_lt_u64_e32 vcc_lo, 0xffffff, v[0:1]
	v_add_nc_u32_e32 v2, 15, v5
	v_cndmask_b32_e32 v2, v3, v2, vcc_lo
	v_cndmask_b32_e64 v3, 0, 1, vcc_lo
	s_delay_alu instid0(VALU_DEP_1)
	v_lshrrev_b64 v[0:1], v3, v[0:1]
; %bb.24440:                            ;   in Loop: Header=BB6_22365 Depth=3
	s_and_not1_saveexec_b32 s13, s13
; %bb.24441:                            ;   in Loop: Header=BB6_22365 Depth=3
	s_delay_alu instid0(VALU_DEP_1)
	v_bfe_u32 v2, v0, 23, 1
; %bb.24442:                            ;   in Loop: Header=BB6_22365 Depth=3
	s_or_b32 exec_lo, exec_lo, s13
	s_delay_alu instid0(VALU_DEP_2) | instskip(NEXT) | instid1(VALU_DEP_2)
	v_lshrrev_b64 v[0:1], 21, v[0:1]
	v_cmp_gt_i32_e32 vcc_lo, 32, v2
	v_min_i32_e32 v3, 31, v2
	v_cmp_eq_u32_e64 s13, 0, v2
	s_delay_alu instid0(VALU_DEP_2) | instskip(SKIP_1) | instid1(VALU_DEP_2)
	v_dual_cndmask_b32 v1, 0, v1, vcc_lo :: v_dual_lshlrev_b32 v3, 2, v3
	v_cndmask_b32_e32 v0, 3, v0, vcc_lo
	v_and_b32_e32 v3, 0xfc, v3
	s_delay_alu instid0(VALU_DEP_2) | instskip(NEXT) | instid1(VALU_DEP_2)
	v_cmp_eq_u64_e32 vcc_lo, 0, v[0:1]
	v_and_or_b32 v0, v0, 3, v3
	s_and_b32 s13, s13, vcc_lo
	s_delay_alu instid0(VALU_DEP_1) | instid1(SALU_CYCLE_1)
	v_cndmask_b32_e64 v0, v0, 0, s13
	s_delay_alu instid0(VALU_DEP_1)
	v_or_b32_e32 v33, v0, v4
.LBB6_24443:                            ;   in Loop: Header=BB6_22365 Depth=3
	s_or_b32 exec_lo, exec_lo, s75
                                        ; implicit-def: $vgpr4
.LBB6_24444:                            ;   in Loop: Header=BB6_22365 Depth=3
	s_and_not1_saveexec_b32 s13, s74
; %bb.24445:                            ;   in Loop: Header=BB6_22365 Depth=3
	v_or_b32_e32 v33, 0x7b, v4
; %bb.24446:                            ;   in Loop: Header=BB6_22365 Depth=3
	s_or_b32 exec_lo, exec_lo, s13
                                        ; implicit-def: $vgpr2
                                        ; implicit-def: $vgpr0_vgpr1
                                        ; implicit-def: $vgpr3
.LBB6_24447:                            ;   in Loop: Header=BB6_22365 Depth=3
	s_and_not1_saveexec_b32 s13, s73
	s_cbranch_execz .LBB6_24453
; %bb.24448:                            ;   in Loop: Header=BB6_22365 Depth=3
	s_mov_b32 s73, exec_lo
                                        ; implicit-def: $vgpr33
	v_cmpx_ne_u64_e32 0, v[0:1]
	s_xor_b32 s73, exec_lo, s73
; %bb.24449:                            ;   in Loop: Header=BB6_22365 Depth=3
	v_or_b32_e32 v33, 0x7f, v3
                                        ; implicit-def: $vgpr2
; %bb.24450:                            ;   in Loop: Header=BB6_22365 Depth=3
	s_and_not1_saveexec_b32 s73, s73
; %bb.24451:                            ;   in Loop: Header=BB6_22365 Depth=3
	v_cmp_lt_i32_e32 vcc_lo, -1, v2
	v_mov_b32_e32 v0, 0x7c
	s_delay_alu instid0(VALU_DEP_1)
	v_cndmask_b32_e32 v33, 0xfc, v0, vcc_lo
; %bb.24452:                            ;   in Loop: Header=BB6_22365 Depth=3
	s_or_b32 exec_lo, exec_lo, s73
.LBB6_24453:                            ;   in Loop: Header=BB6_22365 Depth=3
	s_delay_alu instid0(SALU_CYCLE_1) | instskip(SKIP_4) | instid1(VALU_DEP_1)
	s_or_b32 exec_lo, exec_lo, s13
	v_lshl_or_b32 v55, v55, 8, v50
	v_dual_mov_b32 v1, v113 :: v_dual_lshlrev_b32 v0, 16, v68
	v_dual_mov_b32 v3, 0 :: v_dual_lshlrev_b32 v2, 24, v56
	s_mov_b32 s73, exec_lo
	v_or3_b32 v0, v0, v2, v55
	v_mov_b32_e32 v2, 0
	v_cmpx_ne_u32_e32 0, v50
	s_cbranch_execz .LBB6_24463
; %bb.24454:                            ;   in Loop: Header=BB6_22365 Depth=3
	v_bfrev_b32_e32 v2, 1
	s_mov_b32 s74, exec_lo
	v_cmpx_ne_u32_e32 0x80, v50
	s_cbranch_execz .LBB6_24462
; %bb.24455:                            ;   in Loop: Header=BB6_22365 Depth=3
	v_and_b32_e32 v2, 0x7c, v50
	v_and_b32_e32 v4, 3, v50
	s_delay_alu instid0(VALU_DEP_2) | instskip(SKIP_1) | instid1(SALU_CYCLE_1)
	v_cmp_ne_u32_e32 vcc_lo, 0x7c, v2
                                        ; implicit-def: $vgpr2
	s_and_saveexec_b32 s13, vcc_lo
	s_xor_b32 s13, exec_lo, s13
	s_cbranch_execz .LBB6_24459
; %bb.24456:                            ;   in Loop: Header=BB6_22365 Depth=3
	v_bfe_u32 v2, v50, 2, 5
	s_mov_b32 s75, exec_lo
	s_delay_alu instid0(VALU_DEP_1)
	v_cmpx_eq_u32_e32 0, v2
; %bb.24457:                            ;   in Loop: Header=BB6_22365 Depth=3
	v_clz_i32_u32_e32 v2, v4
	s_delay_alu instid0(VALU_DEP_1) | instskip(NEXT) | instid1(VALU_DEP_1)
	v_min_u32_e32 v2, 32, v2
	v_subrev_nc_u32_e32 v4, 29, v2
	s_delay_alu instid0(VALU_DEP_1) | instskip(NEXT) | instid1(VALU_DEP_1)
	v_lshlrev_b64_e32 v[4:5], v4, v[0:1]
	v_dual_sub_nc_u32 v2, 30, v2 :: v_dual_bitop2_b32 v4, 3, v4 bitop3:0x40
; %bb.24458:                            ;   in Loop: Header=BB6_22365 Depth=3
	s_or_b32 exec_lo, exec_lo, s75
	v_lshlrev_b32_e32 v1, 24, v50
                                        ; implicit-def: $vgpr50
	s_delay_alu instid0(VALU_DEP_1) | instskip(NEXT) | instid1(VALU_DEP_1)
	v_and_b32_e32 v1, 0x80000000, v1
	v_lshl_add_u32 v1, v2, 23, v1
	s_delay_alu instid0(VALU_DEP_1) | instskip(NEXT) | instid1(VALU_DEP_1)
	v_lshl_or_b32 v1, v4, 21, v1
                                        ; implicit-def: $vgpr4
	v_add_nc_u32_e32 v2, 0x38000000, v1
.LBB6_24459:                            ;   in Loop: Header=BB6_22365 Depth=3
	s_and_not1_saveexec_b32 s75, s13
; %bb.24460:                            ;   in Loop: Header=BB6_22365 Depth=3
	v_and_b32_e32 v1, 0x80, v50
	v_cmp_eq_u32_e32 vcc_lo, 0, v4
	s_delay_alu instid0(VALU_DEP_2) | instskip(SKIP_1) | instid1(VALU_DEP_1)
	v_cmp_eq_u32_e64 s13, 0, v1
	v_mov_b32_e32 v1, 0x7f800000
	v_cndmask_b32_e64 v1, 0xff800000, v1, s13
	s_delay_alu instid0(VALU_DEP_1)
	v_cndmask_b32_e32 v2, 0x7f800001, v1, vcc_lo
; %bb.24461:                            ;   in Loop: Header=BB6_22365 Depth=3
	s_or_b32 exec_lo, exec_lo, s75
.LBB6_24462:                            ;   in Loop: Header=BB6_22365 Depth=3
	s_delay_alu instid0(SALU_CYCLE_1)
	s_or_b32 exec_lo, exec_lo, s74
.LBB6_24463:                            ;   in Loop: Header=BB6_22365 Depth=3
	s_delay_alu instid0(SALU_CYCLE_1) | instskip(SKIP_2) | instid1(VALU_DEP_1)
	s_or_b32 exec_lo, exec_lo, s73
	v_and_b32_e32 v1, 0xff, v21
	s_mov_b32 s73, exec_lo
	v_cmpx_ne_u16_e32 0, v1
	s_cbranch_execz .LBB6_24473
; %bb.24464:                            ;   in Loop: Header=BB6_22365 Depth=3
	v_bfrev_b32_e32 v3, 1
	s_mov_b32 s74, exec_lo
	v_cmpx_ne_u16_e32 0x80, v1
	s_cbranch_execz .LBB6_24472
; %bb.24465:                            ;   in Loop: Header=BB6_22365 Depth=3
	v_and_b32_e32 v3, 0x7c, v21
	v_and_b32_e32 v1, 3, v21
	s_delay_alu instid0(VALU_DEP_2) | instskip(SKIP_1) | instid1(SALU_CYCLE_1)
	v_cmp_ne_u32_e32 vcc_lo, 0x7c, v3
                                        ; implicit-def: $vgpr3
	s_and_saveexec_b32 s13, vcc_lo
	s_xor_b32 s13, exec_lo, s13
	s_cbranch_execz .LBB6_24469
; %bb.24466:                            ;   in Loop: Header=BB6_22365 Depth=3
	v_bfe_u32 v3, v21, 2, 5
	s_mov_b32 s75, exec_lo
	s_delay_alu instid0(VALU_DEP_1)
	v_cmpx_eq_u32_e32 0, v3
; %bb.24467:                            ;   in Loop: Header=BB6_22365 Depth=3
	v_clz_i32_u32_e32 v1, v1
	v_dual_mov_b32 v4, v21 :: v_dual_mov_b32 v5, v113
	s_delay_alu instid0(VALU_DEP_2) | instskip(NEXT) | instid1(VALU_DEP_1)
	v_min_u32_e32 v1, 32, v1
	v_subrev_nc_u32_e32 v3, 29, v1
	s_delay_alu instid0(VALU_DEP_1) | instskip(NEXT) | instid1(VALU_DEP_1)
	v_lshlrev_b64_e32 v[4:5], v3, v[4:5]
	v_dual_sub_nc_u32 v3, 30, v1 :: v_dual_bitop2_b32 v1, 3, v4 bitop3:0x40
; %bb.24468:                            ;   in Loop: Header=BB6_22365 Depth=3
	s_or_b32 exec_lo, exec_lo, s75
	v_lshlrev_b32_e32 v4, 24, v21
	s_delay_alu instid0(VALU_DEP_1) | instskip(NEXT) | instid1(VALU_DEP_1)
	v_and_b32_e32 v4, 0x80000000, v4
	v_lshl_add_u32 v3, v3, 23, v4
	s_delay_alu instid0(VALU_DEP_1) | instskip(NEXT) | instid1(VALU_DEP_1)
	v_lshl_or_b32 v1, v1, 21, v3
	v_add_nc_u32_e32 v3, 0x38000000, v1
                                        ; implicit-def: $vgpr1
.LBB6_24469:                            ;   in Loop: Header=BB6_22365 Depth=3
	s_and_not1_saveexec_b32 s75, s13
; %bb.24470:                            ;   in Loop: Header=BB6_22365 Depth=3
	v_bfe_i32 v3, v21, 0, 8
	v_cmp_eq_u32_e32 vcc_lo, 0, v1
	v_mov_b32_e32 v1, 0x7f800000
	s_delay_alu instid0(VALU_DEP_3) | instskip(NEXT) | instid1(VALU_DEP_1)
	v_cmp_lt_i16_e64 s13, -1, v3
	v_cndmask_b32_e64 v1, 0xff800000, v1, s13
	s_delay_alu instid0(VALU_DEP_1)
	v_cndmask_b32_e32 v3, 0x7f800001, v1, vcc_lo
; %bb.24471:                            ;   in Loop: Header=BB6_22365 Depth=3
	s_or_b32 exec_lo, exec_lo, s75
.LBB6_24472:                            ;   in Loop: Header=BB6_22365 Depth=3
	s_delay_alu instid0(SALU_CYCLE_1)
	s_or_b32 exec_lo, exec_lo, s74
.LBB6_24473:                            ;   in Loop: Header=BB6_22365 Depth=3
	s_delay_alu instid0(SALU_CYCLE_1) | instskip(NEXT) | instid1(VALU_DEP_1)
	s_or_b32 exec_lo, exec_lo, s73
	v_dual_add_f32 v4, v2, v3 :: v_dual_mov_b32 v57, v113
	v_mov_b32_e32 v3, v113
                                        ; implicit-def: $vgpr50
	s_mov_b32 s13, exec_lo
	s_delay_alu instid0(VALU_DEP_2) | instskip(SKIP_2) | instid1(VALU_DEP_3)
	v_and_b32_e32 v56, 0x7f800000, v4
	v_and_b32_e32 v2, 0x7fffff, v4
	v_lshrrev_b32_e32 v1, 24, v4
	v_cmpx_ne_u64_e32 0x7f800000, v[56:57]
	s_xor_b32 s73, exec_lo, s13
	s_cbranch_execz .LBB6_24487
; %bb.24474:                            ;   in Loop: Header=BB6_22365 Depth=3
	v_and_b32_e32 v56, 0x7fffffff, v4
	v_mov_b32_e32 v57, v113
	v_and_b32_e32 v1, 0x80, v1
                                        ; implicit-def: $vgpr50
	s_mov_b32 s13, exec_lo
	s_delay_alu instid0(VALU_DEP_2)
	v_cmpx_gt_u64_e32 0x47600001, v[56:57]
	s_xor_b32 s74, exec_lo, s13
	s_cbranch_execz .LBB6_24484
; %bb.24475:                            ;   in Loop: Header=BB6_22365 Depth=3
	v_mov_b32_e32 v50, 0
	s_mov_b32 s75, exec_lo
	v_cmpx_ne_u32_e32 0, v4
	s_cbranch_execz .LBB6_24483
; %bb.24476:                            ;   in Loop: Header=BB6_22365 Depth=3
	v_bfe_u32 v50, v4, 23, 8
	v_or_b32_e32 v5, 0x800000, v2
	s_delay_alu instid0(VALU_DEP_2) | instskip(SKIP_2) | instid1(VALU_DEP_2)
	v_cmp_gt_u32_e64 s13, 0x72, v50
	v_sub_nc_u32_e32 v4, 0x71, v50
	v_cmp_eq_u32_e32 vcc_lo, 0, v50
	v_dual_cndmask_b32 v4, 0, v4, s13 :: v_dual_cndmask_b32 v2, v5, v2, vcc_lo
	s_delay_alu instid0(VALU_DEP_1) | instskip(NEXT) | instid1(VALU_DEP_1)
	v_cndmask_b32_e64 v68, v4, 0x70, vcc_lo
	v_dual_add_nc_u32 v4, 21, v68 :: v_dual_add_nc_u32 v56, 20, v68
	s_delay_alu instid0(VALU_DEP_1) | instskip(NEXT) | instid1(VALU_DEP_2)
	v_lshlrev_b64_e64 v[4:5], v4, -1
	v_lshlrev_b64_e64 v[56:57], v56, 1
	s_delay_alu instid0(VALU_DEP_2) | instskip(SKIP_1) | instid1(VALU_DEP_4)
	v_bfi_b32 v4, v4, 0, v2
	v_lshrrev_b64 v[2:3], v68, v[2:3]
	v_bfi_b32 v5, v5, 0, 0
	s_delay_alu instid0(VALU_DEP_1) | instskip(NEXT) | instid1(VALU_DEP_3)
	v_cmp_eq_u64_e64 s13, v[4:5], v[56:57]
	v_mov_b64_e32 v[4:5], v[2:3]
	s_and_saveexec_b32 s76, s13
; %bb.24477:                            ;   in Loop: Header=BB6_22365 Depth=3
	v_bfe_u32 v4, v2, 21, 1
	v_mov_b32_e32 v5, v113
	s_delay_alu instid0(VALU_DEP_1) | instskip(NEXT) | instid1(VALU_DEP_1)
	v_add_nc_u64_e32 v[4:5], v[2:3], v[4:5]
	v_add_nc_u64_e32 v[4:5], -1, v[4:5]
; %bb.24478:                            ;   in Loop: Header=BB6_22365 Depth=3
	s_or_b32 exec_lo, exec_lo, s76
	v_add_nc_u32_e32 v3, 0xffffff81, v50
	v_lshrrev_b32_e32 v5, 23, v2
	s_mov_b32 s13, exec_lo
	s_delay_alu instid0(VALU_DEP_2) | instskip(NEXT) | instid1(VALU_DEP_1)
	v_cndmask_b32_e64 v3, v3, 0xffffff82, vcc_lo
	v_add3_u32 v50, v68, v3, v5
	v_and_b32_e32 v3, 0x1fffff, v4
                                        ; implicit-def: $vgpr4
	s_delay_alu instid0(VALU_DEP_2) | instskip(NEXT) | instid1(VALU_DEP_2)
	v_add_nc_u32_e32 v5, 14, v50
	v_dual_mov_b32 v3, v113 :: v_dual_add_nc_u32 v2, v3, v2
	s_delay_alu instid0(VALU_DEP_2)
	v_cmpx_ne_u32_e32 0, v5
	s_xor_b32 s13, exec_lo, s13
; %bb.24479:                            ;   in Loop: Header=BB6_22365 Depth=3
	s_delay_alu instid0(VALU_DEP_2) | instskip(SKIP_1) | instid1(VALU_DEP_1)
	v_cmp_lt_u64_e32 vcc_lo, 0xffffff, v[2:3]
	v_add_nc_u32_e32 v4, 15, v50
	v_cndmask_b32_e32 v4, v5, v4, vcc_lo
	v_cndmask_b32_e64 v5, 0, 1, vcc_lo
	s_delay_alu instid0(VALU_DEP_1)
	v_lshrrev_b64 v[2:3], v5, v[2:3]
; %bb.24480:                            ;   in Loop: Header=BB6_22365 Depth=3
	s_and_not1_saveexec_b32 s13, s13
; %bb.24481:                            ;   in Loop: Header=BB6_22365 Depth=3
	s_delay_alu instid0(VALU_DEP_1)
	v_bfe_u32 v4, v2, 23, 1
; %bb.24482:                            ;   in Loop: Header=BB6_22365 Depth=3
	s_or_b32 exec_lo, exec_lo, s13
	s_delay_alu instid0(VALU_DEP_2) | instskip(NEXT) | instid1(VALU_DEP_2)
	v_lshrrev_b64 v[2:3], 21, v[2:3]
	v_cmp_gt_i32_e32 vcc_lo, 32, v4
	v_min_i32_e32 v5, 31, v4
	v_cmp_eq_u32_e64 s13, 0, v4
	s_delay_alu instid0(VALU_DEP_2) | instskip(SKIP_1) | instid1(VALU_DEP_2)
	v_dual_cndmask_b32 v3, 0, v3, vcc_lo :: v_dual_lshlrev_b32 v5, 2, v5
	v_cndmask_b32_e32 v2, 3, v2, vcc_lo
	v_and_b32_e32 v5, 0xfc, v5
	s_delay_alu instid0(VALU_DEP_2) | instskip(NEXT) | instid1(VALU_DEP_2)
	v_cmp_eq_u64_e32 vcc_lo, 0, v[2:3]
	v_and_or_b32 v2, v2, 3, v5
	s_and_b32 s13, s13, vcc_lo
	s_delay_alu instid0(VALU_DEP_1) | instid1(SALU_CYCLE_1)
	v_cndmask_b32_e64 v2, v2, 0, s13
	s_delay_alu instid0(VALU_DEP_1)
	v_or_b32_e32 v50, v2, v1
.LBB6_24483:                            ;   in Loop: Header=BB6_22365 Depth=3
	s_or_b32 exec_lo, exec_lo, s75
                                        ; implicit-def: $vgpr1
.LBB6_24484:                            ;   in Loop: Header=BB6_22365 Depth=3
	s_and_not1_saveexec_b32 s13, s74
; %bb.24485:                            ;   in Loop: Header=BB6_22365 Depth=3
	v_or_b32_e32 v50, 0x7b, v1
; %bb.24486:                            ;   in Loop: Header=BB6_22365 Depth=3
	s_or_b32 exec_lo, exec_lo, s13
                                        ; implicit-def: $vgpr4
                                        ; implicit-def: $vgpr2_vgpr3
                                        ; implicit-def: $vgpr1
.LBB6_24487:                            ;   in Loop: Header=BB6_22365 Depth=3
	s_and_not1_saveexec_b32 s13, s73
	s_cbranch_execz .LBB6_24493
; %bb.24488:                            ;   in Loop: Header=BB6_22365 Depth=3
	s_mov_b32 s73, exec_lo
                                        ; implicit-def: $vgpr50
	v_cmpx_ne_u64_e32 0, v[2:3]
	s_xor_b32 s73, exec_lo, s73
; %bb.24489:                            ;   in Loop: Header=BB6_22365 Depth=3
	v_or_b32_e32 v50, 0x7f, v1
                                        ; implicit-def: $vgpr4
; %bb.24490:                            ;   in Loop: Header=BB6_22365 Depth=3
	s_and_not1_saveexec_b32 s73, s73
; %bb.24491:                            ;   in Loop: Header=BB6_22365 Depth=3
	v_cmp_lt_i32_e32 vcc_lo, -1, v4
	v_mov_b32_e32 v1, 0x7c
	s_delay_alu instid0(VALU_DEP_1)
	v_cndmask_b32_e32 v50, 0xfc, v1, vcc_lo
; %bb.24492:                            ;   in Loop: Header=BB6_22365 Depth=3
	s_or_b32 exec_lo, exec_lo, s73
.LBB6_24493:                            ;   in Loop: Header=BB6_22365 Depth=3
	s_delay_alu instid0(SALU_CYCLE_1) | instskip(SKIP_3) | instid1(VALU_DEP_2)
	s_or_b32 exec_lo, exec_lo, s13
	v_lshrrev_b16 v2, 8, v55
	v_dual_mov_b32 v1, 0 :: v_dual_mov_b32 v4, 0
	s_mov_b32 s73, exec_lo
	v_cmpx_ne_u16_e32 0, v2
	s_cbranch_execz .LBB6_24503
; %bb.24494:                            ;   in Loop: Header=BB6_22365 Depth=3
	v_bfrev_b32_e32 v4, 1
	s_mov_b32 s74, exec_lo
	v_cmpx_ne_u16_e32 0x80, v2
	s_cbranch_execz .LBB6_24502
; %bb.24495:                            ;   in Loop: Header=BB6_22365 Depth=3
	v_and_b32_e32 v5, 0xffff, v2
	s_delay_alu instid0(VALU_DEP_1) | instskip(SKIP_1) | instid1(VALU_DEP_2)
	v_and_b32_e32 v4, 0x7c, v5
	v_and_b32_e32 v3, 3, v5
	v_cmp_ne_u32_e32 vcc_lo, 0x7c, v4
                                        ; implicit-def: $vgpr4
	s_and_saveexec_b32 s13, vcc_lo
	s_delay_alu instid0(SALU_CYCLE_1)
	s_xor_b32 s13, exec_lo, s13
	s_cbranch_execz .LBB6_24499
; %bb.24496:                            ;   in Loop: Header=BB6_22365 Depth=3
	v_bfe_u32 v4, v5, 2, 5
	s_mov_b32 s75, exec_lo
	s_delay_alu instid0(VALU_DEP_1)
	v_cmpx_eq_u32_e32 0, v4
	s_cbranch_execz .LBB6_24498
; %bb.24497:                            ;   in Loop: Header=BB6_22365 Depth=3
	v_clz_i32_u32_e32 v3, v3
	s_delay_alu instid0(VALU_DEP_1) | instskip(SKIP_1) | instid1(VALU_DEP_2)
	v_min_u32_e32 v4, 32, v3
	v_mov_b32_e32 v3, v113
	v_subrev_nc_u32_e32 v5, 29, v4
	v_sub_nc_u32_e32 v4, 30, v4
	s_delay_alu instid0(VALU_DEP_2) | instskip(NEXT) | instid1(VALU_DEP_1)
	v_lshlrev_b64_e32 v[2:3], v5, v[2:3]
	v_and_b32_e32 v3, 3, v2
.LBB6_24498:                            ;   in Loop: Header=BB6_22365 Depth=3
	s_or_b32 exec_lo, exec_lo, s75
	v_lshlrev_b32_e32 v2, 16, v55
                                        ; implicit-def: $vgpr55
	s_delay_alu instid0(VALU_DEP_1) | instskip(NEXT) | instid1(VALU_DEP_1)
	v_and_b32_e32 v2, 0x80000000, v2
	v_lshl_add_u32 v2, v4, 23, v2
	s_delay_alu instid0(VALU_DEP_1) | instskip(NEXT) | instid1(VALU_DEP_1)
	v_lshl_or_b32 v2, v3, 21, v2
                                        ; implicit-def: $vgpr3
	v_add_nc_u32_e32 v4, 0x38000000, v2
.LBB6_24499:                            ;   in Loop: Header=BB6_22365 Depth=3
	s_and_not1_saveexec_b32 s75, s13
; %bb.24500:                            ;   in Loop: Header=BB6_22365 Depth=3
	v_cmp_lt_i16_e64 s13, -1, v55
	v_mov_b32_e32 v2, 0x7f800000
	v_cmp_eq_u32_e32 vcc_lo, 0, v3
	s_delay_alu instid0(VALU_DEP_2) | instskip(NEXT) | instid1(VALU_DEP_1)
	v_cndmask_b32_e64 v2, 0xff800000, v2, s13
	v_cndmask_b32_e32 v4, 0x7f800001, v2, vcc_lo
; %bb.24501:                            ;   in Loop: Header=BB6_22365 Depth=3
	s_or_b32 exec_lo, exec_lo, s75
.LBB6_24502:                            ;   in Loop: Header=BB6_22365 Depth=3
	s_delay_alu instid0(SALU_CYCLE_1)
	s_or_b32 exec_lo, exec_lo, s74
.LBB6_24503:                            ;   in Loop: Header=BB6_22365 Depth=3
	s_delay_alu instid0(SALU_CYCLE_1) | instskip(SKIP_2) | instid1(VALU_DEP_1)
	s_or_b32 exec_lo, exec_lo, s73
	v_lshrrev_b16 v2, 8, v21
	s_mov_b32 s73, exec_lo
	v_cmpx_ne_u16_e32 0, v2
	s_cbranch_execz .LBB6_24513
; %bb.24504:                            ;   in Loop: Header=BB6_22365 Depth=3
	v_bfrev_b32_e32 v1, 1
	s_mov_b32 s74, exec_lo
	v_cmpx_ne_u16_e32 0x80, v2
	s_cbranch_execz .LBB6_24512
; %bb.24505:                            ;   in Loop: Header=BB6_22365 Depth=3
	v_and_b32_e32 v5, 0xffff, v2
	s_delay_alu instid0(VALU_DEP_1) | instskip(SKIP_1) | instid1(VALU_DEP_2)
	v_and_b32_e32 v1, 0x7c, v5
	v_and_b32_e32 v3, 3, v5
	v_cmp_ne_u32_e32 vcc_lo, 0x7c, v1
                                        ; implicit-def: $vgpr1
	s_and_saveexec_b32 s13, vcc_lo
	s_delay_alu instid0(SALU_CYCLE_1)
	s_xor_b32 s13, exec_lo, s13
	s_cbranch_execz .LBB6_24509
; %bb.24506:                            ;   in Loop: Header=BB6_22365 Depth=3
	v_bfe_u32 v1, v5, 2, 5
	s_mov_b32 s75, exec_lo
	s_delay_alu instid0(VALU_DEP_1)
	v_cmpx_eq_u32_e32 0, v1
	s_cbranch_execz .LBB6_24508
; %bb.24507:                            ;   in Loop: Header=BB6_22365 Depth=3
	v_clz_i32_u32_e32 v1, v3
	s_delay_alu instid0(VALU_DEP_1) | instskip(SKIP_1) | instid1(VALU_DEP_2)
	v_min_u32_e32 v1, 32, v1
	v_mov_b32_e32 v3, v113
	v_subrev_nc_u32_e32 v5, 29, v1
	v_sub_nc_u32_e32 v1, 30, v1
	s_delay_alu instid0(VALU_DEP_2) | instskip(NEXT) | instid1(VALU_DEP_1)
	v_lshlrev_b64_e32 v[2:3], v5, v[2:3]
	v_and_b32_e32 v3, 3, v2
.LBB6_24508:                            ;   in Loop: Header=BB6_22365 Depth=3
	s_or_b32 exec_lo, exec_lo, s75
	v_lshlrev_b32_e32 v2, 16, v21
	s_delay_alu instid0(VALU_DEP_1) | instskip(NEXT) | instid1(VALU_DEP_1)
	v_and_b32_e32 v2, 0x80000000, v2
	v_lshl_add_u32 v1, v1, 23, v2
	s_delay_alu instid0(VALU_DEP_1) | instskip(NEXT) | instid1(VALU_DEP_1)
	v_lshl_or_b32 v1, v3, 21, v1
                                        ; implicit-def: $vgpr3
	v_add_nc_u32_e32 v1, 0x38000000, v1
.LBB6_24509:                            ;   in Loop: Header=BB6_22365 Depth=3
	s_and_not1_saveexec_b32 s75, s13
; %bb.24510:                            ;   in Loop: Header=BB6_22365 Depth=3
	v_cmp_lt_i16_e64 s13, -1, v21
	v_mov_b32_e32 v1, 0x7f800000
	v_cmp_eq_u32_e32 vcc_lo, 0, v3
	s_delay_alu instid0(VALU_DEP_2) | instskip(NEXT) | instid1(VALU_DEP_1)
	v_cndmask_b32_e64 v1, 0xff800000, v1, s13
	v_cndmask_b32_e32 v1, 0x7f800001, v1, vcc_lo
; %bb.24511:                            ;   in Loop: Header=BB6_22365 Depth=3
	s_or_b32 exec_lo, exec_lo, s75
.LBB6_24512:                            ;   in Loop: Header=BB6_22365 Depth=3
	s_delay_alu instid0(SALU_CYCLE_1)
	s_or_b32 exec_lo, exec_lo, s74
.LBB6_24513:                            ;   in Loop: Header=BB6_22365 Depth=3
	s_delay_alu instid0(SALU_CYCLE_1) | instskip(NEXT) | instid1(VALU_DEP_1)
	s_or_b32 exec_lo, exec_lo, s73
	v_dual_add_f32 v4, v4, v1 :: v_dual_mov_b32 v57, v113
	v_mov_b32_e32 v3, v113
                                        ; implicit-def: $vgpr55
	s_mov_b32 s13, exec_lo
	s_delay_alu instid0(VALU_DEP_2) | instskip(SKIP_2) | instid1(VALU_DEP_3)
	v_and_b32_e32 v56, 0x7f800000, v4
	v_and_b32_e32 v2, 0x7fffff, v4
	v_lshrrev_b32_e32 v1, 24, v4
	v_cmpx_ne_u64_e32 0x7f800000, v[56:57]
	s_xor_b32 s73, exec_lo, s13
	s_cbranch_execz .LBB6_24527
; %bb.24514:                            ;   in Loop: Header=BB6_22365 Depth=3
	v_and_b32_e32 v56, 0x7fffffff, v4
	v_mov_b32_e32 v57, v113
	v_and_b32_e32 v1, 0x80, v1
                                        ; implicit-def: $vgpr55
	s_mov_b32 s13, exec_lo
	s_delay_alu instid0(VALU_DEP_2)
	v_cmpx_gt_u64_e32 0x47600001, v[56:57]
	s_xor_b32 s74, exec_lo, s13
	s_cbranch_execz .LBB6_24524
; %bb.24515:                            ;   in Loop: Header=BB6_22365 Depth=3
	v_mov_b32_e32 v55, 0
	s_mov_b32 s75, exec_lo
	v_cmpx_ne_u32_e32 0, v4
	s_cbranch_execz .LBB6_24523
; %bb.24516:                            ;   in Loop: Header=BB6_22365 Depth=3
	v_bfe_u32 v55, v4, 23, 8
	v_or_b32_e32 v5, 0x800000, v2
	s_delay_alu instid0(VALU_DEP_2) | instskip(SKIP_2) | instid1(VALU_DEP_2)
	v_cmp_gt_u32_e64 s13, 0x72, v55
	v_sub_nc_u32_e32 v4, 0x71, v55
	v_cmp_eq_u32_e32 vcc_lo, 0, v55
	v_dual_cndmask_b32 v4, 0, v4, s13 :: v_dual_cndmask_b32 v2, v5, v2, vcc_lo
	s_delay_alu instid0(VALU_DEP_1) | instskip(NEXT) | instid1(VALU_DEP_1)
	v_cndmask_b32_e64 v68, v4, 0x70, vcc_lo
	v_dual_add_nc_u32 v4, 21, v68 :: v_dual_add_nc_u32 v56, 20, v68
	s_delay_alu instid0(VALU_DEP_1) | instskip(NEXT) | instid1(VALU_DEP_2)
	v_lshlrev_b64_e64 v[4:5], v4, -1
	v_lshlrev_b64_e64 v[56:57], v56, 1
	s_delay_alu instid0(VALU_DEP_2) | instskip(SKIP_1) | instid1(VALU_DEP_4)
	v_bfi_b32 v4, v4, 0, v2
	v_lshrrev_b64 v[2:3], v68, v[2:3]
	v_bfi_b32 v5, v5, 0, 0
	s_delay_alu instid0(VALU_DEP_1) | instskip(NEXT) | instid1(VALU_DEP_3)
	v_cmp_eq_u64_e64 s13, v[4:5], v[56:57]
	v_mov_b64_e32 v[4:5], v[2:3]
	s_and_saveexec_b32 s76, s13
; %bb.24517:                            ;   in Loop: Header=BB6_22365 Depth=3
	v_bfe_u32 v4, v2, 21, 1
	v_mov_b32_e32 v5, v113
	s_delay_alu instid0(VALU_DEP_1) | instskip(NEXT) | instid1(VALU_DEP_1)
	v_add_nc_u64_e32 v[4:5], v[2:3], v[4:5]
	v_add_nc_u64_e32 v[4:5], -1, v[4:5]
; %bb.24518:                            ;   in Loop: Header=BB6_22365 Depth=3
	s_or_b32 exec_lo, exec_lo, s76
	v_add_nc_u32_e32 v3, 0xffffff81, v55
	v_lshrrev_b32_e32 v5, 23, v2
	s_mov_b32 s13, exec_lo
	s_delay_alu instid0(VALU_DEP_2) | instskip(NEXT) | instid1(VALU_DEP_1)
	v_cndmask_b32_e64 v3, v3, 0xffffff82, vcc_lo
	v_add3_u32 v55, v68, v3, v5
	v_and_b32_e32 v3, 0x1fffff, v4
                                        ; implicit-def: $vgpr4
	s_delay_alu instid0(VALU_DEP_1) | instskip(SKIP_1) | instid1(VALU_DEP_2)
	v_dual_add_nc_u32 v5, 14, v55 :: v_dual_add_nc_u32 v2, v3, v2
	v_mov_b32_e32 v3, v113
	v_cmpx_ne_u32_e32 0, v5
	s_xor_b32 s13, exec_lo, s13
; %bb.24519:                            ;   in Loop: Header=BB6_22365 Depth=3
	s_delay_alu instid0(VALU_DEP_2) | instskip(SKIP_1) | instid1(VALU_DEP_1)
	v_cmp_lt_u64_e32 vcc_lo, 0xffffff, v[2:3]
	v_add_nc_u32_e32 v4, 15, v55
	v_cndmask_b32_e32 v4, v5, v4, vcc_lo
	v_cndmask_b32_e64 v5, 0, 1, vcc_lo
	s_delay_alu instid0(VALU_DEP_1)
	v_lshrrev_b64 v[2:3], v5, v[2:3]
; %bb.24520:                            ;   in Loop: Header=BB6_22365 Depth=3
	s_and_not1_saveexec_b32 s13, s13
; %bb.24521:                            ;   in Loop: Header=BB6_22365 Depth=3
	s_delay_alu instid0(VALU_DEP_1)
	v_bfe_u32 v4, v2, 23, 1
; %bb.24522:                            ;   in Loop: Header=BB6_22365 Depth=3
	s_or_b32 exec_lo, exec_lo, s13
	s_delay_alu instid0(VALU_DEP_2) | instskip(NEXT) | instid1(VALU_DEP_2)
	v_lshrrev_b64 v[2:3], 21, v[2:3]
	v_cmp_gt_i32_e32 vcc_lo, 32, v4
	v_min_i32_e32 v5, 31, v4
	v_cmp_eq_u32_e64 s13, 0, v4
	s_delay_alu instid0(VALU_DEP_2) | instskip(SKIP_1) | instid1(VALU_DEP_2)
	v_dual_cndmask_b32 v3, 0, v3, vcc_lo :: v_dual_lshlrev_b32 v5, 2, v5
	v_cndmask_b32_e32 v2, 3, v2, vcc_lo
	v_and_b32_e32 v5, 0xfc, v5
	s_delay_alu instid0(VALU_DEP_2) | instskip(NEXT) | instid1(VALU_DEP_2)
	v_cmp_eq_u64_e32 vcc_lo, 0, v[2:3]
	v_and_or_b32 v2, v2, 3, v5
	s_and_b32 s13, s13, vcc_lo
	s_delay_alu instid0(VALU_DEP_1) | instid1(SALU_CYCLE_1)
	v_cndmask_b32_e64 v2, v2, 0, s13
	s_delay_alu instid0(VALU_DEP_1)
	v_or_b32_e32 v55, v2, v1
.LBB6_24523:                            ;   in Loop: Header=BB6_22365 Depth=3
	s_or_b32 exec_lo, exec_lo, s75
                                        ; implicit-def: $vgpr1
.LBB6_24524:                            ;   in Loop: Header=BB6_22365 Depth=3
	s_and_not1_saveexec_b32 s13, s74
; %bb.24525:                            ;   in Loop: Header=BB6_22365 Depth=3
	v_or_b32_e32 v55, 0x7b, v1
; %bb.24526:                            ;   in Loop: Header=BB6_22365 Depth=3
	s_or_b32 exec_lo, exec_lo, s13
                                        ; implicit-def: $vgpr4
                                        ; implicit-def: $vgpr2_vgpr3
                                        ; implicit-def: $vgpr1
.LBB6_24527:                            ;   in Loop: Header=BB6_22365 Depth=3
	s_and_not1_saveexec_b32 s13, s73
	s_cbranch_execz .LBB6_24533
; %bb.24528:                            ;   in Loop: Header=BB6_22365 Depth=3
	s_mov_b32 s73, exec_lo
                                        ; implicit-def: $vgpr55
	v_cmpx_ne_u64_e32 0, v[2:3]
	s_xor_b32 s73, exec_lo, s73
; %bb.24529:                            ;   in Loop: Header=BB6_22365 Depth=3
	v_or_b32_e32 v55, 0x7f, v1
                                        ; implicit-def: $vgpr4
; %bb.24530:                            ;   in Loop: Header=BB6_22365 Depth=3
	s_and_not1_saveexec_b32 s73, s73
; %bb.24531:                            ;   in Loop: Header=BB6_22365 Depth=3
	v_cmp_lt_i32_e32 vcc_lo, -1, v4
	v_mov_b32_e32 v1, 0x7c
	s_delay_alu instid0(VALU_DEP_1)
	v_cndmask_b32_e32 v55, 0xfc, v1, vcc_lo
; %bb.24532:                            ;   in Loop: Header=BB6_22365 Depth=3
	s_or_b32 exec_lo, exec_lo, s73
.LBB6_24533:                            ;   in Loop: Header=BB6_22365 Depth=3
	s_delay_alu instid0(SALU_CYCLE_1) | instskip(SKIP_3) | instid1(VALU_DEP_2)
	s_or_b32 exec_lo, exec_lo, s13
	v_dual_mov_b32 v1, 0 :: v_dual_lshrrev_b32 v2, 16, v0
	v_mov_b32_e32 v3, 0
	s_mov_b32 s73, exec_lo
	v_and_b32_e32 v4, 0xff, v2
	s_delay_alu instid0(VALU_DEP_1)
	v_cmpx_ne_u16_e32 0, v4
	s_cbranch_execz .LBB6_24543
; %bb.24534:                            ;   in Loop: Header=BB6_22365 Depth=3
	v_bfrev_b32_e32 v3, 1
	s_mov_b32 s74, exec_lo
	v_cmpx_ne_u16_e32 0x80, v4
	s_cbranch_execz .LBB6_24542
; %bb.24535:                            ;   in Loop: Header=BB6_22365 Depth=3
	v_and_b32_e32 v3, 0x7c0000, v0
	v_bfe_u32 v4, v0, 16, 2
	s_delay_alu instid0(VALU_DEP_2) | instskip(SKIP_1) | instid1(SALU_CYCLE_1)
	v_cmp_ne_u32_e32 vcc_lo, 0x7c0000, v3
                                        ; implicit-def: $vgpr3
	s_and_saveexec_b32 s13, vcc_lo
	s_xor_b32 s13, exec_lo, s13
	s_cbranch_execz .LBB6_24539
; %bb.24536:                            ;   in Loop: Header=BB6_22365 Depth=3
	v_bfe_u32 v3, v0, 18, 5
	s_mov_b32 s75, exec_lo
	s_delay_alu instid0(VALU_DEP_1)
	v_cmpx_eq_u32_e32 0, v3
; %bb.24537:                            ;   in Loop: Header=BB6_22365 Depth=3
	v_clz_i32_u32_e32 v3, v4
	s_delay_alu instid0(VALU_DEP_1) | instskip(NEXT) | instid1(VALU_DEP_1)
	v_min_u32_e32 v3, 32, v3
	v_subrev_nc_u32_e32 v4, 29, v3
	s_delay_alu instid0(VALU_DEP_1) | instskip(NEXT) | instid1(VALU_DEP_1)
	v_lshlrev_b64_e32 v[4:5], v4, v[2:3]
	v_dual_sub_nc_u32 v3, 30, v3 :: v_dual_bitop2_b32 v4, 3, v4 bitop3:0x40
; %bb.24538:                            ;   in Loop: Header=BB6_22365 Depth=3
	s_or_b32 exec_lo, exec_lo, s75
	v_lshlrev_b32_e32 v2, 24, v2
	s_delay_alu instid0(VALU_DEP_1) | instskip(NEXT) | instid1(VALU_DEP_1)
	v_and_b32_e32 v2, 0x80000000, v2
	v_lshl_add_u32 v2, v3, 23, v2
	s_delay_alu instid0(VALU_DEP_1) | instskip(NEXT) | instid1(VALU_DEP_1)
	v_lshl_or_b32 v2, v4, 21, v2
                                        ; implicit-def: $vgpr4
	v_add_nc_u32_e32 v3, 0x38000000, v2
                                        ; implicit-def: $vgpr2
.LBB6_24539:                            ;   in Loop: Header=BB6_22365 Depth=3
	s_and_not1_saveexec_b32 s75, s13
; %bb.24540:                            ;   in Loop: Header=BB6_22365 Depth=3
	v_bfe_i32 v2, v2, 0, 8
	v_cmp_eq_u32_e32 vcc_lo, 0, v4
	s_delay_alu instid0(VALU_DEP_2) | instskip(SKIP_1) | instid1(VALU_DEP_1)
	v_cmp_lt_i16_e64 s13, -1, v2
	v_mov_b32_e32 v2, 0x7f800000
	v_cndmask_b32_e64 v2, 0xff800000, v2, s13
	s_delay_alu instid0(VALU_DEP_1)
	v_cndmask_b32_e32 v3, 0x7f800001, v2, vcc_lo
; %bb.24541:                            ;   in Loop: Header=BB6_22365 Depth=3
	s_or_b32 exec_lo, exec_lo, s75
.LBB6_24542:                            ;   in Loop: Header=BB6_22365 Depth=3
	s_delay_alu instid0(SALU_CYCLE_1)
	s_or_b32 exec_lo, exec_lo, s74
.LBB6_24543:                            ;   in Loop: Header=BB6_22365 Depth=3
	s_delay_alu instid0(SALU_CYCLE_1) | instskip(SKIP_2) | instid1(VALU_DEP_1)
	s_or_b32 exec_lo, exec_lo, s73
	v_lshrrev_b32_e32 v2, 16, v21
	s_mov_b32 s73, exec_lo
	v_and_b32_e32 v4, 0xff, v2
	s_delay_alu instid0(VALU_DEP_1)
	v_cmpx_ne_u16_e32 0, v4
	s_cbranch_execz .LBB6_24553
; %bb.24544:                            ;   in Loop: Header=BB6_22365 Depth=3
	v_bfrev_b32_e32 v1, 1
	s_mov_b32 s74, exec_lo
	v_cmpx_ne_u16_e32 0x80, v4
	s_cbranch_execz .LBB6_24552
; %bb.24545:                            ;   in Loop: Header=BB6_22365 Depth=3
	v_and_b32_e32 v1, 0x7c0000, v21
	v_bfe_u32 v4, v21, 16, 2
	s_delay_alu instid0(VALU_DEP_2) | instskip(SKIP_1) | instid1(SALU_CYCLE_1)
	v_cmp_ne_u32_e32 vcc_lo, 0x7c0000, v1
                                        ; implicit-def: $vgpr1
	s_and_saveexec_b32 s13, vcc_lo
	s_xor_b32 s13, exec_lo, s13
	s_cbranch_execz .LBB6_24549
; %bb.24546:                            ;   in Loop: Header=BB6_22365 Depth=3
	v_bfe_u32 v1, v21, 18, 5
	s_mov_b32 s75, exec_lo
	s_delay_alu instid0(VALU_DEP_1)
	v_cmpx_eq_u32_e32 0, v1
; %bb.24547:                            ;   in Loop: Header=BB6_22365 Depth=3
	v_clz_i32_u32_e32 v1, v4
	s_delay_alu instid0(VALU_DEP_1) | instskip(NEXT) | instid1(VALU_DEP_1)
	v_min_u32_e32 v1, 32, v1
	v_subrev_nc_u32_e32 v4, 29, v1
	s_delay_alu instid0(VALU_DEP_1) | instskip(NEXT) | instid1(VALU_DEP_1)
	v_lshlrev_b64_e32 v[4:5], v4, v[2:3]
	v_dual_sub_nc_u32 v1, 30, v1 :: v_dual_bitop2_b32 v4, 3, v4 bitop3:0x40
; %bb.24548:                            ;   in Loop: Header=BB6_22365 Depth=3
	s_or_b32 exec_lo, exec_lo, s75
	v_lshlrev_b32_e32 v2, 24, v2
	s_delay_alu instid0(VALU_DEP_1) | instskip(NEXT) | instid1(VALU_DEP_1)
	v_and_b32_e32 v2, 0x80000000, v2
	v_lshl_add_u32 v1, v1, 23, v2
                                        ; implicit-def: $vgpr2
	s_delay_alu instid0(VALU_DEP_1) | instskip(NEXT) | instid1(VALU_DEP_1)
	v_lshl_or_b32 v1, v4, 21, v1
                                        ; implicit-def: $vgpr4
	v_add_nc_u32_e32 v1, 0x38000000, v1
.LBB6_24549:                            ;   in Loop: Header=BB6_22365 Depth=3
	s_and_not1_saveexec_b32 s75, s13
; %bb.24550:                            ;   in Loop: Header=BB6_22365 Depth=3
	v_bfe_i32 v1, v2, 0, 8
	v_cmp_eq_u32_e32 vcc_lo, 0, v4
	s_delay_alu instid0(VALU_DEP_2) | instskip(SKIP_1) | instid1(VALU_DEP_1)
	v_cmp_lt_i16_e64 s13, -1, v1
	v_mov_b32_e32 v1, 0x7f800000
	v_cndmask_b32_e64 v1, 0xff800000, v1, s13
	s_delay_alu instid0(VALU_DEP_1)
	v_cndmask_b32_e32 v1, 0x7f800001, v1, vcc_lo
; %bb.24551:                            ;   in Loop: Header=BB6_22365 Depth=3
	s_or_b32 exec_lo, exec_lo, s75
.LBB6_24552:                            ;   in Loop: Header=BB6_22365 Depth=3
	s_delay_alu instid0(SALU_CYCLE_1)
	s_or_b32 exec_lo, exec_lo, s74
.LBB6_24553:                            ;   in Loop: Header=BB6_22365 Depth=3
	s_delay_alu instid0(SALU_CYCLE_1) | instskip(NEXT) | instid1(VALU_DEP_1)
	s_or_b32 exec_lo, exec_lo, s73
	v_dual_add_f32 v4, v3, v1 :: v_dual_mov_b32 v57, v113
	v_mov_b32_e32 v3, v113
                                        ; implicit-def: $vgpr68
	s_mov_b32 s13, exec_lo
	s_delay_alu instid0(VALU_DEP_2) | instskip(SKIP_2) | instid1(VALU_DEP_3)
	v_and_b32_e32 v56, 0x7f800000, v4
	v_and_b32_e32 v2, 0x7fffff, v4
	v_lshrrev_b32_e32 v1, 24, v4
	v_cmpx_ne_u64_e32 0x7f800000, v[56:57]
	s_xor_b32 s73, exec_lo, s13
	s_cbranch_execz .LBB6_24567
; %bb.24554:                            ;   in Loop: Header=BB6_22365 Depth=3
	v_and_b32_e32 v56, 0x7fffffff, v4
	v_mov_b32_e32 v57, v113
	v_and_b32_e32 v1, 0x80, v1
                                        ; implicit-def: $vgpr68
	s_mov_b32 s13, exec_lo
	s_delay_alu instid0(VALU_DEP_2)
	v_cmpx_gt_u64_e32 0x47600001, v[56:57]
	s_xor_b32 s74, exec_lo, s13
	s_cbranch_execz .LBB6_24564
; %bb.24555:                            ;   in Loop: Header=BB6_22365 Depth=3
	v_mov_b32_e32 v68, 0
	s_mov_b32 s75, exec_lo
	v_cmpx_ne_u32_e32 0, v4
	s_cbranch_execz .LBB6_24563
; %bb.24556:                            ;   in Loop: Header=BB6_22365 Depth=3
	v_bfe_u32 v68, v4, 23, 8
	v_or_b32_e32 v5, 0x800000, v2
	s_delay_alu instid0(VALU_DEP_2) | instskip(SKIP_2) | instid1(VALU_DEP_2)
	v_cmp_gt_u32_e64 s13, 0x72, v68
	v_sub_nc_u32_e32 v4, 0x71, v68
	v_cmp_eq_u32_e32 vcc_lo, 0, v68
	v_dual_cndmask_b32 v4, 0, v4, s13 :: v_dual_cndmask_b32 v2, v5, v2, vcc_lo
	s_delay_alu instid0(VALU_DEP_1) | instskip(NEXT) | instid1(VALU_DEP_1)
	v_cndmask_b32_e64 v56, v4, 0x70, vcc_lo
	v_dual_add_nc_u32 v4, 21, v56 :: v_dual_add_nc_u32 v57, 20, v56
	s_delay_alu instid0(VALU_DEP_1) | instskip(NEXT) | instid1(VALU_DEP_2)
	v_lshlrev_b64_e64 v[4:5], v4, -1
	v_lshlrev_b64_e64 v[58:59], v57, 1
	s_delay_alu instid0(VALU_DEP_2) | instskip(SKIP_1) | instid1(VALU_DEP_4)
	v_bfi_b32 v4, v4, 0, v2
	v_lshrrev_b64 v[2:3], v56, v[2:3]
	v_bfi_b32 v5, v5, 0, 0
	s_delay_alu instid0(VALU_DEP_1) | instskip(NEXT) | instid1(VALU_DEP_3)
	v_cmp_eq_u64_e64 s13, v[4:5], v[58:59]
	v_mov_b64_e32 v[4:5], v[2:3]
	s_and_saveexec_b32 s76, s13
; %bb.24557:                            ;   in Loop: Header=BB6_22365 Depth=3
	v_bfe_u32 v4, v2, 21, 1
	v_mov_b32_e32 v5, v113
	s_delay_alu instid0(VALU_DEP_1) | instskip(NEXT) | instid1(VALU_DEP_1)
	v_add_nc_u64_e32 v[4:5], v[2:3], v[4:5]
	v_add_nc_u64_e32 v[4:5], -1, v[4:5]
; %bb.24558:                            ;   in Loop: Header=BB6_22365 Depth=3
	s_or_b32 exec_lo, exec_lo, s76
	v_add_nc_u32_e32 v3, 0xffffff81, v68
	v_lshrrev_b32_e32 v5, 23, v2
	s_mov_b32 s13, exec_lo
	s_delay_alu instid0(VALU_DEP_2) | instskip(NEXT) | instid1(VALU_DEP_1)
	v_cndmask_b32_e64 v3, v3, 0xffffff82, vcc_lo
	v_add3_u32 v68, v56, v3, v5
	v_and_b32_e32 v3, 0x1fffff, v4
                                        ; implicit-def: $vgpr4
	s_delay_alu instid0(VALU_DEP_1) | instskip(SKIP_1) | instid1(VALU_DEP_2)
	v_dual_add_nc_u32 v5, 14, v68 :: v_dual_add_nc_u32 v2, v3, v2
	v_mov_b32_e32 v3, v113
	v_cmpx_ne_u32_e32 0, v5
	s_xor_b32 s13, exec_lo, s13
; %bb.24559:                            ;   in Loop: Header=BB6_22365 Depth=3
	s_delay_alu instid0(VALU_DEP_2) | instskip(SKIP_1) | instid1(VALU_DEP_1)
	v_cmp_lt_u64_e32 vcc_lo, 0xffffff, v[2:3]
	v_add_nc_u32_e32 v4, 15, v68
	v_cndmask_b32_e32 v4, v5, v4, vcc_lo
	v_cndmask_b32_e64 v5, 0, 1, vcc_lo
	s_delay_alu instid0(VALU_DEP_1)
	v_lshrrev_b64 v[2:3], v5, v[2:3]
; %bb.24560:                            ;   in Loop: Header=BB6_22365 Depth=3
	s_and_not1_saveexec_b32 s13, s13
; %bb.24561:                            ;   in Loop: Header=BB6_22365 Depth=3
	s_delay_alu instid0(VALU_DEP_1)
	v_bfe_u32 v4, v2, 23, 1
; %bb.24562:                            ;   in Loop: Header=BB6_22365 Depth=3
	s_or_b32 exec_lo, exec_lo, s13
	s_delay_alu instid0(VALU_DEP_2) | instskip(NEXT) | instid1(VALU_DEP_2)
	v_lshrrev_b64 v[2:3], 21, v[2:3]
	v_cmp_gt_i32_e32 vcc_lo, 32, v4
	v_min_i32_e32 v5, 31, v4
	v_cmp_eq_u32_e64 s13, 0, v4
	s_delay_alu instid0(VALU_DEP_2) | instskip(SKIP_1) | instid1(VALU_DEP_2)
	v_dual_cndmask_b32 v3, 0, v3, vcc_lo :: v_dual_lshlrev_b32 v5, 2, v5
	v_cndmask_b32_e32 v2, 3, v2, vcc_lo
	v_and_b32_e32 v5, 0xfc, v5
	s_delay_alu instid0(VALU_DEP_2) | instskip(NEXT) | instid1(VALU_DEP_2)
	v_cmp_eq_u64_e32 vcc_lo, 0, v[2:3]
	v_and_or_b32 v2, v2, 3, v5
	s_and_b32 s13, s13, vcc_lo
	s_delay_alu instid0(VALU_DEP_1) | instid1(SALU_CYCLE_1)
	v_cndmask_b32_e64 v2, v2, 0, s13
	s_delay_alu instid0(VALU_DEP_1)
	v_or_b32_e32 v68, v2, v1
.LBB6_24563:                            ;   in Loop: Header=BB6_22365 Depth=3
	s_or_b32 exec_lo, exec_lo, s75
                                        ; implicit-def: $vgpr1
.LBB6_24564:                            ;   in Loop: Header=BB6_22365 Depth=3
	s_and_not1_saveexec_b32 s13, s74
; %bb.24565:                            ;   in Loop: Header=BB6_22365 Depth=3
	v_or_b32_e32 v68, 0x7b, v1
; %bb.24566:                            ;   in Loop: Header=BB6_22365 Depth=3
	s_or_b32 exec_lo, exec_lo, s13
                                        ; implicit-def: $vgpr4
                                        ; implicit-def: $vgpr2_vgpr3
                                        ; implicit-def: $vgpr1
.LBB6_24567:                            ;   in Loop: Header=BB6_22365 Depth=3
	s_and_not1_saveexec_b32 s13, s73
	s_cbranch_execz .LBB6_24573
; %bb.24568:                            ;   in Loop: Header=BB6_22365 Depth=3
	s_mov_b32 s73, exec_lo
                                        ; implicit-def: $vgpr68
	v_cmpx_ne_u64_e32 0, v[2:3]
	s_xor_b32 s73, exec_lo, s73
; %bb.24569:                            ;   in Loop: Header=BB6_22365 Depth=3
	v_or_b32_e32 v68, 0x7f, v1
                                        ; implicit-def: $vgpr4
; %bb.24570:                            ;   in Loop: Header=BB6_22365 Depth=3
	s_and_not1_saveexec_b32 s73, s73
; %bb.24571:                            ;   in Loop: Header=BB6_22365 Depth=3
	v_cmp_lt_i32_e32 vcc_lo, -1, v4
	v_mov_b32_e32 v1, 0x7c
	s_delay_alu instid0(VALU_DEP_1)
	v_cndmask_b32_e32 v68, 0xfc, v1, vcc_lo
; %bb.24572:                            ;   in Loop: Header=BB6_22365 Depth=3
	s_or_b32 exec_lo, exec_lo, s73
.LBB6_24573:                            ;   in Loop: Header=BB6_22365 Depth=3
	s_delay_alu instid0(SALU_CYCLE_1)
	s_or_b32 exec_lo, exec_lo, s13
	v_dual_mov_b32 v3, 0 :: v_dual_mov_b32 v4, 0
	s_mov_b32 s73, exec_lo
	v_cmpx_lt_u32_e32 0xffffff, v0
	s_cbranch_execz .LBB6_24583
; %bb.24574:                            ;   in Loop: Header=BB6_22365 Depth=3
	v_lshrrev_b32_e32 v2, 24, v0
	v_bfrev_b32_e32 v4, 1
	s_mov_b32 s74, exec_lo
	s_delay_alu instid0(VALU_DEP_2)
	v_cmpx_ne_u32_e32 0x80, v2
	s_cbranch_execz .LBB6_24582
; %bb.24575:                            ;   in Loop: Header=BB6_22365 Depth=3
	v_and_b32_e32 v1, 0x7c000000, v0
	v_bfe_u32 v5, v0, 24, 2
	s_mov_b32 s13, exec_lo
                                        ; implicit-def: $vgpr4
	s_delay_alu instid0(VALU_DEP_2)
	v_cmpx_ne_u32_e32 0x7c000000, v1
	s_xor_b32 s13, exec_lo, s13
	s_cbranch_execz .LBB6_24579
; %bb.24576:                            ;   in Loop: Header=BB6_22365 Depth=3
	v_bfe_u32 v1, v0, 26, 5
	s_mov_b32 s75, exec_lo
	s_delay_alu instid0(VALU_DEP_1)
	v_cmpx_eq_u32_e32 0, v1
; %bb.24577:                            ;   in Loop: Header=BB6_22365 Depth=3
	v_clz_i32_u32_e32 v1, v5
	s_delay_alu instid0(VALU_DEP_1) | instskip(NEXT) | instid1(VALU_DEP_1)
	v_min_u32_e32 v1, 32, v1
	v_subrev_nc_u32_e32 v4, 29, v1
	s_delay_alu instid0(VALU_DEP_1) | instskip(NEXT) | instid1(VALU_DEP_1)
	v_lshlrev_b64_e32 v[4:5], v4, v[2:3]
	v_dual_sub_nc_u32 v1, 30, v1 :: v_dual_bitop2_b32 v5, 3, v4 bitop3:0x40
; %bb.24578:                            ;   in Loop: Header=BB6_22365 Depth=3
	s_or_b32 exec_lo, exec_lo, s75
	v_and_b32_e32 v0, 0x80000000, v0
	s_delay_alu instid0(VALU_DEP_1) | instskip(NEXT) | instid1(VALU_DEP_1)
	v_lshl_add_u32 v0, v1, 23, v0
	v_lshl_or_b32 v0, v5, 21, v0
                                        ; implicit-def: $vgpr5
	s_delay_alu instid0(VALU_DEP_1)
	v_add_nc_u32_e32 v4, 0x38000000, v0
                                        ; implicit-def: $vgpr0_vgpr1
.LBB6_24579:                            ;   in Loop: Header=BB6_22365 Depth=3
	s_and_not1_saveexec_b32 s75, s13
; %bb.24580:                            ;   in Loop: Header=BB6_22365 Depth=3
	v_cmp_lt_i32_e64 s13, -1, v0
	v_mov_b32_e32 v0, 0x7f800000
	v_cmp_eq_u32_e32 vcc_lo, 0, v5
	s_delay_alu instid0(VALU_DEP_2) | instskip(NEXT) | instid1(VALU_DEP_1)
	v_cndmask_b32_e64 v0, 0xff800000, v0, s13
	v_cndmask_b32_e32 v4, 0x7f800001, v0, vcc_lo
; %bb.24581:                            ;   in Loop: Header=BB6_22365 Depth=3
	s_or_b32 exec_lo, exec_lo, s75
.LBB6_24582:                            ;   in Loop: Header=BB6_22365 Depth=3
	s_delay_alu instid0(SALU_CYCLE_1)
	s_or_b32 exec_lo, exec_lo, s74
.LBB6_24583:                            ;   in Loop: Header=BB6_22365 Depth=3
	s_delay_alu instid0(SALU_CYCLE_1) | instskip(NEXT) | instid1(SALU_CYCLE_1)
	s_or_b32 exec_lo, exec_lo, s73
	s_mov_b32 s73, exec_lo
	v_cmpx_lt_u64_e64 s[22:23], v[20:21]
	s_cbranch_execz .LBB6_24593
; %bb.24584:                            ;   in Loop: Header=BB6_22365 Depth=3
	v_lshrrev_b32_e32 v0, 24, v21
	v_bfrev_b32_e32 v3, 1
	s_mov_b32 s74, exec_lo
	s_delay_alu instid0(VALU_DEP_2)
	v_cmpx_ne_u32_e32 0x80, v0
	s_cbranch_execz .LBB6_24592
; %bb.24585:                            ;   in Loop: Header=BB6_22365 Depth=3
	v_and_b32_e32 v2, 0x7c000000, v21
	v_bfe_u32 v1, v21, 24, 2
	s_mov_b32 s13, exec_lo
                                        ; implicit-def: $vgpr3
	s_delay_alu instid0(VALU_DEP_2)
	v_cmpx_ne_u32_e32 0x7c000000, v2
	s_xor_b32 s13, exec_lo, s13
	s_cbranch_execz .LBB6_24589
; %bb.24586:                            ;   in Loop: Header=BB6_22365 Depth=3
	v_bfe_u32 v2, v21, 26, 5
	s_mov_b32 s75, exec_lo
	s_delay_alu instid0(VALU_DEP_1)
	v_cmpx_eq_u32_e32 0, v2
; %bb.24587:                            ;   in Loop: Header=BB6_22365 Depth=3
	v_clz_i32_u32_e32 v1, v1
	s_delay_alu instid0(VALU_DEP_1) | instskip(NEXT) | instid1(VALU_DEP_1)
	v_min_u32_e32 v2, 32, v1
	v_subrev_nc_u32_e32 v1, 29, v2
	s_delay_alu instid0(VALU_DEP_1) | instskip(NEXT) | instid1(VALU_DEP_1)
	v_lshlrev_b64_e32 v[0:1], v1, v[0:1]
	v_dual_sub_nc_u32 v2, 30, v2 :: v_dual_bitop2_b32 v1, 3, v0 bitop3:0x40
; %bb.24588:                            ;   in Loop: Header=BB6_22365 Depth=3
	s_or_b32 exec_lo, exec_lo, s75
	v_and_b32_e32 v0, 0x80000000, v21
	s_delay_alu instid0(VALU_DEP_1) | instskip(NEXT) | instid1(VALU_DEP_1)
	v_lshl_add_u32 v0, v2, 23, v0
	v_lshl_or_b32 v0, v1, 21, v0
                                        ; implicit-def: $vgpr1
	s_delay_alu instid0(VALU_DEP_1)
	v_add_nc_u32_e32 v3, 0x38000000, v0
.LBB6_24589:                            ;   in Loop: Header=BB6_22365 Depth=3
	s_and_not1_saveexec_b32 s75, s13
; %bb.24590:                            ;   in Loop: Header=BB6_22365 Depth=3
	v_cmp_lt_i64_e64 s13, -1, v[20:21]
	v_mov_b32_e32 v0, 0x7f800000
	v_cmp_eq_u32_e32 vcc_lo, 0, v1
	s_delay_alu instid0(VALU_DEP_2) | instskip(NEXT) | instid1(VALU_DEP_1)
	v_cndmask_b32_e64 v0, 0xff800000, v0, s13
	v_cndmask_b32_e32 v3, 0x7f800001, v0, vcc_lo
; %bb.24591:                            ;   in Loop: Header=BB6_22365 Depth=3
	s_or_b32 exec_lo, exec_lo, s75
.LBB6_24592:                            ;   in Loop: Header=BB6_22365 Depth=3
	s_delay_alu instid0(SALU_CYCLE_1)
	s_or_b32 exec_lo, exec_lo, s74
.LBB6_24593:                            ;   in Loop: Header=BB6_22365 Depth=3
	s_delay_alu instid0(SALU_CYCLE_1) | instskip(NEXT) | instid1(VALU_DEP_1)
	s_or_b32 exec_lo, exec_lo, s73
	v_dual_add_f32 v2, v4, v3 :: v_dual_mov_b32 v5, v113
	v_mov_b32_e32 v1, v113
                                        ; implicit-def: $vgpr20
	s_mov_b32 s13, exec_lo
	s_delay_alu instid0(VALU_DEP_2) | instskip(SKIP_2) | instid1(VALU_DEP_3)
	v_and_b32_e32 v4, 0x7f800000, v2
	v_and_b32_e32 v0, 0x7fffff, v2
	v_lshrrev_b32_e32 v3, 24, v2
	v_cmpx_ne_u64_e32 0x7f800000, v[4:5]
	s_xor_b32 s73, exec_lo, s13
	s_cbranch_execz .LBB6_24607
; %bb.24594:                            ;   in Loop: Header=BB6_22365 Depth=3
	v_and_b32_e32 v4, 0x7fffffff, v2
	v_mov_b32_e32 v5, v113
                                        ; implicit-def: $vgpr20
	s_delay_alu instid0(VALU_DEP_1) | instskip(SKIP_2) | instid1(SALU_CYCLE_1)
	v_cmp_gt_u64_e32 vcc_lo, 0x47600001, v[4:5]
	v_and_b32_e32 v4, 0x80, v3
	s_and_saveexec_b32 s13, vcc_lo
	s_xor_b32 s74, exec_lo, s13
	s_cbranch_execz .LBB6_24604
; %bb.24595:                            ;   in Loop: Header=BB6_22365 Depth=3
	v_mov_b32_e32 v20, 0
	s_mov_b32 s75, exec_lo
	v_cmpx_ne_u32_e32 0, v2
	s_cbranch_execz .LBB6_24603
; %bb.24596:                            ;   in Loop: Header=BB6_22365 Depth=3
	v_bfe_u32 v5, v2, 23, 8
	v_or_b32_e32 v3, 0x800000, v0
	s_delay_alu instid0(VALU_DEP_2) | instskip(SKIP_2) | instid1(VALU_DEP_2)
	v_cmp_gt_u32_e64 s13, 0x72, v5
	v_sub_nc_u32_e32 v2, 0x71, v5
	v_cmp_eq_u32_e32 vcc_lo, 0, v5
	v_dual_cndmask_b32 v2, 0, v2, s13 :: v_dual_cndmask_b32 v0, v3, v0, vcc_lo
	s_delay_alu instid0(VALU_DEP_1) | instskip(NEXT) | instid1(VALU_DEP_1)
	v_cndmask_b32_e64 v20, v2, 0x70, vcc_lo
	v_dual_add_nc_u32 v2, 21, v20 :: v_dual_add_nc_u32 v21, 20, v20
	s_delay_alu instid0(VALU_DEP_1) | instskip(NEXT) | instid1(VALU_DEP_2)
	v_lshlrev_b64_e64 v[2:3], v2, -1
	v_lshlrev_b64_e64 v[56:57], v21, 1
	s_delay_alu instid0(VALU_DEP_2) | instskip(SKIP_1) | instid1(VALU_DEP_4)
	v_bfi_b32 v2, v2, 0, v0
	v_lshrrev_b64 v[0:1], v20, v[0:1]
	v_bfi_b32 v3, v3, 0, 0
	s_delay_alu instid0(VALU_DEP_1) | instskip(NEXT) | instid1(VALU_DEP_3)
	v_cmp_eq_u64_e64 s13, v[2:3], v[56:57]
	v_mov_b64_e32 v[2:3], v[0:1]
	s_and_saveexec_b32 s76, s13
; %bb.24597:                            ;   in Loop: Header=BB6_22365 Depth=3
	v_bfe_u32 v2, v0, 21, 1
	v_mov_b32_e32 v3, v113
	s_delay_alu instid0(VALU_DEP_1) | instskip(NEXT) | instid1(VALU_DEP_1)
	v_add_nc_u64_e32 v[2:3], v[0:1], v[2:3]
	v_add_nc_u64_e32 v[2:3], -1, v[2:3]
; %bb.24598:                            ;   in Loop: Header=BB6_22365 Depth=3
	s_or_b32 exec_lo, exec_lo, s76
	v_add_nc_u32_e32 v1, 0xffffff81, v5
	v_lshrrev_b32_e32 v3, 23, v0
	s_mov_b32 s13, exec_lo
	s_delay_alu instid0(VALU_DEP_2) | instskip(NEXT) | instid1(VALU_DEP_1)
	v_cndmask_b32_e64 v1, v1, 0xffffff82, vcc_lo
	v_add3_u32 v5, v20, v1, v3
	v_and_b32_e32 v1, 0x1fffff, v2
                                        ; implicit-def: $vgpr2
	s_delay_alu instid0(VALU_DEP_1) | instskip(SKIP_1) | instid1(VALU_DEP_2)
	v_dual_add_nc_u32 v3, 14, v5 :: v_dual_add_nc_u32 v0, v1, v0
	v_mov_b32_e32 v1, v113
	v_cmpx_ne_u32_e32 0, v3
	s_xor_b32 s13, exec_lo, s13
; %bb.24599:                            ;   in Loop: Header=BB6_22365 Depth=3
	s_delay_alu instid0(VALU_DEP_2) | instskip(SKIP_1) | instid1(VALU_DEP_1)
	v_cmp_lt_u64_e32 vcc_lo, 0xffffff, v[0:1]
	v_add_nc_u32_e32 v2, 15, v5
	v_cndmask_b32_e32 v2, v3, v2, vcc_lo
	v_cndmask_b32_e64 v3, 0, 1, vcc_lo
	s_delay_alu instid0(VALU_DEP_1)
	v_lshrrev_b64 v[0:1], v3, v[0:1]
; %bb.24600:                            ;   in Loop: Header=BB6_22365 Depth=3
	s_and_not1_saveexec_b32 s13, s13
; %bb.24601:                            ;   in Loop: Header=BB6_22365 Depth=3
	s_delay_alu instid0(VALU_DEP_1)
	v_bfe_u32 v2, v0, 23, 1
; %bb.24602:                            ;   in Loop: Header=BB6_22365 Depth=3
	s_or_b32 exec_lo, exec_lo, s13
	s_delay_alu instid0(VALU_DEP_2) | instskip(NEXT) | instid1(VALU_DEP_2)
	v_lshrrev_b64 v[0:1], 21, v[0:1]
	v_cmp_gt_i32_e32 vcc_lo, 32, v2
	v_min_i32_e32 v3, 31, v2
	v_cmp_eq_u32_e64 s13, 0, v2
	s_delay_alu instid0(VALU_DEP_2) | instskip(SKIP_1) | instid1(VALU_DEP_2)
	v_dual_cndmask_b32 v1, 0, v1, vcc_lo :: v_dual_lshlrev_b32 v3, 2, v3
	v_cndmask_b32_e32 v0, 3, v0, vcc_lo
	v_and_b32_e32 v3, 0xfc, v3
	s_delay_alu instid0(VALU_DEP_2) | instskip(NEXT) | instid1(VALU_DEP_2)
	v_cmp_eq_u64_e32 vcc_lo, 0, v[0:1]
	v_and_or_b32 v0, v0, 3, v3
	s_and_b32 s13, s13, vcc_lo
	s_delay_alu instid0(VALU_DEP_1) | instid1(SALU_CYCLE_1)
	v_cndmask_b32_e64 v0, v0, 0, s13
	s_delay_alu instid0(VALU_DEP_1)
	v_or_b32_e32 v20, v0, v4
.LBB6_24603:                            ;   in Loop: Header=BB6_22365 Depth=3
	s_or_b32 exec_lo, exec_lo, s75
                                        ; implicit-def: $vgpr4
.LBB6_24604:                            ;   in Loop: Header=BB6_22365 Depth=3
	s_and_not1_saveexec_b32 s13, s74
; %bb.24605:                            ;   in Loop: Header=BB6_22365 Depth=3
	v_or_b32_e32 v20, 0x7b, v4
; %bb.24606:                            ;   in Loop: Header=BB6_22365 Depth=3
	s_or_b32 exec_lo, exec_lo, s13
                                        ; implicit-def: $vgpr2
                                        ; implicit-def: $vgpr0_vgpr1
                                        ; implicit-def: $vgpr3
.LBB6_24607:                            ;   in Loop: Header=BB6_22365 Depth=3
	s_and_not1_saveexec_b32 s13, s73
	s_cbranch_execz .LBB6_24613
; %bb.24608:                            ;   in Loop: Header=BB6_22365 Depth=3
	s_mov_b32 s73, exec_lo
                                        ; implicit-def: $vgpr20
	v_cmpx_ne_u64_e32 0, v[0:1]
	s_xor_b32 s73, exec_lo, s73
; %bb.24609:                            ;   in Loop: Header=BB6_22365 Depth=3
	v_or_b32_e32 v20, 0x7f, v3
                                        ; implicit-def: $vgpr2
; %bb.24610:                            ;   in Loop: Header=BB6_22365 Depth=3
	s_and_not1_saveexec_b32 s73, s73
; %bb.24611:                            ;   in Loop: Header=BB6_22365 Depth=3
	v_cmp_lt_i32_e32 vcc_lo, -1, v2
	v_mov_b32_e32 v0, 0x7c
	s_delay_alu instid0(VALU_DEP_1)
	v_cndmask_b32_e32 v20, 0xfc, v0, vcc_lo
; %bb.24612:                            ;   in Loop: Header=BB6_22365 Depth=3
	s_or_b32 exec_lo, exec_lo, s73
.LBB6_24613:                            ;   in Loop: Header=BB6_22365 Depth=3
	s_delay_alu instid0(SALU_CYCLE_1) | instskip(SKIP_4) | instid1(VALU_DEP_2)
	s_or_b32 exec_lo, exec_lo, s13
	v_lshl_or_b32 v112, v112, 8, v99
	v_dual_lshlrev_b32 v0, 16, v118 :: v_dual_lshlrev_b32 v2, 24, v47
	v_dual_mov_b32 v1, v113 :: v_dual_mov_b32 v3, 0
	s_mov_b32 s73, exec_lo
	v_or3_b32 v0, v0, v2, v112
	v_mov_b32_e32 v2, 0
	v_cmpx_ne_u32_e32 0, v99
	s_cbranch_execz .LBB6_24623
; %bb.24614:                            ;   in Loop: Header=BB6_22365 Depth=3
	v_bfrev_b32_e32 v3, 1
	s_mov_b32 s74, exec_lo
	v_cmpx_ne_u32_e32 0x80, v99
	s_cbranch_execz .LBB6_24622
; %bb.24615:                            ;   in Loop: Header=BB6_22365 Depth=3
	v_and_b32_e32 v3, 0x7c, v99
	v_and_b32_e32 v4, 3, v99
	s_delay_alu instid0(VALU_DEP_2) | instskip(SKIP_1) | instid1(SALU_CYCLE_1)
	v_cmp_ne_u32_e32 vcc_lo, 0x7c, v3
                                        ; implicit-def: $vgpr3
	s_and_saveexec_b32 s13, vcc_lo
	s_xor_b32 s13, exec_lo, s13
	s_cbranch_execz .LBB6_24619
; %bb.24616:                            ;   in Loop: Header=BB6_22365 Depth=3
	v_bfe_u32 v3, v99, 2, 5
	s_mov_b32 s75, exec_lo
	s_delay_alu instid0(VALU_DEP_1)
	v_cmpx_eq_u32_e32 0, v3
; %bb.24617:                            ;   in Loop: Header=BB6_22365 Depth=3
	v_clz_i32_u32_e32 v3, v4
	s_delay_alu instid0(VALU_DEP_1) | instskip(NEXT) | instid1(VALU_DEP_1)
	v_min_u32_e32 v3, 32, v3
	v_subrev_nc_u32_e32 v4, 29, v3
	s_delay_alu instid0(VALU_DEP_1) | instskip(NEXT) | instid1(VALU_DEP_1)
	v_lshlrev_b64_e32 v[4:5], v4, v[0:1]
	v_dual_sub_nc_u32 v3, 30, v3 :: v_dual_bitop2_b32 v4, 3, v4 bitop3:0x40
; %bb.24618:                            ;   in Loop: Header=BB6_22365 Depth=3
	s_or_b32 exec_lo, exec_lo, s75
	v_lshlrev_b32_e32 v1, 24, v99
                                        ; implicit-def: $vgpr99
	s_delay_alu instid0(VALU_DEP_1) | instskip(NEXT) | instid1(VALU_DEP_1)
	v_and_b32_e32 v1, 0x80000000, v1
	v_lshl_add_u32 v1, v3, 23, v1
	s_delay_alu instid0(VALU_DEP_1) | instskip(NEXT) | instid1(VALU_DEP_1)
	v_lshl_or_b32 v1, v4, 21, v1
                                        ; implicit-def: $vgpr4
	v_add_nc_u32_e32 v3, 0x38000000, v1
.LBB6_24619:                            ;   in Loop: Header=BB6_22365 Depth=3
	s_and_not1_saveexec_b32 s75, s13
; %bb.24620:                            ;   in Loop: Header=BB6_22365 Depth=3
	v_and_b32_e32 v1, 0x80, v99
	v_cmp_eq_u32_e32 vcc_lo, 0, v4
	s_delay_alu instid0(VALU_DEP_2) | instskip(SKIP_1) | instid1(VALU_DEP_1)
	v_cmp_eq_u32_e64 s13, 0, v1
	v_mov_b32_e32 v1, 0x7f800000
	v_cndmask_b32_e64 v1, 0xff800000, v1, s13
	s_delay_alu instid0(VALU_DEP_1)
	v_cndmask_b32_e32 v3, 0x7f800001, v1, vcc_lo
; %bb.24621:                            ;   in Loop: Header=BB6_22365 Depth=3
	s_or_b32 exec_lo, exec_lo, s75
.LBB6_24622:                            ;   in Loop: Header=BB6_22365 Depth=3
	s_delay_alu instid0(SALU_CYCLE_1)
	s_or_b32 exec_lo, exec_lo, s74
.LBB6_24623:                            ;   in Loop: Header=BB6_22365 Depth=3
	s_delay_alu instid0(SALU_CYCLE_1) | instskip(SKIP_2) | instid1(VALU_DEP_1)
	s_or_b32 exec_lo, exec_lo, s73
	v_and_b32_e32 v1, 0xff, v22
	s_mov_b32 s73, exec_lo
	v_cmpx_ne_u16_e32 0, v1
	s_cbranch_execz .LBB6_24633
; %bb.24624:                            ;   in Loop: Header=BB6_22365 Depth=3
	v_bfe_i32 v4, v22, 0, 8
	v_bfrev_b32_e32 v2, 1
	s_mov_b32 s74, exec_lo
	s_delay_alu instid0(VALU_DEP_2)
	v_cmpx_ne_u16_e32 0xff80, v4
	s_cbranch_execz .LBB6_24632
; %bb.24625:                            ;   in Loop: Header=BB6_22365 Depth=3
	v_and_b32_e32 v2, 0x7c, v22
	v_and_b32_e32 v1, 3, v22
	s_delay_alu instid0(VALU_DEP_2) | instskip(SKIP_1) | instid1(SALU_CYCLE_1)
	v_cmp_ne_u32_e32 vcc_lo, 0x7c, v2
                                        ; implicit-def: $vgpr2
	s_and_saveexec_b32 s13, vcc_lo
	s_xor_b32 s13, exec_lo, s13
	s_cbranch_execz .LBB6_24629
; %bb.24626:                            ;   in Loop: Header=BB6_22365 Depth=3
	v_bfe_u32 v2, v22, 2, 5
	s_mov_b32 s75, exec_lo
	s_delay_alu instid0(VALU_DEP_1)
	v_cmpx_eq_u32_e32 0, v2
; %bb.24627:                            ;   in Loop: Header=BB6_22365 Depth=3
	v_clz_i32_u32_e32 v1, v1
	s_delay_alu instid0(VALU_DEP_1) | instskip(NEXT) | instid1(VALU_DEP_1)
	v_min_u32_e32 v1, 32, v1
	v_subrev_nc_u32_e32 v2, 29, v1
	s_delay_alu instid0(VALU_DEP_1) | instskip(NEXT) | instid1(VALU_DEP_1)
	v_lshlrev_b64_e32 v[4:5], v2, v[22:23]
	v_dual_sub_nc_u32 v2, 30, v1 :: v_dual_bitop2_b32 v1, 3, v4 bitop3:0x40
; %bb.24628:                            ;   in Loop: Header=BB6_22365 Depth=3
	s_or_b32 exec_lo, exec_lo, s75
	v_lshlrev_b32_e32 v4, 24, v22
	s_delay_alu instid0(VALU_DEP_1) | instskip(NEXT) | instid1(VALU_DEP_1)
	v_and_b32_e32 v4, 0x80000000, v4
	v_lshl_add_u32 v2, v2, 23, v4
                                        ; implicit-def: $vgpr4
	s_delay_alu instid0(VALU_DEP_1) | instskip(NEXT) | instid1(VALU_DEP_1)
	v_lshl_or_b32 v1, v1, 21, v2
	v_add_nc_u32_e32 v2, 0x38000000, v1
                                        ; implicit-def: $vgpr1
.LBB6_24629:                            ;   in Loop: Header=BB6_22365 Depth=3
	s_and_not1_saveexec_b32 s75, s13
; %bb.24630:                            ;   in Loop: Header=BB6_22365 Depth=3
	v_cmp_eq_u32_e32 vcc_lo, 0, v1
	v_cmp_lt_i16_e64 s13, -1, v4
	v_mov_b32_e32 v1, 0x7f800000
	s_delay_alu instid0(VALU_DEP_1) | instskip(NEXT) | instid1(VALU_DEP_1)
	v_cndmask_b32_e64 v1, 0xff800000, v1, s13
	v_cndmask_b32_e32 v2, 0x7f800001, v1, vcc_lo
; %bb.24631:                            ;   in Loop: Header=BB6_22365 Depth=3
	s_or_b32 exec_lo, exec_lo, s75
.LBB6_24632:                            ;   in Loop: Header=BB6_22365 Depth=3
	s_delay_alu instid0(SALU_CYCLE_1)
	s_or_b32 exec_lo, exec_lo, s74
.LBB6_24633:                            ;   in Loop: Header=BB6_22365 Depth=3
	s_delay_alu instid0(SALU_CYCLE_1) | instskip(NEXT) | instid1(VALU_DEP_1)
	s_or_b32 exec_lo, exec_lo, s73
	v_dual_add_f32 v4, v3, v2 :: v_dual_mov_b32 v57, v113
	v_mov_b32_e32 v3, v113
                                        ; implicit-def: $vgpr21
	s_mov_b32 s13, exec_lo
	s_delay_alu instid0(VALU_DEP_2) | instskip(SKIP_2) | instid1(VALU_DEP_3)
	v_and_b32_e32 v56, 0x7f800000, v4
	v_and_b32_e32 v2, 0x7fffff, v4
	v_lshrrev_b32_e32 v1, 24, v4
	v_cmpx_ne_u64_e32 0x7f800000, v[56:57]
	s_xor_b32 s73, exec_lo, s13
	s_cbranch_execz .LBB6_24647
; %bb.24634:                            ;   in Loop: Header=BB6_22365 Depth=3
	v_and_b32_e32 v56, 0x7fffffff, v4
	v_mov_b32_e32 v57, v113
	v_and_b32_e32 v1, 0x80, v1
                                        ; implicit-def: $vgpr21
	s_mov_b32 s13, exec_lo
	s_delay_alu instid0(VALU_DEP_2)
	v_cmpx_gt_u64_e32 0x47600001, v[56:57]
	s_xor_b32 s74, exec_lo, s13
	s_cbranch_execz .LBB6_24644
; %bb.24635:                            ;   in Loop: Header=BB6_22365 Depth=3
	v_mov_b32_e32 v21, 0
	s_mov_b32 s75, exec_lo
	v_cmpx_ne_u32_e32 0, v4
	s_cbranch_execz .LBB6_24643
; %bb.24636:                            ;   in Loop: Header=BB6_22365 Depth=3
	v_bfe_u32 v21, v4, 23, 8
	v_or_b32_e32 v5, 0x800000, v2
	s_delay_alu instid0(VALU_DEP_2) | instskip(SKIP_2) | instid1(VALU_DEP_2)
	v_cmp_gt_u32_e64 s13, 0x72, v21
	v_sub_nc_u32_e32 v4, 0x71, v21
	v_cmp_eq_u32_e32 vcc_lo, 0, v21
	v_dual_cndmask_b32 v4, 0, v4, s13 :: v_dual_cndmask_b32 v2, v5, v2, vcc_lo
	s_delay_alu instid0(VALU_DEP_1) | instskip(NEXT) | instid1(VALU_DEP_1)
	v_cndmask_b32_e64 v99, v4, 0x70, vcc_lo
	v_dual_add_nc_u32 v4, 21, v99 :: v_dual_add_nc_u32 v118, 20, v99
	s_delay_alu instid0(VALU_DEP_1) | instskip(NEXT) | instid1(VALU_DEP_2)
	v_lshlrev_b64_e64 v[4:5], v4, -1
	v_lshlrev_b64_e64 v[56:57], v118, 1
	s_delay_alu instid0(VALU_DEP_2) | instskip(SKIP_1) | instid1(VALU_DEP_4)
	v_bfi_b32 v4, v4, 0, v2
	v_lshrrev_b64 v[2:3], v99, v[2:3]
	v_bfi_b32 v5, v5, 0, 0
	s_delay_alu instid0(VALU_DEP_1) | instskip(NEXT) | instid1(VALU_DEP_3)
	v_cmp_eq_u64_e64 s13, v[4:5], v[56:57]
	v_mov_b64_e32 v[4:5], v[2:3]
	s_and_saveexec_b32 s76, s13
; %bb.24637:                            ;   in Loop: Header=BB6_22365 Depth=3
	v_bfe_u32 v4, v2, 21, 1
	v_mov_b32_e32 v5, v113
	s_delay_alu instid0(VALU_DEP_1) | instskip(NEXT) | instid1(VALU_DEP_1)
	v_add_nc_u64_e32 v[4:5], v[2:3], v[4:5]
	v_add_nc_u64_e32 v[4:5], -1, v[4:5]
; %bb.24638:                            ;   in Loop: Header=BB6_22365 Depth=3
	s_or_b32 exec_lo, exec_lo, s76
	v_add_nc_u32_e32 v3, 0xffffff81, v21
	v_lshrrev_b32_e32 v5, 23, v2
	s_mov_b32 s13, exec_lo
	s_delay_alu instid0(VALU_DEP_2) | instskip(NEXT) | instid1(VALU_DEP_1)
	v_cndmask_b32_e64 v3, v3, 0xffffff82, vcc_lo
	v_add3_u32 v21, v99, v3, v5
	v_and_b32_e32 v3, 0x1fffff, v4
                                        ; implicit-def: $vgpr4
	s_delay_alu instid0(VALU_DEP_1) | instskip(SKIP_1) | instid1(VALU_DEP_2)
	v_dual_add_nc_u32 v5, 14, v21 :: v_dual_add_nc_u32 v2, v3, v2
	v_mov_b32_e32 v3, v113
	v_cmpx_ne_u32_e32 0, v5
	s_xor_b32 s13, exec_lo, s13
; %bb.24639:                            ;   in Loop: Header=BB6_22365 Depth=3
	s_delay_alu instid0(VALU_DEP_2) | instskip(SKIP_1) | instid1(VALU_DEP_1)
	v_cmp_lt_u64_e32 vcc_lo, 0xffffff, v[2:3]
	v_add_nc_u32_e32 v4, 15, v21
	v_cndmask_b32_e32 v4, v5, v4, vcc_lo
	v_cndmask_b32_e64 v5, 0, 1, vcc_lo
	s_delay_alu instid0(VALU_DEP_1)
	v_lshrrev_b64 v[2:3], v5, v[2:3]
; %bb.24640:                            ;   in Loop: Header=BB6_22365 Depth=3
	s_and_not1_saveexec_b32 s13, s13
; %bb.24641:                            ;   in Loop: Header=BB6_22365 Depth=3
	s_delay_alu instid0(VALU_DEP_1)
	v_bfe_u32 v4, v2, 23, 1
; %bb.24642:                            ;   in Loop: Header=BB6_22365 Depth=3
	s_or_b32 exec_lo, exec_lo, s13
	s_delay_alu instid0(VALU_DEP_2) | instskip(NEXT) | instid1(VALU_DEP_2)
	v_lshrrev_b64 v[2:3], 21, v[2:3]
	v_cmp_gt_i32_e32 vcc_lo, 32, v4
	v_min_i32_e32 v5, 31, v4
	v_cmp_eq_u32_e64 s13, 0, v4
	s_delay_alu instid0(VALU_DEP_2) | instskip(SKIP_1) | instid1(VALU_DEP_2)
	v_dual_cndmask_b32 v3, 0, v3, vcc_lo :: v_dual_lshlrev_b32 v5, 2, v5
	v_cndmask_b32_e32 v2, 3, v2, vcc_lo
	v_and_b32_e32 v5, 0xfc, v5
	s_delay_alu instid0(VALU_DEP_2) | instskip(NEXT) | instid1(VALU_DEP_2)
	v_cmp_eq_u64_e32 vcc_lo, 0, v[2:3]
	v_and_or_b32 v2, v2, 3, v5
	s_and_b32 s13, s13, vcc_lo
	s_delay_alu instid0(VALU_DEP_1) | instid1(SALU_CYCLE_1)
	v_cndmask_b32_e64 v2, v2, 0, s13
	s_delay_alu instid0(VALU_DEP_1)
	v_or_b32_e32 v21, v2, v1
.LBB6_24643:                            ;   in Loop: Header=BB6_22365 Depth=3
	s_or_b32 exec_lo, exec_lo, s75
                                        ; implicit-def: $vgpr1
.LBB6_24644:                            ;   in Loop: Header=BB6_22365 Depth=3
	s_and_not1_saveexec_b32 s13, s74
; %bb.24645:                            ;   in Loop: Header=BB6_22365 Depth=3
	v_or_b32_e32 v21, 0x7b, v1
; %bb.24646:                            ;   in Loop: Header=BB6_22365 Depth=3
	s_or_b32 exec_lo, exec_lo, s13
                                        ; implicit-def: $vgpr4
                                        ; implicit-def: $vgpr2_vgpr3
                                        ; implicit-def: $vgpr1
.LBB6_24647:                            ;   in Loop: Header=BB6_22365 Depth=3
	s_and_not1_saveexec_b32 s13, s73
	s_cbranch_execz .LBB6_24653
; %bb.24648:                            ;   in Loop: Header=BB6_22365 Depth=3
	s_mov_b32 s73, exec_lo
                                        ; implicit-def: $vgpr21
	v_cmpx_ne_u64_e32 0, v[2:3]
	s_xor_b32 s73, exec_lo, s73
; %bb.24649:                            ;   in Loop: Header=BB6_22365 Depth=3
	v_or_b32_e32 v21, 0x7f, v1
                                        ; implicit-def: $vgpr4
; %bb.24650:                            ;   in Loop: Header=BB6_22365 Depth=3
	s_and_not1_saveexec_b32 s73, s73
; %bb.24651:                            ;   in Loop: Header=BB6_22365 Depth=3
	v_cmp_lt_i32_e32 vcc_lo, -1, v4
	v_mov_b32_e32 v1, 0x7c
	s_delay_alu instid0(VALU_DEP_1)
	v_cndmask_b32_e32 v21, 0xfc, v1, vcc_lo
; %bb.24652:                            ;   in Loop: Header=BB6_22365 Depth=3
	s_or_b32 exec_lo, exec_lo, s73
.LBB6_24653:                            ;   in Loop: Header=BB6_22365 Depth=3
	s_delay_alu instid0(SALU_CYCLE_1) | instskip(SKIP_3) | instid1(VALU_DEP_2)
	s_or_b32 exec_lo, exec_lo, s13
	v_lshrrev_b16 v2, 8, v112
	v_dual_mov_b32 v1, 0 :: v_dual_mov_b32 v4, 0
	s_mov_b32 s73, exec_lo
	v_cmpx_ne_u16_e32 0, v2
	s_cbranch_execz .LBB6_24663
; %bb.24654:                            ;   in Loop: Header=BB6_22365 Depth=3
	v_bfrev_b32_e32 v4, 1
	s_mov_b32 s74, exec_lo
	v_cmpx_ne_u16_e32 0x80, v2
	s_cbranch_execz .LBB6_24662
; %bb.24655:                            ;   in Loop: Header=BB6_22365 Depth=3
	v_and_b32_e32 v5, 0xffff, v2
	s_delay_alu instid0(VALU_DEP_1) | instskip(SKIP_1) | instid1(VALU_DEP_2)
	v_and_b32_e32 v4, 0x7c, v5
	v_and_b32_e32 v3, 3, v5
	v_cmp_ne_u32_e32 vcc_lo, 0x7c, v4
                                        ; implicit-def: $vgpr4
	s_and_saveexec_b32 s13, vcc_lo
	s_delay_alu instid0(SALU_CYCLE_1)
	s_xor_b32 s13, exec_lo, s13
	s_cbranch_execz .LBB6_24659
; %bb.24656:                            ;   in Loop: Header=BB6_22365 Depth=3
	v_bfe_u32 v4, v5, 2, 5
	s_mov_b32 s75, exec_lo
	s_delay_alu instid0(VALU_DEP_1)
	v_cmpx_eq_u32_e32 0, v4
	s_cbranch_execz .LBB6_24658
; %bb.24657:                            ;   in Loop: Header=BB6_22365 Depth=3
	v_clz_i32_u32_e32 v3, v3
	s_delay_alu instid0(VALU_DEP_1) | instskip(SKIP_1) | instid1(VALU_DEP_2)
	v_min_u32_e32 v4, 32, v3
	v_mov_b32_e32 v3, v113
	v_subrev_nc_u32_e32 v5, 29, v4
	v_sub_nc_u32_e32 v4, 30, v4
	s_delay_alu instid0(VALU_DEP_2) | instskip(NEXT) | instid1(VALU_DEP_1)
	v_lshlrev_b64_e32 v[2:3], v5, v[2:3]
	v_and_b32_e32 v3, 3, v2
.LBB6_24658:                            ;   in Loop: Header=BB6_22365 Depth=3
	s_or_b32 exec_lo, exec_lo, s75
	v_lshlrev_b32_e32 v2, 16, v112
                                        ; implicit-def: $vgpr112
	s_delay_alu instid0(VALU_DEP_1) | instskip(NEXT) | instid1(VALU_DEP_1)
	v_and_b32_e32 v2, 0x80000000, v2
	v_lshl_add_u32 v2, v4, 23, v2
	s_delay_alu instid0(VALU_DEP_1) | instskip(NEXT) | instid1(VALU_DEP_1)
	v_lshl_or_b32 v2, v3, 21, v2
                                        ; implicit-def: $vgpr3
	v_add_nc_u32_e32 v4, 0x38000000, v2
.LBB6_24659:                            ;   in Loop: Header=BB6_22365 Depth=3
	s_and_not1_saveexec_b32 s75, s13
; %bb.24660:                            ;   in Loop: Header=BB6_22365 Depth=3
	v_cmp_lt_i16_e64 s13, -1, v112
	v_mov_b32_e32 v2, 0x7f800000
	v_cmp_eq_u32_e32 vcc_lo, 0, v3
	s_delay_alu instid0(VALU_DEP_2) | instskip(NEXT) | instid1(VALU_DEP_1)
	v_cndmask_b32_e64 v2, 0xff800000, v2, s13
	v_cndmask_b32_e32 v4, 0x7f800001, v2, vcc_lo
; %bb.24661:                            ;   in Loop: Header=BB6_22365 Depth=3
	s_or_b32 exec_lo, exec_lo, s75
.LBB6_24662:                            ;   in Loop: Header=BB6_22365 Depth=3
	s_delay_alu instid0(SALU_CYCLE_1)
	s_or_b32 exec_lo, exec_lo, s74
.LBB6_24663:                            ;   in Loop: Header=BB6_22365 Depth=3
	s_delay_alu instid0(SALU_CYCLE_1) | instskip(SKIP_2) | instid1(VALU_DEP_1)
	s_or_b32 exec_lo, exec_lo, s73
	v_lshrrev_b16 v2, 8, v22
	s_mov_b32 s73, exec_lo
	v_cmpx_ne_u16_e32 0, v2
	s_cbranch_execz .LBB6_24673
; %bb.24664:                            ;   in Loop: Header=BB6_22365 Depth=3
	v_bfrev_b32_e32 v1, 1
	s_mov_b32 s74, exec_lo
	v_cmpx_ne_u16_e32 0x80, v2
	s_cbranch_execz .LBB6_24672
; %bb.24665:                            ;   in Loop: Header=BB6_22365 Depth=3
	v_and_b32_e32 v5, 0xffff, v2
	s_delay_alu instid0(VALU_DEP_1) | instskip(SKIP_1) | instid1(VALU_DEP_2)
	v_and_b32_e32 v1, 0x7c, v5
	v_and_b32_e32 v3, 3, v5
	v_cmp_ne_u32_e32 vcc_lo, 0x7c, v1
                                        ; implicit-def: $vgpr1
	s_and_saveexec_b32 s13, vcc_lo
	s_delay_alu instid0(SALU_CYCLE_1)
	s_xor_b32 s13, exec_lo, s13
	s_cbranch_execz .LBB6_24669
; %bb.24666:                            ;   in Loop: Header=BB6_22365 Depth=3
	v_bfe_u32 v1, v5, 2, 5
	s_mov_b32 s75, exec_lo
	s_delay_alu instid0(VALU_DEP_1)
	v_cmpx_eq_u32_e32 0, v1
	s_cbranch_execz .LBB6_24668
; %bb.24667:                            ;   in Loop: Header=BB6_22365 Depth=3
	v_clz_i32_u32_e32 v1, v3
	s_delay_alu instid0(VALU_DEP_1) | instskip(SKIP_1) | instid1(VALU_DEP_2)
	v_min_u32_e32 v1, 32, v1
	v_mov_b32_e32 v3, v113
	v_subrev_nc_u32_e32 v5, 29, v1
	v_sub_nc_u32_e32 v1, 30, v1
	s_delay_alu instid0(VALU_DEP_2) | instskip(NEXT) | instid1(VALU_DEP_1)
	v_lshlrev_b64_e32 v[2:3], v5, v[2:3]
	v_and_b32_e32 v3, 3, v2
.LBB6_24668:                            ;   in Loop: Header=BB6_22365 Depth=3
	s_or_b32 exec_lo, exec_lo, s75
	v_lshlrev_b32_e32 v2, 16, v22
	s_delay_alu instid0(VALU_DEP_1) | instskip(NEXT) | instid1(VALU_DEP_1)
	v_and_b32_e32 v2, 0x80000000, v2
	v_lshl_add_u32 v1, v1, 23, v2
	s_delay_alu instid0(VALU_DEP_1) | instskip(NEXT) | instid1(VALU_DEP_1)
	v_lshl_or_b32 v1, v3, 21, v1
                                        ; implicit-def: $vgpr3
	v_add_nc_u32_e32 v1, 0x38000000, v1
.LBB6_24669:                            ;   in Loop: Header=BB6_22365 Depth=3
	s_and_not1_saveexec_b32 s75, s13
; %bb.24670:                            ;   in Loop: Header=BB6_22365 Depth=3
	v_cmp_lt_i16_e64 s13, -1, v22
	v_mov_b32_e32 v1, 0x7f800000
	v_cmp_eq_u32_e32 vcc_lo, 0, v3
	s_delay_alu instid0(VALU_DEP_2) | instskip(NEXT) | instid1(VALU_DEP_1)
	v_cndmask_b32_e64 v1, 0xff800000, v1, s13
	v_cndmask_b32_e32 v1, 0x7f800001, v1, vcc_lo
; %bb.24671:                            ;   in Loop: Header=BB6_22365 Depth=3
	s_or_b32 exec_lo, exec_lo, s75
.LBB6_24672:                            ;   in Loop: Header=BB6_22365 Depth=3
	s_delay_alu instid0(SALU_CYCLE_1)
	s_or_b32 exec_lo, exec_lo, s74
.LBB6_24673:                            ;   in Loop: Header=BB6_22365 Depth=3
	s_delay_alu instid0(SALU_CYCLE_1) | instskip(NEXT) | instid1(VALU_DEP_1)
	s_or_b32 exec_lo, exec_lo, s73
	v_dual_add_f32 v4, v4, v1 :: v_dual_mov_b32 v57, v113
	v_mov_b32_e32 v3, v113
                                        ; implicit-def: $vgpr99
	s_mov_b32 s13, exec_lo
	s_delay_alu instid0(VALU_DEP_2) | instskip(SKIP_2) | instid1(VALU_DEP_3)
	v_and_b32_e32 v56, 0x7f800000, v4
	v_and_b32_e32 v2, 0x7fffff, v4
	v_lshrrev_b32_e32 v1, 24, v4
	v_cmpx_ne_u64_e32 0x7f800000, v[56:57]
	s_xor_b32 s73, exec_lo, s13
	s_cbranch_execz .LBB6_24687
; %bb.24674:                            ;   in Loop: Header=BB6_22365 Depth=3
	v_and_b32_e32 v56, 0x7fffffff, v4
	v_mov_b32_e32 v57, v113
	v_and_b32_e32 v1, 0x80, v1
                                        ; implicit-def: $vgpr99
	s_mov_b32 s13, exec_lo
	s_delay_alu instid0(VALU_DEP_2)
	v_cmpx_gt_u64_e32 0x47600001, v[56:57]
	s_xor_b32 s74, exec_lo, s13
	s_cbranch_execz .LBB6_24684
; %bb.24675:                            ;   in Loop: Header=BB6_22365 Depth=3
	v_mov_b32_e32 v99, 0
	s_mov_b32 s75, exec_lo
	v_cmpx_ne_u32_e32 0, v4
	s_cbranch_execz .LBB6_24683
; %bb.24676:                            ;   in Loop: Header=BB6_22365 Depth=3
	v_bfe_u32 v99, v4, 23, 8
	v_or_b32_e32 v5, 0x800000, v2
	s_delay_alu instid0(VALU_DEP_2) | instskip(SKIP_2) | instid1(VALU_DEP_2)
	v_cmp_gt_u32_e64 s13, 0x72, v99
	v_sub_nc_u32_e32 v4, 0x71, v99
	v_cmp_eq_u32_e32 vcc_lo, 0, v99
	v_dual_cndmask_b32 v4, 0, v4, s13 :: v_dual_cndmask_b32 v2, v5, v2, vcc_lo
	s_delay_alu instid0(VALU_DEP_1) | instskip(NEXT) | instid1(VALU_DEP_1)
	v_cndmask_b32_e64 v112, v4, 0x70, vcc_lo
	v_dual_add_nc_u32 v4, 21, v112 :: v_dual_add_nc_u32 v118, 20, v112
	s_delay_alu instid0(VALU_DEP_1) | instskip(NEXT) | instid1(VALU_DEP_2)
	v_lshlrev_b64_e64 v[4:5], v4, -1
	v_lshlrev_b64_e64 v[56:57], v118, 1
	s_delay_alu instid0(VALU_DEP_2) | instskip(SKIP_1) | instid1(VALU_DEP_4)
	v_bfi_b32 v4, v4, 0, v2
	v_lshrrev_b64 v[2:3], v112, v[2:3]
	v_bfi_b32 v5, v5, 0, 0
	s_delay_alu instid0(VALU_DEP_1) | instskip(NEXT) | instid1(VALU_DEP_3)
	v_cmp_eq_u64_e64 s13, v[4:5], v[56:57]
	v_mov_b64_e32 v[4:5], v[2:3]
	s_and_saveexec_b32 s76, s13
; %bb.24677:                            ;   in Loop: Header=BB6_22365 Depth=3
	v_bfe_u32 v4, v2, 21, 1
	v_mov_b32_e32 v5, v113
	s_delay_alu instid0(VALU_DEP_1) | instskip(NEXT) | instid1(VALU_DEP_1)
	v_add_nc_u64_e32 v[4:5], v[2:3], v[4:5]
	v_add_nc_u64_e32 v[4:5], -1, v[4:5]
; %bb.24678:                            ;   in Loop: Header=BB6_22365 Depth=3
	s_or_b32 exec_lo, exec_lo, s76
	v_add_nc_u32_e32 v3, 0xffffff81, v99
	v_lshrrev_b32_e32 v5, 23, v2
	s_mov_b32 s13, exec_lo
	s_delay_alu instid0(VALU_DEP_2) | instskip(NEXT) | instid1(VALU_DEP_1)
	v_cndmask_b32_e64 v3, v3, 0xffffff82, vcc_lo
	v_add3_u32 v99, v112, v3, v5
	v_and_b32_e32 v3, 0x1fffff, v4
                                        ; implicit-def: $vgpr4
	s_delay_alu instid0(VALU_DEP_1) | instskip(SKIP_1) | instid1(VALU_DEP_2)
	v_dual_add_nc_u32 v5, 14, v99 :: v_dual_add_nc_u32 v2, v3, v2
	v_mov_b32_e32 v3, v113
	v_cmpx_ne_u32_e32 0, v5
	s_xor_b32 s13, exec_lo, s13
; %bb.24679:                            ;   in Loop: Header=BB6_22365 Depth=3
	s_delay_alu instid0(VALU_DEP_2) | instskip(SKIP_1) | instid1(VALU_DEP_1)
	v_cmp_lt_u64_e32 vcc_lo, 0xffffff, v[2:3]
	v_add_nc_u32_e32 v4, 15, v99
	v_cndmask_b32_e32 v4, v5, v4, vcc_lo
	v_cndmask_b32_e64 v5, 0, 1, vcc_lo
	s_delay_alu instid0(VALU_DEP_1)
	v_lshrrev_b64 v[2:3], v5, v[2:3]
; %bb.24680:                            ;   in Loop: Header=BB6_22365 Depth=3
	s_and_not1_saveexec_b32 s13, s13
; %bb.24681:                            ;   in Loop: Header=BB6_22365 Depth=3
	s_delay_alu instid0(VALU_DEP_1)
	v_bfe_u32 v4, v2, 23, 1
; %bb.24682:                            ;   in Loop: Header=BB6_22365 Depth=3
	s_or_b32 exec_lo, exec_lo, s13
	s_delay_alu instid0(VALU_DEP_2) | instskip(NEXT) | instid1(VALU_DEP_2)
	v_lshrrev_b64 v[2:3], 21, v[2:3]
	v_cmp_gt_i32_e32 vcc_lo, 32, v4
	v_min_i32_e32 v5, 31, v4
	v_cmp_eq_u32_e64 s13, 0, v4
	s_delay_alu instid0(VALU_DEP_2) | instskip(SKIP_1) | instid1(VALU_DEP_2)
	v_dual_cndmask_b32 v3, 0, v3, vcc_lo :: v_dual_lshlrev_b32 v5, 2, v5
	v_cndmask_b32_e32 v2, 3, v2, vcc_lo
	v_and_b32_e32 v5, 0xfc, v5
	s_delay_alu instid0(VALU_DEP_2) | instskip(NEXT) | instid1(VALU_DEP_2)
	v_cmp_eq_u64_e32 vcc_lo, 0, v[2:3]
	v_and_or_b32 v2, v2, 3, v5
	s_and_b32 s13, s13, vcc_lo
	s_delay_alu instid0(VALU_DEP_1) | instid1(SALU_CYCLE_1)
	v_cndmask_b32_e64 v2, v2, 0, s13
	s_delay_alu instid0(VALU_DEP_1)
	v_or_b32_e32 v99, v2, v1
.LBB6_24683:                            ;   in Loop: Header=BB6_22365 Depth=3
	s_or_b32 exec_lo, exec_lo, s75
                                        ; implicit-def: $vgpr1
.LBB6_24684:                            ;   in Loop: Header=BB6_22365 Depth=3
	s_and_not1_saveexec_b32 s13, s74
; %bb.24685:                            ;   in Loop: Header=BB6_22365 Depth=3
	v_or_b32_e32 v99, 0x7b, v1
; %bb.24686:                            ;   in Loop: Header=BB6_22365 Depth=3
	s_or_b32 exec_lo, exec_lo, s13
                                        ; implicit-def: $vgpr4
                                        ; implicit-def: $vgpr2_vgpr3
                                        ; implicit-def: $vgpr1
.LBB6_24687:                            ;   in Loop: Header=BB6_22365 Depth=3
	s_and_not1_saveexec_b32 s13, s73
	s_cbranch_execz .LBB6_24693
; %bb.24688:                            ;   in Loop: Header=BB6_22365 Depth=3
	s_mov_b32 s73, exec_lo
                                        ; implicit-def: $vgpr99
	v_cmpx_ne_u64_e32 0, v[2:3]
	s_xor_b32 s73, exec_lo, s73
; %bb.24689:                            ;   in Loop: Header=BB6_22365 Depth=3
	v_or_b32_e32 v99, 0x7f, v1
                                        ; implicit-def: $vgpr4
; %bb.24690:                            ;   in Loop: Header=BB6_22365 Depth=3
	s_and_not1_saveexec_b32 s73, s73
; %bb.24691:                            ;   in Loop: Header=BB6_22365 Depth=3
	v_cmp_lt_i32_e32 vcc_lo, -1, v4
	v_mov_b32_e32 v1, 0x7c
	s_delay_alu instid0(VALU_DEP_1)
	v_cndmask_b32_e32 v99, 0xfc, v1, vcc_lo
; %bb.24692:                            ;   in Loop: Header=BB6_22365 Depth=3
	s_or_b32 exec_lo, exec_lo, s73
.LBB6_24693:                            ;   in Loop: Header=BB6_22365 Depth=3
	s_delay_alu instid0(SALU_CYCLE_1) | instskip(SKIP_3) | instid1(VALU_DEP_2)
	s_or_b32 exec_lo, exec_lo, s13
	v_dual_mov_b32 v1, 0 :: v_dual_lshrrev_b32 v2, 16, v0
	v_mov_b32_e32 v3, 0
	s_mov_b32 s73, exec_lo
	v_and_b32_e32 v4, 0xff, v2
	s_delay_alu instid0(VALU_DEP_1)
	v_cmpx_ne_u16_e32 0, v4
	s_cbranch_execz .LBB6_24703
; %bb.24694:                            ;   in Loop: Header=BB6_22365 Depth=3
	v_bfrev_b32_e32 v3, 1
	s_mov_b32 s74, exec_lo
	v_cmpx_ne_u16_e32 0x80, v4
	s_cbranch_execz .LBB6_24702
; %bb.24695:                            ;   in Loop: Header=BB6_22365 Depth=3
	v_and_b32_e32 v3, 0x7c0000, v0
	v_bfe_u32 v4, v0, 16, 2
	s_delay_alu instid0(VALU_DEP_2) | instskip(SKIP_1) | instid1(SALU_CYCLE_1)
	v_cmp_ne_u32_e32 vcc_lo, 0x7c0000, v3
                                        ; implicit-def: $vgpr3
	s_and_saveexec_b32 s13, vcc_lo
	s_xor_b32 s13, exec_lo, s13
	s_cbranch_execz .LBB6_24699
; %bb.24696:                            ;   in Loop: Header=BB6_22365 Depth=3
	v_bfe_u32 v3, v0, 18, 5
	s_mov_b32 s75, exec_lo
	s_delay_alu instid0(VALU_DEP_1)
	v_cmpx_eq_u32_e32 0, v3
; %bb.24697:                            ;   in Loop: Header=BB6_22365 Depth=3
	v_clz_i32_u32_e32 v3, v4
	s_delay_alu instid0(VALU_DEP_1) | instskip(NEXT) | instid1(VALU_DEP_1)
	v_min_u32_e32 v3, 32, v3
	v_subrev_nc_u32_e32 v4, 29, v3
	s_delay_alu instid0(VALU_DEP_1) | instskip(NEXT) | instid1(VALU_DEP_1)
	v_lshlrev_b64_e32 v[4:5], v4, v[2:3]
	v_dual_sub_nc_u32 v3, 30, v3 :: v_dual_bitop2_b32 v4, 3, v4 bitop3:0x40
; %bb.24698:                            ;   in Loop: Header=BB6_22365 Depth=3
	s_or_b32 exec_lo, exec_lo, s75
	v_lshlrev_b32_e32 v2, 24, v2
	s_delay_alu instid0(VALU_DEP_1) | instskip(NEXT) | instid1(VALU_DEP_1)
	v_and_b32_e32 v2, 0x80000000, v2
	v_lshl_add_u32 v2, v3, 23, v2
	s_delay_alu instid0(VALU_DEP_1) | instskip(NEXT) | instid1(VALU_DEP_1)
	v_lshl_or_b32 v2, v4, 21, v2
                                        ; implicit-def: $vgpr4
	v_add_nc_u32_e32 v3, 0x38000000, v2
                                        ; implicit-def: $vgpr2
.LBB6_24699:                            ;   in Loop: Header=BB6_22365 Depth=3
	s_and_not1_saveexec_b32 s75, s13
; %bb.24700:                            ;   in Loop: Header=BB6_22365 Depth=3
	v_bfe_i32 v2, v2, 0, 8
	v_cmp_eq_u32_e32 vcc_lo, 0, v4
	s_delay_alu instid0(VALU_DEP_2) | instskip(SKIP_1) | instid1(VALU_DEP_1)
	v_cmp_lt_i16_e64 s13, -1, v2
	v_mov_b32_e32 v2, 0x7f800000
	v_cndmask_b32_e64 v2, 0xff800000, v2, s13
	s_delay_alu instid0(VALU_DEP_1)
	v_cndmask_b32_e32 v3, 0x7f800001, v2, vcc_lo
; %bb.24701:                            ;   in Loop: Header=BB6_22365 Depth=3
	s_or_b32 exec_lo, exec_lo, s75
.LBB6_24702:                            ;   in Loop: Header=BB6_22365 Depth=3
	s_delay_alu instid0(SALU_CYCLE_1)
	s_or_b32 exec_lo, exec_lo, s74
.LBB6_24703:                            ;   in Loop: Header=BB6_22365 Depth=3
	s_delay_alu instid0(SALU_CYCLE_1) | instskip(SKIP_2) | instid1(VALU_DEP_1)
	s_or_b32 exec_lo, exec_lo, s73
	v_lshrrev_b32_e32 v2, 16, v22
	s_mov_b32 s73, exec_lo
	v_and_b32_e32 v4, 0xff, v2
	s_delay_alu instid0(VALU_DEP_1)
	v_cmpx_ne_u16_e32 0, v4
	s_cbranch_execz .LBB6_24713
; %bb.24704:                            ;   in Loop: Header=BB6_22365 Depth=3
	v_bfrev_b32_e32 v1, 1
	s_mov_b32 s74, exec_lo
	v_cmpx_ne_u16_e32 0x80, v4
	s_cbranch_execz .LBB6_24712
; %bb.24705:                            ;   in Loop: Header=BB6_22365 Depth=3
	v_and_b32_e32 v1, 0x7c0000, v22
	v_bfe_u32 v4, v22, 16, 2
	s_delay_alu instid0(VALU_DEP_2) | instskip(SKIP_1) | instid1(SALU_CYCLE_1)
	v_cmp_ne_u32_e32 vcc_lo, 0x7c0000, v1
                                        ; implicit-def: $vgpr1
	s_and_saveexec_b32 s13, vcc_lo
	s_xor_b32 s13, exec_lo, s13
	s_cbranch_execz .LBB6_24709
; %bb.24706:                            ;   in Loop: Header=BB6_22365 Depth=3
	v_bfe_u32 v1, v22, 18, 5
	s_mov_b32 s75, exec_lo
	s_delay_alu instid0(VALU_DEP_1)
	v_cmpx_eq_u32_e32 0, v1
; %bb.24707:                            ;   in Loop: Header=BB6_22365 Depth=3
	v_clz_i32_u32_e32 v1, v4
	s_delay_alu instid0(VALU_DEP_1) | instskip(NEXT) | instid1(VALU_DEP_1)
	v_min_u32_e32 v1, 32, v1
	v_subrev_nc_u32_e32 v4, 29, v1
	s_delay_alu instid0(VALU_DEP_1) | instskip(NEXT) | instid1(VALU_DEP_1)
	v_lshlrev_b64_e32 v[4:5], v4, v[2:3]
	v_dual_sub_nc_u32 v1, 30, v1 :: v_dual_bitop2_b32 v4, 3, v4 bitop3:0x40
; %bb.24708:                            ;   in Loop: Header=BB6_22365 Depth=3
	s_or_b32 exec_lo, exec_lo, s75
	v_lshlrev_b32_e32 v2, 24, v2
	s_delay_alu instid0(VALU_DEP_1) | instskip(NEXT) | instid1(VALU_DEP_1)
	v_and_b32_e32 v2, 0x80000000, v2
	v_lshl_add_u32 v1, v1, 23, v2
                                        ; implicit-def: $vgpr2
	s_delay_alu instid0(VALU_DEP_1) | instskip(NEXT) | instid1(VALU_DEP_1)
	v_lshl_or_b32 v1, v4, 21, v1
                                        ; implicit-def: $vgpr4
	v_add_nc_u32_e32 v1, 0x38000000, v1
.LBB6_24709:                            ;   in Loop: Header=BB6_22365 Depth=3
	s_and_not1_saveexec_b32 s75, s13
; %bb.24710:                            ;   in Loop: Header=BB6_22365 Depth=3
	v_bfe_i32 v1, v2, 0, 8
	v_cmp_eq_u32_e32 vcc_lo, 0, v4
	s_delay_alu instid0(VALU_DEP_2) | instskip(SKIP_1) | instid1(VALU_DEP_1)
	v_cmp_lt_i16_e64 s13, -1, v1
	v_mov_b32_e32 v1, 0x7f800000
	v_cndmask_b32_e64 v1, 0xff800000, v1, s13
	s_delay_alu instid0(VALU_DEP_1)
	v_cndmask_b32_e32 v1, 0x7f800001, v1, vcc_lo
; %bb.24711:                            ;   in Loop: Header=BB6_22365 Depth=3
	s_or_b32 exec_lo, exec_lo, s75
.LBB6_24712:                            ;   in Loop: Header=BB6_22365 Depth=3
	s_delay_alu instid0(SALU_CYCLE_1)
	s_or_b32 exec_lo, exec_lo, s74
.LBB6_24713:                            ;   in Loop: Header=BB6_22365 Depth=3
	s_delay_alu instid0(SALU_CYCLE_1) | instskip(NEXT) | instid1(VALU_DEP_1)
	s_or_b32 exec_lo, exec_lo, s73
	v_dual_add_f32 v4, v3, v1 :: v_dual_mov_b32 v57, v113
	v_mov_b32_e32 v3, v113
                                        ; implicit-def: $vgpr112
	s_mov_b32 s13, exec_lo
	s_delay_alu instid0(VALU_DEP_2) | instskip(SKIP_2) | instid1(VALU_DEP_3)
	v_and_b32_e32 v56, 0x7f800000, v4
	v_and_b32_e32 v2, 0x7fffff, v4
	v_lshrrev_b32_e32 v1, 24, v4
	v_cmpx_ne_u64_e32 0x7f800000, v[56:57]
	s_xor_b32 s73, exec_lo, s13
	s_cbranch_execz .LBB6_24727
; %bb.24714:                            ;   in Loop: Header=BB6_22365 Depth=3
	v_and_b32_e32 v56, 0x7fffffff, v4
	v_mov_b32_e32 v57, v113
	v_and_b32_e32 v1, 0x80, v1
                                        ; implicit-def: $vgpr112
	s_mov_b32 s13, exec_lo
	s_delay_alu instid0(VALU_DEP_2)
	v_cmpx_gt_u64_e32 0x47600001, v[56:57]
	s_xor_b32 s74, exec_lo, s13
	s_cbranch_execz .LBB6_24724
; %bb.24715:                            ;   in Loop: Header=BB6_22365 Depth=3
	v_mov_b32_e32 v112, 0
	s_mov_b32 s75, exec_lo
	v_cmpx_ne_u32_e32 0, v4
	s_cbranch_execz .LBB6_24723
; %bb.24716:                            ;   in Loop: Header=BB6_22365 Depth=3
	v_bfe_u32 v112, v4, 23, 8
	v_or_b32_e32 v5, 0x800000, v2
	s_delay_alu instid0(VALU_DEP_2) | instskip(SKIP_2) | instid1(VALU_DEP_2)
	v_cmp_gt_u32_e64 s13, 0x72, v112
	v_sub_nc_u32_e32 v4, 0x71, v112
	v_cmp_eq_u32_e32 vcc_lo, 0, v112
	v_dual_cndmask_b32 v4, 0, v4, s13 :: v_dual_cndmask_b32 v2, v5, v2, vcc_lo
	s_delay_alu instid0(VALU_DEP_1) | instskip(NEXT) | instid1(VALU_DEP_1)
	v_cndmask_b32_e64 v118, v4, 0x70, vcc_lo
	v_dual_add_nc_u32 v4, 21, v118 :: v_dual_add_nc_u32 v47, 20, v118
	s_delay_alu instid0(VALU_DEP_1) | instskip(NEXT) | instid1(VALU_DEP_2)
	v_lshlrev_b64_e64 v[4:5], v4, -1
	v_lshlrev_b64_e64 v[56:57], v47, 1
	s_delay_alu instid0(VALU_DEP_2) | instskip(SKIP_1) | instid1(VALU_DEP_4)
	v_bfi_b32 v4, v4, 0, v2
	v_lshrrev_b64 v[2:3], v118, v[2:3]
	v_bfi_b32 v5, v5, 0, 0
	s_delay_alu instid0(VALU_DEP_1) | instskip(NEXT) | instid1(VALU_DEP_3)
	v_cmp_eq_u64_e64 s13, v[4:5], v[56:57]
	v_mov_b64_e32 v[4:5], v[2:3]
	s_and_saveexec_b32 s76, s13
; %bb.24717:                            ;   in Loop: Header=BB6_22365 Depth=3
	v_bfe_u32 v4, v2, 21, 1
	v_mov_b32_e32 v5, v113
	s_delay_alu instid0(VALU_DEP_1) | instskip(NEXT) | instid1(VALU_DEP_1)
	v_add_nc_u64_e32 v[4:5], v[2:3], v[4:5]
	v_add_nc_u64_e32 v[4:5], -1, v[4:5]
; %bb.24718:                            ;   in Loop: Header=BB6_22365 Depth=3
	s_or_b32 exec_lo, exec_lo, s76
	v_add_nc_u32_e32 v3, 0xffffff81, v112
	v_lshrrev_b32_e32 v5, 23, v2
	s_mov_b32 s13, exec_lo
	s_delay_alu instid0(VALU_DEP_2) | instskip(NEXT) | instid1(VALU_DEP_1)
	v_cndmask_b32_e64 v3, v3, 0xffffff82, vcc_lo
	v_add3_u32 v112, v118, v3, v5
	v_and_b32_e32 v3, 0x1fffff, v4
                                        ; implicit-def: $vgpr4
	s_delay_alu instid0(VALU_DEP_1) | instskip(SKIP_1) | instid1(VALU_DEP_2)
	v_dual_add_nc_u32 v5, 14, v112 :: v_dual_add_nc_u32 v2, v3, v2
	v_mov_b32_e32 v3, v113
	v_cmpx_ne_u32_e32 0, v5
	s_xor_b32 s13, exec_lo, s13
; %bb.24719:                            ;   in Loop: Header=BB6_22365 Depth=3
	s_delay_alu instid0(VALU_DEP_2) | instskip(SKIP_1) | instid1(VALU_DEP_1)
	v_cmp_lt_u64_e32 vcc_lo, 0xffffff, v[2:3]
	v_add_nc_u32_e32 v4, 15, v112
	v_cndmask_b32_e32 v4, v5, v4, vcc_lo
	v_cndmask_b32_e64 v5, 0, 1, vcc_lo
	s_delay_alu instid0(VALU_DEP_1)
	v_lshrrev_b64 v[2:3], v5, v[2:3]
; %bb.24720:                            ;   in Loop: Header=BB6_22365 Depth=3
	s_and_not1_saveexec_b32 s13, s13
; %bb.24721:                            ;   in Loop: Header=BB6_22365 Depth=3
	s_delay_alu instid0(VALU_DEP_1)
	v_bfe_u32 v4, v2, 23, 1
; %bb.24722:                            ;   in Loop: Header=BB6_22365 Depth=3
	s_or_b32 exec_lo, exec_lo, s13
	s_delay_alu instid0(VALU_DEP_2) | instskip(NEXT) | instid1(VALU_DEP_2)
	v_lshrrev_b64 v[2:3], 21, v[2:3]
	v_cmp_gt_i32_e32 vcc_lo, 32, v4
	v_min_i32_e32 v5, 31, v4
	v_cmp_eq_u32_e64 s13, 0, v4
	s_delay_alu instid0(VALU_DEP_2) | instskip(SKIP_1) | instid1(VALU_DEP_2)
	v_dual_cndmask_b32 v3, 0, v3, vcc_lo :: v_dual_lshlrev_b32 v5, 2, v5
	v_cndmask_b32_e32 v2, 3, v2, vcc_lo
	v_and_b32_e32 v5, 0xfc, v5
	s_delay_alu instid0(VALU_DEP_2) | instskip(NEXT) | instid1(VALU_DEP_2)
	v_cmp_eq_u64_e32 vcc_lo, 0, v[2:3]
	v_and_or_b32 v2, v2, 3, v5
	s_and_b32 s13, s13, vcc_lo
	s_delay_alu instid0(VALU_DEP_1) | instid1(SALU_CYCLE_1)
	v_cndmask_b32_e64 v2, v2, 0, s13
	s_delay_alu instid0(VALU_DEP_1)
	v_or_b32_e32 v112, v2, v1
.LBB6_24723:                            ;   in Loop: Header=BB6_22365 Depth=3
	s_or_b32 exec_lo, exec_lo, s75
                                        ; implicit-def: $vgpr1
.LBB6_24724:                            ;   in Loop: Header=BB6_22365 Depth=3
	s_and_not1_saveexec_b32 s13, s74
; %bb.24725:                            ;   in Loop: Header=BB6_22365 Depth=3
	v_or_b32_e32 v112, 0x7b, v1
; %bb.24726:                            ;   in Loop: Header=BB6_22365 Depth=3
	s_or_b32 exec_lo, exec_lo, s13
                                        ; implicit-def: $vgpr4
                                        ; implicit-def: $vgpr2_vgpr3
                                        ; implicit-def: $vgpr1
.LBB6_24727:                            ;   in Loop: Header=BB6_22365 Depth=3
	s_and_not1_saveexec_b32 s13, s73
	s_cbranch_execz .LBB6_24733
; %bb.24728:                            ;   in Loop: Header=BB6_22365 Depth=3
	s_mov_b32 s73, exec_lo
                                        ; implicit-def: $vgpr112
	v_cmpx_ne_u64_e32 0, v[2:3]
	s_xor_b32 s73, exec_lo, s73
; %bb.24729:                            ;   in Loop: Header=BB6_22365 Depth=3
	v_or_b32_e32 v112, 0x7f, v1
                                        ; implicit-def: $vgpr4
; %bb.24730:                            ;   in Loop: Header=BB6_22365 Depth=3
	s_and_not1_saveexec_b32 s73, s73
; %bb.24731:                            ;   in Loop: Header=BB6_22365 Depth=3
	v_cmp_lt_i32_e32 vcc_lo, -1, v4
	v_mov_b32_e32 v1, 0x7c
	s_delay_alu instid0(VALU_DEP_1)
	v_cndmask_b32_e32 v112, 0xfc, v1, vcc_lo
; %bb.24732:                            ;   in Loop: Header=BB6_22365 Depth=3
	s_or_b32 exec_lo, exec_lo, s73
.LBB6_24733:                            ;   in Loop: Header=BB6_22365 Depth=3
	s_delay_alu instid0(SALU_CYCLE_1)
	s_or_b32 exec_lo, exec_lo, s13
	v_dual_mov_b32 v3, 0 :: v_dual_mov_b32 v4, 0
	s_mov_b32 s73, exec_lo
	v_cmpx_lt_u32_e32 0xffffff, v0
	s_cbranch_execz .LBB6_24743
; %bb.24734:                            ;   in Loop: Header=BB6_22365 Depth=3
	v_lshrrev_b32_e32 v2, 24, v0
	v_bfrev_b32_e32 v4, 1
	s_mov_b32 s74, exec_lo
	s_delay_alu instid0(VALU_DEP_2)
	v_cmpx_ne_u32_e32 0x80, v2
	s_cbranch_execz .LBB6_24742
; %bb.24735:                            ;   in Loop: Header=BB6_22365 Depth=3
	v_and_b32_e32 v1, 0x7c000000, v0
	v_bfe_u32 v5, v0, 24, 2
	s_mov_b32 s13, exec_lo
                                        ; implicit-def: $vgpr4
	s_delay_alu instid0(VALU_DEP_2)
	v_cmpx_ne_u32_e32 0x7c000000, v1
	s_xor_b32 s13, exec_lo, s13
	s_cbranch_execz .LBB6_24739
; %bb.24736:                            ;   in Loop: Header=BB6_22365 Depth=3
	v_bfe_u32 v1, v0, 26, 5
	s_mov_b32 s75, exec_lo
	s_delay_alu instid0(VALU_DEP_1)
	v_cmpx_eq_u32_e32 0, v1
; %bb.24737:                            ;   in Loop: Header=BB6_22365 Depth=3
	v_clz_i32_u32_e32 v1, v5
	s_delay_alu instid0(VALU_DEP_1) | instskip(NEXT) | instid1(VALU_DEP_1)
	v_min_u32_e32 v1, 32, v1
	v_subrev_nc_u32_e32 v4, 29, v1
	s_delay_alu instid0(VALU_DEP_1) | instskip(NEXT) | instid1(VALU_DEP_1)
	v_lshlrev_b64_e32 v[4:5], v4, v[2:3]
	v_dual_sub_nc_u32 v1, 30, v1 :: v_dual_bitop2_b32 v5, 3, v4 bitop3:0x40
; %bb.24738:                            ;   in Loop: Header=BB6_22365 Depth=3
	s_or_b32 exec_lo, exec_lo, s75
	v_and_b32_e32 v0, 0x80000000, v0
	s_delay_alu instid0(VALU_DEP_1) | instskip(NEXT) | instid1(VALU_DEP_1)
	v_lshl_add_u32 v0, v1, 23, v0
	v_lshl_or_b32 v0, v5, 21, v0
                                        ; implicit-def: $vgpr5
	s_delay_alu instid0(VALU_DEP_1)
	v_add_nc_u32_e32 v4, 0x38000000, v0
                                        ; implicit-def: $vgpr0_vgpr1
.LBB6_24739:                            ;   in Loop: Header=BB6_22365 Depth=3
	s_and_not1_saveexec_b32 s75, s13
; %bb.24740:                            ;   in Loop: Header=BB6_22365 Depth=3
	v_cmp_lt_i32_e64 s13, -1, v0
	v_mov_b32_e32 v0, 0x7f800000
	v_cmp_eq_u32_e32 vcc_lo, 0, v5
	s_delay_alu instid0(VALU_DEP_2) | instskip(NEXT) | instid1(VALU_DEP_1)
	v_cndmask_b32_e64 v0, 0xff800000, v0, s13
	v_cndmask_b32_e32 v4, 0x7f800001, v0, vcc_lo
; %bb.24741:                            ;   in Loop: Header=BB6_22365 Depth=3
	s_or_b32 exec_lo, exec_lo, s75
.LBB6_24742:                            ;   in Loop: Header=BB6_22365 Depth=3
	s_delay_alu instid0(SALU_CYCLE_1)
	s_or_b32 exec_lo, exec_lo, s74
.LBB6_24743:                            ;   in Loop: Header=BB6_22365 Depth=3
	s_delay_alu instid0(SALU_CYCLE_1) | instskip(NEXT) | instid1(SALU_CYCLE_1)
	s_or_b32 exec_lo, exec_lo, s73
	s_mov_b32 s73, exec_lo
	v_cmpx_lt_u32_e32 0xffffff, v22
	s_cbranch_execz .LBB6_24753
; %bb.24744:                            ;   in Loop: Header=BB6_22365 Depth=3
	v_lshrrev_b32_e32 v0, 24, v22
	v_bfrev_b32_e32 v3, 1
	s_mov_b32 s74, exec_lo
	s_delay_alu instid0(VALU_DEP_2)
	v_cmpx_ne_u32_e32 0x80, v0
	s_cbranch_execz .LBB6_24752
; %bb.24745:                            ;   in Loop: Header=BB6_22365 Depth=3
	v_and_b32_e32 v2, 0x7c000000, v22
	v_bfe_u32 v1, v22, 24, 2
	s_mov_b32 s13, exec_lo
                                        ; implicit-def: $vgpr3
	s_delay_alu instid0(VALU_DEP_2)
	v_cmpx_ne_u32_e32 0x7c000000, v2
	s_xor_b32 s13, exec_lo, s13
	s_cbranch_execz .LBB6_24749
; %bb.24746:                            ;   in Loop: Header=BB6_22365 Depth=3
	v_bfe_u32 v2, v22, 26, 5
	s_mov_b32 s75, exec_lo
	s_delay_alu instid0(VALU_DEP_1)
	v_cmpx_eq_u32_e32 0, v2
; %bb.24747:                            ;   in Loop: Header=BB6_22365 Depth=3
	v_clz_i32_u32_e32 v1, v1
	s_delay_alu instid0(VALU_DEP_1) | instskip(NEXT) | instid1(VALU_DEP_1)
	v_min_u32_e32 v2, 32, v1
	v_subrev_nc_u32_e32 v1, 29, v2
	s_delay_alu instid0(VALU_DEP_1) | instskip(NEXT) | instid1(VALU_DEP_1)
	v_lshlrev_b64_e32 v[0:1], v1, v[0:1]
	v_dual_sub_nc_u32 v2, 30, v2 :: v_dual_bitop2_b32 v1, 3, v0 bitop3:0x40
; %bb.24748:                            ;   in Loop: Header=BB6_22365 Depth=3
	s_or_b32 exec_lo, exec_lo, s75
	v_and_b32_e32 v0, 0x80000000, v22
	s_delay_alu instid0(VALU_DEP_1) | instskip(NEXT) | instid1(VALU_DEP_1)
	v_lshl_add_u32 v0, v2, 23, v0
	v_lshl_or_b32 v0, v1, 21, v0
                                        ; implicit-def: $vgpr1
	s_delay_alu instid0(VALU_DEP_1)
	v_add_nc_u32_e32 v3, 0x38000000, v0
.LBB6_24749:                            ;   in Loop: Header=BB6_22365 Depth=3
	s_and_not1_saveexec_b32 s75, s13
; %bb.24750:                            ;   in Loop: Header=BB6_22365 Depth=3
	v_cmp_lt_i32_e64 s13, -1, v22
	v_mov_b32_e32 v0, 0x7f800000
	v_cmp_eq_u32_e32 vcc_lo, 0, v1
	s_delay_alu instid0(VALU_DEP_2) | instskip(NEXT) | instid1(VALU_DEP_1)
	v_cndmask_b32_e64 v0, 0xff800000, v0, s13
	v_cndmask_b32_e32 v3, 0x7f800001, v0, vcc_lo
; %bb.24751:                            ;   in Loop: Header=BB6_22365 Depth=3
	s_or_b32 exec_lo, exec_lo, s75
.LBB6_24752:                            ;   in Loop: Header=BB6_22365 Depth=3
	s_delay_alu instid0(SALU_CYCLE_1)
	s_or_b32 exec_lo, exec_lo, s74
.LBB6_24753:                            ;   in Loop: Header=BB6_22365 Depth=3
	s_delay_alu instid0(SALU_CYCLE_1) | instskip(NEXT) | instid1(VALU_DEP_1)
	s_or_b32 exec_lo, exec_lo, s73
	v_dual_add_f32 v2, v4, v3 :: v_dual_mov_b32 v5, v113
	v_mov_b32_e32 v1, v113
                                        ; implicit-def: $vgpr118
	s_mov_b32 s13, exec_lo
	s_delay_alu instid0(VALU_DEP_2) | instskip(SKIP_2) | instid1(VALU_DEP_3)
	v_and_b32_e32 v4, 0x7f800000, v2
	v_and_b32_e32 v0, 0x7fffff, v2
	v_lshrrev_b32_e32 v3, 24, v2
	v_cmpx_ne_u64_e32 0x7f800000, v[4:5]
	s_xor_b32 s73, exec_lo, s13
	s_cbranch_execz .LBB6_24767
; %bb.24754:                            ;   in Loop: Header=BB6_22365 Depth=3
	v_and_b32_e32 v4, 0x7fffffff, v2
	v_mov_b32_e32 v5, v113
                                        ; implicit-def: $vgpr118
	s_delay_alu instid0(VALU_DEP_1) | instskip(SKIP_2) | instid1(SALU_CYCLE_1)
	v_cmp_gt_u64_e32 vcc_lo, 0x47600001, v[4:5]
	v_and_b32_e32 v4, 0x80, v3
	s_and_saveexec_b32 s13, vcc_lo
	s_xor_b32 s74, exec_lo, s13
	s_cbranch_execz .LBB6_24764
; %bb.24755:                            ;   in Loop: Header=BB6_22365 Depth=3
	v_mov_b32_e32 v118, 0
	s_mov_b32 s75, exec_lo
	v_cmpx_ne_u32_e32 0, v2
	s_cbranch_execz .LBB6_24763
; %bb.24756:                            ;   in Loop: Header=BB6_22365 Depth=3
	v_bfe_u32 v5, v2, 23, 8
	v_or_b32_e32 v3, 0x800000, v0
	s_delay_alu instid0(VALU_DEP_2) | instskip(SKIP_2) | instid1(VALU_DEP_2)
	v_cmp_gt_u32_e64 s13, 0x72, v5
	v_sub_nc_u32_e32 v2, 0x71, v5
	v_cmp_eq_u32_e32 vcc_lo, 0, v5
	v_dual_cndmask_b32 v2, 0, v2, s13 :: v_dual_cndmask_b32 v0, v3, v0, vcc_lo
	s_delay_alu instid0(VALU_DEP_1) | instskip(NEXT) | instid1(VALU_DEP_1)
	v_cndmask_b32_e64 v118, v2, 0x70, vcc_lo
	v_dual_add_nc_u32 v2, 21, v118 :: v_dual_add_nc_u32 v47, 20, v118
	s_delay_alu instid0(VALU_DEP_1) | instskip(NEXT) | instid1(VALU_DEP_2)
	v_lshlrev_b64_e64 v[2:3], v2, -1
	v_lshlrev_b64_e64 v[56:57], v47, 1
	s_delay_alu instid0(VALU_DEP_2) | instskip(SKIP_1) | instid1(VALU_DEP_4)
	v_bfi_b32 v2, v2, 0, v0
	v_lshrrev_b64 v[0:1], v118, v[0:1]
	v_bfi_b32 v3, v3, 0, 0
	s_delay_alu instid0(VALU_DEP_1) | instskip(NEXT) | instid1(VALU_DEP_3)
	v_cmp_eq_u64_e64 s13, v[2:3], v[56:57]
	v_mov_b64_e32 v[2:3], v[0:1]
	s_and_saveexec_b32 s76, s13
; %bb.24757:                            ;   in Loop: Header=BB6_22365 Depth=3
	v_bfe_u32 v2, v0, 21, 1
	v_mov_b32_e32 v3, v113
	s_delay_alu instid0(VALU_DEP_1) | instskip(NEXT) | instid1(VALU_DEP_1)
	v_add_nc_u64_e32 v[2:3], v[0:1], v[2:3]
	v_add_nc_u64_e32 v[2:3], -1, v[2:3]
; %bb.24758:                            ;   in Loop: Header=BB6_22365 Depth=3
	s_or_b32 exec_lo, exec_lo, s76
	v_add_nc_u32_e32 v1, 0xffffff81, v5
	v_lshrrev_b32_e32 v3, 23, v0
	s_mov_b32 s13, exec_lo
	s_delay_alu instid0(VALU_DEP_2) | instskip(NEXT) | instid1(VALU_DEP_1)
	v_cndmask_b32_e64 v1, v1, 0xffffff82, vcc_lo
	v_add3_u32 v5, v118, v1, v3
	v_and_b32_e32 v1, 0x1fffff, v2
                                        ; implicit-def: $vgpr2
	s_delay_alu instid0(VALU_DEP_1) | instskip(SKIP_1) | instid1(VALU_DEP_2)
	v_dual_add_nc_u32 v3, 14, v5 :: v_dual_add_nc_u32 v0, v1, v0
	v_mov_b32_e32 v1, v113
	v_cmpx_ne_u32_e32 0, v3
	s_xor_b32 s13, exec_lo, s13
; %bb.24759:                            ;   in Loop: Header=BB6_22365 Depth=3
	s_delay_alu instid0(VALU_DEP_2) | instskip(SKIP_1) | instid1(VALU_DEP_1)
	v_cmp_lt_u64_e32 vcc_lo, 0xffffff, v[0:1]
	v_add_nc_u32_e32 v2, 15, v5
	v_cndmask_b32_e32 v2, v3, v2, vcc_lo
	v_cndmask_b32_e64 v3, 0, 1, vcc_lo
	s_delay_alu instid0(VALU_DEP_1)
	v_lshrrev_b64 v[0:1], v3, v[0:1]
; %bb.24760:                            ;   in Loop: Header=BB6_22365 Depth=3
	s_and_not1_saveexec_b32 s13, s13
; %bb.24761:                            ;   in Loop: Header=BB6_22365 Depth=3
	s_delay_alu instid0(VALU_DEP_1)
	v_bfe_u32 v2, v0, 23, 1
; %bb.24762:                            ;   in Loop: Header=BB6_22365 Depth=3
	s_or_b32 exec_lo, exec_lo, s13
	s_delay_alu instid0(VALU_DEP_2) | instskip(NEXT) | instid1(VALU_DEP_2)
	v_lshrrev_b64 v[0:1], 21, v[0:1]
	v_cmp_gt_i32_e32 vcc_lo, 32, v2
	v_min_i32_e32 v3, 31, v2
	v_cmp_eq_u32_e64 s13, 0, v2
	s_delay_alu instid0(VALU_DEP_2) | instskip(SKIP_1) | instid1(VALU_DEP_2)
	v_dual_cndmask_b32 v1, 0, v1, vcc_lo :: v_dual_lshlrev_b32 v3, 2, v3
	v_cndmask_b32_e32 v0, 3, v0, vcc_lo
	v_and_b32_e32 v3, 0xfc, v3
	s_delay_alu instid0(VALU_DEP_2) | instskip(NEXT) | instid1(VALU_DEP_2)
	v_cmp_eq_u64_e32 vcc_lo, 0, v[0:1]
	v_and_or_b32 v0, v0, 3, v3
	s_and_b32 s13, s13, vcc_lo
	s_delay_alu instid0(VALU_DEP_1) | instid1(SALU_CYCLE_1)
	v_cndmask_b32_e64 v0, v0, 0, s13
	s_delay_alu instid0(VALU_DEP_1)
	v_or_b32_e32 v118, v0, v4
.LBB6_24763:                            ;   in Loop: Header=BB6_22365 Depth=3
	s_or_b32 exec_lo, exec_lo, s75
                                        ; implicit-def: $vgpr4
.LBB6_24764:                            ;   in Loop: Header=BB6_22365 Depth=3
	s_and_not1_saveexec_b32 s13, s74
; %bb.24765:                            ;   in Loop: Header=BB6_22365 Depth=3
	v_or_b32_e32 v118, 0x7b, v4
; %bb.24766:                            ;   in Loop: Header=BB6_22365 Depth=3
	s_or_b32 exec_lo, exec_lo, s13
                                        ; implicit-def: $vgpr2
                                        ; implicit-def: $vgpr0_vgpr1
                                        ; implicit-def: $vgpr3
.LBB6_24767:                            ;   in Loop: Header=BB6_22365 Depth=3
	s_and_not1_saveexec_b32 s13, s73
	s_cbranch_execz .LBB6_24773
; %bb.24768:                            ;   in Loop: Header=BB6_22365 Depth=3
	s_mov_b32 s73, exec_lo
                                        ; implicit-def: $vgpr118
	v_cmpx_ne_u64_e32 0, v[0:1]
	s_xor_b32 s73, exec_lo, s73
; %bb.24769:                            ;   in Loop: Header=BB6_22365 Depth=3
	v_or_b32_e32 v118, 0x7f, v3
                                        ; implicit-def: $vgpr2
; %bb.24770:                            ;   in Loop: Header=BB6_22365 Depth=3
	s_and_not1_saveexec_b32 s73, s73
; %bb.24771:                            ;   in Loop: Header=BB6_22365 Depth=3
	v_cmp_lt_i32_e32 vcc_lo, -1, v2
	v_mov_b32_e32 v0, 0x7c
	s_delay_alu instid0(VALU_DEP_1)
	v_cndmask_b32_e32 v118, 0xfc, v0, vcc_lo
; %bb.24772:                            ;   in Loop: Header=BB6_22365 Depth=3
	s_or_b32 exec_lo, exec_lo, s73
.LBB6_24773:                            ;   in Loop: Header=BB6_22365 Depth=3
	s_delay_alu instid0(SALU_CYCLE_1) | instskip(SKIP_4) | instid1(VALU_DEP_2)
	s_or_b32 exec_lo, exec_lo, s13
	v_dual_lshlrev_b32 v0, 24, v46 :: v_dual_lshlrev_b32 v2, 16, v45
	v_lshl_or_b32 v43, v43, 8, v41
	v_dual_mov_b32 v1, v113 :: v_dual_mov_b32 v3, 0
	s_mov_b32 s73, exec_lo
	v_or3_b32 v0, v2, v0, v43
	v_mov_b32_e32 v2, 0
	v_cmpx_ne_u32_e32 0, v41
	s_cbranch_execz .LBB6_24783
; %bb.24774:                            ;   in Loop: Header=BB6_22365 Depth=3
	v_bfrev_b32_e32 v2, 1
	s_mov_b32 s74, exec_lo
	v_cmpx_ne_u32_e32 0x80, v41
	s_cbranch_execz .LBB6_24782
; %bb.24775:                            ;   in Loop: Header=BB6_22365 Depth=3
	v_and_b32_e32 v2, 0x7c, v41
	v_and_b32_e32 v4, 3, v41
	s_delay_alu instid0(VALU_DEP_2) | instskip(SKIP_1) | instid1(SALU_CYCLE_1)
	v_cmp_ne_u32_e32 vcc_lo, 0x7c, v2
                                        ; implicit-def: $vgpr2
	s_and_saveexec_b32 s13, vcc_lo
	s_xor_b32 s13, exec_lo, s13
	s_cbranch_execz .LBB6_24779
; %bb.24776:                            ;   in Loop: Header=BB6_22365 Depth=3
	v_bfe_u32 v2, v41, 2, 5
	s_mov_b32 s75, exec_lo
	s_delay_alu instid0(VALU_DEP_1)
	v_cmpx_eq_u32_e32 0, v2
; %bb.24777:                            ;   in Loop: Header=BB6_22365 Depth=3
	v_clz_i32_u32_e32 v2, v4
	s_delay_alu instid0(VALU_DEP_1) | instskip(NEXT) | instid1(VALU_DEP_1)
	v_min_u32_e32 v2, 32, v2
	v_subrev_nc_u32_e32 v4, 29, v2
	s_delay_alu instid0(VALU_DEP_1) | instskip(NEXT) | instid1(VALU_DEP_1)
	v_lshlrev_b64_e32 v[4:5], v4, v[0:1]
	v_dual_sub_nc_u32 v2, 30, v2 :: v_dual_bitop2_b32 v4, 3, v4 bitop3:0x40
; %bb.24778:                            ;   in Loop: Header=BB6_22365 Depth=3
	s_or_b32 exec_lo, exec_lo, s75
	v_lshlrev_b32_e32 v1, 24, v41
                                        ; implicit-def: $vgpr41
	s_delay_alu instid0(VALU_DEP_1) | instskip(NEXT) | instid1(VALU_DEP_1)
	v_and_b32_e32 v1, 0x80000000, v1
	v_lshl_add_u32 v1, v2, 23, v1
	s_delay_alu instid0(VALU_DEP_1) | instskip(NEXT) | instid1(VALU_DEP_1)
	v_lshl_or_b32 v1, v4, 21, v1
                                        ; implicit-def: $vgpr4
	v_add_nc_u32_e32 v2, 0x38000000, v1
.LBB6_24779:                            ;   in Loop: Header=BB6_22365 Depth=3
	s_and_not1_saveexec_b32 s75, s13
; %bb.24780:                            ;   in Loop: Header=BB6_22365 Depth=3
	v_and_b32_e32 v1, 0x80, v41
	v_cmp_eq_u32_e32 vcc_lo, 0, v4
	s_delay_alu instid0(VALU_DEP_2) | instskip(SKIP_1) | instid1(VALU_DEP_1)
	v_cmp_eq_u32_e64 s13, 0, v1
	v_mov_b32_e32 v1, 0x7f800000
	v_cndmask_b32_e64 v1, 0xff800000, v1, s13
	s_delay_alu instid0(VALU_DEP_1)
	v_cndmask_b32_e32 v2, 0x7f800001, v1, vcc_lo
; %bb.24781:                            ;   in Loop: Header=BB6_22365 Depth=3
	s_or_b32 exec_lo, exec_lo, s75
.LBB6_24782:                            ;   in Loop: Header=BB6_22365 Depth=3
	s_delay_alu instid0(SALU_CYCLE_1)
	s_or_b32 exec_lo, exec_lo, s74
.LBB6_24783:                            ;   in Loop: Header=BB6_22365 Depth=3
	s_delay_alu instid0(SALU_CYCLE_1) | instskip(SKIP_2) | instid1(VALU_DEP_1)
	s_or_b32 exec_lo, exec_lo, s73
	v_and_b32_e32 v1, 0xff, v23
	s_mov_b32 s73, exec_lo
	v_cmpx_ne_u16_e32 0, v1
	s_cbranch_execz .LBB6_24793
; %bb.24784:                            ;   in Loop: Header=BB6_22365 Depth=3
	v_bfrev_b32_e32 v3, 1
	s_mov_b32 s74, exec_lo
	v_cmpx_ne_u16_e32 0x80, v1
	s_cbranch_execz .LBB6_24792
; %bb.24785:                            ;   in Loop: Header=BB6_22365 Depth=3
	v_and_b32_e32 v3, 0x7c, v23
	v_and_b32_e32 v1, 3, v23
	s_delay_alu instid0(VALU_DEP_2) | instskip(SKIP_1) | instid1(SALU_CYCLE_1)
	v_cmp_ne_u32_e32 vcc_lo, 0x7c, v3
                                        ; implicit-def: $vgpr3
	s_and_saveexec_b32 s13, vcc_lo
	s_xor_b32 s13, exec_lo, s13
	s_cbranch_execz .LBB6_24789
; %bb.24786:                            ;   in Loop: Header=BB6_22365 Depth=3
	v_bfe_u32 v3, v23, 2, 5
	s_mov_b32 s75, exec_lo
	s_delay_alu instid0(VALU_DEP_1)
	v_cmpx_eq_u32_e32 0, v3
; %bb.24787:                            ;   in Loop: Header=BB6_22365 Depth=3
	v_clz_i32_u32_e32 v1, v1
	v_dual_mov_b32 v4, v23 :: v_dual_mov_b32 v5, v113
	s_delay_alu instid0(VALU_DEP_2) | instskip(NEXT) | instid1(VALU_DEP_1)
	v_min_u32_e32 v1, 32, v1
	v_subrev_nc_u32_e32 v3, 29, v1
	s_delay_alu instid0(VALU_DEP_1) | instskip(NEXT) | instid1(VALU_DEP_1)
	v_lshlrev_b64_e32 v[4:5], v3, v[4:5]
	v_dual_sub_nc_u32 v3, 30, v1 :: v_dual_bitop2_b32 v1, 3, v4 bitop3:0x40
; %bb.24788:                            ;   in Loop: Header=BB6_22365 Depth=3
	s_or_b32 exec_lo, exec_lo, s75
	v_lshlrev_b32_e32 v4, 24, v23
	s_delay_alu instid0(VALU_DEP_1) | instskip(NEXT) | instid1(VALU_DEP_1)
	v_and_b32_e32 v4, 0x80000000, v4
	v_lshl_add_u32 v3, v3, 23, v4
	s_delay_alu instid0(VALU_DEP_1) | instskip(NEXT) | instid1(VALU_DEP_1)
	v_lshl_or_b32 v1, v1, 21, v3
	v_add_nc_u32_e32 v3, 0x38000000, v1
                                        ; implicit-def: $vgpr1
.LBB6_24789:                            ;   in Loop: Header=BB6_22365 Depth=3
	s_and_not1_saveexec_b32 s75, s13
; %bb.24790:                            ;   in Loop: Header=BB6_22365 Depth=3
	v_bfe_i32 v3, v23, 0, 8
	v_cmp_eq_u32_e32 vcc_lo, 0, v1
	v_mov_b32_e32 v1, 0x7f800000
	s_delay_alu instid0(VALU_DEP_3) | instskip(NEXT) | instid1(VALU_DEP_1)
	v_cmp_lt_i16_e64 s13, -1, v3
	v_cndmask_b32_e64 v1, 0xff800000, v1, s13
	s_delay_alu instid0(VALU_DEP_1)
	v_cndmask_b32_e32 v3, 0x7f800001, v1, vcc_lo
; %bb.24791:                            ;   in Loop: Header=BB6_22365 Depth=3
	s_or_b32 exec_lo, exec_lo, s75
.LBB6_24792:                            ;   in Loop: Header=BB6_22365 Depth=3
	s_delay_alu instid0(SALU_CYCLE_1)
	s_or_b32 exec_lo, exec_lo, s74
.LBB6_24793:                            ;   in Loop: Header=BB6_22365 Depth=3
	s_delay_alu instid0(SALU_CYCLE_1) | instskip(NEXT) | instid1(VALU_DEP_1)
	s_or_b32 exec_lo, exec_lo, s73
	v_dual_add_f32 v4, v2, v3 :: v_dual_mov_b32 v47, v113
	v_mov_b32_e32 v3, v113
                                        ; implicit-def: $vgpr41
	s_mov_b32 s13, exec_lo
	s_delay_alu instid0(VALU_DEP_2) | instskip(SKIP_2) | instid1(VALU_DEP_3)
	v_and_b32_e32 v46, 0x7f800000, v4
	v_and_b32_e32 v2, 0x7fffff, v4
	v_lshrrev_b32_e32 v1, 24, v4
	v_cmpx_ne_u64_e32 0x7f800000, v[46:47]
	s_xor_b32 s73, exec_lo, s13
	s_cbranch_execz .LBB6_24807
; %bb.24794:                            ;   in Loop: Header=BB6_22365 Depth=3
	v_and_b32_e32 v46, 0x7fffffff, v4
	v_mov_b32_e32 v47, v113
	v_and_b32_e32 v1, 0x80, v1
                                        ; implicit-def: $vgpr41
	s_mov_b32 s13, exec_lo
	s_delay_alu instid0(VALU_DEP_2)
	v_cmpx_gt_u64_e32 0x47600001, v[46:47]
	s_xor_b32 s74, exec_lo, s13
	s_cbranch_execz .LBB6_24804
; %bb.24795:                            ;   in Loop: Header=BB6_22365 Depth=3
	v_mov_b32_e32 v41, 0
	s_mov_b32 s75, exec_lo
	v_cmpx_ne_u32_e32 0, v4
	s_cbranch_execz .LBB6_24803
; %bb.24796:                            ;   in Loop: Header=BB6_22365 Depth=3
	v_bfe_u32 v41, v4, 23, 8
	v_or_b32_e32 v5, 0x800000, v2
	s_delay_alu instid0(VALU_DEP_2) | instskip(SKIP_2) | instid1(VALU_DEP_2)
	v_cmp_gt_u32_e64 s13, 0x72, v41
	v_sub_nc_u32_e32 v4, 0x71, v41
	v_cmp_eq_u32_e32 vcc_lo, 0, v41
	v_dual_cndmask_b32 v4, 0, v4, s13 :: v_dual_cndmask_b32 v2, v5, v2, vcc_lo
	s_delay_alu instid0(VALU_DEP_1) | instskip(NEXT) | instid1(VALU_DEP_1)
	v_cndmask_b32_e64 v45, v4, 0x70, vcc_lo
	v_dual_add_nc_u32 v4, 21, v45 :: v_dual_add_nc_u32 v46, 20, v45
	s_delay_alu instid0(VALU_DEP_1) | instskip(NEXT) | instid1(VALU_DEP_2)
	v_lshlrev_b64_e64 v[4:5], v4, -1
	v_lshlrev_b64_e64 v[46:47], v46, 1
	s_delay_alu instid0(VALU_DEP_2) | instskip(SKIP_1) | instid1(VALU_DEP_4)
	v_bfi_b32 v4, v4, 0, v2
	v_lshrrev_b64 v[2:3], v45, v[2:3]
	v_bfi_b32 v5, v5, 0, 0
	s_delay_alu instid0(VALU_DEP_1) | instskip(NEXT) | instid1(VALU_DEP_3)
	v_cmp_eq_u64_e64 s13, v[4:5], v[46:47]
	v_mov_b64_e32 v[4:5], v[2:3]
	s_and_saveexec_b32 s76, s13
; %bb.24797:                            ;   in Loop: Header=BB6_22365 Depth=3
	v_bfe_u32 v4, v2, 21, 1
	v_mov_b32_e32 v5, v113
	s_delay_alu instid0(VALU_DEP_1) | instskip(NEXT) | instid1(VALU_DEP_1)
	v_add_nc_u64_e32 v[4:5], v[2:3], v[4:5]
	v_add_nc_u64_e32 v[4:5], -1, v[4:5]
; %bb.24798:                            ;   in Loop: Header=BB6_22365 Depth=3
	s_or_b32 exec_lo, exec_lo, s76
	v_add_nc_u32_e32 v3, 0xffffff81, v41
	v_lshrrev_b32_e32 v5, 23, v2
	s_mov_b32 s13, exec_lo
	s_delay_alu instid0(VALU_DEP_2) | instskip(NEXT) | instid1(VALU_DEP_1)
	v_cndmask_b32_e64 v3, v3, 0xffffff82, vcc_lo
	v_add3_u32 v41, v45, v3, v5
	v_and_b32_e32 v3, 0x1fffff, v4
                                        ; implicit-def: $vgpr4
	s_delay_alu instid0(VALU_DEP_1) | instskip(SKIP_1) | instid1(VALU_DEP_2)
	v_dual_add_nc_u32 v5, 14, v41 :: v_dual_add_nc_u32 v2, v3, v2
	v_mov_b32_e32 v3, v113
	v_cmpx_ne_u32_e32 0, v5
	s_xor_b32 s13, exec_lo, s13
; %bb.24799:                            ;   in Loop: Header=BB6_22365 Depth=3
	s_delay_alu instid0(VALU_DEP_2) | instskip(SKIP_1) | instid1(VALU_DEP_1)
	v_cmp_lt_u64_e32 vcc_lo, 0xffffff, v[2:3]
	v_add_nc_u32_e32 v4, 15, v41
	v_cndmask_b32_e32 v4, v5, v4, vcc_lo
	v_cndmask_b32_e64 v5, 0, 1, vcc_lo
	s_delay_alu instid0(VALU_DEP_1)
	v_lshrrev_b64 v[2:3], v5, v[2:3]
; %bb.24800:                            ;   in Loop: Header=BB6_22365 Depth=3
	s_and_not1_saveexec_b32 s13, s13
; %bb.24801:                            ;   in Loop: Header=BB6_22365 Depth=3
	s_delay_alu instid0(VALU_DEP_1)
	v_bfe_u32 v4, v2, 23, 1
; %bb.24802:                            ;   in Loop: Header=BB6_22365 Depth=3
	s_or_b32 exec_lo, exec_lo, s13
	s_delay_alu instid0(VALU_DEP_2) | instskip(NEXT) | instid1(VALU_DEP_2)
	v_lshrrev_b64 v[2:3], 21, v[2:3]
	v_cmp_gt_i32_e32 vcc_lo, 32, v4
	v_min_i32_e32 v5, 31, v4
	v_cmp_eq_u32_e64 s13, 0, v4
	s_delay_alu instid0(VALU_DEP_2) | instskip(SKIP_1) | instid1(VALU_DEP_2)
	v_dual_cndmask_b32 v3, 0, v3, vcc_lo :: v_dual_lshlrev_b32 v5, 2, v5
	v_cndmask_b32_e32 v2, 3, v2, vcc_lo
	v_and_b32_e32 v5, 0xfc, v5
	s_delay_alu instid0(VALU_DEP_2) | instskip(NEXT) | instid1(VALU_DEP_2)
	v_cmp_eq_u64_e32 vcc_lo, 0, v[2:3]
	v_and_or_b32 v2, v2, 3, v5
	s_and_b32 s13, s13, vcc_lo
	s_delay_alu instid0(VALU_DEP_1) | instid1(SALU_CYCLE_1)
	v_cndmask_b32_e64 v2, v2, 0, s13
	s_delay_alu instid0(VALU_DEP_1)
	v_or_b32_e32 v41, v2, v1
.LBB6_24803:                            ;   in Loop: Header=BB6_22365 Depth=3
	s_or_b32 exec_lo, exec_lo, s75
                                        ; implicit-def: $vgpr1
.LBB6_24804:                            ;   in Loop: Header=BB6_22365 Depth=3
	s_and_not1_saveexec_b32 s13, s74
; %bb.24805:                            ;   in Loop: Header=BB6_22365 Depth=3
	v_or_b32_e32 v41, 0x7b, v1
; %bb.24806:                            ;   in Loop: Header=BB6_22365 Depth=3
	s_or_b32 exec_lo, exec_lo, s13
                                        ; implicit-def: $vgpr4
                                        ; implicit-def: $vgpr2_vgpr3
                                        ; implicit-def: $vgpr1
.LBB6_24807:                            ;   in Loop: Header=BB6_22365 Depth=3
	s_and_not1_saveexec_b32 s13, s73
	s_cbranch_execz .LBB6_24813
; %bb.24808:                            ;   in Loop: Header=BB6_22365 Depth=3
	s_mov_b32 s73, exec_lo
                                        ; implicit-def: $vgpr41
	v_cmpx_ne_u64_e32 0, v[2:3]
	s_xor_b32 s73, exec_lo, s73
; %bb.24809:                            ;   in Loop: Header=BB6_22365 Depth=3
	v_or_b32_e32 v41, 0x7f, v1
                                        ; implicit-def: $vgpr4
; %bb.24810:                            ;   in Loop: Header=BB6_22365 Depth=3
	s_and_not1_saveexec_b32 s73, s73
; %bb.24811:                            ;   in Loop: Header=BB6_22365 Depth=3
	v_cmp_lt_i32_e32 vcc_lo, -1, v4
	v_mov_b32_e32 v1, 0x7c
	s_delay_alu instid0(VALU_DEP_1)
	v_cndmask_b32_e32 v41, 0xfc, v1, vcc_lo
; %bb.24812:                            ;   in Loop: Header=BB6_22365 Depth=3
	s_or_b32 exec_lo, exec_lo, s73
.LBB6_24813:                            ;   in Loop: Header=BB6_22365 Depth=3
	s_delay_alu instid0(SALU_CYCLE_1) | instskip(SKIP_3) | instid1(VALU_DEP_2)
	s_or_b32 exec_lo, exec_lo, s13
	v_lshrrev_b16 v2, 8, v43
	v_dual_mov_b32 v1, 0 :: v_dual_mov_b32 v4, 0
	s_mov_b32 s73, exec_lo
	v_cmpx_ne_u16_e32 0, v2
	s_cbranch_execz .LBB6_24823
; %bb.24814:                            ;   in Loop: Header=BB6_22365 Depth=3
	v_bfrev_b32_e32 v4, 1
	s_mov_b32 s74, exec_lo
	v_cmpx_ne_u16_e32 0x80, v2
	s_cbranch_execz .LBB6_24822
; %bb.24815:                            ;   in Loop: Header=BB6_22365 Depth=3
	v_and_b32_e32 v5, 0xffff, v2
	s_delay_alu instid0(VALU_DEP_1) | instskip(SKIP_1) | instid1(VALU_DEP_2)
	v_and_b32_e32 v4, 0x7c, v5
	v_and_b32_e32 v3, 3, v5
	v_cmp_ne_u32_e32 vcc_lo, 0x7c, v4
                                        ; implicit-def: $vgpr4
	s_and_saveexec_b32 s13, vcc_lo
	s_delay_alu instid0(SALU_CYCLE_1)
	s_xor_b32 s13, exec_lo, s13
	s_cbranch_execz .LBB6_24819
; %bb.24816:                            ;   in Loop: Header=BB6_22365 Depth=3
	v_bfe_u32 v4, v5, 2, 5
	s_mov_b32 s75, exec_lo
	s_delay_alu instid0(VALU_DEP_1)
	v_cmpx_eq_u32_e32 0, v4
	s_cbranch_execz .LBB6_24818
; %bb.24817:                            ;   in Loop: Header=BB6_22365 Depth=3
	v_clz_i32_u32_e32 v3, v3
	s_delay_alu instid0(VALU_DEP_1) | instskip(SKIP_1) | instid1(VALU_DEP_2)
	v_min_u32_e32 v4, 32, v3
	v_mov_b32_e32 v3, v113
	v_subrev_nc_u32_e32 v5, 29, v4
	v_sub_nc_u32_e32 v4, 30, v4
	s_delay_alu instid0(VALU_DEP_2) | instskip(NEXT) | instid1(VALU_DEP_1)
	v_lshlrev_b64_e32 v[2:3], v5, v[2:3]
	v_and_b32_e32 v3, 3, v2
.LBB6_24818:                            ;   in Loop: Header=BB6_22365 Depth=3
	s_or_b32 exec_lo, exec_lo, s75
	v_lshlrev_b32_e32 v2, 16, v43
                                        ; implicit-def: $vgpr43
	s_delay_alu instid0(VALU_DEP_1) | instskip(NEXT) | instid1(VALU_DEP_1)
	v_and_b32_e32 v2, 0x80000000, v2
	v_lshl_add_u32 v2, v4, 23, v2
	s_delay_alu instid0(VALU_DEP_1) | instskip(NEXT) | instid1(VALU_DEP_1)
	v_lshl_or_b32 v2, v3, 21, v2
                                        ; implicit-def: $vgpr3
	v_add_nc_u32_e32 v4, 0x38000000, v2
.LBB6_24819:                            ;   in Loop: Header=BB6_22365 Depth=3
	s_and_not1_saveexec_b32 s75, s13
; %bb.24820:                            ;   in Loop: Header=BB6_22365 Depth=3
	v_cmp_lt_i16_e64 s13, -1, v43
	v_mov_b32_e32 v2, 0x7f800000
	v_cmp_eq_u32_e32 vcc_lo, 0, v3
	s_delay_alu instid0(VALU_DEP_2) | instskip(NEXT) | instid1(VALU_DEP_1)
	v_cndmask_b32_e64 v2, 0xff800000, v2, s13
	v_cndmask_b32_e32 v4, 0x7f800001, v2, vcc_lo
; %bb.24821:                            ;   in Loop: Header=BB6_22365 Depth=3
	s_or_b32 exec_lo, exec_lo, s75
.LBB6_24822:                            ;   in Loop: Header=BB6_22365 Depth=3
	s_delay_alu instid0(SALU_CYCLE_1)
	s_or_b32 exec_lo, exec_lo, s74
.LBB6_24823:                            ;   in Loop: Header=BB6_22365 Depth=3
	s_delay_alu instid0(SALU_CYCLE_1) | instskip(SKIP_2) | instid1(VALU_DEP_1)
	s_or_b32 exec_lo, exec_lo, s73
	v_lshrrev_b16 v2, 8, v23
	s_mov_b32 s73, exec_lo
	v_cmpx_ne_u16_e32 0, v2
	s_cbranch_execz .LBB6_24833
; %bb.24824:                            ;   in Loop: Header=BB6_22365 Depth=3
	v_bfrev_b32_e32 v1, 1
	s_mov_b32 s74, exec_lo
	v_cmpx_ne_u16_e32 0x80, v2
	s_cbranch_execz .LBB6_24832
; %bb.24825:                            ;   in Loop: Header=BB6_22365 Depth=3
	v_and_b32_e32 v5, 0xffff, v2
	s_delay_alu instid0(VALU_DEP_1) | instskip(SKIP_1) | instid1(VALU_DEP_2)
	v_and_b32_e32 v1, 0x7c, v5
	v_and_b32_e32 v3, 3, v5
	v_cmp_ne_u32_e32 vcc_lo, 0x7c, v1
                                        ; implicit-def: $vgpr1
	s_and_saveexec_b32 s13, vcc_lo
	s_delay_alu instid0(SALU_CYCLE_1)
	s_xor_b32 s13, exec_lo, s13
	s_cbranch_execz .LBB6_24829
; %bb.24826:                            ;   in Loop: Header=BB6_22365 Depth=3
	v_bfe_u32 v1, v5, 2, 5
	s_mov_b32 s75, exec_lo
	s_delay_alu instid0(VALU_DEP_1)
	v_cmpx_eq_u32_e32 0, v1
	s_cbranch_execz .LBB6_24828
; %bb.24827:                            ;   in Loop: Header=BB6_22365 Depth=3
	v_clz_i32_u32_e32 v1, v3
	s_delay_alu instid0(VALU_DEP_1) | instskip(SKIP_1) | instid1(VALU_DEP_2)
	v_min_u32_e32 v1, 32, v1
	v_mov_b32_e32 v3, v113
	v_subrev_nc_u32_e32 v5, 29, v1
	v_sub_nc_u32_e32 v1, 30, v1
	s_delay_alu instid0(VALU_DEP_2) | instskip(NEXT) | instid1(VALU_DEP_1)
	v_lshlrev_b64_e32 v[2:3], v5, v[2:3]
	v_and_b32_e32 v3, 3, v2
.LBB6_24828:                            ;   in Loop: Header=BB6_22365 Depth=3
	s_or_b32 exec_lo, exec_lo, s75
	v_lshlrev_b32_e32 v2, 16, v23
	s_delay_alu instid0(VALU_DEP_1) | instskip(NEXT) | instid1(VALU_DEP_1)
	v_and_b32_e32 v2, 0x80000000, v2
	v_lshl_add_u32 v1, v1, 23, v2
	s_delay_alu instid0(VALU_DEP_1) | instskip(NEXT) | instid1(VALU_DEP_1)
	v_lshl_or_b32 v1, v3, 21, v1
                                        ; implicit-def: $vgpr3
	v_add_nc_u32_e32 v1, 0x38000000, v1
.LBB6_24829:                            ;   in Loop: Header=BB6_22365 Depth=3
	s_and_not1_saveexec_b32 s75, s13
; %bb.24830:                            ;   in Loop: Header=BB6_22365 Depth=3
	v_cmp_lt_i16_e64 s13, -1, v23
	v_mov_b32_e32 v1, 0x7f800000
	v_cmp_eq_u32_e32 vcc_lo, 0, v3
	s_delay_alu instid0(VALU_DEP_2) | instskip(NEXT) | instid1(VALU_DEP_1)
	v_cndmask_b32_e64 v1, 0xff800000, v1, s13
	v_cndmask_b32_e32 v1, 0x7f800001, v1, vcc_lo
; %bb.24831:                            ;   in Loop: Header=BB6_22365 Depth=3
	s_or_b32 exec_lo, exec_lo, s75
.LBB6_24832:                            ;   in Loop: Header=BB6_22365 Depth=3
	s_delay_alu instid0(SALU_CYCLE_1)
	s_or_b32 exec_lo, exec_lo, s74
.LBB6_24833:                            ;   in Loop: Header=BB6_22365 Depth=3
	s_delay_alu instid0(SALU_CYCLE_1) | instskip(NEXT) | instid1(VALU_DEP_1)
	s_or_b32 exec_lo, exec_lo, s73
	v_dual_add_f32 v4, v4, v1 :: v_dual_mov_b32 v47, v113
	v_mov_b32_e32 v3, v113
                                        ; implicit-def: $vgpr43
	s_mov_b32 s13, exec_lo
	s_delay_alu instid0(VALU_DEP_2) | instskip(SKIP_2) | instid1(VALU_DEP_3)
	v_and_b32_e32 v46, 0x7f800000, v4
	v_and_b32_e32 v2, 0x7fffff, v4
	v_lshrrev_b32_e32 v1, 24, v4
	v_cmpx_ne_u64_e32 0x7f800000, v[46:47]
	s_xor_b32 s73, exec_lo, s13
	s_cbranch_execz .LBB6_24847
; %bb.24834:                            ;   in Loop: Header=BB6_22365 Depth=3
	v_and_b32_e32 v46, 0x7fffffff, v4
	v_mov_b32_e32 v47, v113
	v_and_b32_e32 v1, 0x80, v1
                                        ; implicit-def: $vgpr43
	s_mov_b32 s13, exec_lo
	s_delay_alu instid0(VALU_DEP_2)
	v_cmpx_gt_u64_e32 0x47600001, v[46:47]
	s_xor_b32 s74, exec_lo, s13
	s_cbranch_execz .LBB6_24844
; %bb.24835:                            ;   in Loop: Header=BB6_22365 Depth=3
	v_mov_b32_e32 v43, 0
	s_mov_b32 s75, exec_lo
	v_cmpx_ne_u32_e32 0, v4
	s_cbranch_execz .LBB6_24843
; %bb.24836:                            ;   in Loop: Header=BB6_22365 Depth=3
	v_bfe_u32 v43, v4, 23, 8
	v_or_b32_e32 v5, 0x800000, v2
	s_delay_alu instid0(VALU_DEP_2) | instskip(SKIP_2) | instid1(VALU_DEP_2)
	v_cmp_gt_u32_e64 s13, 0x72, v43
	v_sub_nc_u32_e32 v4, 0x71, v43
	v_cmp_eq_u32_e32 vcc_lo, 0, v43
	v_dual_cndmask_b32 v4, 0, v4, s13 :: v_dual_cndmask_b32 v2, v5, v2, vcc_lo
	s_delay_alu instid0(VALU_DEP_1) | instskip(NEXT) | instid1(VALU_DEP_1)
	v_cndmask_b32_e64 v45, v4, 0x70, vcc_lo
	v_dual_add_nc_u32 v4, 21, v45 :: v_dual_add_nc_u32 v46, 20, v45
	s_delay_alu instid0(VALU_DEP_1) | instskip(NEXT) | instid1(VALU_DEP_2)
	v_lshlrev_b64_e64 v[4:5], v4, -1
	v_lshlrev_b64_e64 v[46:47], v46, 1
	s_delay_alu instid0(VALU_DEP_2) | instskip(SKIP_1) | instid1(VALU_DEP_4)
	v_bfi_b32 v4, v4, 0, v2
	v_lshrrev_b64 v[2:3], v45, v[2:3]
	v_bfi_b32 v5, v5, 0, 0
	s_delay_alu instid0(VALU_DEP_1) | instskip(NEXT) | instid1(VALU_DEP_3)
	v_cmp_eq_u64_e64 s13, v[4:5], v[46:47]
	v_mov_b64_e32 v[4:5], v[2:3]
	s_and_saveexec_b32 s76, s13
; %bb.24837:                            ;   in Loop: Header=BB6_22365 Depth=3
	v_bfe_u32 v4, v2, 21, 1
	v_mov_b32_e32 v5, v113
	s_delay_alu instid0(VALU_DEP_1) | instskip(NEXT) | instid1(VALU_DEP_1)
	v_add_nc_u64_e32 v[4:5], v[2:3], v[4:5]
	v_add_nc_u64_e32 v[4:5], -1, v[4:5]
; %bb.24838:                            ;   in Loop: Header=BB6_22365 Depth=3
	s_or_b32 exec_lo, exec_lo, s76
	v_add_nc_u32_e32 v3, 0xffffff81, v43
	v_lshrrev_b32_e32 v5, 23, v2
	s_mov_b32 s13, exec_lo
	s_delay_alu instid0(VALU_DEP_2) | instskip(NEXT) | instid1(VALU_DEP_1)
	v_cndmask_b32_e64 v3, v3, 0xffffff82, vcc_lo
	v_add3_u32 v43, v45, v3, v5
	v_and_b32_e32 v3, 0x1fffff, v4
                                        ; implicit-def: $vgpr4
	s_delay_alu instid0(VALU_DEP_1) | instskip(SKIP_1) | instid1(VALU_DEP_2)
	v_dual_add_nc_u32 v5, 14, v43 :: v_dual_add_nc_u32 v2, v3, v2
	v_mov_b32_e32 v3, v113
	v_cmpx_ne_u32_e32 0, v5
	s_xor_b32 s13, exec_lo, s13
; %bb.24839:                            ;   in Loop: Header=BB6_22365 Depth=3
	s_delay_alu instid0(VALU_DEP_2) | instskip(SKIP_1) | instid1(VALU_DEP_1)
	v_cmp_lt_u64_e32 vcc_lo, 0xffffff, v[2:3]
	v_add_nc_u32_e32 v4, 15, v43
	v_cndmask_b32_e32 v4, v5, v4, vcc_lo
	v_cndmask_b32_e64 v5, 0, 1, vcc_lo
	s_delay_alu instid0(VALU_DEP_1)
	v_lshrrev_b64 v[2:3], v5, v[2:3]
; %bb.24840:                            ;   in Loop: Header=BB6_22365 Depth=3
	s_and_not1_saveexec_b32 s13, s13
; %bb.24841:                            ;   in Loop: Header=BB6_22365 Depth=3
	s_delay_alu instid0(VALU_DEP_1)
	v_bfe_u32 v4, v2, 23, 1
; %bb.24842:                            ;   in Loop: Header=BB6_22365 Depth=3
	s_or_b32 exec_lo, exec_lo, s13
	s_delay_alu instid0(VALU_DEP_2) | instskip(NEXT) | instid1(VALU_DEP_2)
	v_lshrrev_b64 v[2:3], 21, v[2:3]
	v_cmp_gt_i32_e32 vcc_lo, 32, v4
	v_min_i32_e32 v5, 31, v4
	v_cmp_eq_u32_e64 s13, 0, v4
	s_delay_alu instid0(VALU_DEP_2) | instskip(SKIP_1) | instid1(VALU_DEP_2)
	v_dual_cndmask_b32 v3, 0, v3, vcc_lo :: v_dual_lshlrev_b32 v5, 2, v5
	v_cndmask_b32_e32 v2, 3, v2, vcc_lo
	v_and_b32_e32 v5, 0xfc, v5
	s_delay_alu instid0(VALU_DEP_2) | instskip(NEXT) | instid1(VALU_DEP_2)
	v_cmp_eq_u64_e32 vcc_lo, 0, v[2:3]
	v_and_or_b32 v2, v2, 3, v5
	s_and_b32 s13, s13, vcc_lo
	s_delay_alu instid0(VALU_DEP_1) | instid1(SALU_CYCLE_1)
	v_cndmask_b32_e64 v2, v2, 0, s13
	s_delay_alu instid0(VALU_DEP_1)
	v_or_b32_e32 v43, v2, v1
.LBB6_24843:                            ;   in Loop: Header=BB6_22365 Depth=3
	s_or_b32 exec_lo, exec_lo, s75
                                        ; implicit-def: $vgpr1
.LBB6_24844:                            ;   in Loop: Header=BB6_22365 Depth=3
	s_and_not1_saveexec_b32 s13, s74
; %bb.24845:                            ;   in Loop: Header=BB6_22365 Depth=3
	v_or_b32_e32 v43, 0x7b, v1
; %bb.24846:                            ;   in Loop: Header=BB6_22365 Depth=3
	s_or_b32 exec_lo, exec_lo, s13
                                        ; implicit-def: $vgpr4
                                        ; implicit-def: $vgpr2_vgpr3
                                        ; implicit-def: $vgpr1
.LBB6_24847:                            ;   in Loop: Header=BB6_22365 Depth=3
	s_and_not1_saveexec_b32 s13, s73
	s_cbranch_execz .LBB6_24853
; %bb.24848:                            ;   in Loop: Header=BB6_22365 Depth=3
	s_mov_b32 s73, exec_lo
                                        ; implicit-def: $vgpr43
	v_cmpx_ne_u64_e32 0, v[2:3]
	s_xor_b32 s73, exec_lo, s73
; %bb.24849:                            ;   in Loop: Header=BB6_22365 Depth=3
	v_or_b32_e32 v43, 0x7f, v1
                                        ; implicit-def: $vgpr4
; %bb.24850:                            ;   in Loop: Header=BB6_22365 Depth=3
	s_and_not1_saveexec_b32 s73, s73
; %bb.24851:                            ;   in Loop: Header=BB6_22365 Depth=3
	v_cmp_lt_i32_e32 vcc_lo, -1, v4
	v_mov_b32_e32 v1, 0x7c
	s_delay_alu instid0(VALU_DEP_1)
	v_cndmask_b32_e32 v43, 0xfc, v1, vcc_lo
; %bb.24852:                            ;   in Loop: Header=BB6_22365 Depth=3
	s_or_b32 exec_lo, exec_lo, s73
.LBB6_24853:                            ;   in Loop: Header=BB6_22365 Depth=3
	s_delay_alu instid0(SALU_CYCLE_1) | instskip(SKIP_3) | instid1(VALU_DEP_2)
	s_or_b32 exec_lo, exec_lo, s13
	v_dual_mov_b32 v1, 0 :: v_dual_lshrrev_b32 v2, 16, v0
	v_mov_b32_e32 v3, 0
	s_mov_b32 s73, exec_lo
	v_and_b32_e32 v4, 0xff, v2
	s_delay_alu instid0(VALU_DEP_1)
	v_cmpx_ne_u16_e32 0, v4
	s_cbranch_execz .LBB6_24863
; %bb.24854:                            ;   in Loop: Header=BB6_22365 Depth=3
	v_bfrev_b32_e32 v3, 1
	s_mov_b32 s74, exec_lo
	v_cmpx_ne_u16_e32 0x80, v4
	s_cbranch_execz .LBB6_24862
; %bb.24855:                            ;   in Loop: Header=BB6_22365 Depth=3
	v_and_b32_e32 v3, 0x7c0000, v0
	v_bfe_u32 v4, v0, 16, 2
	s_delay_alu instid0(VALU_DEP_2) | instskip(SKIP_1) | instid1(SALU_CYCLE_1)
	v_cmp_ne_u32_e32 vcc_lo, 0x7c0000, v3
                                        ; implicit-def: $vgpr3
	s_and_saveexec_b32 s13, vcc_lo
	s_xor_b32 s13, exec_lo, s13
	s_cbranch_execz .LBB6_24859
; %bb.24856:                            ;   in Loop: Header=BB6_22365 Depth=3
	v_bfe_u32 v3, v0, 18, 5
	s_mov_b32 s75, exec_lo
	s_delay_alu instid0(VALU_DEP_1)
	v_cmpx_eq_u32_e32 0, v3
; %bb.24857:                            ;   in Loop: Header=BB6_22365 Depth=3
	v_clz_i32_u32_e32 v3, v4
	s_delay_alu instid0(VALU_DEP_1) | instskip(NEXT) | instid1(VALU_DEP_1)
	v_min_u32_e32 v3, 32, v3
	v_subrev_nc_u32_e32 v4, 29, v3
	s_delay_alu instid0(VALU_DEP_1) | instskip(NEXT) | instid1(VALU_DEP_1)
	v_lshlrev_b64_e32 v[4:5], v4, v[2:3]
	v_dual_sub_nc_u32 v3, 30, v3 :: v_dual_bitop2_b32 v4, 3, v4 bitop3:0x40
; %bb.24858:                            ;   in Loop: Header=BB6_22365 Depth=3
	s_or_b32 exec_lo, exec_lo, s75
	v_lshlrev_b32_e32 v2, 24, v2
	s_delay_alu instid0(VALU_DEP_1) | instskip(NEXT) | instid1(VALU_DEP_1)
	v_and_b32_e32 v2, 0x80000000, v2
	v_lshl_add_u32 v2, v3, 23, v2
	s_delay_alu instid0(VALU_DEP_1) | instskip(NEXT) | instid1(VALU_DEP_1)
	v_lshl_or_b32 v2, v4, 21, v2
                                        ; implicit-def: $vgpr4
	v_add_nc_u32_e32 v3, 0x38000000, v2
                                        ; implicit-def: $vgpr2
.LBB6_24859:                            ;   in Loop: Header=BB6_22365 Depth=3
	s_and_not1_saveexec_b32 s75, s13
; %bb.24860:                            ;   in Loop: Header=BB6_22365 Depth=3
	v_bfe_i32 v2, v2, 0, 8
	v_cmp_eq_u32_e32 vcc_lo, 0, v4
	s_delay_alu instid0(VALU_DEP_2) | instskip(SKIP_1) | instid1(VALU_DEP_1)
	v_cmp_lt_i16_e64 s13, -1, v2
	v_mov_b32_e32 v2, 0x7f800000
	v_cndmask_b32_e64 v2, 0xff800000, v2, s13
	s_delay_alu instid0(VALU_DEP_1)
	v_cndmask_b32_e32 v3, 0x7f800001, v2, vcc_lo
; %bb.24861:                            ;   in Loop: Header=BB6_22365 Depth=3
	s_or_b32 exec_lo, exec_lo, s75
.LBB6_24862:                            ;   in Loop: Header=BB6_22365 Depth=3
	s_delay_alu instid0(SALU_CYCLE_1)
	s_or_b32 exec_lo, exec_lo, s74
.LBB6_24863:                            ;   in Loop: Header=BB6_22365 Depth=3
	s_delay_alu instid0(SALU_CYCLE_1) | instskip(SKIP_2) | instid1(VALU_DEP_1)
	s_or_b32 exec_lo, exec_lo, s73
	v_lshrrev_b32_e32 v2, 16, v23
	s_mov_b32 s73, exec_lo
	v_and_b32_e32 v4, 0xff, v2
	s_delay_alu instid0(VALU_DEP_1)
	v_cmpx_ne_u16_e32 0, v4
	s_cbranch_execz .LBB6_24873
; %bb.24864:                            ;   in Loop: Header=BB6_22365 Depth=3
	v_bfrev_b32_e32 v1, 1
	s_mov_b32 s74, exec_lo
	v_cmpx_ne_u16_e32 0x80, v4
	s_cbranch_execz .LBB6_24872
; %bb.24865:                            ;   in Loop: Header=BB6_22365 Depth=3
	v_and_b32_e32 v1, 0x7c0000, v23
	v_bfe_u32 v4, v23, 16, 2
	s_delay_alu instid0(VALU_DEP_2) | instskip(SKIP_1) | instid1(SALU_CYCLE_1)
	v_cmp_ne_u32_e32 vcc_lo, 0x7c0000, v1
                                        ; implicit-def: $vgpr1
	s_and_saveexec_b32 s13, vcc_lo
	s_xor_b32 s13, exec_lo, s13
	s_cbranch_execz .LBB6_24869
; %bb.24866:                            ;   in Loop: Header=BB6_22365 Depth=3
	v_bfe_u32 v1, v23, 18, 5
	s_mov_b32 s75, exec_lo
	s_delay_alu instid0(VALU_DEP_1)
	v_cmpx_eq_u32_e32 0, v1
; %bb.24867:                            ;   in Loop: Header=BB6_22365 Depth=3
	v_clz_i32_u32_e32 v1, v4
	s_delay_alu instid0(VALU_DEP_1) | instskip(NEXT) | instid1(VALU_DEP_1)
	v_min_u32_e32 v1, 32, v1
	v_subrev_nc_u32_e32 v4, 29, v1
	s_delay_alu instid0(VALU_DEP_1) | instskip(NEXT) | instid1(VALU_DEP_1)
	v_lshlrev_b64_e32 v[4:5], v4, v[2:3]
	v_dual_sub_nc_u32 v1, 30, v1 :: v_dual_bitop2_b32 v4, 3, v4 bitop3:0x40
; %bb.24868:                            ;   in Loop: Header=BB6_22365 Depth=3
	s_or_b32 exec_lo, exec_lo, s75
	v_lshlrev_b32_e32 v2, 24, v2
	s_delay_alu instid0(VALU_DEP_1) | instskip(NEXT) | instid1(VALU_DEP_1)
	v_and_b32_e32 v2, 0x80000000, v2
	v_lshl_add_u32 v1, v1, 23, v2
                                        ; implicit-def: $vgpr2
	s_delay_alu instid0(VALU_DEP_1) | instskip(NEXT) | instid1(VALU_DEP_1)
	v_lshl_or_b32 v1, v4, 21, v1
                                        ; implicit-def: $vgpr4
	v_add_nc_u32_e32 v1, 0x38000000, v1
.LBB6_24869:                            ;   in Loop: Header=BB6_22365 Depth=3
	s_and_not1_saveexec_b32 s75, s13
; %bb.24870:                            ;   in Loop: Header=BB6_22365 Depth=3
	v_bfe_i32 v1, v2, 0, 8
	v_cmp_eq_u32_e32 vcc_lo, 0, v4
	s_delay_alu instid0(VALU_DEP_2) | instskip(SKIP_1) | instid1(VALU_DEP_1)
	v_cmp_lt_i16_e64 s13, -1, v1
	v_mov_b32_e32 v1, 0x7f800000
	v_cndmask_b32_e64 v1, 0xff800000, v1, s13
	s_delay_alu instid0(VALU_DEP_1)
	v_cndmask_b32_e32 v1, 0x7f800001, v1, vcc_lo
; %bb.24871:                            ;   in Loop: Header=BB6_22365 Depth=3
	s_or_b32 exec_lo, exec_lo, s75
.LBB6_24872:                            ;   in Loop: Header=BB6_22365 Depth=3
	s_delay_alu instid0(SALU_CYCLE_1)
	s_or_b32 exec_lo, exec_lo, s74
.LBB6_24873:                            ;   in Loop: Header=BB6_22365 Depth=3
	s_delay_alu instid0(SALU_CYCLE_1) | instskip(NEXT) | instid1(VALU_DEP_1)
	s_or_b32 exec_lo, exec_lo, s73
	v_dual_add_f32 v4, v3, v1 :: v_dual_mov_b32 v47, v113
	v_mov_b32_e32 v3, v113
                                        ; implicit-def: $vgpr45
	s_mov_b32 s13, exec_lo
	s_delay_alu instid0(VALU_DEP_2) | instskip(SKIP_2) | instid1(VALU_DEP_3)
	v_and_b32_e32 v46, 0x7f800000, v4
	v_and_b32_e32 v2, 0x7fffff, v4
	v_lshrrev_b32_e32 v1, 24, v4
	v_cmpx_ne_u64_e32 0x7f800000, v[46:47]
	s_xor_b32 s73, exec_lo, s13
	s_cbranch_execz .LBB6_24887
; %bb.24874:                            ;   in Loop: Header=BB6_22365 Depth=3
	v_and_b32_e32 v46, 0x7fffffff, v4
	v_mov_b32_e32 v47, v113
	v_and_b32_e32 v1, 0x80, v1
                                        ; implicit-def: $vgpr45
	s_mov_b32 s13, exec_lo
	s_delay_alu instid0(VALU_DEP_2)
	v_cmpx_gt_u64_e32 0x47600001, v[46:47]
	s_xor_b32 s74, exec_lo, s13
	s_cbranch_execz .LBB6_24884
; %bb.24875:                            ;   in Loop: Header=BB6_22365 Depth=3
	v_mov_b32_e32 v45, 0
	s_mov_b32 s75, exec_lo
	v_cmpx_ne_u32_e32 0, v4
	s_cbranch_execz .LBB6_24883
; %bb.24876:                            ;   in Loop: Header=BB6_22365 Depth=3
	v_bfe_u32 v45, v4, 23, 8
	v_or_b32_e32 v5, 0x800000, v2
	s_delay_alu instid0(VALU_DEP_2) | instskip(SKIP_2) | instid1(VALU_DEP_2)
	v_cmp_gt_u32_e64 s13, 0x72, v45
	v_sub_nc_u32_e32 v4, 0x71, v45
	v_cmp_eq_u32_e32 vcc_lo, 0, v45
	v_dual_cndmask_b32 v4, 0, v4, s13 :: v_dual_cndmask_b32 v2, v5, v2, vcc_lo
	s_delay_alu instid0(VALU_DEP_1) | instskip(NEXT) | instid1(VALU_DEP_1)
	v_cndmask_b32_e64 v46, v4, 0x70, vcc_lo
	v_dual_add_nc_u32 v4, 21, v46 :: v_dual_add_nc_u32 v47, 20, v46
	s_delay_alu instid0(VALU_DEP_1) | instskip(NEXT) | instid1(VALU_DEP_2)
	v_lshlrev_b64_e64 v[4:5], v4, -1
	v_lshlrev_b64_e64 v[56:57], v47, 1
	s_delay_alu instid0(VALU_DEP_2) | instskip(SKIP_1) | instid1(VALU_DEP_4)
	v_bfi_b32 v4, v4, 0, v2
	v_lshrrev_b64 v[2:3], v46, v[2:3]
	v_bfi_b32 v5, v5, 0, 0
	s_delay_alu instid0(VALU_DEP_1) | instskip(NEXT) | instid1(VALU_DEP_3)
	v_cmp_eq_u64_e64 s13, v[4:5], v[56:57]
	v_mov_b64_e32 v[4:5], v[2:3]
	s_and_saveexec_b32 s76, s13
; %bb.24877:                            ;   in Loop: Header=BB6_22365 Depth=3
	v_bfe_u32 v4, v2, 21, 1
	v_mov_b32_e32 v5, v113
	s_delay_alu instid0(VALU_DEP_1) | instskip(NEXT) | instid1(VALU_DEP_1)
	v_add_nc_u64_e32 v[4:5], v[2:3], v[4:5]
	v_add_nc_u64_e32 v[4:5], -1, v[4:5]
; %bb.24878:                            ;   in Loop: Header=BB6_22365 Depth=3
	s_or_b32 exec_lo, exec_lo, s76
	v_add_nc_u32_e32 v3, 0xffffff81, v45
	v_lshrrev_b32_e32 v5, 23, v2
	s_mov_b32 s13, exec_lo
	s_delay_alu instid0(VALU_DEP_2) | instskip(NEXT) | instid1(VALU_DEP_1)
	v_cndmask_b32_e64 v3, v3, 0xffffff82, vcc_lo
	v_add3_u32 v45, v46, v3, v5
	v_and_b32_e32 v3, 0x1fffff, v4
                                        ; implicit-def: $vgpr4
	s_delay_alu instid0(VALU_DEP_1) | instskip(SKIP_1) | instid1(VALU_DEP_2)
	v_dual_add_nc_u32 v5, 14, v45 :: v_dual_add_nc_u32 v2, v3, v2
	v_mov_b32_e32 v3, v113
	v_cmpx_ne_u32_e32 0, v5
	s_xor_b32 s13, exec_lo, s13
; %bb.24879:                            ;   in Loop: Header=BB6_22365 Depth=3
	s_delay_alu instid0(VALU_DEP_2) | instskip(SKIP_1) | instid1(VALU_DEP_1)
	v_cmp_lt_u64_e32 vcc_lo, 0xffffff, v[2:3]
	v_add_nc_u32_e32 v4, 15, v45
	v_cndmask_b32_e32 v4, v5, v4, vcc_lo
	v_cndmask_b32_e64 v5, 0, 1, vcc_lo
	s_delay_alu instid0(VALU_DEP_1)
	v_lshrrev_b64 v[2:3], v5, v[2:3]
; %bb.24880:                            ;   in Loop: Header=BB6_22365 Depth=3
	s_and_not1_saveexec_b32 s13, s13
; %bb.24881:                            ;   in Loop: Header=BB6_22365 Depth=3
	s_delay_alu instid0(VALU_DEP_1)
	v_bfe_u32 v4, v2, 23, 1
; %bb.24882:                            ;   in Loop: Header=BB6_22365 Depth=3
	s_or_b32 exec_lo, exec_lo, s13
	s_delay_alu instid0(VALU_DEP_2) | instskip(NEXT) | instid1(VALU_DEP_2)
	v_lshrrev_b64 v[2:3], 21, v[2:3]
	v_cmp_gt_i32_e32 vcc_lo, 32, v4
	v_min_i32_e32 v5, 31, v4
	v_cmp_eq_u32_e64 s13, 0, v4
	s_delay_alu instid0(VALU_DEP_2) | instskip(SKIP_1) | instid1(VALU_DEP_2)
	v_dual_cndmask_b32 v3, 0, v3, vcc_lo :: v_dual_lshlrev_b32 v5, 2, v5
	v_cndmask_b32_e32 v2, 3, v2, vcc_lo
	v_and_b32_e32 v5, 0xfc, v5
	s_delay_alu instid0(VALU_DEP_2) | instskip(NEXT) | instid1(VALU_DEP_2)
	v_cmp_eq_u64_e32 vcc_lo, 0, v[2:3]
	v_and_or_b32 v2, v2, 3, v5
	s_and_b32 s13, s13, vcc_lo
	s_delay_alu instid0(VALU_DEP_1) | instid1(SALU_CYCLE_1)
	v_cndmask_b32_e64 v2, v2, 0, s13
	s_delay_alu instid0(VALU_DEP_1)
	v_or_b32_e32 v45, v2, v1
.LBB6_24883:                            ;   in Loop: Header=BB6_22365 Depth=3
	s_or_b32 exec_lo, exec_lo, s75
                                        ; implicit-def: $vgpr1
.LBB6_24884:                            ;   in Loop: Header=BB6_22365 Depth=3
	s_and_not1_saveexec_b32 s13, s74
; %bb.24885:                            ;   in Loop: Header=BB6_22365 Depth=3
	v_or_b32_e32 v45, 0x7b, v1
; %bb.24886:                            ;   in Loop: Header=BB6_22365 Depth=3
	s_or_b32 exec_lo, exec_lo, s13
                                        ; implicit-def: $vgpr4
                                        ; implicit-def: $vgpr2_vgpr3
                                        ; implicit-def: $vgpr1
.LBB6_24887:                            ;   in Loop: Header=BB6_22365 Depth=3
	s_and_not1_saveexec_b32 s13, s73
	s_cbranch_execz .LBB6_24893
; %bb.24888:                            ;   in Loop: Header=BB6_22365 Depth=3
	s_mov_b32 s73, exec_lo
                                        ; implicit-def: $vgpr45
	v_cmpx_ne_u64_e32 0, v[2:3]
	s_xor_b32 s73, exec_lo, s73
; %bb.24889:                            ;   in Loop: Header=BB6_22365 Depth=3
	v_or_b32_e32 v45, 0x7f, v1
                                        ; implicit-def: $vgpr4
; %bb.24890:                            ;   in Loop: Header=BB6_22365 Depth=3
	s_and_not1_saveexec_b32 s73, s73
; %bb.24891:                            ;   in Loop: Header=BB6_22365 Depth=3
	v_cmp_lt_i32_e32 vcc_lo, -1, v4
	v_mov_b32_e32 v1, 0x7c
	s_delay_alu instid0(VALU_DEP_1)
	v_cndmask_b32_e32 v45, 0xfc, v1, vcc_lo
; %bb.24892:                            ;   in Loop: Header=BB6_22365 Depth=3
	s_or_b32 exec_lo, exec_lo, s73
.LBB6_24893:                            ;   in Loop: Header=BB6_22365 Depth=3
	s_delay_alu instid0(SALU_CYCLE_1)
	s_or_b32 exec_lo, exec_lo, s13
	v_dual_mov_b32 v3, 0 :: v_dual_mov_b32 v4, 0
	s_mov_b32 s73, exec_lo
	v_cmpx_lt_u32_e32 0xffffff, v0
	s_cbranch_execz .LBB6_24903
; %bb.24894:                            ;   in Loop: Header=BB6_22365 Depth=3
	v_lshrrev_b32_e32 v2, 24, v0
	v_bfrev_b32_e32 v4, 1
	s_mov_b32 s74, exec_lo
	s_delay_alu instid0(VALU_DEP_2)
	v_cmpx_ne_u32_e32 0x80, v2
	s_cbranch_execz .LBB6_24902
; %bb.24895:                            ;   in Loop: Header=BB6_22365 Depth=3
	v_and_b32_e32 v1, 0x7c000000, v0
	v_bfe_u32 v5, v0, 24, 2
	s_mov_b32 s13, exec_lo
                                        ; implicit-def: $vgpr4
	s_delay_alu instid0(VALU_DEP_2)
	v_cmpx_ne_u32_e32 0x7c000000, v1
	s_xor_b32 s13, exec_lo, s13
	s_cbranch_execz .LBB6_24899
; %bb.24896:                            ;   in Loop: Header=BB6_22365 Depth=3
	v_bfe_u32 v1, v0, 26, 5
	s_mov_b32 s75, exec_lo
	s_delay_alu instid0(VALU_DEP_1)
	v_cmpx_eq_u32_e32 0, v1
; %bb.24897:                            ;   in Loop: Header=BB6_22365 Depth=3
	v_clz_i32_u32_e32 v1, v5
	s_delay_alu instid0(VALU_DEP_1) | instskip(NEXT) | instid1(VALU_DEP_1)
	v_min_u32_e32 v1, 32, v1
	v_subrev_nc_u32_e32 v4, 29, v1
	s_delay_alu instid0(VALU_DEP_1) | instskip(NEXT) | instid1(VALU_DEP_1)
	v_lshlrev_b64_e32 v[4:5], v4, v[2:3]
	v_dual_sub_nc_u32 v1, 30, v1 :: v_dual_bitop2_b32 v5, 3, v4 bitop3:0x40
; %bb.24898:                            ;   in Loop: Header=BB6_22365 Depth=3
	s_or_b32 exec_lo, exec_lo, s75
	v_and_b32_e32 v0, 0x80000000, v0
	s_delay_alu instid0(VALU_DEP_1) | instskip(NEXT) | instid1(VALU_DEP_1)
	v_lshl_add_u32 v0, v1, 23, v0
	v_lshl_or_b32 v0, v5, 21, v0
                                        ; implicit-def: $vgpr5
	s_delay_alu instid0(VALU_DEP_1)
	v_add_nc_u32_e32 v4, 0x38000000, v0
                                        ; implicit-def: $vgpr0_vgpr1
.LBB6_24899:                            ;   in Loop: Header=BB6_22365 Depth=3
	s_and_not1_saveexec_b32 s75, s13
; %bb.24900:                            ;   in Loop: Header=BB6_22365 Depth=3
	v_cmp_lt_i32_e64 s13, -1, v0
	v_mov_b32_e32 v0, 0x7f800000
	v_cmp_eq_u32_e32 vcc_lo, 0, v5
	s_delay_alu instid0(VALU_DEP_2) | instskip(NEXT) | instid1(VALU_DEP_1)
	v_cndmask_b32_e64 v0, 0xff800000, v0, s13
	v_cndmask_b32_e32 v4, 0x7f800001, v0, vcc_lo
; %bb.24901:                            ;   in Loop: Header=BB6_22365 Depth=3
	s_or_b32 exec_lo, exec_lo, s75
.LBB6_24902:                            ;   in Loop: Header=BB6_22365 Depth=3
	s_delay_alu instid0(SALU_CYCLE_1)
	s_or_b32 exec_lo, exec_lo, s74
.LBB6_24903:                            ;   in Loop: Header=BB6_22365 Depth=3
	s_delay_alu instid0(SALU_CYCLE_1) | instskip(NEXT) | instid1(SALU_CYCLE_1)
	s_or_b32 exec_lo, exec_lo, s73
	s_mov_b32 s73, exec_lo
	v_cmpx_lt_u64_e64 s[22:23], v[22:23]
	s_cbranch_execz .LBB6_24913
; %bb.24904:                            ;   in Loop: Header=BB6_22365 Depth=3
	v_lshrrev_b32_e32 v0, 24, v23
	v_bfrev_b32_e32 v3, 1
	s_mov_b32 s74, exec_lo
	s_delay_alu instid0(VALU_DEP_2)
	v_cmpx_ne_u32_e32 0x80, v0
	s_cbranch_execz .LBB6_24912
; %bb.24905:                            ;   in Loop: Header=BB6_22365 Depth=3
	v_and_b32_e32 v2, 0x7c000000, v23
	v_bfe_u32 v1, v23, 24, 2
	s_mov_b32 s13, exec_lo
                                        ; implicit-def: $vgpr3
	s_delay_alu instid0(VALU_DEP_2)
	v_cmpx_ne_u32_e32 0x7c000000, v2
	s_xor_b32 s13, exec_lo, s13
	s_cbranch_execz .LBB6_24909
; %bb.24906:                            ;   in Loop: Header=BB6_22365 Depth=3
	v_bfe_u32 v2, v23, 26, 5
	s_mov_b32 s75, exec_lo
	s_delay_alu instid0(VALU_DEP_1)
	v_cmpx_eq_u32_e32 0, v2
; %bb.24907:                            ;   in Loop: Header=BB6_22365 Depth=3
	v_clz_i32_u32_e32 v1, v1
	s_delay_alu instid0(VALU_DEP_1) | instskip(NEXT) | instid1(VALU_DEP_1)
	v_min_u32_e32 v2, 32, v1
	v_subrev_nc_u32_e32 v1, 29, v2
	s_delay_alu instid0(VALU_DEP_1) | instskip(NEXT) | instid1(VALU_DEP_1)
	v_lshlrev_b64_e32 v[0:1], v1, v[0:1]
	v_dual_sub_nc_u32 v2, 30, v2 :: v_dual_bitop2_b32 v1, 3, v0 bitop3:0x40
; %bb.24908:                            ;   in Loop: Header=BB6_22365 Depth=3
	s_or_b32 exec_lo, exec_lo, s75
	v_and_b32_e32 v0, 0x80000000, v23
                                        ; implicit-def: $vgpr22_vgpr23
	s_delay_alu instid0(VALU_DEP_1) | instskip(NEXT) | instid1(VALU_DEP_1)
	v_lshl_add_u32 v0, v2, 23, v0
	v_lshl_or_b32 v0, v1, 21, v0
                                        ; implicit-def: $vgpr1
	s_delay_alu instid0(VALU_DEP_1)
	v_add_nc_u32_e32 v3, 0x38000000, v0
.LBB6_24909:                            ;   in Loop: Header=BB6_22365 Depth=3
	s_and_not1_saveexec_b32 s75, s13
; %bb.24910:                            ;   in Loop: Header=BB6_22365 Depth=3
	v_cmp_lt_i64_e64 s13, -1, v[22:23]
	v_mov_b32_e32 v0, 0x7f800000
	v_cmp_eq_u32_e32 vcc_lo, 0, v1
	s_delay_alu instid0(VALU_DEP_2) | instskip(NEXT) | instid1(VALU_DEP_1)
	v_cndmask_b32_e64 v0, 0xff800000, v0, s13
	v_cndmask_b32_e32 v3, 0x7f800001, v0, vcc_lo
; %bb.24911:                            ;   in Loop: Header=BB6_22365 Depth=3
	s_or_b32 exec_lo, exec_lo, s75
.LBB6_24912:                            ;   in Loop: Header=BB6_22365 Depth=3
	s_delay_alu instid0(SALU_CYCLE_1)
	s_or_b32 exec_lo, exec_lo, s74
.LBB6_24913:                            ;   in Loop: Header=BB6_22365 Depth=3
	s_delay_alu instid0(SALU_CYCLE_1) | instskip(NEXT) | instid1(VALU_DEP_1)
	s_or_b32 exec_lo, exec_lo, s73
	v_dual_add_f32 v2, v4, v3 :: v_dual_mov_b32 v5, v113
	v_mov_b32_e32 v1, v113
                                        ; implicit-def: $vgpr22
	s_mov_b32 s13, exec_lo
	s_delay_alu instid0(VALU_DEP_2) | instskip(SKIP_2) | instid1(VALU_DEP_3)
	v_and_b32_e32 v4, 0x7f800000, v2
	v_and_b32_e32 v0, 0x7fffff, v2
	v_lshrrev_b32_e32 v3, 24, v2
	v_cmpx_ne_u64_e32 0x7f800000, v[4:5]
	s_xor_b32 s73, exec_lo, s13
	s_cbranch_execz .LBB6_24927
; %bb.24914:                            ;   in Loop: Header=BB6_22365 Depth=3
	v_and_b32_e32 v4, 0x7fffffff, v2
	v_mov_b32_e32 v5, v113
                                        ; implicit-def: $vgpr22
	s_delay_alu instid0(VALU_DEP_1) | instskip(SKIP_2) | instid1(SALU_CYCLE_1)
	v_cmp_gt_u64_e32 vcc_lo, 0x47600001, v[4:5]
	v_and_b32_e32 v4, 0x80, v3
	s_and_saveexec_b32 s13, vcc_lo
	s_xor_b32 s74, exec_lo, s13
	s_cbranch_execz .LBB6_24924
; %bb.24915:                            ;   in Loop: Header=BB6_22365 Depth=3
	v_mov_b32_e32 v22, 0
	s_mov_b32 s75, exec_lo
	v_cmpx_ne_u32_e32 0, v2
	s_cbranch_execz .LBB6_24923
; %bb.24916:                            ;   in Loop: Header=BB6_22365 Depth=3
	v_bfe_u32 v5, v2, 23, 8
	v_or_b32_e32 v3, 0x800000, v0
	s_delay_alu instid0(VALU_DEP_2) | instskip(SKIP_2) | instid1(VALU_DEP_2)
	v_cmp_gt_u32_e64 s13, 0x72, v5
	v_sub_nc_u32_e32 v2, 0x71, v5
	v_cmp_eq_u32_e32 vcc_lo, 0, v5
	v_dual_cndmask_b32 v2, 0, v2, s13 :: v_dual_cndmask_b32 v0, v3, v0, vcc_lo
	s_delay_alu instid0(VALU_DEP_1) | instskip(NEXT) | instid1(VALU_DEP_1)
	v_cndmask_b32_e64 v22, v2, 0x70, vcc_lo
	v_dual_add_nc_u32 v2, 21, v22 :: v_dual_add_nc_u32 v23, 20, v22
	s_delay_alu instid0(VALU_DEP_1) | instskip(NEXT) | instid1(VALU_DEP_2)
	v_lshlrev_b64_e64 v[2:3], v2, -1
	v_lshlrev_b64_e64 v[46:47], v23, 1
	s_delay_alu instid0(VALU_DEP_2) | instskip(SKIP_1) | instid1(VALU_DEP_4)
	v_bfi_b32 v2, v2, 0, v0
	v_lshrrev_b64 v[0:1], v22, v[0:1]
	v_bfi_b32 v3, v3, 0, 0
	s_delay_alu instid0(VALU_DEP_1) | instskip(NEXT) | instid1(VALU_DEP_3)
	v_cmp_eq_u64_e64 s13, v[2:3], v[46:47]
	v_mov_b64_e32 v[2:3], v[0:1]
	s_and_saveexec_b32 s76, s13
; %bb.24917:                            ;   in Loop: Header=BB6_22365 Depth=3
	v_bfe_u32 v2, v0, 21, 1
	v_mov_b32_e32 v3, v113
	s_delay_alu instid0(VALU_DEP_1) | instskip(NEXT) | instid1(VALU_DEP_1)
	v_add_nc_u64_e32 v[2:3], v[0:1], v[2:3]
	v_add_nc_u64_e32 v[2:3], -1, v[2:3]
; %bb.24918:                            ;   in Loop: Header=BB6_22365 Depth=3
	s_or_b32 exec_lo, exec_lo, s76
	v_add_nc_u32_e32 v1, 0xffffff81, v5
	v_lshrrev_b32_e32 v3, 23, v0
	s_mov_b32 s13, exec_lo
	s_delay_alu instid0(VALU_DEP_2) | instskip(NEXT) | instid1(VALU_DEP_1)
	v_cndmask_b32_e64 v1, v1, 0xffffff82, vcc_lo
	v_add3_u32 v5, v22, v1, v3
	v_and_b32_e32 v1, 0x1fffff, v2
                                        ; implicit-def: $vgpr2
	s_delay_alu instid0(VALU_DEP_1) | instskip(SKIP_1) | instid1(VALU_DEP_2)
	v_dual_add_nc_u32 v3, 14, v5 :: v_dual_add_nc_u32 v0, v1, v0
	v_mov_b32_e32 v1, v113
	v_cmpx_ne_u32_e32 0, v3
	s_xor_b32 s13, exec_lo, s13
; %bb.24919:                            ;   in Loop: Header=BB6_22365 Depth=3
	s_delay_alu instid0(VALU_DEP_2) | instskip(SKIP_1) | instid1(VALU_DEP_1)
	v_cmp_lt_u64_e32 vcc_lo, 0xffffff, v[0:1]
	v_add_nc_u32_e32 v2, 15, v5
	v_cndmask_b32_e32 v2, v3, v2, vcc_lo
	v_cndmask_b32_e64 v3, 0, 1, vcc_lo
	s_delay_alu instid0(VALU_DEP_1)
	v_lshrrev_b64 v[0:1], v3, v[0:1]
; %bb.24920:                            ;   in Loop: Header=BB6_22365 Depth=3
	s_and_not1_saveexec_b32 s13, s13
; %bb.24921:                            ;   in Loop: Header=BB6_22365 Depth=3
	s_delay_alu instid0(VALU_DEP_1)
	v_bfe_u32 v2, v0, 23, 1
; %bb.24922:                            ;   in Loop: Header=BB6_22365 Depth=3
	s_or_b32 exec_lo, exec_lo, s13
	s_delay_alu instid0(VALU_DEP_2) | instskip(NEXT) | instid1(VALU_DEP_2)
	v_lshrrev_b64 v[0:1], 21, v[0:1]
	v_cmp_gt_i32_e32 vcc_lo, 32, v2
	v_min_i32_e32 v3, 31, v2
	v_cmp_eq_u32_e64 s13, 0, v2
	s_delay_alu instid0(VALU_DEP_2) | instskip(SKIP_1) | instid1(VALU_DEP_2)
	v_dual_cndmask_b32 v1, 0, v1, vcc_lo :: v_dual_lshlrev_b32 v3, 2, v3
	v_cndmask_b32_e32 v0, 3, v0, vcc_lo
	v_and_b32_e32 v3, 0xfc, v3
	s_delay_alu instid0(VALU_DEP_2) | instskip(NEXT) | instid1(VALU_DEP_2)
	v_cmp_eq_u64_e32 vcc_lo, 0, v[0:1]
	v_and_or_b32 v0, v0, 3, v3
	s_and_b32 s13, s13, vcc_lo
	s_delay_alu instid0(VALU_DEP_1) | instid1(SALU_CYCLE_1)
	v_cndmask_b32_e64 v0, v0, 0, s13
	s_delay_alu instid0(VALU_DEP_1)
	v_or_b32_e32 v22, v0, v4
.LBB6_24923:                            ;   in Loop: Header=BB6_22365 Depth=3
	s_or_b32 exec_lo, exec_lo, s75
                                        ; implicit-def: $vgpr4
.LBB6_24924:                            ;   in Loop: Header=BB6_22365 Depth=3
	s_and_not1_saveexec_b32 s13, s74
; %bb.24925:                            ;   in Loop: Header=BB6_22365 Depth=3
	v_or_b32_e32 v22, 0x7b, v4
; %bb.24926:                            ;   in Loop: Header=BB6_22365 Depth=3
	s_or_b32 exec_lo, exec_lo, s13
                                        ; implicit-def: $vgpr2
                                        ; implicit-def: $vgpr0_vgpr1
                                        ; implicit-def: $vgpr3
.LBB6_24927:                            ;   in Loop: Header=BB6_22365 Depth=3
	s_and_not1_saveexec_b32 s13, s73
	s_cbranch_execz .LBB6_24933
; %bb.24928:                            ;   in Loop: Header=BB6_22365 Depth=3
	s_mov_b32 s73, exec_lo
                                        ; implicit-def: $vgpr22
	v_cmpx_ne_u64_e32 0, v[0:1]
	s_xor_b32 s73, exec_lo, s73
; %bb.24929:                            ;   in Loop: Header=BB6_22365 Depth=3
	v_or_b32_e32 v22, 0x7f, v3
                                        ; implicit-def: $vgpr2
; %bb.24930:                            ;   in Loop: Header=BB6_22365 Depth=3
	s_and_not1_saveexec_b32 s73, s73
; %bb.24931:                            ;   in Loop: Header=BB6_22365 Depth=3
	v_cmp_lt_i32_e32 vcc_lo, -1, v2
	v_mov_b32_e32 v0, 0x7c
	s_delay_alu instid0(VALU_DEP_1)
	v_cndmask_b32_e32 v22, 0xfc, v0, vcc_lo
; %bb.24932:                            ;   in Loop: Header=BB6_22365 Depth=3
	s_or_b32 exec_lo, exec_lo, s73
.LBB6_24933:                            ;   in Loop: Header=BB6_22365 Depth=3
	s_delay_alu instid0(SALU_CYCLE_1) | instskip(SKIP_4) | instid1(VALU_DEP_2)
	s_or_b32 exec_lo, exec_lo, s13
	v_lshl_or_b32 v119, v119, 8, v115
	v_dual_lshlrev_b32 v0, 16, v42 :: v_dual_lshlrev_b32 v2, 24, v44
	v_dual_mov_b32 v1, v113 :: v_dual_mov_b32 v3, 0
	s_mov_b32 s73, exec_lo
	v_or3_b32 v0, v0, v2, v119
	v_mov_b32_e32 v2, 0
	v_cmpx_ne_u32_e32 0, v115
	s_cbranch_execz .LBB6_24943
; %bb.24934:                            ;   in Loop: Header=BB6_22365 Depth=3
	v_bfrev_b32_e32 v3, 1
	s_mov_b32 s74, exec_lo
	v_cmpx_ne_u32_e32 0x80, v115
	s_cbranch_execz .LBB6_24942
; %bb.24935:                            ;   in Loop: Header=BB6_22365 Depth=3
	v_and_b32_e32 v3, 0x7c, v115
	v_and_b32_e32 v4, 3, v115
	s_delay_alu instid0(VALU_DEP_2) | instskip(SKIP_1) | instid1(SALU_CYCLE_1)
	v_cmp_ne_u32_e32 vcc_lo, 0x7c, v3
                                        ; implicit-def: $vgpr3
	s_and_saveexec_b32 s13, vcc_lo
	s_xor_b32 s13, exec_lo, s13
	s_cbranch_execz .LBB6_24939
; %bb.24936:                            ;   in Loop: Header=BB6_22365 Depth=3
	v_bfe_u32 v3, v115, 2, 5
	s_mov_b32 s75, exec_lo
	s_delay_alu instid0(VALU_DEP_1)
	v_cmpx_eq_u32_e32 0, v3
; %bb.24937:                            ;   in Loop: Header=BB6_22365 Depth=3
	v_clz_i32_u32_e32 v3, v4
	s_delay_alu instid0(VALU_DEP_1) | instskip(NEXT) | instid1(VALU_DEP_1)
	v_min_u32_e32 v3, 32, v3
	v_subrev_nc_u32_e32 v4, 29, v3
	s_delay_alu instid0(VALU_DEP_1) | instskip(NEXT) | instid1(VALU_DEP_1)
	v_lshlrev_b64_e32 v[4:5], v4, v[0:1]
	v_dual_sub_nc_u32 v3, 30, v3 :: v_dual_bitop2_b32 v4, 3, v4 bitop3:0x40
; %bb.24938:                            ;   in Loop: Header=BB6_22365 Depth=3
	s_or_b32 exec_lo, exec_lo, s75
	v_lshlrev_b32_e32 v1, 24, v115
                                        ; implicit-def: $vgpr115
	s_delay_alu instid0(VALU_DEP_1) | instskip(NEXT) | instid1(VALU_DEP_1)
	v_and_b32_e32 v1, 0x80000000, v1
	v_lshl_add_u32 v1, v3, 23, v1
	s_delay_alu instid0(VALU_DEP_1) | instskip(NEXT) | instid1(VALU_DEP_1)
	v_lshl_or_b32 v1, v4, 21, v1
                                        ; implicit-def: $vgpr4
	v_add_nc_u32_e32 v3, 0x38000000, v1
.LBB6_24939:                            ;   in Loop: Header=BB6_22365 Depth=3
	s_and_not1_saveexec_b32 s75, s13
; %bb.24940:                            ;   in Loop: Header=BB6_22365 Depth=3
	v_and_b32_e32 v1, 0x80, v115
	v_cmp_eq_u32_e32 vcc_lo, 0, v4
	s_delay_alu instid0(VALU_DEP_2) | instskip(SKIP_1) | instid1(VALU_DEP_1)
	v_cmp_eq_u32_e64 s13, 0, v1
	v_mov_b32_e32 v1, 0x7f800000
	v_cndmask_b32_e64 v1, 0xff800000, v1, s13
	s_delay_alu instid0(VALU_DEP_1)
	v_cndmask_b32_e32 v3, 0x7f800001, v1, vcc_lo
; %bb.24941:                            ;   in Loop: Header=BB6_22365 Depth=3
	s_or_b32 exec_lo, exec_lo, s75
.LBB6_24942:                            ;   in Loop: Header=BB6_22365 Depth=3
	s_delay_alu instid0(SALU_CYCLE_1)
	s_or_b32 exec_lo, exec_lo, s74
.LBB6_24943:                            ;   in Loop: Header=BB6_22365 Depth=3
	s_delay_alu instid0(SALU_CYCLE_1) | instskip(SKIP_3) | instid1(VALU_DEP_1)
	s_or_b32 exec_lo, exec_lo, s73
	s_wait_loadcnt 0x2
	v_and_b32_e32 v1, 0xff, v16
	s_mov_b32 s73, exec_lo
	v_cmpx_ne_u16_e32 0, v1
	s_cbranch_execz .LBB6_24953
; %bb.24944:                            ;   in Loop: Header=BB6_22365 Depth=3
	v_bfe_i32 v4, v16, 0, 8
	v_bfrev_b32_e32 v2, 1
	s_mov_b32 s74, exec_lo
	s_delay_alu instid0(VALU_DEP_2)
	v_cmpx_ne_u16_e32 0xff80, v4
	s_cbranch_execz .LBB6_24952
; %bb.24945:                            ;   in Loop: Header=BB6_22365 Depth=3
	v_and_b32_e32 v2, 0x7c, v16
	v_and_b32_e32 v1, 3, v16
	s_delay_alu instid0(VALU_DEP_2) | instskip(SKIP_1) | instid1(SALU_CYCLE_1)
	v_cmp_ne_u32_e32 vcc_lo, 0x7c, v2
                                        ; implicit-def: $vgpr2
	s_and_saveexec_b32 s13, vcc_lo
	s_xor_b32 s13, exec_lo, s13
	s_cbranch_execz .LBB6_24949
; %bb.24946:                            ;   in Loop: Header=BB6_22365 Depth=3
	v_bfe_u32 v2, v16, 2, 5
	s_mov_b32 s75, exec_lo
	s_delay_alu instid0(VALU_DEP_1)
	v_cmpx_eq_u32_e32 0, v2
; %bb.24947:                            ;   in Loop: Header=BB6_22365 Depth=3
	v_clz_i32_u32_e32 v1, v1
	s_delay_alu instid0(VALU_DEP_1) | instskip(NEXT) | instid1(VALU_DEP_1)
	v_min_u32_e32 v1, 32, v1
	v_subrev_nc_u32_e32 v2, 29, v1
	s_delay_alu instid0(VALU_DEP_1) | instskip(NEXT) | instid1(VALU_DEP_1)
	v_lshlrev_b64_e32 v[4:5], v2, v[16:17]
	v_dual_sub_nc_u32 v2, 30, v1 :: v_dual_bitop2_b32 v1, 3, v4 bitop3:0x40
; %bb.24948:                            ;   in Loop: Header=BB6_22365 Depth=3
	s_or_b32 exec_lo, exec_lo, s75
	v_lshlrev_b32_e32 v4, 24, v16
	s_delay_alu instid0(VALU_DEP_1) | instskip(NEXT) | instid1(VALU_DEP_1)
	v_and_b32_e32 v4, 0x80000000, v4
	v_lshl_add_u32 v2, v2, 23, v4
                                        ; implicit-def: $vgpr4
	s_delay_alu instid0(VALU_DEP_1) | instskip(NEXT) | instid1(VALU_DEP_1)
	v_lshl_or_b32 v1, v1, 21, v2
	v_add_nc_u32_e32 v2, 0x38000000, v1
                                        ; implicit-def: $vgpr1
.LBB6_24949:                            ;   in Loop: Header=BB6_22365 Depth=3
	s_and_not1_saveexec_b32 s75, s13
; %bb.24950:                            ;   in Loop: Header=BB6_22365 Depth=3
	v_cmp_eq_u32_e32 vcc_lo, 0, v1
	v_cmp_lt_i16_e64 s13, -1, v4
	v_mov_b32_e32 v1, 0x7f800000
	s_delay_alu instid0(VALU_DEP_1) | instskip(NEXT) | instid1(VALU_DEP_1)
	v_cndmask_b32_e64 v1, 0xff800000, v1, s13
	v_cndmask_b32_e32 v2, 0x7f800001, v1, vcc_lo
; %bb.24951:                            ;   in Loop: Header=BB6_22365 Depth=3
	s_or_b32 exec_lo, exec_lo, s75
.LBB6_24952:                            ;   in Loop: Header=BB6_22365 Depth=3
	s_delay_alu instid0(SALU_CYCLE_1)
	s_or_b32 exec_lo, exec_lo, s74
.LBB6_24953:                            ;   in Loop: Header=BB6_22365 Depth=3
	s_delay_alu instid0(SALU_CYCLE_1) | instskip(NEXT) | instid1(VALU_DEP_1)
	s_or_b32 exec_lo, exec_lo, s73
	v_dual_add_f32 v4, v3, v2 :: v_dual_mov_b32 v47, v113
	v_mov_b32_e32 v3, v113
                                        ; implicit-def: $vgpr23
	s_mov_b32 s13, exec_lo
	s_delay_alu instid0(VALU_DEP_2) | instskip(SKIP_2) | instid1(VALU_DEP_3)
	v_and_b32_e32 v46, 0x7f800000, v4
	v_and_b32_e32 v2, 0x7fffff, v4
	v_lshrrev_b32_e32 v1, 24, v4
	v_cmpx_ne_u64_e32 0x7f800000, v[46:47]
	s_xor_b32 s73, exec_lo, s13
	s_cbranch_execz .LBB6_24967
; %bb.24954:                            ;   in Loop: Header=BB6_22365 Depth=3
	v_and_b32_e32 v46, 0x7fffffff, v4
	v_mov_b32_e32 v47, v113
	v_and_b32_e32 v1, 0x80, v1
                                        ; implicit-def: $vgpr23
	s_mov_b32 s13, exec_lo
	s_delay_alu instid0(VALU_DEP_2)
	v_cmpx_gt_u64_e32 0x47600001, v[46:47]
	s_xor_b32 s74, exec_lo, s13
	s_cbranch_execz .LBB6_24964
; %bb.24955:                            ;   in Loop: Header=BB6_22365 Depth=3
	v_mov_b32_e32 v23, 0
	s_mov_b32 s75, exec_lo
	v_cmpx_ne_u32_e32 0, v4
	s_cbranch_execz .LBB6_24963
; %bb.24956:                            ;   in Loop: Header=BB6_22365 Depth=3
	v_bfe_u32 v23, v4, 23, 8
	v_or_b32_e32 v5, 0x800000, v2
	s_delay_alu instid0(VALU_DEP_2) | instskip(SKIP_2) | instid1(VALU_DEP_2)
	v_cmp_gt_u32_e64 s13, 0x72, v23
	v_sub_nc_u32_e32 v4, 0x71, v23
	v_cmp_eq_u32_e32 vcc_lo, 0, v23
	v_dual_cndmask_b32 v4, 0, v4, s13 :: v_dual_cndmask_b32 v2, v5, v2, vcc_lo
	s_delay_alu instid0(VALU_DEP_1) | instskip(NEXT) | instid1(VALU_DEP_1)
	v_cndmask_b32_e64 v115, v4, 0x70, vcc_lo
	v_dual_add_nc_u32 v4, 21, v115 :: v_dual_add_nc_u32 v42, 20, v115
	s_delay_alu instid0(VALU_DEP_1) | instskip(NEXT) | instid1(VALU_DEP_2)
	v_lshlrev_b64_e64 v[4:5], v4, -1
	v_lshlrev_b64_e64 v[46:47], v42, 1
	s_delay_alu instid0(VALU_DEP_2) | instskip(SKIP_1) | instid1(VALU_DEP_4)
	v_bfi_b32 v4, v4, 0, v2
	v_lshrrev_b64 v[2:3], v115, v[2:3]
	v_bfi_b32 v5, v5, 0, 0
	s_delay_alu instid0(VALU_DEP_1) | instskip(NEXT) | instid1(VALU_DEP_3)
	v_cmp_eq_u64_e64 s13, v[4:5], v[46:47]
	v_mov_b64_e32 v[4:5], v[2:3]
	s_and_saveexec_b32 s76, s13
; %bb.24957:                            ;   in Loop: Header=BB6_22365 Depth=3
	v_bfe_u32 v4, v2, 21, 1
	v_mov_b32_e32 v5, v113
	s_delay_alu instid0(VALU_DEP_1) | instskip(NEXT) | instid1(VALU_DEP_1)
	v_add_nc_u64_e32 v[4:5], v[2:3], v[4:5]
	v_add_nc_u64_e32 v[4:5], -1, v[4:5]
; %bb.24958:                            ;   in Loop: Header=BB6_22365 Depth=3
	s_or_b32 exec_lo, exec_lo, s76
	v_add_nc_u32_e32 v3, 0xffffff81, v23
	v_lshrrev_b32_e32 v5, 23, v2
	s_mov_b32 s13, exec_lo
	s_delay_alu instid0(VALU_DEP_2) | instskip(NEXT) | instid1(VALU_DEP_1)
	v_cndmask_b32_e64 v3, v3, 0xffffff82, vcc_lo
	v_add3_u32 v23, v115, v3, v5
	v_and_b32_e32 v3, 0x1fffff, v4
                                        ; implicit-def: $vgpr4
	s_delay_alu instid0(VALU_DEP_1) | instskip(SKIP_1) | instid1(VALU_DEP_2)
	v_dual_add_nc_u32 v5, 14, v23 :: v_dual_add_nc_u32 v2, v3, v2
	v_mov_b32_e32 v3, v113
	v_cmpx_ne_u32_e32 0, v5
	s_xor_b32 s13, exec_lo, s13
; %bb.24959:                            ;   in Loop: Header=BB6_22365 Depth=3
	s_delay_alu instid0(VALU_DEP_2) | instskip(SKIP_1) | instid1(VALU_DEP_1)
	v_cmp_lt_u64_e32 vcc_lo, 0xffffff, v[2:3]
	v_add_nc_u32_e32 v4, 15, v23
	v_cndmask_b32_e32 v4, v5, v4, vcc_lo
	v_cndmask_b32_e64 v5, 0, 1, vcc_lo
	s_delay_alu instid0(VALU_DEP_1)
	v_lshrrev_b64 v[2:3], v5, v[2:3]
; %bb.24960:                            ;   in Loop: Header=BB6_22365 Depth=3
	s_and_not1_saveexec_b32 s13, s13
; %bb.24961:                            ;   in Loop: Header=BB6_22365 Depth=3
	s_delay_alu instid0(VALU_DEP_1)
	v_bfe_u32 v4, v2, 23, 1
; %bb.24962:                            ;   in Loop: Header=BB6_22365 Depth=3
	s_or_b32 exec_lo, exec_lo, s13
	s_delay_alu instid0(VALU_DEP_2) | instskip(NEXT) | instid1(VALU_DEP_2)
	v_lshrrev_b64 v[2:3], 21, v[2:3]
	v_cmp_gt_i32_e32 vcc_lo, 32, v4
	v_min_i32_e32 v5, 31, v4
	v_cmp_eq_u32_e64 s13, 0, v4
	s_delay_alu instid0(VALU_DEP_2) | instskip(SKIP_1) | instid1(VALU_DEP_2)
	v_dual_cndmask_b32 v3, 0, v3, vcc_lo :: v_dual_lshlrev_b32 v5, 2, v5
	v_cndmask_b32_e32 v2, 3, v2, vcc_lo
	v_and_b32_e32 v5, 0xfc, v5
	s_delay_alu instid0(VALU_DEP_2) | instskip(NEXT) | instid1(VALU_DEP_2)
	v_cmp_eq_u64_e32 vcc_lo, 0, v[2:3]
	v_and_or_b32 v2, v2, 3, v5
	s_and_b32 s13, s13, vcc_lo
	s_delay_alu instid0(VALU_DEP_1) | instid1(SALU_CYCLE_1)
	v_cndmask_b32_e64 v2, v2, 0, s13
	s_delay_alu instid0(VALU_DEP_1)
	v_or_b32_e32 v23, v2, v1
.LBB6_24963:                            ;   in Loop: Header=BB6_22365 Depth=3
	s_or_b32 exec_lo, exec_lo, s75
                                        ; implicit-def: $vgpr1
.LBB6_24964:                            ;   in Loop: Header=BB6_22365 Depth=3
	s_and_not1_saveexec_b32 s13, s74
; %bb.24965:                            ;   in Loop: Header=BB6_22365 Depth=3
	v_or_b32_e32 v23, 0x7b, v1
; %bb.24966:                            ;   in Loop: Header=BB6_22365 Depth=3
	s_or_b32 exec_lo, exec_lo, s13
                                        ; implicit-def: $vgpr4
                                        ; implicit-def: $vgpr2_vgpr3
                                        ; implicit-def: $vgpr1
.LBB6_24967:                            ;   in Loop: Header=BB6_22365 Depth=3
	s_and_not1_saveexec_b32 s13, s73
	s_cbranch_execz .LBB6_24973
; %bb.24968:                            ;   in Loop: Header=BB6_22365 Depth=3
	s_mov_b32 s73, exec_lo
                                        ; implicit-def: $vgpr23
	v_cmpx_ne_u64_e32 0, v[2:3]
	s_xor_b32 s73, exec_lo, s73
; %bb.24969:                            ;   in Loop: Header=BB6_22365 Depth=3
	v_or_b32_e32 v23, 0x7f, v1
                                        ; implicit-def: $vgpr4
; %bb.24970:                            ;   in Loop: Header=BB6_22365 Depth=3
	s_and_not1_saveexec_b32 s73, s73
; %bb.24971:                            ;   in Loop: Header=BB6_22365 Depth=3
	v_cmp_lt_i32_e32 vcc_lo, -1, v4
	v_mov_b32_e32 v1, 0x7c
	s_delay_alu instid0(VALU_DEP_1)
	v_cndmask_b32_e32 v23, 0xfc, v1, vcc_lo
; %bb.24972:                            ;   in Loop: Header=BB6_22365 Depth=3
	s_or_b32 exec_lo, exec_lo, s73
.LBB6_24973:                            ;   in Loop: Header=BB6_22365 Depth=3
	s_delay_alu instid0(SALU_CYCLE_1) | instskip(SKIP_3) | instid1(VALU_DEP_2)
	s_or_b32 exec_lo, exec_lo, s13
	v_lshrrev_b16 v2, 8, v119
	v_dual_mov_b32 v1, 0 :: v_dual_mov_b32 v4, 0
	s_mov_b32 s73, exec_lo
	v_cmpx_ne_u16_e32 0, v2
	s_cbranch_execz .LBB6_24983
; %bb.24974:                            ;   in Loop: Header=BB6_22365 Depth=3
	v_bfrev_b32_e32 v4, 1
	s_mov_b32 s74, exec_lo
	v_cmpx_ne_u16_e32 0x80, v2
	s_cbranch_execz .LBB6_24982
; %bb.24975:                            ;   in Loop: Header=BB6_22365 Depth=3
	v_and_b32_e32 v5, 0xffff, v2
	s_delay_alu instid0(VALU_DEP_1) | instskip(SKIP_1) | instid1(VALU_DEP_2)
	v_and_b32_e32 v4, 0x7c, v5
	v_and_b32_e32 v3, 3, v5
	v_cmp_ne_u32_e32 vcc_lo, 0x7c, v4
                                        ; implicit-def: $vgpr4
	s_and_saveexec_b32 s13, vcc_lo
	s_delay_alu instid0(SALU_CYCLE_1)
	s_xor_b32 s13, exec_lo, s13
	s_cbranch_execz .LBB6_24979
; %bb.24976:                            ;   in Loop: Header=BB6_22365 Depth=3
	v_bfe_u32 v4, v5, 2, 5
	s_mov_b32 s75, exec_lo
	s_delay_alu instid0(VALU_DEP_1)
	v_cmpx_eq_u32_e32 0, v4
	s_cbranch_execz .LBB6_24978
; %bb.24977:                            ;   in Loop: Header=BB6_22365 Depth=3
	v_clz_i32_u32_e32 v3, v3
	s_delay_alu instid0(VALU_DEP_1) | instskip(SKIP_1) | instid1(VALU_DEP_2)
	v_min_u32_e32 v4, 32, v3
	v_mov_b32_e32 v3, v113
	v_subrev_nc_u32_e32 v5, 29, v4
	v_sub_nc_u32_e32 v4, 30, v4
	s_delay_alu instid0(VALU_DEP_2) | instskip(NEXT) | instid1(VALU_DEP_1)
	v_lshlrev_b64_e32 v[2:3], v5, v[2:3]
	v_and_b32_e32 v3, 3, v2
.LBB6_24978:                            ;   in Loop: Header=BB6_22365 Depth=3
	s_or_b32 exec_lo, exec_lo, s75
	v_lshlrev_b32_e32 v2, 16, v119
                                        ; implicit-def: $vgpr119
	s_delay_alu instid0(VALU_DEP_1) | instskip(NEXT) | instid1(VALU_DEP_1)
	v_and_b32_e32 v2, 0x80000000, v2
	v_lshl_add_u32 v2, v4, 23, v2
	s_delay_alu instid0(VALU_DEP_1) | instskip(NEXT) | instid1(VALU_DEP_1)
	v_lshl_or_b32 v2, v3, 21, v2
                                        ; implicit-def: $vgpr3
	v_add_nc_u32_e32 v4, 0x38000000, v2
.LBB6_24979:                            ;   in Loop: Header=BB6_22365 Depth=3
	s_and_not1_saveexec_b32 s75, s13
; %bb.24980:                            ;   in Loop: Header=BB6_22365 Depth=3
	v_cmp_lt_i16_e64 s13, -1, v119
	v_mov_b32_e32 v2, 0x7f800000
	v_cmp_eq_u32_e32 vcc_lo, 0, v3
	s_delay_alu instid0(VALU_DEP_2) | instskip(NEXT) | instid1(VALU_DEP_1)
	v_cndmask_b32_e64 v2, 0xff800000, v2, s13
	v_cndmask_b32_e32 v4, 0x7f800001, v2, vcc_lo
; %bb.24981:                            ;   in Loop: Header=BB6_22365 Depth=3
	s_or_b32 exec_lo, exec_lo, s75
.LBB6_24982:                            ;   in Loop: Header=BB6_22365 Depth=3
	s_delay_alu instid0(SALU_CYCLE_1)
	s_or_b32 exec_lo, exec_lo, s74
.LBB6_24983:                            ;   in Loop: Header=BB6_22365 Depth=3
	s_delay_alu instid0(SALU_CYCLE_1) | instskip(SKIP_2) | instid1(VALU_DEP_1)
	s_or_b32 exec_lo, exec_lo, s73
	v_lshrrev_b16 v2, 8, v16
	s_mov_b32 s73, exec_lo
	v_cmpx_ne_u16_e32 0, v2
	s_cbranch_execz .LBB6_24993
; %bb.24984:                            ;   in Loop: Header=BB6_22365 Depth=3
	v_bfrev_b32_e32 v1, 1
	s_mov_b32 s74, exec_lo
	v_cmpx_ne_u16_e32 0x80, v2
	s_cbranch_execz .LBB6_24992
; %bb.24985:                            ;   in Loop: Header=BB6_22365 Depth=3
	v_and_b32_e32 v5, 0xffff, v2
	s_delay_alu instid0(VALU_DEP_1) | instskip(SKIP_1) | instid1(VALU_DEP_2)
	v_and_b32_e32 v1, 0x7c, v5
	v_and_b32_e32 v3, 3, v5
	v_cmp_ne_u32_e32 vcc_lo, 0x7c, v1
                                        ; implicit-def: $vgpr1
	s_and_saveexec_b32 s13, vcc_lo
	s_delay_alu instid0(SALU_CYCLE_1)
	s_xor_b32 s13, exec_lo, s13
	s_cbranch_execz .LBB6_24989
; %bb.24986:                            ;   in Loop: Header=BB6_22365 Depth=3
	v_bfe_u32 v1, v5, 2, 5
	s_mov_b32 s75, exec_lo
	s_delay_alu instid0(VALU_DEP_1)
	v_cmpx_eq_u32_e32 0, v1
	s_cbranch_execz .LBB6_24988
; %bb.24987:                            ;   in Loop: Header=BB6_22365 Depth=3
	v_clz_i32_u32_e32 v1, v3
	s_delay_alu instid0(VALU_DEP_1) | instskip(SKIP_1) | instid1(VALU_DEP_2)
	v_min_u32_e32 v1, 32, v1
	v_mov_b32_e32 v3, v113
	v_subrev_nc_u32_e32 v5, 29, v1
	v_sub_nc_u32_e32 v1, 30, v1
	s_delay_alu instid0(VALU_DEP_2) | instskip(NEXT) | instid1(VALU_DEP_1)
	v_lshlrev_b64_e32 v[2:3], v5, v[2:3]
	v_and_b32_e32 v3, 3, v2
.LBB6_24988:                            ;   in Loop: Header=BB6_22365 Depth=3
	s_or_b32 exec_lo, exec_lo, s75
	v_lshlrev_b32_e32 v2, 16, v16
	s_delay_alu instid0(VALU_DEP_1) | instskip(NEXT) | instid1(VALU_DEP_1)
	v_and_b32_e32 v2, 0x80000000, v2
	v_lshl_add_u32 v1, v1, 23, v2
	s_delay_alu instid0(VALU_DEP_1) | instskip(NEXT) | instid1(VALU_DEP_1)
	v_lshl_or_b32 v1, v3, 21, v1
                                        ; implicit-def: $vgpr3
	v_add_nc_u32_e32 v1, 0x38000000, v1
.LBB6_24989:                            ;   in Loop: Header=BB6_22365 Depth=3
	s_and_not1_saveexec_b32 s75, s13
; %bb.24990:                            ;   in Loop: Header=BB6_22365 Depth=3
	v_cmp_lt_i16_e64 s13, -1, v16
	v_mov_b32_e32 v1, 0x7f800000
	v_cmp_eq_u32_e32 vcc_lo, 0, v3
	s_delay_alu instid0(VALU_DEP_2) | instskip(NEXT) | instid1(VALU_DEP_1)
	v_cndmask_b32_e64 v1, 0xff800000, v1, s13
	v_cndmask_b32_e32 v1, 0x7f800001, v1, vcc_lo
; %bb.24991:                            ;   in Loop: Header=BB6_22365 Depth=3
	s_or_b32 exec_lo, exec_lo, s75
.LBB6_24992:                            ;   in Loop: Header=BB6_22365 Depth=3
	s_delay_alu instid0(SALU_CYCLE_1)
	s_or_b32 exec_lo, exec_lo, s74
.LBB6_24993:                            ;   in Loop: Header=BB6_22365 Depth=3
	s_delay_alu instid0(SALU_CYCLE_1) | instskip(NEXT) | instid1(VALU_DEP_1)
	s_or_b32 exec_lo, exec_lo, s73
	v_dual_add_f32 v4, v4, v1 :: v_dual_mov_b32 v47, v113
	v_mov_b32_e32 v3, v113
                                        ; implicit-def: $vgpr115
	s_mov_b32 s13, exec_lo
	s_delay_alu instid0(VALU_DEP_2) | instskip(SKIP_2) | instid1(VALU_DEP_3)
	v_and_b32_e32 v46, 0x7f800000, v4
	v_and_b32_e32 v2, 0x7fffff, v4
	v_lshrrev_b32_e32 v1, 24, v4
	v_cmpx_ne_u64_e32 0x7f800000, v[46:47]
	s_xor_b32 s73, exec_lo, s13
	s_cbranch_execz .LBB6_25007
; %bb.24994:                            ;   in Loop: Header=BB6_22365 Depth=3
	v_and_b32_e32 v46, 0x7fffffff, v4
	v_mov_b32_e32 v47, v113
	v_and_b32_e32 v1, 0x80, v1
                                        ; implicit-def: $vgpr115
	s_mov_b32 s13, exec_lo
	s_delay_alu instid0(VALU_DEP_2)
	v_cmpx_gt_u64_e32 0x47600001, v[46:47]
	s_xor_b32 s74, exec_lo, s13
	s_cbranch_execz .LBB6_25004
; %bb.24995:                            ;   in Loop: Header=BB6_22365 Depth=3
	v_mov_b32_e32 v115, 0
	s_mov_b32 s75, exec_lo
	v_cmpx_ne_u32_e32 0, v4
	s_cbranch_execz .LBB6_25003
; %bb.24996:                            ;   in Loop: Header=BB6_22365 Depth=3
	v_bfe_u32 v115, v4, 23, 8
	v_or_b32_e32 v5, 0x800000, v2
	s_delay_alu instid0(VALU_DEP_2) | instskip(SKIP_2) | instid1(VALU_DEP_2)
	v_cmp_gt_u32_e64 s13, 0x72, v115
	v_sub_nc_u32_e32 v4, 0x71, v115
	v_cmp_eq_u32_e32 vcc_lo, 0, v115
	v_dual_cndmask_b32 v4, 0, v4, s13 :: v_dual_cndmask_b32 v2, v5, v2, vcc_lo
	s_delay_alu instid0(VALU_DEP_1) | instskip(NEXT) | instid1(VALU_DEP_1)
	v_cndmask_b32_e64 v119, v4, 0x70, vcc_lo
	v_dual_add_nc_u32 v4, 21, v119 :: v_dual_add_nc_u32 v42, 20, v119
	s_delay_alu instid0(VALU_DEP_1) | instskip(NEXT) | instid1(VALU_DEP_2)
	v_lshlrev_b64_e64 v[4:5], v4, -1
	v_lshlrev_b64_e64 v[46:47], v42, 1
	s_delay_alu instid0(VALU_DEP_2) | instskip(SKIP_1) | instid1(VALU_DEP_4)
	v_bfi_b32 v4, v4, 0, v2
	v_lshrrev_b64 v[2:3], v119, v[2:3]
	v_bfi_b32 v5, v5, 0, 0
	s_delay_alu instid0(VALU_DEP_1) | instskip(NEXT) | instid1(VALU_DEP_3)
	v_cmp_eq_u64_e64 s13, v[4:5], v[46:47]
	v_mov_b64_e32 v[4:5], v[2:3]
	s_and_saveexec_b32 s76, s13
; %bb.24997:                            ;   in Loop: Header=BB6_22365 Depth=3
	v_bfe_u32 v4, v2, 21, 1
	v_mov_b32_e32 v5, v113
	s_delay_alu instid0(VALU_DEP_1) | instskip(NEXT) | instid1(VALU_DEP_1)
	v_add_nc_u64_e32 v[4:5], v[2:3], v[4:5]
	v_add_nc_u64_e32 v[4:5], -1, v[4:5]
; %bb.24998:                            ;   in Loop: Header=BB6_22365 Depth=3
	s_or_b32 exec_lo, exec_lo, s76
	v_add_nc_u32_e32 v3, 0xffffff81, v115
	v_lshrrev_b32_e32 v5, 23, v2
	s_mov_b32 s13, exec_lo
	s_delay_alu instid0(VALU_DEP_2) | instskip(NEXT) | instid1(VALU_DEP_1)
	v_cndmask_b32_e64 v3, v3, 0xffffff82, vcc_lo
	v_add3_u32 v115, v119, v3, v5
	v_and_b32_e32 v3, 0x1fffff, v4
                                        ; implicit-def: $vgpr4
	s_delay_alu instid0(VALU_DEP_1) | instskip(SKIP_1) | instid1(VALU_DEP_2)
	v_dual_add_nc_u32 v5, 14, v115 :: v_dual_add_nc_u32 v2, v3, v2
	v_mov_b32_e32 v3, v113
	v_cmpx_ne_u32_e32 0, v5
	s_xor_b32 s13, exec_lo, s13
; %bb.24999:                            ;   in Loop: Header=BB6_22365 Depth=3
	s_delay_alu instid0(VALU_DEP_2) | instskip(SKIP_1) | instid1(VALU_DEP_1)
	v_cmp_lt_u64_e32 vcc_lo, 0xffffff, v[2:3]
	v_add_nc_u32_e32 v4, 15, v115
	v_cndmask_b32_e32 v4, v5, v4, vcc_lo
	v_cndmask_b32_e64 v5, 0, 1, vcc_lo
	s_delay_alu instid0(VALU_DEP_1)
	v_lshrrev_b64 v[2:3], v5, v[2:3]
; %bb.25000:                            ;   in Loop: Header=BB6_22365 Depth=3
	s_and_not1_saveexec_b32 s13, s13
; %bb.25001:                            ;   in Loop: Header=BB6_22365 Depth=3
	s_delay_alu instid0(VALU_DEP_1)
	v_bfe_u32 v4, v2, 23, 1
; %bb.25002:                            ;   in Loop: Header=BB6_22365 Depth=3
	s_or_b32 exec_lo, exec_lo, s13
	s_delay_alu instid0(VALU_DEP_2) | instskip(NEXT) | instid1(VALU_DEP_2)
	v_lshrrev_b64 v[2:3], 21, v[2:3]
	v_cmp_gt_i32_e32 vcc_lo, 32, v4
	v_min_i32_e32 v5, 31, v4
	v_cmp_eq_u32_e64 s13, 0, v4
	s_delay_alu instid0(VALU_DEP_2) | instskip(SKIP_1) | instid1(VALU_DEP_2)
	v_dual_cndmask_b32 v3, 0, v3, vcc_lo :: v_dual_lshlrev_b32 v5, 2, v5
	v_cndmask_b32_e32 v2, 3, v2, vcc_lo
	v_and_b32_e32 v5, 0xfc, v5
	s_delay_alu instid0(VALU_DEP_2) | instskip(NEXT) | instid1(VALU_DEP_2)
	v_cmp_eq_u64_e32 vcc_lo, 0, v[2:3]
	v_and_or_b32 v2, v2, 3, v5
	s_and_b32 s13, s13, vcc_lo
	s_delay_alu instid0(VALU_DEP_1) | instid1(SALU_CYCLE_1)
	v_cndmask_b32_e64 v2, v2, 0, s13
	s_delay_alu instid0(VALU_DEP_1)
	v_or_b32_e32 v115, v2, v1
.LBB6_25003:                            ;   in Loop: Header=BB6_22365 Depth=3
	s_or_b32 exec_lo, exec_lo, s75
                                        ; implicit-def: $vgpr1
.LBB6_25004:                            ;   in Loop: Header=BB6_22365 Depth=3
	s_and_not1_saveexec_b32 s13, s74
; %bb.25005:                            ;   in Loop: Header=BB6_22365 Depth=3
	v_or_b32_e32 v115, 0x7b, v1
; %bb.25006:                            ;   in Loop: Header=BB6_22365 Depth=3
	s_or_b32 exec_lo, exec_lo, s13
                                        ; implicit-def: $vgpr4
                                        ; implicit-def: $vgpr2_vgpr3
                                        ; implicit-def: $vgpr1
.LBB6_25007:                            ;   in Loop: Header=BB6_22365 Depth=3
	s_and_not1_saveexec_b32 s13, s73
	s_cbranch_execz .LBB6_25013
; %bb.25008:                            ;   in Loop: Header=BB6_22365 Depth=3
	s_mov_b32 s73, exec_lo
                                        ; implicit-def: $vgpr115
	v_cmpx_ne_u64_e32 0, v[2:3]
	s_xor_b32 s73, exec_lo, s73
; %bb.25009:                            ;   in Loop: Header=BB6_22365 Depth=3
	v_or_b32_e32 v115, 0x7f, v1
                                        ; implicit-def: $vgpr4
; %bb.25010:                            ;   in Loop: Header=BB6_22365 Depth=3
	s_and_not1_saveexec_b32 s73, s73
; %bb.25011:                            ;   in Loop: Header=BB6_22365 Depth=3
	v_cmp_lt_i32_e32 vcc_lo, -1, v4
	v_mov_b32_e32 v1, 0x7c
	s_delay_alu instid0(VALU_DEP_1)
	v_cndmask_b32_e32 v115, 0xfc, v1, vcc_lo
; %bb.25012:                            ;   in Loop: Header=BB6_22365 Depth=3
	s_or_b32 exec_lo, exec_lo, s73
.LBB6_25013:                            ;   in Loop: Header=BB6_22365 Depth=3
	s_delay_alu instid0(SALU_CYCLE_1) | instskip(SKIP_3) | instid1(VALU_DEP_2)
	s_or_b32 exec_lo, exec_lo, s13
	v_dual_mov_b32 v1, 0 :: v_dual_lshrrev_b32 v2, 16, v0
	v_mov_b32_e32 v3, 0
	s_mov_b32 s73, exec_lo
	v_and_b32_e32 v4, 0xff, v2
	s_delay_alu instid0(VALU_DEP_1)
	v_cmpx_ne_u16_e32 0, v4
	s_cbranch_execz .LBB6_25023
; %bb.25014:                            ;   in Loop: Header=BB6_22365 Depth=3
	v_bfrev_b32_e32 v3, 1
	s_mov_b32 s74, exec_lo
	v_cmpx_ne_u16_e32 0x80, v4
	s_cbranch_execz .LBB6_25022
; %bb.25015:                            ;   in Loop: Header=BB6_22365 Depth=3
	v_and_b32_e32 v3, 0x7c0000, v0
	v_bfe_u32 v4, v0, 16, 2
	s_delay_alu instid0(VALU_DEP_2) | instskip(SKIP_1) | instid1(SALU_CYCLE_1)
	v_cmp_ne_u32_e32 vcc_lo, 0x7c0000, v3
                                        ; implicit-def: $vgpr3
	s_and_saveexec_b32 s13, vcc_lo
	s_xor_b32 s13, exec_lo, s13
	s_cbranch_execz .LBB6_25019
; %bb.25016:                            ;   in Loop: Header=BB6_22365 Depth=3
	v_bfe_u32 v3, v0, 18, 5
	s_mov_b32 s75, exec_lo
	s_delay_alu instid0(VALU_DEP_1)
	v_cmpx_eq_u32_e32 0, v3
; %bb.25017:                            ;   in Loop: Header=BB6_22365 Depth=3
	v_clz_i32_u32_e32 v3, v4
	s_delay_alu instid0(VALU_DEP_1) | instskip(NEXT) | instid1(VALU_DEP_1)
	v_min_u32_e32 v3, 32, v3
	v_subrev_nc_u32_e32 v4, 29, v3
	s_delay_alu instid0(VALU_DEP_1) | instskip(NEXT) | instid1(VALU_DEP_1)
	v_lshlrev_b64_e32 v[4:5], v4, v[2:3]
	v_dual_sub_nc_u32 v3, 30, v3 :: v_dual_bitop2_b32 v4, 3, v4 bitop3:0x40
; %bb.25018:                            ;   in Loop: Header=BB6_22365 Depth=3
	s_or_b32 exec_lo, exec_lo, s75
	v_lshlrev_b32_e32 v2, 24, v2
	s_delay_alu instid0(VALU_DEP_1) | instskip(NEXT) | instid1(VALU_DEP_1)
	v_and_b32_e32 v2, 0x80000000, v2
	v_lshl_add_u32 v2, v3, 23, v2
	s_delay_alu instid0(VALU_DEP_1) | instskip(NEXT) | instid1(VALU_DEP_1)
	v_lshl_or_b32 v2, v4, 21, v2
                                        ; implicit-def: $vgpr4
	v_add_nc_u32_e32 v3, 0x38000000, v2
                                        ; implicit-def: $vgpr2
.LBB6_25019:                            ;   in Loop: Header=BB6_22365 Depth=3
	s_and_not1_saveexec_b32 s75, s13
; %bb.25020:                            ;   in Loop: Header=BB6_22365 Depth=3
	v_bfe_i32 v2, v2, 0, 8
	v_cmp_eq_u32_e32 vcc_lo, 0, v4
	s_delay_alu instid0(VALU_DEP_2) | instskip(SKIP_1) | instid1(VALU_DEP_1)
	v_cmp_lt_i16_e64 s13, -1, v2
	v_mov_b32_e32 v2, 0x7f800000
	v_cndmask_b32_e64 v2, 0xff800000, v2, s13
	s_delay_alu instid0(VALU_DEP_1)
	v_cndmask_b32_e32 v3, 0x7f800001, v2, vcc_lo
; %bb.25021:                            ;   in Loop: Header=BB6_22365 Depth=3
	s_or_b32 exec_lo, exec_lo, s75
.LBB6_25022:                            ;   in Loop: Header=BB6_22365 Depth=3
	s_delay_alu instid0(SALU_CYCLE_1)
	s_or_b32 exec_lo, exec_lo, s74
.LBB6_25023:                            ;   in Loop: Header=BB6_22365 Depth=3
	s_delay_alu instid0(SALU_CYCLE_1) | instskip(SKIP_2) | instid1(VALU_DEP_1)
	s_or_b32 exec_lo, exec_lo, s73
	v_lshrrev_b32_e32 v2, 16, v16
	s_mov_b32 s73, exec_lo
	v_and_b32_e32 v4, 0xff, v2
	s_delay_alu instid0(VALU_DEP_1)
	v_cmpx_ne_u16_e32 0, v4
	s_cbranch_execz .LBB6_25033
; %bb.25024:                            ;   in Loop: Header=BB6_22365 Depth=3
	v_bfrev_b32_e32 v1, 1
	s_mov_b32 s74, exec_lo
	v_cmpx_ne_u16_e32 0x80, v4
	s_cbranch_execz .LBB6_25032
; %bb.25025:                            ;   in Loop: Header=BB6_22365 Depth=3
	v_and_b32_e32 v1, 0x7c0000, v16
	v_bfe_u32 v4, v16, 16, 2
	s_delay_alu instid0(VALU_DEP_2) | instskip(SKIP_1) | instid1(SALU_CYCLE_1)
	v_cmp_ne_u32_e32 vcc_lo, 0x7c0000, v1
                                        ; implicit-def: $vgpr1
	s_and_saveexec_b32 s13, vcc_lo
	s_xor_b32 s13, exec_lo, s13
	s_cbranch_execz .LBB6_25029
; %bb.25026:                            ;   in Loop: Header=BB6_22365 Depth=3
	v_bfe_u32 v1, v16, 18, 5
	s_mov_b32 s75, exec_lo
	s_delay_alu instid0(VALU_DEP_1)
	v_cmpx_eq_u32_e32 0, v1
; %bb.25027:                            ;   in Loop: Header=BB6_22365 Depth=3
	v_clz_i32_u32_e32 v1, v4
	s_delay_alu instid0(VALU_DEP_1) | instskip(NEXT) | instid1(VALU_DEP_1)
	v_min_u32_e32 v1, 32, v1
	v_subrev_nc_u32_e32 v4, 29, v1
	s_delay_alu instid0(VALU_DEP_1) | instskip(NEXT) | instid1(VALU_DEP_1)
	v_lshlrev_b64_e32 v[4:5], v4, v[2:3]
	v_dual_sub_nc_u32 v1, 30, v1 :: v_dual_bitop2_b32 v4, 3, v4 bitop3:0x40
; %bb.25028:                            ;   in Loop: Header=BB6_22365 Depth=3
	s_or_b32 exec_lo, exec_lo, s75
	v_lshlrev_b32_e32 v2, 24, v2
	s_delay_alu instid0(VALU_DEP_1) | instskip(NEXT) | instid1(VALU_DEP_1)
	v_and_b32_e32 v2, 0x80000000, v2
	v_lshl_add_u32 v1, v1, 23, v2
                                        ; implicit-def: $vgpr2
	s_delay_alu instid0(VALU_DEP_1) | instskip(NEXT) | instid1(VALU_DEP_1)
	v_lshl_or_b32 v1, v4, 21, v1
                                        ; implicit-def: $vgpr4
	v_add_nc_u32_e32 v1, 0x38000000, v1
.LBB6_25029:                            ;   in Loop: Header=BB6_22365 Depth=3
	s_and_not1_saveexec_b32 s75, s13
; %bb.25030:                            ;   in Loop: Header=BB6_22365 Depth=3
	v_bfe_i32 v1, v2, 0, 8
	v_cmp_eq_u32_e32 vcc_lo, 0, v4
	s_delay_alu instid0(VALU_DEP_2) | instskip(SKIP_1) | instid1(VALU_DEP_1)
	v_cmp_lt_i16_e64 s13, -1, v1
	v_mov_b32_e32 v1, 0x7f800000
	v_cndmask_b32_e64 v1, 0xff800000, v1, s13
	s_delay_alu instid0(VALU_DEP_1)
	v_cndmask_b32_e32 v1, 0x7f800001, v1, vcc_lo
; %bb.25031:                            ;   in Loop: Header=BB6_22365 Depth=3
	s_or_b32 exec_lo, exec_lo, s75
.LBB6_25032:                            ;   in Loop: Header=BB6_22365 Depth=3
	s_delay_alu instid0(SALU_CYCLE_1)
	s_or_b32 exec_lo, exec_lo, s74
.LBB6_25033:                            ;   in Loop: Header=BB6_22365 Depth=3
	s_delay_alu instid0(SALU_CYCLE_1) | instskip(NEXT) | instid1(VALU_DEP_1)
	s_or_b32 exec_lo, exec_lo, s73
	v_dual_add_f32 v4, v3, v1 :: v_dual_mov_b32 v47, v113
	v_mov_b32_e32 v3, v113
                                        ; implicit-def: $vgpr119
	s_mov_b32 s13, exec_lo
	s_delay_alu instid0(VALU_DEP_2) | instskip(SKIP_2) | instid1(VALU_DEP_3)
	v_and_b32_e32 v46, 0x7f800000, v4
	v_and_b32_e32 v2, 0x7fffff, v4
	v_lshrrev_b32_e32 v1, 24, v4
	v_cmpx_ne_u64_e32 0x7f800000, v[46:47]
	s_xor_b32 s73, exec_lo, s13
	s_cbranch_execz .LBB6_25047
; %bb.25034:                            ;   in Loop: Header=BB6_22365 Depth=3
	v_and_b32_e32 v46, 0x7fffffff, v4
	v_mov_b32_e32 v47, v113
	v_and_b32_e32 v1, 0x80, v1
                                        ; implicit-def: $vgpr119
	s_mov_b32 s13, exec_lo
	s_delay_alu instid0(VALU_DEP_2)
	v_cmpx_gt_u64_e32 0x47600001, v[46:47]
	s_xor_b32 s74, exec_lo, s13
	s_cbranch_execz .LBB6_25044
; %bb.25035:                            ;   in Loop: Header=BB6_22365 Depth=3
	v_mov_b32_e32 v119, 0
	s_mov_b32 s75, exec_lo
	v_cmpx_ne_u32_e32 0, v4
	s_cbranch_execz .LBB6_25043
; %bb.25036:                            ;   in Loop: Header=BB6_22365 Depth=3
	v_bfe_u32 v119, v4, 23, 8
	v_or_b32_e32 v5, 0x800000, v2
	s_delay_alu instid0(VALU_DEP_2) | instskip(SKIP_2) | instid1(VALU_DEP_2)
	v_cmp_gt_u32_e64 s13, 0x72, v119
	v_sub_nc_u32_e32 v4, 0x71, v119
	v_cmp_eq_u32_e32 vcc_lo, 0, v119
	v_dual_cndmask_b32 v4, 0, v4, s13 :: v_dual_cndmask_b32 v2, v5, v2, vcc_lo
	s_delay_alu instid0(VALU_DEP_1) | instskip(NEXT) | instid1(VALU_DEP_1)
	v_cndmask_b32_e64 v42, v4, 0x70, vcc_lo
	v_dual_add_nc_u32 v4, 21, v42 :: v_dual_add_nc_u32 v44, 20, v42
	s_delay_alu instid0(VALU_DEP_1) | instskip(NEXT) | instid1(VALU_DEP_2)
	v_lshlrev_b64_e64 v[4:5], v4, -1
	v_lshlrev_b64_e64 v[46:47], v44, 1
	s_delay_alu instid0(VALU_DEP_2) | instskip(SKIP_1) | instid1(VALU_DEP_4)
	v_bfi_b32 v4, v4, 0, v2
	v_lshrrev_b64 v[2:3], v42, v[2:3]
	v_bfi_b32 v5, v5, 0, 0
	s_delay_alu instid0(VALU_DEP_1) | instskip(NEXT) | instid1(VALU_DEP_3)
	v_cmp_eq_u64_e64 s13, v[4:5], v[46:47]
	v_mov_b64_e32 v[4:5], v[2:3]
	s_and_saveexec_b32 s76, s13
; %bb.25037:                            ;   in Loop: Header=BB6_22365 Depth=3
	v_bfe_u32 v4, v2, 21, 1
	v_mov_b32_e32 v5, v113
	s_delay_alu instid0(VALU_DEP_1) | instskip(NEXT) | instid1(VALU_DEP_1)
	v_add_nc_u64_e32 v[4:5], v[2:3], v[4:5]
	v_add_nc_u64_e32 v[4:5], -1, v[4:5]
; %bb.25038:                            ;   in Loop: Header=BB6_22365 Depth=3
	s_or_b32 exec_lo, exec_lo, s76
	v_add_nc_u32_e32 v3, 0xffffff81, v119
	v_lshrrev_b32_e32 v5, 23, v2
	s_mov_b32 s13, exec_lo
	s_delay_alu instid0(VALU_DEP_2) | instskip(NEXT) | instid1(VALU_DEP_1)
	v_cndmask_b32_e64 v3, v3, 0xffffff82, vcc_lo
	v_add3_u32 v119, v42, v3, v5
	v_and_b32_e32 v3, 0x1fffff, v4
                                        ; implicit-def: $vgpr4
	s_delay_alu instid0(VALU_DEP_1) | instskip(SKIP_1) | instid1(VALU_DEP_2)
	v_dual_add_nc_u32 v5, 14, v119 :: v_dual_add_nc_u32 v2, v3, v2
	v_mov_b32_e32 v3, v113
	v_cmpx_ne_u32_e32 0, v5
	s_xor_b32 s13, exec_lo, s13
; %bb.25039:                            ;   in Loop: Header=BB6_22365 Depth=3
	s_delay_alu instid0(VALU_DEP_2) | instskip(SKIP_1) | instid1(VALU_DEP_1)
	v_cmp_lt_u64_e32 vcc_lo, 0xffffff, v[2:3]
	v_add_nc_u32_e32 v4, 15, v119
	v_cndmask_b32_e32 v4, v5, v4, vcc_lo
	v_cndmask_b32_e64 v5, 0, 1, vcc_lo
	s_delay_alu instid0(VALU_DEP_1)
	v_lshrrev_b64 v[2:3], v5, v[2:3]
; %bb.25040:                            ;   in Loop: Header=BB6_22365 Depth=3
	s_and_not1_saveexec_b32 s13, s13
; %bb.25041:                            ;   in Loop: Header=BB6_22365 Depth=3
	s_delay_alu instid0(VALU_DEP_1)
	v_bfe_u32 v4, v2, 23, 1
; %bb.25042:                            ;   in Loop: Header=BB6_22365 Depth=3
	s_or_b32 exec_lo, exec_lo, s13
	s_delay_alu instid0(VALU_DEP_2) | instskip(NEXT) | instid1(VALU_DEP_2)
	v_lshrrev_b64 v[2:3], 21, v[2:3]
	v_cmp_gt_i32_e32 vcc_lo, 32, v4
	v_min_i32_e32 v5, 31, v4
	v_cmp_eq_u32_e64 s13, 0, v4
	s_delay_alu instid0(VALU_DEP_2) | instskip(SKIP_1) | instid1(VALU_DEP_2)
	v_dual_cndmask_b32 v3, 0, v3, vcc_lo :: v_dual_lshlrev_b32 v5, 2, v5
	v_cndmask_b32_e32 v2, 3, v2, vcc_lo
	v_and_b32_e32 v5, 0xfc, v5
	s_delay_alu instid0(VALU_DEP_2) | instskip(NEXT) | instid1(VALU_DEP_2)
	v_cmp_eq_u64_e32 vcc_lo, 0, v[2:3]
	v_and_or_b32 v2, v2, 3, v5
	s_and_b32 s13, s13, vcc_lo
	s_delay_alu instid0(VALU_DEP_1) | instid1(SALU_CYCLE_1)
	v_cndmask_b32_e64 v2, v2, 0, s13
	s_delay_alu instid0(VALU_DEP_1)
	v_or_b32_e32 v119, v2, v1
.LBB6_25043:                            ;   in Loop: Header=BB6_22365 Depth=3
	s_or_b32 exec_lo, exec_lo, s75
                                        ; implicit-def: $vgpr1
.LBB6_25044:                            ;   in Loop: Header=BB6_22365 Depth=3
	s_and_not1_saveexec_b32 s13, s74
; %bb.25045:                            ;   in Loop: Header=BB6_22365 Depth=3
	v_or_b32_e32 v119, 0x7b, v1
; %bb.25046:                            ;   in Loop: Header=BB6_22365 Depth=3
	s_or_b32 exec_lo, exec_lo, s13
                                        ; implicit-def: $vgpr4
                                        ; implicit-def: $vgpr2_vgpr3
                                        ; implicit-def: $vgpr1
.LBB6_25047:                            ;   in Loop: Header=BB6_22365 Depth=3
	s_and_not1_saveexec_b32 s13, s73
	s_cbranch_execz .LBB6_25053
; %bb.25048:                            ;   in Loop: Header=BB6_22365 Depth=3
	s_mov_b32 s73, exec_lo
                                        ; implicit-def: $vgpr119
	v_cmpx_ne_u64_e32 0, v[2:3]
	s_xor_b32 s73, exec_lo, s73
; %bb.25049:                            ;   in Loop: Header=BB6_22365 Depth=3
	v_or_b32_e32 v119, 0x7f, v1
                                        ; implicit-def: $vgpr4
; %bb.25050:                            ;   in Loop: Header=BB6_22365 Depth=3
	s_and_not1_saveexec_b32 s73, s73
; %bb.25051:                            ;   in Loop: Header=BB6_22365 Depth=3
	v_cmp_lt_i32_e32 vcc_lo, -1, v4
	v_mov_b32_e32 v1, 0x7c
	s_delay_alu instid0(VALU_DEP_1)
	v_cndmask_b32_e32 v119, 0xfc, v1, vcc_lo
; %bb.25052:                            ;   in Loop: Header=BB6_22365 Depth=3
	s_or_b32 exec_lo, exec_lo, s73
.LBB6_25053:                            ;   in Loop: Header=BB6_22365 Depth=3
	s_delay_alu instid0(SALU_CYCLE_1)
	s_or_b32 exec_lo, exec_lo, s13
	v_dual_mov_b32 v3, 0 :: v_dual_mov_b32 v4, 0
	s_mov_b32 s73, exec_lo
	v_cmpx_lt_u32_e32 0xffffff, v0
	s_cbranch_execz .LBB6_25063
; %bb.25054:                            ;   in Loop: Header=BB6_22365 Depth=3
	v_lshrrev_b32_e32 v2, 24, v0
	v_bfrev_b32_e32 v4, 1
	s_mov_b32 s74, exec_lo
	s_delay_alu instid0(VALU_DEP_2)
	v_cmpx_ne_u32_e32 0x80, v2
	s_cbranch_execz .LBB6_25062
; %bb.25055:                            ;   in Loop: Header=BB6_22365 Depth=3
	v_and_b32_e32 v1, 0x7c000000, v0
	v_bfe_u32 v5, v0, 24, 2
	s_mov_b32 s13, exec_lo
                                        ; implicit-def: $vgpr4
	s_delay_alu instid0(VALU_DEP_2)
	v_cmpx_ne_u32_e32 0x7c000000, v1
	s_xor_b32 s13, exec_lo, s13
	s_cbranch_execz .LBB6_25059
; %bb.25056:                            ;   in Loop: Header=BB6_22365 Depth=3
	v_bfe_u32 v1, v0, 26, 5
	s_mov_b32 s75, exec_lo
	s_delay_alu instid0(VALU_DEP_1)
	v_cmpx_eq_u32_e32 0, v1
; %bb.25057:                            ;   in Loop: Header=BB6_22365 Depth=3
	v_clz_i32_u32_e32 v1, v5
	s_delay_alu instid0(VALU_DEP_1) | instskip(NEXT) | instid1(VALU_DEP_1)
	v_min_u32_e32 v1, 32, v1
	v_subrev_nc_u32_e32 v4, 29, v1
	s_delay_alu instid0(VALU_DEP_1) | instskip(NEXT) | instid1(VALU_DEP_1)
	v_lshlrev_b64_e32 v[4:5], v4, v[2:3]
	v_dual_sub_nc_u32 v1, 30, v1 :: v_dual_bitop2_b32 v5, 3, v4 bitop3:0x40
; %bb.25058:                            ;   in Loop: Header=BB6_22365 Depth=3
	s_or_b32 exec_lo, exec_lo, s75
	v_and_b32_e32 v0, 0x80000000, v0
	s_delay_alu instid0(VALU_DEP_1) | instskip(NEXT) | instid1(VALU_DEP_1)
	v_lshl_add_u32 v0, v1, 23, v0
	v_lshl_or_b32 v0, v5, 21, v0
                                        ; implicit-def: $vgpr5
	s_delay_alu instid0(VALU_DEP_1)
	v_add_nc_u32_e32 v4, 0x38000000, v0
                                        ; implicit-def: $vgpr0_vgpr1
.LBB6_25059:                            ;   in Loop: Header=BB6_22365 Depth=3
	s_and_not1_saveexec_b32 s75, s13
; %bb.25060:                            ;   in Loop: Header=BB6_22365 Depth=3
	v_cmp_lt_i32_e64 s13, -1, v0
	v_mov_b32_e32 v0, 0x7f800000
	v_cmp_eq_u32_e32 vcc_lo, 0, v5
	s_delay_alu instid0(VALU_DEP_2) | instskip(NEXT) | instid1(VALU_DEP_1)
	v_cndmask_b32_e64 v0, 0xff800000, v0, s13
	v_cndmask_b32_e32 v4, 0x7f800001, v0, vcc_lo
; %bb.25061:                            ;   in Loop: Header=BB6_22365 Depth=3
	s_or_b32 exec_lo, exec_lo, s75
.LBB6_25062:                            ;   in Loop: Header=BB6_22365 Depth=3
	s_delay_alu instid0(SALU_CYCLE_1)
	s_or_b32 exec_lo, exec_lo, s74
.LBB6_25063:                            ;   in Loop: Header=BB6_22365 Depth=3
	s_delay_alu instid0(SALU_CYCLE_1) | instskip(NEXT) | instid1(SALU_CYCLE_1)
	s_or_b32 exec_lo, exec_lo, s73
	s_mov_b32 s73, exec_lo
	v_cmpx_lt_u32_e32 0xffffff, v16
	s_cbranch_execz .LBB6_25073
; %bb.25064:                            ;   in Loop: Header=BB6_22365 Depth=3
	v_lshrrev_b32_e32 v0, 24, v16
	v_bfrev_b32_e32 v3, 1
	s_mov_b32 s74, exec_lo
	s_delay_alu instid0(VALU_DEP_2)
	v_cmpx_ne_u32_e32 0x80, v0
	s_cbranch_execz .LBB6_25072
; %bb.25065:                            ;   in Loop: Header=BB6_22365 Depth=3
	v_and_b32_e32 v2, 0x7c000000, v16
	v_bfe_u32 v1, v16, 24, 2
	s_mov_b32 s13, exec_lo
                                        ; implicit-def: $vgpr3
	s_delay_alu instid0(VALU_DEP_2)
	v_cmpx_ne_u32_e32 0x7c000000, v2
	s_xor_b32 s13, exec_lo, s13
	s_cbranch_execz .LBB6_25069
; %bb.25066:                            ;   in Loop: Header=BB6_22365 Depth=3
	v_bfe_u32 v2, v16, 26, 5
	s_mov_b32 s75, exec_lo
	s_delay_alu instid0(VALU_DEP_1)
	v_cmpx_eq_u32_e32 0, v2
; %bb.25067:                            ;   in Loop: Header=BB6_22365 Depth=3
	v_clz_i32_u32_e32 v1, v1
	s_delay_alu instid0(VALU_DEP_1) | instskip(NEXT) | instid1(VALU_DEP_1)
	v_min_u32_e32 v2, 32, v1
	v_subrev_nc_u32_e32 v1, 29, v2
	s_delay_alu instid0(VALU_DEP_1) | instskip(NEXT) | instid1(VALU_DEP_1)
	v_lshlrev_b64_e32 v[0:1], v1, v[0:1]
	v_dual_sub_nc_u32 v2, 30, v2 :: v_dual_bitop2_b32 v1, 3, v0 bitop3:0x40
; %bb.25068:                            ;   in Loop: Header=BB6_22365 Depth=3
	s_or_b32 exec_lo, exec_lo, s75
	v_and_b32_e32 v0, 0x80000000, v16
	s_delay_alu instid0(VALU_DEP_1) | instskip(NEXT) | instid1(VALU_DEP_1)
	v_lshl_add_u32 v0, v2, 23, v0
	v_lshl_or_b32 v0, v1, 21, v0
                                        ; implicit-def: $vgpr1
	s_delay_alu instid0(VALU_DEP_1)
	v_add_nc_u32_e32 v3, 0x38000000, v0
.LBB6_25069:                            ;   in Loop: Header=BB6_22365 Depth=3
	s_and_not1_saveexec_b32 s75, s13
; %bb.25070:                            ;   in Loop: Header=BB6_22365 Depth=3
	v_cmp_lt_i32_e64 s13, -1, v16
	v_mov_b32_e32 v0, 0x7f800000
	v_cmp_eq_u32_e32 vcc_lo, 0, v1
	s_delay_alu instid0(VALU_DEP_2) | instskip(NEXT) | instid1(VALU_DEP_1)
	v_cndmask_b32_e64 v0, 0xff800000, v0, s13
	v_cndmask_b32_e32 v3, 0x7f800001, v0, vcc_lo
; %bb.25071:                            ;   in Loop: Header=BB6_22365 Depth=3
	s_or_b32 exec_lo, exec_lo, s75
.LBB6_25072:                            ;   in Loop: Header=BB6_22365 Depth=3
	s_delay_alu instid0(SALU_CYCLE_1)
	s_or_b32 exec_lo, exec_lo, s74
.LBB6_25073:                            ;   in Loop: Header=BB6_22365 Depth=3
	s_delay_alu instid0(SALU_CYCLE_1) | instskip(NEXT) | instid1(VALU_DEP_1)
	s_or_b32 exec_lo, exec_lo, s73
	v_dual_add_f32 v2, v4, v3 :: v_dual_mov_b32 v5, v113
	v_mov_b32_e32 v1, v113
                                        ; implicit-def: $vgpr42
	s_mov_b32 s13, exec_lo
	s_delay_alu instid0(VALU_DEP_2) | instskip(SKIP_2) | instid1(VALU_DEP_3)
	v_and_b32_e32 v4, 0x7f800000, v2
	v_and_b32_e32 v0, 0x7fffff, v2
	v_lshrrev_b32_e32 v3, 24, v2
	v_cmpx_ne_u64_e32 0x7f800000, v[4:5]
	s_xor_b32 s73, exec_lo, s13
	s_cbranch_execz .LBB6_25087
; %bb.25074:                            ;   in Loop: Header=BB6_22365 Depth=3
	v_and_b32_e32 v4, 0x7fffffff, v2
	v_mov_b32_e32 v5, v113
                                        ; implicit-def: $vgpr42
	s_delay_alu instid0(VALU_DEP_1) | instskip(SKIP_2) | instid1(SALU_CYCLE_1)
	v_cmp_gt_u64_e32 vcc_lo, 0x47600001, v[4:5]
	v_and_b32_e32 v4, 0x80, v3
	s_and_saveexec_b32 s13, vcc_lo
	s_xor_b32 s74, exec_lo, s13
	s_cbranch_execz .LBB6_25084
; %bb.25075:                            ;   in Loop: Header=BB6_22365 Depth=3
	v_mov_b32_e32 v42, 0
	s_mov_b32 s75, exec_lo
	v_cmpx_ne_u32_e32 0, v2
	s_cbranch_execz .LBB6_25083
; %bb.25076:                            ;   in Loop: Header=BB6_22365 Depth=3
	v_bfe_u32 v5, v2, 23, 8
	v_or_b32_e32 v3, 0x800000, v0
	s_delay_alu instid0(VALU_DEP_2) | instskip(SKIP_2) | instid1(VALU_DEP_2)
	v_cmp_gt_u32_e64 s13, 0x72, v5
	v_sub_nc_u32_e32 v2, 0x71, v5
	v_cmp_eq_u32_e32 vcc_lo, 0, v5
	v_dual_cndmask_b32 v2, 0, v2, s13 :: v_dual_cndmask_b32 v0, v3, v0, vcc_lo
	s_delay_alu instid0(VALU_DEP_1) | instskip(NEXT) | instid1(VALU_DEP_1)
	v_cndmask_b32_e64 v42, v2, 0x70, vcc_lo
	v_dual_add_nc_u32 v2, 21, v42 :: v_dual_add_nc_u32 v44, 20, v42
	s_delay_alu instid0(VALU_DEP_1) | instskip(NEXT) | instid1(VALU_DEP_2)
	v_lshlrev_b64_e64 v[2:3], v2, -1
	v_lshlrev_b64_e64 v[46:47], v44, 1
	s_delay_alu instid0(VALU_DEP_2) | instskip(SKIP_1) | instid1(VALU_DEP_4)
	v_bfi_b32 v2, v2, 0, v0
	v_lshrrev_b64 v[0:1], v42, v[0:1]
	v_bfi_b32 v3, v3, 0, 0
	s_delay_alu instid0(VALU_DEP_1) | instskip(NEXT) | instid1(VALU_DEP_3)
	v_cmp_eq_u64_e64 s13, v[2:3], v[46:47]
	v_mov_b64_e32 v[2:3], v[0:1]
	s_and_saveexec_b32 s76, s13
; %bb.25077:                            ;   in Loop: Header=BB6_22365 Depth=3
	v_bfe_u32 v2, v0, 21, 1
	v_mov_b32_e32 v3, v113
	s_delay_alu instid0(VALU_DEP_1) | instskip(NEXT) | instid1(VALU_DEP_1)
	v_add_nc_u64_e32 v[2:3], v[0:1], v[2:3]
	v_add_nc_u64_e32 v[2:3], -1, v[2:3]
; %bb.25078:                            ;   in Loop: Header=BB6_22365 Depth=3
	s_or_b32 exec_lo, exec_lo, s76
	v_add_nc_u32_e32 v1, 0xffffff81, v5
	v_lshrrev_b32_e32 v3, 23, v0
	s_mov_b32 s13, exec_lo
	s_delay_alu instid0(VALU_DEP_2) | instskip(NEXT) | instid1(VALU_DEP_1)
	v_cndmask_b32_e64 v1, v1, 0xffffff82, vcc_lo
	v_add3_u32 v5, v42, v1, v3
	v_and_b32_e32 v1, 0x1fffff, v2
                                        ; implicit-def: $vgpr2
	s_delay_alu instid0(VALU_DEP_1) | instskip(SKIP_1) | instid1(VALU_DEP_2)
	v_dual_add_nc_u32 v3, 14, v5 :: v_dual_add_nc_u32 v0, v1, v0
	v_mov_b32_e32 v1, v113
	v_cmpx_ne_u32_e32 0, v3
	s_xor_b32 s13, exec_lo, s13
; %bb.25079:                            ;   in Loop: Header=BB6_22365 Depth=3
	s_delay_alu instid0(VALU_DEP_2) | instskip(SKIP_1) | instid1(VALU_DEP_1)
	v_cmp_lt_u64_e32 vcc_lo, 0xffffff, v[0:1]
	v_add_nc_u32_e32 v2, 15, v5
	v_cndmask_b32_e32 v2, v3, v2, vcc_lo
	v_cndmask_b32_e64 v3, 0, 1, vcc_lo
	s_delay_alu instid0(VALU_DEP_1)
	v_lshrrev_b64 v[0:1], v3, v[0:1]
; %bb.25080:                            ;   in Loop: Header=BB6_22365 Depth=3
	s_and_not1_saveexec_b32 s13, s13
; %bb.25081:                            ;   in Loop: Header=BB6_22365 Depth=3
	s_delay_alu instid0(VALU_DEP_1)
	v_bfe_u32 v2, v0, 23, 1
; %bb.25082:                            ;   in Loop: Header=BB6_22365 Depth=3
	s_or_b32 exec_lo, exec_lo, s13
	s_delay_alu instid0(VALU_DEP_2) | instskip(NEXT) | instid1(VALU_DEP_2)
	v_lshrrev_b64 v[0:1], 21, v[0:1]
	v_cmp_gt_i32_e32 vcc_lo, 32, v2
	v_min_i32_e32 v3, 31, v2
	v_cmp_eq_u32_e64 s13, 0, v2
	s_delay_alu instid0(VALU_DEP_2) | instskip(SKIP_1) | instid1(VALU_DEP_2)
	v_dual_cndmask_b32 v1, 0, v1, vcc_lo :: v_dual_lshlrev_b32 v3, 2, v3
	v_cndmask_b32_e32 v0, 3, v0, vcc_lo
	v_and_b32_e32 v3, 0xfc, v3
	s_delay_alu instid0(VALU_DEP_2) | instskip(NEXT) | instid1(VALU_DEP_2)
	v_cmp_eq_u64_e32 vcc_lo, 0, v[0:1]
	v_and_or_b32 v0, v0, 3, v3
	s_and_b32 s13, s13, vcc_lo
	s_delay_alu instid0(VALU_DEP_1) | instid1(SALU_CYCLE_1)
	v_cndmask_b32_e64 v0, v0, 0, s13
	s_delay_alu instid0(VALU_DEP_1)
	v_or_b32_e32 v42, v0, v4
.LBB6_25083:                            ;   in Loop: Header=BB6_22365 Depth=3
	s_or_b32 exec_lo, exec_lo, s75
                                        ; implicit-def: $vgpr4
.LBB6_25084:                            ;   in Loop: Header=BB6_22365 Depth=3
	s_and_not1_saveexec_b32 s13, s74
; %bb.25085:                            ;   in Loop: Header=BB6_22365 Depth=3
	v_or_b32_e32 v42, 0x7b, v4
; %bb.25086:                            ;   in Loop: Header=BB6_22365 Depth=3
	s_or_b32 exec_lo, exec_lo, s13
                                        ; implicit-def: $vgpr2
                                        ; implicit-def: $vgpr0_vgpr1
                                        ; implicit-def: $vgpr3
.LBB6_25087:                            ;   in Loop: Header=BB6_22365 Depth=3
	s_and_not1_saveexec_b32 s13, s73
	s_cbranch_execz .LBB6_25093
; %bb.25088:                            ;   in Loop: Header=BB6_22365 Depth=3
	s_mov_b32 s73, exec_lo
                                        ; implicit-def: $vgpr42
	v_cmpx_ne_u64_e32 0, v[0:1]
	s_xor_b32 s73, exec_lo, s73
; %bb.25089:                            ;   in Loop: Header=BB6_22365 Depth=3
	v_or_b32_e32 v42, 0x7f, v3
                                        ; implicit-def: $vgpr2
; %bb.25090:                            ;   in Loop: Header=BB6_22365 Depth=3
	s_and_not1_saveexec_b32 s73, s73
; %bb.25091:                            ;   in Loop: Header=BB6_22365 Depth=3
	v_cmp_lt_i32_e32 vcc_lo, -1, v2
	v_mov_b32_e32 v0, 0x7c
	s_delay_alu instid0(VALU_DEP_1)
	v_cndmask_b32_e32 v42, 0xfc, v0, vcc_lo
; %bb.25092:                            ;   in Loop: Header=BB6_22365 Depth=3
	s_or_b32 exec_lo, exec_lo, s73
.LBB6_25093:                            ;   in Loop: Header=BB6_22365 Depth=3
	s_delay_alu instid0(SALU_CYCLE_1) | instskip(SKIP_4) | instid1(VALU_DEP_2)
	s_or_b32 exec_lo, exec_lo, s13
	v_lshl_or_b32 v114, v114, 8, v101
	v_dual_lshlrev_b32 v0, 16, v117 :: v_dual_lshlrev_b32 v2, 24, v40
	v_dual_mov_b32 v1, v113 :: v_dual_mov_b32 v3, 0
	s_mov_b32 s73, exec_lo
	v_or3_b32 v0, v0, v2, v114
	v_mov_b32_e32 v2, 0
	v_cmpx_ne_u32_e32 0, v101
	s_cbranch_execz .LBB6_25103
; %bb.25094:                            ;   in Loop: Header=BB6_22365 Depth=3
	v_bfrev_b32_e32 v2, 1
	s_mov_b32 s74, exec_lo
	v_cmpx_ne_u32_e32 0x80, v101
	s_cbranch_execz .LBB6_25102
; %bb.25095:                            ;   in Loop: Header=BB6_22365 Depth=3
	v_and_b32_e32 v2, 0x7c, v101
	v_and_b32_e32 v4, 3, v101
	s_delay_alu instid0(VALU_DEP_2) | instskip(SKIP_1) | instid1(SALU_CYCLE_1)
	v_cmp_ne_u32_e32 vcc_lo, 0x7c, v2
                                        ; implicit-def: $vgpr2
	s_and_saveexec_b32 s13, vcc_lo
	s_xor_b32 s13, exec_lo, s13
	s_cbranch_execz .LBB6_25099
; %bb.25096:                            ;   in Loop: Header=BB6_22365 Depth=3
	v_bfe_u32 v2, v101, 2, 5
	s_mov_b32 s75, exec_lo
	s_delay_alu instid0(VALU_DEP_1)
	v_cmpx_eq_u32_e32 0, v2
; %bb.25097:                            ;   in Loop: Header=BB6_22365 Depth=3
	v_clz_i32_u32_e32 v2, v4
	s_delay_alu instid0(VALU_DEP_1) | instskip(NEXT) | instid1(VALU_DEP_1)
	v_min_u32_e32 v2, 32, v2
	v_subrev_nc_u32_e32 v4, 29, v2
	s_delay_alu instid0(VALU_DEP_1) | instskip(NEXT) | instid1(VALU_DEP_1)
	v_lshlrev_b64_e32 v[4:5], v4, v[0:1]
	v_dual_sub_nc_u32 v2, 30, v2 :: v_dual_bitop2_b32 v4, 3, v4 bitop3:0x40
; %bb.25098:                            ;   in Loop: Header=BB6_22365 Depth=3
	s_or_b32 exec_lo, exec_lo, s75
	v_lshlrev_b32_e32 v1, 24, v101
                                        ; implicit-def: $vgpr101
	s_delay_alu instid0(VALU_DEP_1) | instskip(NEXT) | instid1(VALU_DEP_1)
	v_and_b32_e32 v1, 0x80000000, v1
	v_lshl_add_u32 v1, v2, 23, v1
	s_delay_alu instid0(VALU_DEP_1) | instskip(NEXT) | instid1(VALU_DEP_1)
	v_lshl_or_b32 v1, v4, 21, v1
                                        ; implicit-def: $vgpr4
	v_add_nc_u32_e32 v2, 0x38000000, v1
.LBB6_25099:                            ;   in Loop: Header=BB6_22365 Depth=3
	s_and_not1_saveexec_b32 s75, s13
; %bb.25100:                            ;   in Loop: Header=BB6_22365 Depth=3
	v_and_b32_e32 v1, 0x80, v101
	v_cmp_eq_u32_e32 vcc_lo, 0, v4
	s_delay_alu instid0(VALU_DEP_2) | instskip(SKIP_1) | instid1(VALU_DEP_1)
	v_cmp_eq_u32_e64 s13, 0, v1
	v_mov_b32_e32 v1, 0x7f800000
	v_cndmask_b32_e64 v1, 0xff800000, v1, s13
	s_delay_alu instid0(VALU_DEP_1)
	v_cndmask_b32_e32 v2, 0x7f800001, v1, vcc_lo
; %bb.25101:                            ;   in Loop: Header=BB6_22365 Depth=3
	s_or_b32 exec_lo, exec_lo, s75
.LBB6_25102:                            ;   in Loop: Header=BB6_22365 Depth=3
	s_delay_alu instid0(SALU_CYCLE_1)
	s_or_b32 exec_lo, exec_lo, s74
.LBB6_25103:                            ;   in Loop: Header=BB6_22365 Depth=3
	s_delay_alu instid0(SALU_CYCLE_1) | instskip(SKIP_2) | instid1(VALU_DEP_1)
	s_or_b32 exec_lo, exec_lo, s73
	v_and_b32_e32 v1, 0xff, v17
	s_mov_b32 s73, exec_lo
	v_cmpx_ne_u16_e32 0, v1
	s_cbranch_execz .LBB6_25113
; %bb.25104:                            ;   in Loop: Header=BB6_22365 Depth=3
	v_bfrev_b32_e32 v3, 1
	s_mov_b32 s74, exec_lo
	v_cmpx_ne_u16_e32 0x80, v1
	s_cbranch_execz .LBB6_25112
; %bb.25105:                            ;   in Loop: Header=BB6_22365 Depth=3
	v_and_b32_e32 v3, 0x7c, v17
	v_and_b32_e32 v1, 3, v17
	s_delay_alu instid0(VALU_DEP_2) | instskip(SKIP_1) | instid1(SALU_CYCLE_1)
	v_cmp_ne_u32_e32 vcc_lo, 0x7c, v3
                                        ; implicit-def: $vgpr3
	s_and_saveexec_b32 s13, vcc_lo
	s_xor_b32 s13, exec_lo, s13
	s_cbranch_execz .LBB6_25109
; %bb.25106:                            ;   in Loop: Header=BB6_22365 Depth=3
	v_bfe_u32 v3, v17, 2, 5
	s_mov_b32 s75, exec_lo
	s_delay_alu instid0(VALU_DEP_1)
	v_cmpx_eq_u32_e32 0, v3
; %bb.25107:                            ;   in Loop: Header=BB6_22365 Depth=3
	v_clz_i32_u32_e32 v1, v1
	v_dual_mov_b32 v4, v17 :: v_dual_mov_b32 v5, v113
	s_delay_alu instid0(VALU_DEP_2) | instskip(NEXT) | instid1(VALU_DEP_1)
	v_min_u32_e32 v1, 32, v1
	v_subrev_nc_u32_e32 v3, 29, v1
	s_delay_alu instid0(VALU_DEP_1) | instskip(NEXT) | instid1(VALU_DEP_1)
	v_lshlrev_b64_e32 v[4:5], v3, v[4:5]
	v_dual_sub_nc_u32 v3, 30, v1 :: v_dual_bitop2_b32 v1, 3, v4 bitop3:0x40
; %bb.25108:                            ;   in Loop: Header=BB6_22365 Depth=3
	s_or_b32 exec_lo, exec_lo, s75
	v_lshlrev_b32_e32 v4, 24, v17
	s_delay_alu instid0(VALU_DEP_1) | instskip(NEXT) | instid1(VALU_DEP_1)
	v_and_b32_e32 v4, 0x80000000, v4
	v_lshl_add_u32 v3, v3, 23, v4
	s_delay_alu instid0(VALU_DEP_1) | instskip(NEXT) | instid1(VALU_DEP_1)
	v_lshl_or_b32 v1, v1, 21, v3
	v_add_nc_u32_e32 v3, 0x38000000, v1
                                        ; implicit-def: $vgpr1
.LBB6_25109:                            ;   in Loop: Header=BB6_22365 Depth=3
	s_and_not1_saveexec_b32 s75, s13
; %bb.25110:                            ;   in Loop: Header=BB6_22365 Depth=3
	v_bfe_i32 v3, v17, 0, 8
	v_cmp_eq_u32_e32 vcc_lo, 0, v1
	v_mov_b32_e32 v1, 0x7f800000
	s_delay_alu instid0(VALU_DEP_3) | instskip(NEXT) | instid1(VALU_DEP_1)
	v_cmp_lt_i16_e64 s13, -1, v3
	v_cndmask_b32_e64 v1, 0xff800000, v1, s13
	s_delay_alu instid0(VALU_DEP_1)
	v_cndmask_b32_e32 v3, 0x7f800001, v1, vcc_lo
; %bb.25111:                            ;   in Loop: Header=BB6_22365 Depth=3
	s_or_b32 exec_lo, exec_lo, s75
.LBB6_25112:                            ;   in Loop: Header=BB6_22365 Depth=3
	s_delay_alu instid0(SALU_CYCLE_1)
	s_or_b32 exec_lo, exec_lo, s74
.LBB6_25113:                            ;   in Loop: Header=BB6_22365 Depth=3
	s_delay_alu instid0(SALU_CYCLE_1) | instskip(NEXT) | instid1(VALU_DEP_1)
	s_or_b32 exec_lo, exec_lo, s73
	v_dual_add_f32 v4, v2, v3 :: v_dual_mov_b32 v47, v113
	v_mov_b32_e32 v3, v113
                                        ; implicit-def: $vgpr101
	s_mov_b32 s13, exec_lo
	s_delay_alu instid0(VALU_DEP_2) | instskip(SKIP_2) | instid1(VALU_DEP_3)
	v_and_b32_e32 v46, 0x7f800000, v4
	v_and_b32_e32 v2, 0x7fffff, v4
	v_lshrrev_b32_e32 v1, 24, v4
	v_cmpx_ne_u64_e32 0x7f800000, v[46:47]
	s_xor_b32 s73, exec_lo, s13
	s_cbranch_execz .LBB6_25127
; %bb.25114:                            ;   in Loop: Header=BB6_22365 Depth=3
	v_and_b32_e32 v46, 0x7fffffff, v4
	v_mov_b32_e32 v47, v113
	v_and_b32_e32 v1, 0x80, v1
                                        ; implicit-def: $vgpr101
	s_mov_b32 s13, exec_lo
	s_delay_alu instid0(VALU_DEP_2)
	v_cmpx_gt_u64_e32 0x47600001, v[46:47]
	s_xor_b32 s74, exec_lo, s13
	s_cbranch_execz .LBB6_25124
; %bb.25115:                            ;   in Loop: Header=BB6_22365 Depth=3
	v_mov_b32_e32 v101, 0
	s_mov_b32 s75, exec_lo
	v_cmpx_ne_u32_e32 0, v4
	s_cbranch_execz .LBB6_25123
; %bb.25116:                            ;   in Loop: Header=BB6_22365 Depth=3
	v_bfe_u32 v101, v4, 23, 8
	v_or_b32_e32 v5, 0x800000, v2
	s_delay_alu instid0(VALU_DEP_2) | instskip(SKIP_2) | instid1(VALU_DEP_2)
	v_cmp_gt_u32_e64 s13, 0x72, v101
	v_sub_nc_u32_e32 v4, 0x71, v101
	v_cmp_eq_u32_e32 vcc_lo, 0, v101
	v_dual_cndmask_b32 v4, 0, v4, s13 :: v_dual_cndmask_b32 v2, v5, v2, vcc_lo
	s_delay_alu instid0(VALU_DEP_1) | instskip(NEXT) | instid1(VALU_DEP_1)
	v_cndmask_b32_e64 v117, v4, 0x70, vcc_lo
	v_dual_add_nc_u32 v4, 21, v117 :: v_dual_add_nc_u32 v40, 20, v117
	s_delay_alu instid0(VALU_DEP_1) | instskip(NEXT) | instid1(VALU_DEP_2)
	v_lshlrev_b64_e64 v[4:5], v4, -1
	v_lshlrev_b64_e64 v[46:47], v40, 1
	s_delay_alu instid0(VALU_DEP_2) | instskip(SKIP_1) | instid1(VALU_DEP_4)
	v_bfi_b32 v4, v4, 0, v2
	v_lshrrev_b64 v[2:3], v117, v[2:3]
	v_bfi_b32 v5, v5, 0, 0
	s_delay_alu instid0(VALU_DEP_1) | instskip(NEXT) | instid1(VALU_DEP_3)
	v_cmp_eq_u64_e64 s13, v[4:5], v[46:47]
	v_mov_b64_e32 v[4:5], v[2:3]
	s_and_saveexec_b32 s76, s13
; %bb.25117:                            ;   in Loop: Header=BB6_22365 Depth=3
	v_bfe_u32 v4, v2, 21, 1
	v_mov_b32_e32 v5, v113
	s_delay_alu instid0(VALU_DEP_1) | instskip(NEXT) | instid1(VALU_DEP_1)
	v_add_nc_u64_e32 v[4:5], v[2:3], v[4:5]
	v_add_nc_u64_e32 v[4:5], -1, v[4:5]
; %bb.25118:                            ;   in Loop: Header=BB6_22365 Depth=3
	s_or_b32 exec_lo, exec_lo, s76
	v_add_nc_u32_e32 v3, 0xffffff81, v101
	v_lshrrev_b32_e32 v5, 23, v2
	s_mov_b32 s13, exec_lo
	s_delay_alu instid0(VALU_DEP_2) | instskip(NEXT) | instid1(VALU_DEP_1)
	v_cndmask_b32_e64 v3, v3, 0xffffff82, vcc_lo
	v_add3_u32 v101, v117, v3, v5
	v_and_b32_e32 v3, 0x1fffff, v4
                                        ; implicit-def: $vgpr4
	s_delay_alu instid0(VALU_DEP_1) | instskip(SKIP_1) | instid1(VALU_DEP_2)
	v_dual_add_nc_u32 v5, 14, v101 :: v_dual_add_nc_u32 v2, v3, v2
	v_mov_b32_e32 v3, v113
	v_cmpx_ne_u32_e32 0, v5
	s_xor_b32 s13, exec_lo, s13
; %bb.25119:                            ;   in Loop: Header=BB6_22365 Depth=3
	s_delay_alu instid0(VALU_DEP_2) | instskip(SKIP_1) | instid1(VALU_DEP_1)
	v_cmp_lt_u64_e32 vcc_lo, 0xffffff, v[2:3]
	v_add_nc_u32_e32 v4, 15, v101
	v_cndmask_b32_e32 v4, v5, v4, vcc_lo
	v_cndmask_b32_e64 v5, 0, 1, vcc_lo
	s_delay_alu instid0(VALU_DEP_1)
	v_lshrrev_b64 v[2:3], v5, v[2:3]
; %bb.25120:                            ;   in Loop: Header=BB6_22365 Depth=3
	s_and_not1_saveexec_b32 s13, s13
; %bb.25121:                            ;   in Loop: Header=BB6_22365 Depth=3
	s_delay_alu instid0(VALU_DEP_1)
	v_bfe_u32 v4, v2, 23, 1
; %bb.25122:                            ;   in Loop: Header=BB6_22365 Depth=3
	s_or_b32 exec_lo, exec_lo, s13
	s_delay_alu instid0(VALU_DEP_2) | instskip(NEXT) | instid1(VALU_DEP_2)
	v_lshrrev_b64 v[2:3], 21, v[2:3]
	v_cmp_gt_i32_e32 vcc_lo, 32, v4
	v_min_i32_e32 v5, 31, v4
	v_cmp_eq_u32_e64 s13, 0, v4
	s_delay_alu instid0(VALU_DEP_2) | instskip(SKIP_1) | instid1(VALU_DEP_2)
	v_dual_cndmask_b32 v3, 0, v3, vcc_lo :: v_dual_lshlrev_b32 v5, 2, v5
	v_cndmask_b32_e32 v2, 3, v2, vcc_lo
	v_and_b32_e32 v5, 0xfc, v5
	s_delay_alu instid0(VALU_DEP_2) | instskip(NEXT) | instid1(VALU_DEP_2)
	v_cmp_eq_u64_e32 vcc_lo, 0, v[2:3]
	v_and_or_b32 v2, v2, 3, v5
	s_and_b32 s13, s13, vcc_lo
	s_delay_alu instid0(VALU_DEP_1) | instid1(SALU_CYCLE_1)
	v_cndmask_b32_e64 v2, v2, 0, s13
	s_delay_alu instid0(VALU_DEP_1)
	v_or_b32_e32 v101, v2, v1
.LBB6_25123:                            ;   in Loop: Header=BB6_22365 Depth=3
	s_or_b32 exec_lo, exec_lo, s75
                                        ; implicit-def: $vgpr1
.LBB6_25124:                            ;   in Loop: Header=BB6_22365 Depth=3
	s_and_not1_saveexec_b32 s13, s74
; %bb.25125:                            ;   in Loop: Header=BB6_22365 Depth=3
	v_or_b32_e32 v101, 0x7b, v1
; %bb.25126:                            ;   in Loop: Header=BB6_22365 Depth=3
	s_or_b32 exec_lo, exec_lo, s13
                                        ; implicit-def: $vgpr4
                                        ; implicit-def: $vgpr2_vgpr3
                                        ; implicit-def: $vgpr1
.LBB6_25127:                            ;   in Loop: Header=BB6_22365 Depth=3
	s_and_not1_saveexec_b32 s13, s73
	s_cbranch_execz .LBB6_25133
; %bb.25128:                            ;   in Loop: Header=BB6_22365 Depth=3
	s_mov_b32 s73, exec_lo
                                        ; implicit-def: $vgpr101
	v_cmpx_ne_u64_e32 0, v[2:3]
	s_xor_b32 s73, exec_lo, s73
; %bb.25129:                            ;   in Loop: Header=BB6_22365 Depth=3
	v_or_b32_e32 v101, 0x7f, v1
                                        ; implicit-def: $vgpr4
; %bb.25130:                            ;   in Loop: Header=BB6_22365 Depth=3
	s_and_not1_saveexec_b32 s73, s73
; %bb.25131:                            ;   in Loop: Header=BB6_22365 Depth=3
	v_cmp_lt_i32_e32 vcc_lo, -1, v4
	v_mov_b32_e32 v1, 0x7c
	s_delay_alu instid0(VALU_DEP_1)
	v_cndmask_b32_e32 v101, 0xfc, v1, vcc_lo
; %bb.25132:                            ;   in Loop: Header=BB6_22365 Depth=3
	s_or_b32 exec_lo, exec_lo, s73
.LBB6_25133:                            ;   in Loop: Header=BB6_22365 Depth=3
	s_delay_alu instid0(SALU_CYCLE_1) | instskip(SKIP_3) | instid1(VALU_DEP_2)
	s_or_b32 exec_lo, exec_lo, s13
	v_lshrrev_b16 v2, 8, v114
	v_dual_mov_b32 v1, 0 :: v_dual_mov_b32 v4, 0
	s_mov_b32 s73, exec_lo
	v_cmpx_ne_u16_e32 0, v2
	s_cbranch_execz .LBB6_25143
; %bb.25134:                            ;   in Loop: Header=BB6_22365 Depth=3
	v_bfrev_b32_e32 v4, 1
	s_mov_b32 s74, exec_lo
	v_cmpx_ne_u16_e32 0x80, v2
	s_cbranch_execz .LBB6_25142
; %bb.25135:                            ;   in Loop: Header=BB6_22365 Depth=3
	v_and_b32_e32 v5, 0xffff, v2
	s_delay_alu instid0(VALU_DEP_1) | instskip(SKIP_1) | instid1(VALU_DEP_2)
	v_and_b32_e32 v4, 0x7c, v5
	v_and_b32_e32 v3, 3, v5
	v_cmp_ne_u32_e32 vcc_lo, 0x7c, v4
                                        ; implicit-def: $vgpr4
	s_and_saveexec_b32 s13, vcc_lo
	s_delay_alu instid0(SALU_CYCLE_1)
	s_xor_b32 s13, exec_lo, s13
	s_cbranch_execz .LBB6_25139
; %bb.25136:                            ;   in Loop: Header=BB6_22365 Depth=3
	v_bfe_u32 v4, v5, 2, 5
	s_mov_b32 s75, exec_lo
	s_delay_alu instid0(VALU_DEP_1)
	v_cmpx_eq_u32_e32 0, v4
	s_cbranch_execz .LBB6_25138
; %bb.25137:                            ;   in Loop: Header=BB6_22365 Depth=3
	v_clz_i32_u32_e32 v3, v3
	s_delay_alu instid0(VALU_DEP_1) | instskip(SKIP_1) | instid1(VALU_DEP_2)
	v_min_u32_e32 v4, 32, v3
	v_mov_b32_e32 v3, v113
	v_subrev_nc_u32_e32 v5, 29, v4
	v_sub_nc_u32_e32 v4, 30, v4
	s_delay_alu instid0(VALU_DEP_2) | instskip(NEXT) | instid1(VALU_DEP_1)
	v_lshlrev_b64_e32 v[2:3], v5, v[2:3]
	v_and_b32_e32 v3, 3, v2
.LBB6_25138:                            ;   in Loop: Header=BB6_22365 Depth=3
	s_or_b32 exec_lo, exec_lo, s75
	v_lshlrev_b32_e32 v2, 16, v114
                                        ; implicit-def: $vgpr114
	s_delay_alu instid0(VALU_DEP_1) | instskip(NEXT) | instid1(VALU_DEP_1)
	v_and_b32_e32 v2, 0x80000000, v2
	v_lshl_add_u32 v2, v4, 23, v2
	s_delay_alu instid0(VALU_DEP_1) | instskip(NEXT) | instid1(VALU_DEP_1)
	v_lshl_or_b32 v2, v3, 21, v2
                                        ; implicit-def: $vgpr3
	v_add_nc_u32_e32 v4, 0x38000000, v2
.LBB6_25139:                            ;   in Loop: Header=BB6_22365 Depth=3
	s_and_not1_saveexec_b32 s75, s13
; %bb.25140:                            ;   in Loop: Header=BB6_22365 Depth=3
	v_cmp_lt_i16_e64 s13, -1, v114
	v_mov_b32_e32 v2, 0x7f800000
	v_cmp_eq_u32_e32 vcc_lo, 0, v3
	s_delay_alu instid0(VALU_DEP_2) | instskip(NEXT) | instid1(VALU_DEP_1)
	v_cndmask_b32_e64 v2, 0xff800000, v2, s13
	v_cndmask_b32_e32 v4, 0x7f800001, v2, vcc_lo
; %bb.25141:                            ;   in Loop: Header=BB6_22365 Depth=3
	s_or_b32 exec_lo, exec_lo, s75
.LBB6_25142:                            ;   in Loop: Header=BB6_22365 Depth=3
	s_delay_alu instid0(SALU_CYCLE_1)
	s_or_b32 exec_lo, exec_lo, s74
.LBB6_25143:                            ;   in Loop: Header=BB6_22365 Depth=3
	s_delay_alu instid0(SALU_CYCLE_1) | instskip(SKIP_2) | instid1(VALU_DEP_1)
	s_or_b32 exec_lo, exec_lo, s73
	v_lshrrev_b16 v2, 8, v17
	s_mov_b32 s73, exec_lo
	v_cmpx_ne_u16_e32 0, v2
	s_cbranch_execz .LBB6_25153
; %bb.25144:                            ;   in Loop: Header=BB6_22365 Depth=3
	v_bfrev_b32_e32 v1, 1
	s_mov_b32 s74, exec_lo
	v_cmpx_ne_u16_e32 0x80, v2
	s_cbranch_execz .LBB6_25152
; %bb.25145:                            ;   in Loop: Header=BB6_22365 Depth=3
	v_and_b32_e32 v5, 0xffff, v2
	s_delay_alu instid0(VALU_DEP_1) | instskip(SKIP_1) | instid1(VALU_DEP_2)
	v_and_b32_e32 v1, 0x7c, v5
	v_and_b32_e32 v3, 3, v5
	v_cmp_ne_u32_e32 vcc_lo, 0x7c, v1
                                        ; implicit-def: $vgpr1
	s_and_saveexec_b32 s13, vcc_lo
	s_delay_alu instid0(SALU_CYCLE_1)
	s_xor_b32 s13, exec_lo, s13
	s_cbranch_execz .LBB6_25149
; %bb.25146:                            ;   in Loop: Header=BB6_22365 Depth=3
	v_bfe_u32 v1, v5, 2, 5
	s_mov_b32 s75, exec_lo
	s_delay_alu instid0(VALU_DEP_1)
	v_cmpx_eq_u32_e32 0, v1
	s_cbranch_execz .LBB6_25148
; %bb.25147:                            ;   in Loop: Header=BB6_22365 Depth=3
	v_clz_i32_u32_e32 v1, v3
	s_delay_alu instid0(VALU_DEP_1) | instskip(SKIP_1) | instid1(VALU_DEP_2)
	v_min_u32_e32 v1, 32, v1
	v_mov_b32_e32 v3, v113
	v_subrev_nc_u32_e32 v5, 29, v1
	v_sub_nc_u32_e32 v1, 30, v1
	s_delay_alu instid0(VALU_DEP_2) | instskip(NEXT) | instid1(VALU_DEP_1)
	v_lshlrev_b64_e32 v[2:3], v5, v[2:3]
	v_and_b32_e32 v3, 3, v2
.LBB6_25148:                            ;   in Loop: Header=BB6_22365 Depth=3
	s_or_b32 exec_lo, exec_lo, s75
	v_lshlrev_b32_e32 v2, 16, v17
	s_delay_alu instid0(VALU_DEP_1) | instskip(NEXT) | instid1(VALU_DEP_1)
	v_and_b32_e32 v2, 0x80000000, v2
	v_lshl_add_u32 v1, v1, 23, v2
	s_delay_alu instid0(VALU_DEP_1) | instskip(NEXT) | instid1(VALU_DEP_1)
	v_lshl_or_b32 v1, v3, 21, v1
                                        ; implicit-def: $vgpr3
	v_add_nc_u32_e32 v1, 0x38000000, v1
.LBB6_25149:                            ;   in Loop: Header=BB6_22365 Depth=3
	s_and_not1_saveexec_b32 s75, s13
; %bb.25150:                            ;   in Loop: Header=BB6_22365 Depth=3
	v_cmp_lt_i16_e64 s13, -1, v17
	v_mov_b32_e32 v1, 0x7f800000
	v_cmp_eq_u32_e32 vcc_lo, 0, v3
	s_delay_alu instid0(VALU_DEP_2) | instskip(NEXT) | instid1(VALU_DEP_1)
	v_cndmask_b32_e64 v1, 0xff800000, v1, s13
	v_cndmask_b32_e32 v1, 0x7f800001, v1, vcc_lo
; %bb.25151:                            ;   in Loop: Header=BB6_22365 Depth=3
	s_or_b32 exec_lo, exec_lo, s75
.LBB6_25152:                            ;   in Loop: Header=BB6_22365 Depth=3
	s_delay_alu instid0(SALU_CYCLE_1)
	s_or_b32 exec_lo, exec_lo, s74
.LBB6_25153:                            ;   in Loop: Header=BB6_22365 Depth=3
	s_delay_alu instid0(SALU_CYCLE_1) | instskip(NEXT) | instid1(VALU_DEP_1)
	s_or_b32 exec_lo, exec_lo, s73
	v_dual_add_f32 v4, v4, v1 :: v_dual_mov_b32 v47, v113
	v_mov_b32_e32 v3, v113
                                        ; implicit-def: $vgpr114
	s_mov_b32 s13, exec_lo
	s_delay_alu instid0(VALU_DEP_2) | instskip(SKIP_2) | instid1(VALU_DEP_3)
	v_and_b32_e32 v46, 0x7f800000, v4
	v_and_b32_e32 v2, 0x7fffff, v4
	v_lshrrev_b32_e32 v1, 24, v4
	v_cmpx_ne_u64_e32 0x7f800000, v[46:47]
	s_xor_b32 s73, exec_lo, s13
	s_cbranch_execz .LBB6_25167
; %bb.25154:                            ;   in Loop: Header=BB6_22365 Depth=3
	v_and_b32_e32 v46, 0x7fffffff, v4
	v_mov_b32_e32 v47, v113
	v_and_b32_e32 v1, 0x80, v1
                                        ; implicit-def: $vgpr114
	s_mov_b32 s13, exec_lo
	s_delay_alu instid0(VALU_DEP_2)
	v_cmpx_gt_u64_e32 0x47600001, v[46:47]
	s_xor_b32 s74, exec_lo, s13
	s_cbranch_execz .LBB6_25164
; %bb.25155:                            ;   in Loop: Header=BB6_22365 Depth=3
	v_mov_b32_e32 v114, 0
	s_mov_b32 s75, exec_lo
	v_cmpx_ne_u32_e32 0, v4
	s_cbranch_execz .LBB6_25163
; %bb.25156:                            ;   in Loop: Header=BB6_22365 Depth=3
	v_bfe_u32 v114, v4, 23, 8
	v_or_b32_e32 v5, 0x800000, v2
	s_delay_alu instid0(VALU_DEP_2) | instskip(SKIP_2) | instid1(VALU_DEP_2)
	v_cmp_gt_u32_e64 s13, 0x72, v114
	v_sub_nc_u32_e32 v4, 0x71, v114
	v_cmp_eq_u32_e32 vcc_lo, 0, v114
	v_dual_cndmask_b32 v4, 0, v4, s13 :: v_dual_cndmask_b32 v2, v5, v2, vcc_lo
	s_delay_alu instid0(VALU_DEP_1) | instskip(NEXT) | instid1(VALU_DEP_1)
	v_cndmask_b32_e64 v117, v4, 0x70, vcc_lo
	v_dual_add_nc_u32 v4, 21, v117 :: v_dual_add_nc_u32 v40, 20, v117
	s_delay_alu instid0(VALU_DEP_1) | instskip(NEXT) | instid1(VALU_DEP_2)
	v_lshlrev_b64_e64 v[4:5], v4, -1
	v_lshlrev_b64_e64 v[46:47], v40, 1
	s_delay_alu instid0(VALU_DEP_2) | instskip(SKIP_1) | instid1(VALU_DEP_4)
	v_bfi_b32 v4, v4, 0, v2
	v_lshrrev_b64 v[2:3], v117, v[2:3]
	v_bfi_b32 v5, v5, 0, 0
	s_delay_alu instid0(VALU_DEP_1) | instskip(NEXT) | instid1(VALU_DEP_3)
	v_cmp_eq_u64_e64 s13, v[4:5], v[46:47]
	v_mov_b64_e32 v[4:5], v[2:3]
	s_and_saveexec_b32 s76, s13
; %bb.25157:                            ;   in Loop: Header=BB6_22365 Depth=3
	v_bfe_u32 v4, v2, 21, 1
	v_mov_b32_e32 v5, v113
	s_delay_alu instid0(VALU_DEP_1) | instskip(NEXT) | instid1(VALU_DEP_1)
	v_add_nc_u64_e32 v[4:5], v[2:3], v[4:5]
	v_add_nc_u64_e32 v[4:5], -1, v[4:5]
; %bb.25158:                            ;   in Loop: Header=BB6_22365 Depth=3
	s_or_b32 exec_lo, exec_lo, s76
	v_add_nc_u32_e32 v3, 0xffffff81, v114
	v_lshrrev_b32_e32 v5, 23, v2
	s_mov_b32 s13, exec_lo
	s_delay_alu instid0(VALU_DEP_2) | instskip(NEXT) | instid1(VALU_DEP_1)
	v_cndmask_b32_e64 v3, v3, 0xffffff82, vcc_lo
	v_add3_u32 v114, v117, v3, v5
	v_and_b32_e32 v3, 0x1fffff, v4
                                        ; implicit-def: $vgpr4
	s_delay_alu instid0(VALU_DEP_2) | instskip(NEXT) | instid1(VALU_DEP_2)
	v_add_nc_u32_e32 v5, 14, v114
	v_dual_mov_b32 v3, v113 :: v_dual_add_nc_u32 v2, v3, v2
	s_delay_alu instid0(VALU_DEP_2)
	v_cmpx_ne_u32_e32 0, v5
	s_xor_b32 s13, exec_lo, s13
; %bb.25159:                            ;   in Loop: Header=BB6_22365 Depth=3
	s_delay_alu instid0(VALU_DEP_2) | instskip(SKIP_1) | instid1(VALU_DEP_1)
	v_cmp_lt_u64_e32 vcc_lo, 0xffffff, v[2:3]
	v_add_nc_u32_e32 v4, 15, v114
	v_cndmask_b32_e32 v4, v5, v4, vcc_lo
	v_cndmask_b32_e64 v5, 0, 1, vcc_lo
	s_delay_alu instid0(VALU_DEP_1)
	v_lshrrev_b64 v[2:3], v5, v[2:3]
; %bb.25160:                            ;   in Loop: Header=BB6_22365 Depth=3
	s_and_not1_saveexec_b32 s13, s13
; %bb.25161:                            ;   in Loop: Header=BB6_22365 Depth=3
	s_delay_alu instid0(VALU_DEP_1)
	v_bfe_u32 v4, v2, 23, 1
; %bb.25162:                            ;   in Loop: Header=BB6_22365 Depth=3
	s_or_b32 exec_lo, exec_lo, s13
	s_delay_alu instid0(VALU_DEP_2) | instskip(NEXT) | instid1(VALU_DEP_2)
	v_lshrrev_b64 v[2:3], 21, v[2:3]
	v_cmp_gt_i32_e32 vcc_lo, 32, v4
	v_min_i32_e32 v5, 31, v4
	v_cmp_eq_u32_e64 s13, 0, v4
	s_delay_alu instid0(VALU_DEP_2) | instskip(SKIP_1) | instid1(VALU_DEP_2)
	v_dual_cndmask_b32 v3, 0, v3, vcc_lo :: v_dual_lshlrev_b32 v5, 2, v5
	v_cndmask_b32_e32 v2, 3, v2, vcc_lo
	v_and_b32_e32 v5, 0xfc, v5
	s_delay_alu instid0(VALU_DEP_2) | instskip(NEXT) | instid1(VALU_DEP_2)
	v_cmp_eq_u64_e32 vcc_lo, 0, v[2:3]
	v_and_or_b32 v2, v2, 3, v5
	s_and_b32 s13, s13, vcc_lo
	s_delay_alu instid0(VALU_DEP_1) | instid1(SALU_CYCLE_1)
	v_cndmask_b32_e64 v2, v2, 0, s13
	s_delay_alu instid0(VALU_DEP_1)
	v_or_b32_e32 v114, v2, v1
.LBB6_25163:                            ;   in Loop: Header=BB6_22365 Depth=3
	s_or_b32 exec_lo, exec_lo, s75
                                        ; implicit-def: $vgpr1
.LBB6_25164:                            ;   in Loop: Header=BB6_22365 Depth=3
	s_and_not1_saveexec_b32 s13, s74
; %bb.25165:                            ;   in Loop: Header=BB6_22365 Depth=3
	v_or_b32_e32 v114, 0x7b, v1
; %bb.25166:                            ;   in Loop: Header=BB6_22365 Depth=3
	s_or_b32 exec_lo, exec_lo, s13
                                        ; implicit-def: $vgpr4
                                        ; implicit-def: $vgpr2_vgpr3
                                        ; implicit-def: $vgpr1
.LBB6_25167:                            ;   in Loop: Header=BB6_22365 Depth=3
	s_and_not1_saveexec_b32 s13, s73
	s_cbranch_execz .LBB6_25173
; %bb.25168:                            ;   in Loop: Header=BB6_22365 Depth=3
	s_mov_b32 s73, exec_lo
                                        ; implicit-def: $vgpr114
	v_cmpx_ne_u64_e32 0, v[2:3]
	s_xor_b32 s73, exec_lo, s73
; %bb.25169:                            ;   in Loop: Header=BB6_22365 Depth=3
	v_or_b32_e32 v114, 0x7f, v1
                                        ; implicit-def: $vgpr4
; %bb.25170:                            ;   in Loop: Header=BB6_22365 Depth=3
	s_and_not1_saveexec_b32 s73, s73
; %bb.25171:                            ;   in Loop: Header=BB6_22365 Depth=3
	v_cmp_lt_i32_e32 vcc_lo, -1, v4
	v_mov_b32_e32 v1, 0x7c
	s_delay_alu instid0(VALU_DEP_1)
	v_cndmask_b32_e32 v114, 0xfc, v1, vcc_lo
; %bb.25172:                            ;   in Loop: Header=BB6_22365 Depth=3
	s_or_b32 exec_lo, exec_lo, s73
.LBB6_25173:                            ;   in Loop: Header=BB6_22365 Depth=3
	s_delay_alu instid0(SALU_CYCLE_1) | instskip(SKIP_3) | instid1(VALU_DEP_2)
	s_or_b32 exec_lo, exec_lo, s13
	v_dual_mov_b32 v1, 0 :: v_dual_lshrrev_b32 v2, 16, v0
	v_mov_b32_e32 v3, 0
	s_mov_b32 s73, exec_lo
	v_and_b32_e32 v4, 0xff, v2
	s_delay_alu instid0(VALU_DEP_1)
	v_cmpx_ne_u16_e32 0, v4
	s_cbranch_execz .LBB6_25183
; %bb.25174:                            ;   in Loop: Header=BB6_22365 Depth=3
	v_bfrev_b32_e32 v3, 1
	s_mov_b32 s74, exec_lo
	v_cmpx_ne_u16_e32 0x80, v4
	s_cbranch_execz .LBB6_25182
; %bb.25175:                            ;   in Loop: Header=BB6_22365 Depth=3
	v_and_b32_e32 v3, 0x7c0000, v0
	v_bfe_u32 v4, v0, 16, 2
	s_delay_alu instid0(VALU_DEP_2) | instskip(SKIP_1) | instid1(SALU_CYCLE_1)
	v_cmp_ne_u32_e32 vcc_lo, 0x7c0000, v3
                                        ; implicit-def: $vgpr3
	s_and_saveexec_b32 s13, vcc_lo
	s_xor_b32 s13, exec_lo, s13
	s_cbranch_execz .LBB6_25179
; %bb.25176:                            ;   in Loop: Header=BB6_22365 Depth=3
	v_bfe_u32 v3, v0, 18, 5
	s_mov_b32 s75, exec_lo
	s_delay_alu instid0(VALU_DEP_1)
	v_cmpx_eq_u32_e32 0, v3
; %bb.25177:                            ;   in Loop: Header=BB6_22365 Depth=3
	v_clz_i32_u32_e32 v3, v4
	s_delay_alu instid0(VALU_DEP_1) | instskip(NEXT) | instid1(VALU_DEP_1)
	v_min_u32_e32 v3, 32, v3
	v_subrev_nc_u32_e32 v4, 29, v3
	s_delay_alu instid0(VALU_DEP_1) | instskip(NEXT) | instid1(VALU_DEP_1)
	v_lshlrev_b64_e32 v[4:5], v4, v[2:3]
	v_dual_sub_nc_u32 v3, 30, v3 :: v_dual_bitop2_b32 v4, 3, v4 bitop3:0x40
; %bb.25178:                            ;   in Loop: Header=BB6_22365 Depth=3
	s_or_b32 exec_lo, exec_lo, s75
	v_lshlrev_b32_e32 v2, 24, v2
	s_delay_alu instid0(VALU_DEP_1) | instskip(NEXT) | instid1(VALU_DEP_1)
	v_and_b32_e32 v2, 0x80000000, v2
	v_lshl_add_u32 v2, v3, 23, v2
	s_delay_alu instid0(VALU_DEP_1) | instskip(NEXT) | instid1(VALU_DEP_1)
	v_lshl_or_b32 v2, v4, 21, v2
                                        ; implicit-def: $vgpr4
	v_add_nc_u32_e32 v3, 0x38000000, v2
                                        ; implicit-def: $vgpr2
.LBB6_25179:                            ;   in Loop: Header=BB6_22365 Depth=3
	s_and_not1_saveexec_b32 s75, s13
; %bb.25180:                            ;   in Loop: Header=BB6_22365 Depth=3
	v_bfe_i32 v2, v2, 0, 8
	v_cmp_eq_u32_e32 vcc_lo, 0, v4
	s_delay_alu instid0(VALU_DEP_2) | instskip(SKIP_1) | instid1(VALU_DEP_1)
	v_cmp_lt_i16_e64 s13, -1, v2
	v_mov_b32_e32 v2, 0x7f800000
	v_cndmask_b32_e64 v2, 0xff800000, v2, s13
	s_delay_alu instid0(VALU_DEP_1)
	v_cndmask_b32_e32 v3, 0x7f800001, v2, vcc_lo
; %bb.25181:                            ;   in Loop: Header=BB6_22365 Depth=3
	s_or_b32 exec_lo, exec_lo, s75
.LBB6_25182:                            ;   in Loop: Header=BB6_22365 Depth=3
	s_delay_alu instid0(SALU_CYCLE_1)
	s_or_b32 exec_lo, exec_lo, s74
.LBB6_25183:                            ;   in Loop: Header=BB6_22365 Depth=3
	s_delay_alu instid0(SALU_CYCLE_1) | instskip(SKIP_2) | instid1(VALU_DEP_1)
	s_or_b32 exec_lo, exec_lo, s73
	v_lshrrev_b32_e32 v2, 16, v17
	s_mov_b32 s73, exec_lo
	v_and_b32_e32 v4, 0xff, v2
	s_delay_alu instid0(VALU_DEP_1)
	v_cmpx_ne_u16_e32 0, v4
	s_cbranch_execz .LBB6_25193
; %bb.25184:                            ;   in Loop: Header=BB6_22365 Depth=3
	v_bfrev_b32_e32 v1, 1
	s_mov_b32 s74, exec_lo
	v_cmpx_ne_u16_e32 0x80, v4
	s_cbranch_execz .LBB6_25192
; %bb.25185:                            ;   in Loop: Header=BB6_22365 Depth=3
	v_and_b32_e32 v1, 0x7c0000, v17
	v_bfe_u32 v4, v17, 16, 2
	s_delay_alu instid0(VALU_DEP_2) | instskip(SKIP_1) | instid1(SALU_CYCLE_1)
	v_cmp_ne_u32_e32 vcc_lo, 0x7c0000, v1
                                        ; implicit-def: $vgpr1
	s_and_saveexec_b32 s13, vcc_lo
	s_xor_b32 s13, exec_lo, s13
	s_cbranch_execz .LBB6_25189
; %bb.25186:                            ;   in Loop: Header=BB6_22365 Depth=3
	v_bfe_u32 v1, v17, 18, 5
	s_mov_b32 s75, exec_lo
	s_delay_alu instid0(VALU_DEP_1)
	v_cmpx_eq_u32_e32 0, v1
; %bb.25187:                            ;   in Loop: Header=BB6_22365 Depth=3
	v_clz_i32_u32_e32 v1, v4
	s_delay_alu instid0(VALU_DEP_1) | instskip(NEXT) | instid1(VALU_DEP_1)
	v_min_u32_e32 v1, 32, v1
	v_subrev_nc_u32_e32 v4, 29, v1
	s_delay_alu instid0(VALU_DEP_1) | instskip(NEXT) | instid1(VALU_DEP_1)
	v_lshlrev_b64_e32 v[4:5], v4, v[2:3]
	v_dual_sub_nc_u32 v1, 30, v1 :: v_dual_bitop2_b32 v4, 3, v4 bitop3:0x40
; %bb.25188:                            ;   in Loop: Header=BB6_22365 Depth=3
	s_or_b32 exec_lo, exec_lo, s75
	v_lshlrev_b32_e32 v2, 24, v2
	s_delay_alu instid0(VALU_DEP_1) | instskip(NEXT) | instid1(VALU_DEP_1)
	v_and_b32_e32 v2, 0x80000000, v2
	v_lshl_add_u32 v1, v1, 23, v2
                                        ; implicit-def: $vgpr2
	s_delay_alu instid0(VALU_DEP_1) | instskip(NEXT) | instid1(VALU_DEP_1)
	v_lshl_or_b32 v1, v4, 21, v1
                                        ; implicit-def: $vgpr4
	v_add_nc_u32_e32 v1, 0x38000000, v1
.LBB6_25189:                            ;   in Loop: Header=BB6_22365 Depth=3
	s_and_not1_saveexec_b32 s75, s13
; %bb.25190:                            ;   in Loop: Header=BB6_22365 Depth=3
	v_bfe_i32 v1, v2, 0, 8
	v_cmp_eq_u32_e32 vcc_lo, 0, v4
	s_delay_alu instid0(VALU_DEP_2) | instskip(SKIP_1) | instid1(VALU_DEP_1)
	v_cmp_lt_i16_e64 s13, -1, v1
	v_mov_b32_e32 v1, 0x7f800000
	v_cndmask_b32_e64 v1, 0xff800000, v1, s13
	s_delay_alu instid0(VALU_DEP_1)
	v_cndmask_b32_e32 v1, 0x7f800001, v1, vcc_lo
; %bb.25191:                            ;   in Loop: Header=BB6_22365 Depth=3
	s_or_b32 exec_lo, exec_lo, s75
.LBB6_25192:                            ;   in Loop: Header=BB6_22365 Depth=3
	s_delay_alu instid0(SALU_CYCLE_1)
	s_or_b32 exec_lo, exec_lo, s74
.LBB6_25193:                            ;   in Loop: Header=BB6_22365 Depth=3
	s_delay_alu instid0(SALU_CYCLE_1) | instskip(NEXT) | instid1(VALU_DEP_1)
	s_or_b32 exec_lo, exec_lo, s73
	v_dual_add_f32 v4, v3, v1 :: v_dual_mov_b32 v47, v113
	v_mov_b32_e32 v3, v113
                                        ; implicit-def: $vgpr117
	s_mov_b32 s13, exec_lo
	s_delay_alu instid0(VALU_DEP_2) | instskip(SKIP_2) | instid1(VALU_DEP_3)
	v_and_b32_e32 v46, 0x7f800000, v4
	v_and_b32_e32 v2, 0x7fffff, v4
	v_lshrrev_b32_e32 v1, 24, v4
	v_cmpx_ne_u64_e32 0x7f800000, v[46:47]
	s_xor_b32 s73, exec_lo, s13
	s_cbranch_execz .LBB6_25207
; %bb.25194:                            ;   in Loop: Header=BB6_22365 Depth=3
	v_and_b32_e32 v46, 0x7fffffff, v4
	v_mov_b32_e32 v47, v113
	v_and_b32_e32 v1, 0x80, v1
                                        ; implicit-def: $vgpr117
	s_mov_b32 s13, exec_lo
	s_delay_alu instid0(VALU_DEP_2)
	v_cmpx_gt_u64_e32 0x47600001, v[46:47]
	s_xor_b32 s74, exec_lo, s13
	s_cbranch_execz .LBB6_25204
; %bb.25195:                            ;   in Loop: Header=BB6_22365 Depth=3
	v_mov_b32_e32 v117, 0
	s_mov_b32 s75, exec_lo
	v_cmpx_ne_u32_e32 0, v4
	s_cbranch_execz .LBB6_25203
; %bb.25196:                            ;   in Loop: Header=BB6_22365 Depth=3
	v_bfe_u32 v117, v4, 23, 8
	v_or_b32_e32 v5, 0x800000, v2
	s_delay_alu instid0(VALU_DEP_2) | instskip(SKIP_2) | instid1(VALU_DEP_2)
	v_cmp_gt_u32_e64 s13, 0x72, v117
	v_sub_nc_u32_e32 v4, 0x71, v117
	v_cmp_eq_u32_e32 vcc_lo, 0, v117
	v_dual_cndmask_b32 v4, 0, v4, s13 :: v_dual_cndmask_b32 v2, v5, v2, vcc_lo
	s_delay_alu instid0(VALU_DEP_1) | instskip(NEXT) | instid1(VALU_DEP_1)
	v_cndmask_b32_e64 v40, v4, 0x70, vcc_lo
	v_dual_add_nc_u32 v4, 21, v40 :: v_dual_add_nc_u32 v44, 20, v40
	s_delay_alu instid0(VALU_DEP_1) | instskip(NEXT) | instid1(VALU_DEP_2)
	v_lshlrev_b64_e64 v[4:5], v4, -1
	v_lshlrev_b64_e64 v[46:47], v44, 1
	s_delay_alu instid0(VALU_DEP_2) | instskip(SKIP_1) | instid1(VALU_DEP_4)
	v_bfi_b32 v4, v4, 0, v2
	v_lshrrev_b64 v[2:3], v40, v[2:3]
	v_bfi_b32 v5, v5, 0, 0
	s_delay_alu instid0(VALU_DEP_1) | instskip(NEXT) | instid1(VALU_DEP_3)
	v_cmp_eq_u64_e64 s13, v[4:5], v[46:47]
	v_mov_b64_e32 v[4:5], v[2:3]
	s_and_saveexec_b32 s76, s13
; %bb.25197:                            ;   in Loop: Header=BB6_22365 Depth=3
	v_bfe_u32 v4, v2, 21, 1
	v_mov_b32_e32 v5, v113
	s_delay_alu instid0(VALU_DEP_1) | instskip(NEXT) | instid1(VALU_DEP_1)
	v_add_nc_u64_e32 v[4:5], v[2:3], v[4:5]
	v_add_nc_u64_e32 v[4:5], -1, v[4:5]
; %bb.25198:                            ;   in Loop: Header=BB6_22365 Depth=3
	s_or_b32 exec_lo, exec_lo, s76
	v_add_nc_u32_e32 v3, 0xffffff81, v117
	v_lshrrev_b32_e32 v5, 23, v2
	s_mov_b32 s13, exec_lo
	s_delay_alu instid0(VALU_DEP_2) | instskip(NEXT) | instid1(VALU_DEP_1)
	v_cndmask_b32_e64 v3, v3, 0xffffff82, vcc_lo
	v_add3_u32 v117, v40, v3, v5
	v_and_b32_e32 v3, 0x1fffff, v4
                                        ; implicit-def: $vgpr4
	s_delay_alu instid0(VALU_DEP_1) | instskip(SKIP_1) | instid1(VALU_DEP_2)
	v_dual_add_nc_u32 v5, 14, v117 :: v_dual_add_nc_u32 v2, v3, v2
	v_mov_b32_e32 v3, v113
	v_cmpx_ne_u32_e32 0, v5
	s_xor_b32 s13, exec_lo, s13
; %bb.25199:                            ;   in Loop: Header=BB6_22365 Depth=3
	s_delay_alu instid0(VALU_DEP_2) | instskip(SKIP_1) | instid1(VALU_DEP_1)
	v_cmp_lt_u64_e32 vcc_lo, 0xffffff, v[2:3]
	v_add_nc_u32_e32 v4, 15, v117
	v_cndmask_b32_e32 v4, v5, v4, vcc_lo
	v_cndmask_b32_e64 v5, 0, 1, vcc_lo
	s_delay_alu instid0(VALU_DEP_1)
	v_lshrrev_b64 v[2:3], v5, v[2:3]
; %bb.25200:                            ;   in Loop: Header=BB6_22365 Depth=3
	s_and_not1_saveexec_b32 s13, s13
; %bb.25201:                            ;   in Loop: Header=BB6_22365 Depth=3
	s_delay_alu instid0(VALU_DEP_1)
	v_bfe_u32 v4, v2, 23, 1
; %bb.25202:                            ;   in Loop: Header=BB6_22365 Depth=3
	s_or_b32 exec_lo, exec_lo, s13
	s_delay_alu instid0(VALU_DEP_2) | instskip(NEXT) | instid1(VALU_DEP_2)
	v_lshrrev_b64 v[2:3], 21, v[2:3]
	v_cmp_gt_i32_e32 vcc_lo, 32, v4
	v_min_i32_e32 v5, 31, v4
	v_cmp_eq_u32_e64 s13, 0, v4
	s_delay_alu instid0(VALU_DEP_2) | instskip(SKIP_1) | instid1(VALU_DEP_2)
	v_dual_cndmask_b32 v3, 0, v3, vcc_lo :: v_dual_lshlrev_b32 v5, 2, v5
	v_cndmask_b32_e32 v2, 3, v2, vcc_lo
	v_and_b32_e32 v5, 0xfc, v5
	s_delay_alu instid0(VALU_DEP_2) | instskip(NEXT) | instid1(VALU_DEP_2)
	v_cmp_eq_u64_e32 vcc_lo, 0, v[2:3]
	v_and_or_b32 v2, v2, 3, v5
	s_and_b32 s13, s13, vcc_lo
	s_delay_alu instid0(VALU_DEP_1) | instid1(SALU_CYCLE_1)
	v_cndmask_b32_e64 v2, v2, 0, s13
	s_delay_alu instid0(VALU_DEP_1)
	v_or_b32_e32 v117, v2, v1
.LBB6_25203:                            ;   in Loop: Header=BB6_22365 Depth=3
	s_or_b32 exec_lo, exec_lo, s75
                                        ; implicit-def: $vgpr1
.LBB6_25204:                            ;   in Loop: Header=BB6_22365 Depth=3
	s_and_not1_saveexec_b32 s13, s74
; %bb.25205:                            ;   in Loop: Header=BB6_22365 Depth=3
	v_or_b32_e32 v117, 0x7b, v1
; %bb.25206:                            ;   in Loop: Header=BB6_22365 Depth=3
	s_or_b32 exec_lo, exec_lo, s13
                                        ; implicit-def: $vgpr4
                                        ; implicit-def: $vgpr2_vgpr3
                                        ; implicit-def: $vgpr1
.LBB6_25207:                            ;   in Loop: Header=BB6_22365 Depth=3
	s_and_not1_saveexec_b32 s13, s73
	s_cbranch_execz .LBB6_25213
; %bb.25208:                            ;   in Loop: Header=BB6_22365 Depth=3
	s_mov_b32 s73, exec_lo
                                        ; implicit-def: $vgpr117
	v_cmpx_ne_u64_e32 0, v[2:3]
	s_xor_b32 s73, exec_lo, s73
; %bb.25209:                            ;   in Loop: Header=BB6_22365 Depth=3
	v_or_b32_e32 v117, 0x7f, v1
                                        ; implicit-def: $vgpr4
; %bb.25210:                            ;   in Loop: Header=BB6_22365 Depth=3
	s_and_not1_saveexec_b32 s73, s73
; %bb.25211:                            ;   in Loop: Header=BB6_22365 Depth=3
	v_cmp_lt_i32_e32 vcc_lo, -1, v4
	v_mov_b32_e32 v1, 0x7c
	s_delay_alu instid0(VALU_DEP_1)
	v_cndmask_b32_e32 v117, 0xfc, v1, vcc_lo
; %bb.25212:                            ;   in Loop: Header=BB6_22365 Depth=3
	s_or_b32 exec_lo, exec_lo, s73
.LBB6_25213:                            ;   in Loop: Header=BB6_22365 Depth=3
	s_delay_alu instid0(SALU_CYCLE_1)
	s_or_b32 exec_lo, exec_lo, s13
	v_dual_mov_b32 v3, 0 :: v_dual_mov_b32 v4, 0
	s_mov_b32 s73, exec_lo
	v_cmpx_lt_u32_e32 0xffffff, v0
	s_cbranch_execz .LBB6_25223
; %bb.25214:                            ;   in Loop: Header=BB6_22365 Depth=3
	v_lshrrev_b32_e32 v2, 24, v0
	v_bfrev_b32_e32 v4, 1
	s_mov_b32 s74, exec_lo
	s_delay_alu instid0(VALU_DEP_2)
	v_cmpx_ne_u32_e32 0x80, v2
	s_cbranch_execz .LBB6_25222
; %bb.25215:                            ;   in Loop: Header=BB6_22365 Depth=3
	v_and_b32_e32 v1, 0x7c000000, v0
	v_bfe_u32 v5, v0, 24, 2
	s_mov_b32 s13, exec_lo
                                        ; implicit-def: $vgpr4
	s_delay_alu instid0(VALU_DEP_2)
	v_cmpx_ne_u32_e32 0x7c000000, v1
	s_xor_b32 s13, exec_lo, s13
	s_cbranch_execz .LBB6_25219
; %bb.25216:                            ;   in Loop: Header=BB6_22365 Depth=3
	v_bfe_u32 v1, v0, 26, 5
	s_mov_b32 s75, exec_lo
	s_delay_alu instid0(VALU_DEP_1)
	v_cmpx_eq_u32_e32 0, v1
; %bb.25217:                            ;   in Loop: Header=BB6_22365 Depth=3
	v_clz_i32_u32_e32 v1, v5
	s_delay_alu instid0(VALU_DEP_1) | instskip(NEXT) | instid1(VALU_DEP_1)
	v_min_u32_e32 v1, 32, v1
	v_subrev_nc_u32_e32 v4, 29, v1
	s_delay_alu instid0(VALU_DEP_1) | instskip(NEXT) | instid1(VALU_DEP_1)
	v_lshlrev_b64_e32 v[4:5], v4, v[2:3]
	v_dual_sub_nc_u32 v1, 30, v1 :: v_dual_bitop2_b32 v5, 3, v4 bitop3:0x40
; %bb.25218:                            ;   in Loop: Header=BB6_22365 Depth=3
	s_or_b32 exec_lo, exec_lo, s75
	v_and_b32_e32 v0, 0x80000000, v0
	s_delay_alu instid0(VALU_DEP_1) | instskip(NEXT) | instid1(VALU_DEP_1)
	v_lshl_add_u32 v0, v1, 23, v0
	v_lshl_or_b32 v0, v5, 21, v0
                                        ; implicit-def: $vgpr5
	s_delay_alu instid0(VALU_DEP_1)
	v_add_nc_u32_e32 v4, 0x38000000, v0
                                        ; implicit-def: $vgpr0_vgpr1
.LBB6_25219:                            ;   in Loop: Header=BB6_22365 Depth=3
	s_and_not1_saveexec_b32 s75, s13
; %bb.25220:                            ;   in Loop: Header=BB6_22365 Depth=3
	v_cmp_lt_i32_e64 s13, -1, v0
	v_mov_b32_e32 v0, 0x7f800000
	v_cmp_eq_u32_e32 vcc_lo, 0, v5
	s_delay_alu instid0(VALU_DEP_2) | instskip(NEXT) | instid1(VALU_DEP_1)
	v_cndmask_b32_e64 v0, 0xff800000, v0, s13
	v_cndmask_b32_e32 v4, 0x7f800001, v0, vcc_lo
; %bb.25221:                            ;   in Loop: Header=BB6_22365 Depth=3
	s_or_b32 exec_lo, exec_lo, s75
.LBB6_25222:                            ;   in Loop: Header=BB6_22365 Depth=3
	s_delay_alu instid0(SALU_CYCLE_1)
	s_or_b32 exec_lo, exec_lo, s74
.LBB6_25223:                            ;   in Loop: Header=BB6_22365 Depth=3
	s_delay_alu instid0(SALU_CYCLE_1) | instskip(NEXT) | instid1(SALU_CYCLE_1)
	s_or_b32 exec_lo, exec_lo, s73
	s_mov_b32 s73, exec_lo
	v_cmpx_lt_u64_e64 s[22:23], v[16:17]
	s_cbranch_execz .LBB6_25233
; %bb.25224:                            ;   in Loop: Header=BB6_22365 Depth=3
	v_lshrrev_b32_e32 v0, 24, v17
	v_bfrev_b32_e32 v3, 1
	s_mov_b32 s74, exec_lo
	s_delay_alu instid0(VALU_DEP_2)
	v_cmpx_ne_u32_e32 0x80, v0
	s_cbranch_execz .LBB6_25232
; %bb.25225:                            ;   in Loop: Header=BB6_22365 Depth=3
	v_and_b32_e32 v2, 0x7c000000, v17
	v_bfe_u32 v1, v17, 24, 2
	s_mov_b32 s13, exec_lo
                                        ; implicit-def: $vgpr3
	s_delay_alu instid0(VALU_DEP_2)
	v_cmpx_ne_u32_e32 0x7c000000, v2
	s_xor_b32 s13, exec_lo, s13
	s_cbranch_execz .LBB6_25229
; %bb.25226:                            ;   in Loop: Header=BB6_22365 Depth=3
	v_bfe_u32 v2, v17, 26, 5
	s_mov_b32 s75, exec_lo
	s_delay_alu instid0(VALU_DEP_1)
	v_cmpx_eq_u32_e32 0, v2
; %bb.25227:                            ;   in Loop: Header=BB6_22365 Depth=3
	v_clz_i32_u32_e32 v1, v1
	s_delay_alu instid0(VALU_DEP_1) | instskip(NEXT) | instid1(VALU_DEP_1)
	v_min_u32_e32 v2, 32, v1
	v_subrev_nc_u32_e32 v1, 29, v2
	s_delay_alu instid0(VALU_DEP_1) | instskip(NEXT) | instid1(VALU_DEP_1)
	v_lshlrev_b64_e32 v[0:1], v1, v[0:1]
	v_dual_sub_nc_u32 v2, 30, v2 :: v_dual_bitop2_b32 v1, 3, v0 bitop3:0x40
; %bb.25228:                            ;   in Loop: Header=BB6_22365 Depth=3
	s_or_b32 exec_lo, exec_lo, s75
	v_and_b32_e32 v0, 0x80000000, v17
	s_delay_alu instid0(VALU_DEP_1) | instskip(NEXT) | instid1(VALU_DEP_1)
	v_lshl_add_u32 v0, v2, 23, v0
	v_lshl_or_b32 v0, v1, 21, v0
                                        ; implicit-def: $vgpr1
	s_delay_alu instid0(VALU_DEP_1)
	v_add_nc_u32_e32 v3, 0x38000000, v0
.LBB6_25229:                            ;   in Loop: Header=BB6_22365 Depth=3
	s_and_not1_saveexec_b32 s75, s13
; %bb.25230:                            ;   in Loop: Header=BB6_22365 Depth=3
	v_cmp_lt_i64_e64 s13, -1, v[16:17]
	v_mov_b32_e32 v0, 0x7f800000
	v_cmp_eq_u32_e32 vcc_lo, 0, v1
	s_delay_alu instid0(VALU_DEP_2) | instskip(NEXT) | instid1(VALU_DEP_1)
	v_cndmask_b32_e64 v0, 0xff800000, v0, s13
	v_cndmask_b32_e32 v3, 0x7f800001, v0, vcc_lo
; %bb.25231:                            ;   in Loop: Header=BB6_22365 Depth=3
	s_or_b32 exec_lo, exec_lo, s75
.LBB6_25232:                            ;   in Loop: Header=BB6_22365 Depth=3
	s_delay_alu instid0(SALU_CYCLE_1)
	s_or_b32 exec_lo, exec_lo, s74
.LBB6_25233:                            ;   in Loop: Header=BB6_22365 Depth=3
	s_delay_alu instid0(SALU_CYCLE_1) | instskip(NEXT) | instid1(VALU_DEP_1)
	s_or_b32 exec_lo, exec_lo, s73
	v_dual_add_f32 v2, v4, v3 :: v_dual_mov_b32 v5, v113
	v_mov_b32_e32 v1, v113
                                        ; implicit-def: $vgpr16
	s_mov_b32 s13, exec_lo
	s_delay_alu instid0(VALU_DEP_2) | instskip(SKIP_2) | instid1(VALU_DEP_3)
	v_and_b32_e32 v4, 0x7f800000, v2
	v_and_b32_e32 v0, 0x7fffff, v2
	v_lshrrev_b32_e32 v3, 24, v2
	v_cmpx_ne_u64_e32 0x7f800000, v[4:5]
	s_xor_b32 s73, exec_lo, s13
	s_cbranch_execz .LBB6_25247
; %bb.25234:                            ;   in Loop: Header=BB6_22365 Depth=3
	v_and_b32_e32 v4, 0x7fffffff, v2
	v_mov_b32_e32 v5, v113
                                        ; implicit-def: $vgpr16
	s_delay_alu instid0(VALU_DEP_1) | instskip(SKIP_2) | instid1(SALU_CYCLE_1)
	v_cmp_gt_u64_e32 vcc_lo, 0x47600001, v[4:5]
	v_and_b32_e32 v4, 0x80, v3
	s_and_saveexec_b32 s13, vcc_lo
	s_xor_b32 s74, exec_lo, s13
	s_cbranch_execz .LBB6_25244
; %bb.25235:                            ;   in Loop: Header=BB6_22365 Depth=3
	v_mov_b32_e32 v16, 0
	s_mov_b32 s75, exec_lo
	v_cmpx_ne_u32_e32 0, v2
	s_cbranch_execz .LBB6_25243
; %bb.25236:                            ;   in Loop: Header=BB6_22365 Depth=3
	v_bfe_u32 v5, v2, 23, 8
	v_or_b32_e32 v3, 0x800000, v0
	s_delay_alu instid0(VALU_DEP_2) | instskip(SKIP_2) | instid1(VALU_DEP_2)
	v_cmp_gt_u32_e64 s13, 0x72, v5
	v_sub_nc_u32_e32 v2, 0x71, v5
	v_cmp_eq_u32_e32 vcc_lo, 0, v5
	v_dual_cndmask_b32 v2, 0, v2, s13 :: v_dual_cndmask_b32 v0, v3, v0, vcc_lo
	s_delay_alu instid0(VALU_DEP_1) | instskip(NEXT) | instid1(VALU_DEP_1)
	v_cndmask_b32_e64 v16, v2, 0x70, vcc_lo
	v_dual_add_nc_u32 v2, 21, v16 :: v_dual_add_nc_u32 v17, 20, v16
	s_delay_alu instid0(VALU_DEP_1) | instskip(NEXT) | instid1(VALU_DEP_2)
	v_lshlrev_b64_e64 v[2:3], v2, -1
	v_lshlrev_b64_e64 v[46:47], v17, 1
	s_delay_alu instid0(VALU_DEP_2) | instskip(SKIP_1) | instid1(VALU_DEP_4)
	v_bfi_b32 v2, v2, 0, v0
	v_lshrrev_b64 v[0:1], v16, v[0:1]
	v_bfi_b32 v3, v3, 0, 0
	s_delay_alu instid0(VALU_DEP_1) | instskip(NEXT) | instid1(VALU_DEP_3)
	v_cmp_eq_u64_e64 s13, v[2:3], v[46:47]
	v_mov_b64_e32 v[2:3], v[0:1]
	s_and_saveexec_b32 s76, s13
; %bb.25237:                            ;   in Loop: Header=BB6_22365 Depth=3
	v_bfe_u32 v2, v0, 21, 1
	v_mov_b32_e32 v3, v113
	s_delay_alu instid0(VALU_DEP_1) | instskip(NEXT) | instid1(VALU_DEP_1)
	v_add_nc_u64_e32 v[2:3], v[0:1], v[2:3]
	v_add_nc_u64_e32 v[2:3], -1, v[2:3]
; %bb.25238:                            ;   in Loop: Header=BB6_22365 Depth=3
	s_or_b32 exec_lo, exec_lo, s76
	v_add_nc_u32_e32 v1, 0xffffff81, v5
	v_lshrrev_b32_e32 v3, 23, v0
	s_mov_b32 s13, exec_lo
	s_delay_alu instid0(VALU_DEP_2) | instskip(NEXT) | instid1(VALU_DEP_1)
	v_cndmask_b32_e64 v1, v1, 0xffffff82, vcc_lo
	v_add3_u32 v5, v16, v1, v3
	v_and_b32_e32 v1, 0x1fffff, v2
                                        ; implicit-def: $vgpr2
	s_delay_alu instid0(VALU_DEP_1) | instskip(SKIP_1) | instid1(VALU_DEP_2)
	v_dual_add_nc_u32 v3, 14, v5 :: v_dual_add_nc_u32 v0, v1, v0
	v_mov_b32_e32 v1, v113
	v_cmpx_ne_u32_e32 0, v3
	s_xor_b32 s13, exec_lo, s13
; %bb.25239:                            ;   in Loop: Header=BB6_22365 Depth=3
	s_delay_alu instid0(VALU_DEP_2) | instskip(SKIP_1) | instid1(VALU_DEP_1)
	v_cmp_lt_u64_e32 vcc_lo, 0xffffff, v[0:1]
	v_add_nc_u32_e32 v2, 15, v5
	v_cndmask_b32_e32 v2, v3, v2, vcc_lo
	v_cndmask_b32_e64 v3, 0, 1, vcc_lo
	s_delay_alu instid0(VALU_DEP_1)
	v_lshrrev_b64 v[0:1], v3, v[0:1]
; %bb.25240:                            ;   in Loop: Header=BB6_22365 Depth=3
	s_and_not1_saveexec_b32 s13, s13
; %bb.25241:                            ;   in Loop: Header=BB6_22365 Depth=3
	s_delay_alu instid0(VALU_DEP_1)
	v_bfe_u32 v2, v0, 23, 1
; %bb.25242:                            ;   in Loop: Header=BB6_22365 Depth=3
	s_or_b32 exec_lo, exec_lo, s13
	s_delay_alu instid0(VALU_DEP_2) | instskip(NEXT) | instid1(VALU_DEP_2)
	v_lshrrev_b64 v[0:1], 21, v[0:1]
	v_cmp_gt_i32_e32 vcc_lo, 32, v2
	v_min_i32_e32 v3, 31, v2
	v_cmp_eq_u32_e64 s13, 0, v2
	s_delay_alu instid0(VALU_DEP_2) | instskip(SKIP_1) | instid1(VALU_DEP_2)
	v_dual_cndmask_b32 v1, 0, v1, vcc_lo :: v_dual_lshlrev_b32 v3, 2, v3
	v_cndmask_b32_e32 v0, 3, v0, vcc_lo
	v_and_b32_e32 v3, 0xfc, v3
	s_delay_alu instid0(VALU_DEP_2) | instskip(NEXT) | instid1(VALU_DEP_2)
	v_cmp_eq_u64_e32 vcc_lo, 0, v[0:1]
	v_and_or_b32 v0, v0, 3, v3
	s_and_b32 s13, s13, vcc_lo
	s_delay_alu instid0(VALU_DEP_1) | instid1(SALU_CYCLE_1)
	v_cndmask_b32_e64 v0, v0, 0, s13
	s_delay_alu instid0(VALU_DEP_1)
	v_or_b32_e32 v16, v0, v4
.LBB6_25243:                            ;   in Loop: Header=BB6_22365 Depth=3
	s_or_b32 exec_lo, exec_lo, s75
                                        ; implicit-def: $vgpr4
.LBB6_25244:                            ;   in Loop: Header=BB6_22365 Depth=3
	s_and_not1_saveexec_b32 s13, s74
; %bb.25245:                            ;   in Loop: Header=BB6_22365 Depth=3
	v_or_b32_e32 v16, 0x7b, v4
; %bb.25246:                            ;   in Loop: Header=BB6_22365 Depth=3
	s_or_b32 exec_lo, exec_lo, s13
                                        ; implicit-def: $vgpr2
                                        ; implicit-def: $vgpr0_vgpr1
                                        ; implicit-def: $vgpr3
.LBB6_25247:                            ;   in Loop: Header=BB6_22365 Depth=3
	s_and_not1_saveexec_b32 s13, s73
	s_cbranch_execz .LBB6_25253
; %bb.25248:                            ;   in Loop: Header=BB6_22365 Depth=3
	s_mov_b32 s73, exec_lo
                                        ; implicit-def: $vgpr16
	v_cmpx_ne_u64_e32 0, v[0:1]
	s_xor_b32 s73, exec_lo, s73
; %bb.25249:                            ;   in Loop: Header=BB6_22365 Depth=3
	v_or_b32_e32 v16, 0x7f, v3
                                        ; implicit-def: $vgpr2
; %bb.25250:                            ;   in Loop: Header=BB6_22365 Depth=3
	s_and_not1_saveexec_b32 s73, s73
; %bb.25251:                            ;   in Loop: Header=BB6_22365 Depth=3
	v_cmp_lt_i32_e32 vcc_lo, -1, v2
	v_mov_b32_e32 v0, 0x7c
	s_delay_alu instid0(VALU_DEP_1)
	v_cndmask_b32_e32 v16, 0xfc, v0, vcc_lo
; %bb.25252:                            ;   in Loop: Header=BB6_22365 Depth=3
	s_or_b32 exec_lo, exec_lo, s73
.LBB6_25253:                            ;   in Loop: Header=BB6_22365 Depth=3
	s_delay_alu instid0(SALU_CYCLE_1) | instskip(SKIP_4) | instid1(VALU_DEP_2)
	s_or_b32 exec_lo, exec_lo, s13
	v_lshl_or_b32 v100, v100, 8, v87
	v_dual_lshlrev_b32 v0, 16, v103 :: v_dual_lshlrev_b32 v2, 24, v116
	v_dual_mov_b32 v1, v113 :: v_dual_mov_b32 v3, 0
	s_mov_b32 s73, exec_lo
	v_or3_b32 v0, v0, v2, v100
	v_mov_b32_e32 v2, 0
	v_cmpx_ne_u32_e32 0, v87
	s_cbranch_execz .LBB6_25263
; %bb.25254:                            ;   in Loop: Header=BB6_22365 Depth=3
	v_bfrev_b32_e32 v3, 1
	s_mov_b32 s74, exec_lo
	v_cmpx_ne_u32_e32 0x80, v87
	s_cbranch_execz .LBB6_25262
; %bb.25255:                            ;   in Loop: Header=BB6_22365 Depth=3
	v_and_b32_e32 v3, 0x7c, v87
	v_and_b32_e32 v4, 3, v87
	s_delay_alu instid0(VALU_DEP_2) | instskip(SKIP_1) | instid1(SALU_CYCLE_1)
	v_cmp_ne_u32_e32 vcc_lo, 0x7c, v3
                                        ; implicit-def: $vgpr3
	s_and_saveexec_b32 s13, vcc_lo
	s_xor_b32 s13, exec_lo, s13
	s_cbranch_execz .LBB6_25259
; %bb.25256:                            ;   in Loop: Header=BB6_22365 Depth=3
	v_bfe_u32 v3, v87, 2, 5
	s_mov_b32 s75, exec_lo
	s_delay_alu instid0(VALU_DEP_1)
	v_cmpx_eq_u32_e32 0, v3
; %bb.25257:                            ;   in Loop: Header=BB6_22365 Depth=3
	v_clz_i32_u32_e32 v3, v4
	s_delay_alu instid0(VALU_DEP_1) | instskip(NEXT) | instid1(VALU_DEP_1)
	v_min_u32_e32 v3, 32, v3
	v_subrev_nc_u32_e32 v4, 29, v3
	s_delay_alu instid0(VALU_DEP_1) | instskip(NEXT) | instid1(VALU_DEP_1)
	v_lshlrev_b64_e32 v[4:5], v4, v[0:1]
	v_dual_sub_nc_u32 v3, 30, v3 :: v_dual_bitop2_b32 v4, 3, v4 bitop3:0x40
; %bb.25258:                            ;   in Loop: Header=BB6_22365 Depth=3
	s_or_b32 exec_lo, exec_lo, s75
	v_lshlrev_b32_e32 v1, 24, v87
                                        ; implicit-def: $vgpr87
	s_delay_alu instid0(VALU_DEP_1) | instskip(NEXT) | instid1(VALU_DEP_1)
	v_and_b32_e32 v1, 0x80000000, v1
	v_lshl_add_u32 v1, v3, 23, v1
	s_delay_alu instid0(VALU_DEP_1) | instskip(NEXT) | instid1(VALU_DEP_1)
	v_lshl_or_b32 v1, v4, 21, v1
                                        ; implicit-def: $vgpr4
	v_add_nc_u32_e32 v3, 0x38000000, v1
.LBB6_25259:                            ;   in Loop: Header=BB6_22365 Depth=3
	s_and_not1_saveexec_b32 s75, s13
; %bb.25260:                            ;   in Loop: Header=BB6_22365 Depth=3
	v_and_b32_e32 v1, 0x80, v87
	v_cmp_eq_u32_e32 vcc_lo, 0, v4
	s_delay_alu instid0(VALU_DEP_2) | instskip(SKIP_1) | instid1(VALU_DEP_1)
	v_cmp_eq_u32_e64 s13, 0, v1
	v_mov_b32_e32 v1, 0x7f800000
	v_cndmask_b32_e64 v1, 0xff800000, v1, s13
	s_delay_alu instid0(VALU_DEP_1)
	v_cndmask_b32_e32 v3, 0x7f800001, v1, vcc_lo
; %bb.25261:                            ;   in Loop: Header=BB6_22365 Depth=3
	s_or_b32 exec_lo, exec_lo, s75
.LBB6_25262:                            ;   in Loop: Header=BB6_22365 Depth=3
	s_delay_alu instid0(SALU_CYCLE_1)
	s_or_b32 exec_lo, exec_lo, s74
.LBB6_25263:                            ;   in Loop: Header=BB6_22365 Depth=3
	s_delay_alu instid0(SALU_CYCLE_1) | instskip(SKIP_2) | instid1(VALU_DEP_1)
	s_or_b32 exec_lo, exec_lo, s73
	v_and_b32_e32 v1, 0xff, v18
	s_mov_b32 s73, exec_lo
	v_cmpx_ne_u16_e32 0, v1
	s_cbranch_execz .LBB6_25273
; %bb.25264:                            ;   in Loop: Header=BB6_22365 Depth=3
	v_bfe_i32 v4, v18, 0, 8
	v_bfrev_b32_e32 v2, 1
	s_mov_b32 s74, exec_lo
	s_delay_alu instid0(VALU_DEP_2)
	v_cmpx_ne_u16_e32 0xff80, v4
	s_cbranch_execz .LBB6_25272
; %bb.25265:                            ;   in Loop: Header=BB6_22365 Depth=3
	v_and_b32_e32 v2, 0x7c, v18
	v_and_b32_e32 v1, 3, v18
	s_delay_alu instid0(VALU_DEP_2) | instskip(SKIP_1) | instid1(SALU_CYCLE_1)
	v_cmp_ne_u32_e32 vcc_lo, 0x7c, v2
                                        ; implicit-def: $vgpr2
	s_and_saveexec_b32 s13, vcc_lo
	s_xor_b32 s13, exec_lo, s13
	s_cbranch_execz .LBB6_25269
; %bb.25266:                            ;   in Loop: Header=BB6_22365 Depth=3
	v_bfe_u32 v2, v18, 2, 5
	s_mov_b32 s75, exec_lo
	s_delay_alu instid0(VALU_DEP_1)
	v_cmpx_eq_u32_e32 0, v2
; %bb.25267:                            ;   in Loop: Header=BB6_22365 Depth=3
	v_clz_i32_u32_e32 v1, v1
	s_delay_alu instid0(VALU_DEP_1) | instskip(NEXT) | instid1(VALU_DEP_1)
	v_min_u32_e32 v1, 32, v1
	v_subrev_nc_u32_e32 v2, 29, v1
	s_delay_alu instid0(VALU_DEP_1) | instskip(NEXT) | instid1(VALU_DEP_1)
	v_lshlrev_b64_e32 v[4:5], v2, v[18:19]
	v_dual_sub_nc_u32 v2, 30, v1 :: v_dual_bitop2_b32 v1, 3, v4 bitop3:0x40
; %bb.25268:                            ;   in Loop: Header=BB6_22365 Depth=3
	s_or_b32 exec_lo, exec_lo, s75
	v_lshlrev_b32_e32 v4, 24, v18
	s_delay_alu instid0(VALU_DEP_1) | instskip(NEXT) | instid1(VALU_DEP_1)
	v_and_b32_e32 v4, 0x80000000, v4
	v_lshl_add_u32 v2, v2, 23, v4
                                        ; implicit-def: $vgpr4
	s_delay_alu instid0(VALU_DEP_1) | instskip(NEXT) | instid1(VALU_DEP_1)
	v_lshl_or_b32 v1, v1, 21, v2
	v_add_nc_u32_e32 v2, 0x38000000, v1
                                        ; implicit-def: $vgpr1
.LBB6_25269:                            ;   in Loop: Header=BB6_22365 Depth=3
	s_and_not1_saveexec_b32 s75, s13
; %bb.25270:                            ;   in Loop: Header=BB6_22365 Depth=3
	v_cmp_eq_u32_e32 vcc_lo, 0, v1
	v_cmp_lt_i16_e64 s13, -1, v4
	v_mov_b32_e32 v1, 0x7f800000
	s_delay_alu instid0(VALU_DEP_1) | instskip(NEXT) | instid1(VALU_DEP_1)
	v_cndmask_b32_e64 v1, 0xff800000, v1, s13
	v_cndmask_b32_e32 v2, 0x7f800001, v1, vcc_lo
; %bb.25271:                            ;   in Loop: Header=BB6_22365 Depth=3
	s_or_b32 exec_lo, exec_lo, s75
.LBB6_25272:                            ;   in Loop: Header=BB6_22365 Depth=3
	s_delay_alu instid0(SALU_CYCLE_1)
	s_or_b32 exec_lo, exec_lo, s74
.LBB6_25273:                            ;   in Loop: Header=BB6_22365 Depth=3
	s_delay_alu instid0(SALU_CYCLE_1) | instskip(NEXT) | instid1(VALU_DEP_1)
	s_or_b32 exec_lo, exec_lo, s73
	v_dual_add_f32 v4, v3, v2 :: v_dual_mov_b32 v47, v113
	v_mov_b32_e32 v3, v113
                                        ; implicit-def: $vgpr17
	s_mov_b32 s13, exec_lo
	s_delay_alu instid0(VALU_DEP_2) | instskip(SKIP_2) | instid1(VALU_DEP_3)
	v_and_b32_e32 v46, 0x7f800000, v4
	v_and_b32_e32 v2, 0x7fffff, v4
	v_lshrrev_b32_e32 v1, 24, v4
	v_cmpx_ne_u64_e32 0x7f800000, v[46:47]
	s_xor_b32 s73, exec_lo, s13
	s_cbranch_execz .LBB6_25287
; %bb.25274:                            ;   in Loop: Header=BB6_22365 Depth=3
	v_and_b32_e32 v46, 0x7fffffff, v4
	v_mov_b32_e32 v47, v113
	v_and_b32_e32 v1, 0x80, v1
                                        ; implicit-def: $vgpr17
	s_mov_b32 s13, exec_lo
	s_delay_alu instid0(VALU_DEP_2)
	v_cmpx_gt_u64_e32 0x47600001, v[46:47]
	s_xor_b32 s74, exec_lo, s13
	s_cbranch_execz .LBB6_25284
; %bb.25275:                            ;   in Loop: Header=BB6_22365 Depth=3
	v_mov_b32_e32 v17, 0
	s_mov_b32 s75, exec_lo
	v_cmpx_ne_u32_e32 0, v4
	s_cbranch_execz .LBB6_25283
; %bb.25276:                            ;   in Loop: Header=BB6_22365 Depth=3
	v_bfe_u32 v17, v4, 23, 8
	v_or_b32_e32 v5, 0x800000, v2
	s_delay_alu instid0(VALU_DEP_2) | instskip(SKIP_2) | instid1(VALU_DEP_2)
	v_cmp_gt_u32_e64 s13, 0x72, v17
	v_sub_nc_u32_e32 v4, 0x71, v17
	v_cmp_eq_u32_e32 vcc_lo, 0, v17
	v_dual_cndmask_b32 v4, 0, v4, s13 :: v_dual_cndmask_b32 v2, v5, v2, vcc_lo
	s_delay_alu instid0(VALU_DEP_1) | instskip(NEXT) | instid1(VALU_DEP_1)
	v_cndmask_b32_e64 v87, v4, 0x70, vcc_lo
	v_dual_add_nc_u32 v4, 21, v87 :: v_dual_add_nc_u32 v103, 20, v87
	s_delay_alu instid0(VALU_DEP_1) | instskip(NEXT) | instid1(VALU_DEP_2)
	v_lshlrev_b64_e64 v[4:5], v4, -1
	v_lshlrev_b64_e64 v[46:47], v103, 1
	s_delay_alu instid0(VALU_DEP_2) | instskip(SKIP_1) | instid1(VALU_DEP_4)
	v_bfi_b32 v4, v4, 0, v2
	v_lshrrev_b64 v[2:3], v87, v[2:3]
	v_bfi_b32 v5, v5, 0, 0
	s_delay_alu instid0(VALU_DEP_1) | instskip(NEXT) | instid1(VALU_DEP_3)
	v_cmp_eq_u64_e64 s13, v[4:5], v[46:47]
	v_mov_b64_e32 v[4:5], v[2:3]
	s_and_saveexec_b32 s76, s13
; %bb.25277:                            ;   in Loop: Header=BB6_22365 Depth=3
	v_bfe_u32 v4, v2, 21, 1
	v_mov_b32_e32 v5, v113
	s_delay_alu instid0(VALU_DEP_1) | instskip(NEXT) | instid1(VALU_DEP_1)
	v_add_nc_u64_e32 v[4:5], v[2:3], v[4:5]
	v_add_nc_u64_e32 v[4:5], -1, v[4:5]
; %bb.25278:                            ;   in Loop: Header=BB6_22365 Depth=3
	s_or_b32 exec_lo, exec_lo, s76
	v_add_nc_u32_e32 v3, 0xffffff81, v17
	v_lshrrev_b32_e32 v5, 23, v2
	s_mov_b32 s13, exec_lo
	s_delay_alu instid0(VALU_DEP_2) | instskip(NEXT) | instid1(VALU_DEP_1)
	v_cndmask_b32_e64 v3, v3, 0xffffff82, vcc_lo
	v_add3_u32 v17, v87, v3, v5
	v_and_b32_e32 v3, 0x1fffff, v4
                                        ; implicit-def: $vgpr4
	s_delay_alu instid0(VALU_DEP_1) | instskip(SKIP_1) | instid1(VALU_DEP_2)
	v_dual_add_nc_u32 v5, 14, v17 :: v_dual_add_nc_u32 v2, v3, v2
	v_mov_b32_e32 v3, v113
	v_cmpx_ne_u32_e32 0, v5
	s_xor_b32 s13, exec_lo, s13
; %bb.25279:                            ;   in Loop: Header=BB6_22365 Depth=3
	s_delay_alu instid0(VALU_DEP_2) | instskip(SKIP_1) | instid1(VALU_DEP_1)
	v_cmp_lt_u64_e32 vcc_lo, 0xffffff, v[2:3]
	v_add_nc_u32_e32 v4, 15, v17
	v_cndmask_b32_e32 v4, v5, v4, vcc_lo
	v_cndmask_b32_e64 v5, 0, 1, vcc_lo
	s_delay_alu instid0(VALU_DEP_1)
	v_lshrrev_b64 v[2:3], v5, v[2:3]
; %bb.25280:                            ;   in Loop: Header=BB6_22365 Depth=3
	s_and_not1_saveexec_b32 s13, s13
; %bb.25281:                            ;   in Loop: Header=BB6_22365 Depth=3
	s_delay_alu instid0(VALU_DEP_1)
	v_bfe_u32 v4, v2, 23, 1
; %bb.25282:                            ;   in Loop: Header=BB6_22365 Depth=3
	s_or_b32 exec_lo, exec_lo, s13
	s_delay_alu instid0(VALU_DEP_2) | instskip(NEXT) | instid1(VALU_DEP_2)
	v_lshrrev_b64 v[2:3], 21, v[2:3]
	v_cmp_gt_i32_e32 vcc_lo, 32, v4
	v_min_i32_e32 v5, 31, v4
	v_cmp_eq_u32_e64 s13, 0, v4
	s_delay_alu instid0(VALU_DEP_2) | instskip(SKIP_1) | instid1(VALU_DEP_2)
	v_dual_cndmask_b32 v3, 0, v3, vcc_lo :: v_dual_lshlrev_b32 v5, 2, v5
	v_cndmask_b32_e32 v2, 3, v2, vcc_lo
	v_and_b32_e32 v5, 0xfc, v5
	s_delay_alu instid0(VALU_DEP_2) | instskip(NEXT) | instid1(VALU_DEP_2)
	v_cmp_eq_u64_e32 vcc_lo, 0, v[2:3]
	v_and_or_b32 v2, v2, 3, v5
	s_and_b32 s13, s13, vcc_lo
	s_delay_alu instid0(VALU_DEP_1) | instid1(SALU_CYCLE_1)
	v_cndmask_b32_e64 v2, v2, 0, s13
	s_delay_alu instid0(VALU_DEP_1)
	v_or_b32_e32 v17, v2, v1
.LBB6_25283:                            ;   in Loop: Header=BB6_22365 Depth=3
	s_or_b32 exec_lo, exec_lo, s75
                                        ; implicit-def: $vgpr1
.LBB6_25284:                            ;   in Loop: Header=BB6_22365 Depth=3
	s_and_not1_saveexec_b32 s13, s74
; %bb.25285:                            ;   in Loop: Header=BB6_22365 Depth=3
	v_or_b32_e32 v17, 0x7b, v1
; %bb.25286:                            ;   in Loop: Header=BB6_22365 Depth=3
	s_or_b32 exec_lo, exec_lo, s13
                                        ; implicit-def: $vgpr4
                                        ; implicit-def: $vgpr2_vgpr3
                                        ; implicit-def: $vgpr1
.LBB6_25287:                            ;   in Loop: Header=BB6_22365 Depth=3
	s_and_not1_saveexec_b32 s13, s73
	s_cbranch_execz .LBB6_25293
; %bb.25288:                            ;   in Loop: Header=BB6_22365 Depth=3
	s_mov_b32 s73, exec_lo
                                        ; implicit-def: $vgpr17
	v_cmpx_ne_u64_e32 0, v[2:3]
	s_xor_b32 s73, exec_lo, s73
; %bb.25289:                            ;   in Loop: Header=BB6_22365 Depth=3
	v_or_b32_e32 v17, 0x7f, v1
                                        ; implicit-def: $vgpr4
; %bb.25290:                            ;   in Loop: Header=BB6_22365 Depth=3
	s_and_not1_saveexec_b32 s73, s73
; %bb.25291:                            ;   in Loop: Header=BB6_22365 Depth=3
	v_cmp_lt_i32_e32 vcc_lo, -1, v4
	v_mov_b32_e32 v1, 0x7c
	s_delay_alu instid0(VALU_DEP_1)
	v_cndmask_b32_e32 v17, 0xfc, v1, vcc_lo
; %bb.25292:                            ;   in Loop: Header=BB6_22365 Depth=3
	s_or_b32 exec_lo, exec_lo, s73
.LBB6_25293:                            ;   in Loop: Header=BB6_22365 Depth=3
	s_delay_alu instid0(SALU_CYCLE_1) | instskip(SKIP_3) | instid1(VALU_DEP_2)
	s_or_b32 exec_lo, exec_lo, s13
	v_lshrrev_b16 v2, 8, v100
	v_dual_mov_b32 v1, 0 :: v_dual_mov_b32 v4, 0
	s_mov_b32 s73, exec_lo
	v_cmpx_ne_u16_e32 0, v2
	s_cbranch_execz .LBB6_25303
; %bb.25294:                            ;   in Loop: Header=BB6_22365 Depth=3
	v_bfrev_b32_e32 v4, 1
	s_mov_b32 s74, exec_lo
	v_cmpx_ne_u16_e32 0x80, v2
	s_cbranch_execz .LBB6_25302
; %bb.25295:                            ;   in Loop: Header=BB6_22365 Depth=3
	v_and_b32_e32 v5, 0xffff, v2
	s_delay_alu instid0(VALU_DEP_1) | instskip(SKIP_1) | instid1(VALU_DEP_2)
	v_and_b32_e32 v4, 0x7c, v5
	v_and_b32_e32 v3, 3, v5
	v_cmp_ne_u32_e32 vcc_lo, 0x7c, v4
                                        ; implicit-def: $vgpr4
	s_and_saveexec_b32 s13, vcc_lo
	s_delay_alu instid0(SALU_CYCLE_1)
	s_xor_b32 s13, exec_lo, s13
	s_cbranch_execz .LBB6_25299
; %bb.25296:                            ;   in Loop: Header=BB6_22365 Depth=3
	v_bfe_u32 v4, v5, 2, 5
	s_mov_b32 s75, exec_lo
	s_delay_alu instid0(VALU_DEP_1)
	v_cmpx_eq_u32_e32 0, v4
	s_cbranch_execz .LBB6_25298
; %bb.25297:                            ;   in Loop: Header=BB6_22365 Depth=3
	v_clz_i32_u32_e32 v3, v3
	s_delay_alu instid0(VALU_DEP_1) | instskip(SKIP_1) | instid1(VALU_DEP_2)
	v_min_u32_e32 v4, 32, v3
	v_mov_b32_e32 v3, v113
	v_subrev_nc_u32_e32 v5, 29, v4
	v_sub_nc_u32_e32 v4, 30, v4
	s_delay_alu instid0(VALU_DEP_2) | instskip(NEXT) | instid1(VALU_DEP_1)
	v_lshlrev_b64_e32 v[2:3], v5, v[2:3]
	v_and_b32_e32 v3, 3, v2
.LBB6_25298:                            ;   in Loop: Header=BB6_22365 Depth=3
	s_or_b32 exec_lo, exec_lo, s75
	v_lshlrev_b32_e32 v2, 16, v100
                                        ; implicit-def: $vgpr100
	s_delay_alu instid0(VALU_DEP_1) | instskip(NEXT) | instid1(VALU_DEP_1)
	v_and_b32_e32 v2, 0x80000000, v2
	v_lshl_add_u32 v2, v4, 23, v2
	s_delay_alu instid0(VALU_DEP_1) | instskip(NEXT) | instid1(VALU_DEP_1)
	v_lshl_or_b32 v2, v3, 21, v2
                                        ; implicit-def: $vgpr3
	v_add_nc_u32_e32 v4, 0x38000000, v2
.LBB6_25299:                            ;   in Loop: Header=BB6_22365 Depth=3
	s_and_not1_saveexec_b32 s75, s13
; %bb.25300:                            ;   in Loop: Header=BB6_22365 Depth=3
	v_cmp_lt_i16_e64 s13, -1, v100
	v_mov_b32_e32 v2, 0x7f800000
	v_cmp_eq_u32_e32 vcc_lo, 0, v3
	s_delay_alu instid0(VALU_DEP_2) | instskip(NEXT) | instid1(VALU_DEP_1)
	v_cndmask_b32_e64 v2, 0xff800000, v2, s13
	v_cndmask_b32_e32 v4, 0x7f800001, v2, vcc_lo
; %bb.25301:                            ;   in Loop: Header=BB6_22365 Depth=3
	s_or_b32 exec_lo, exec_lo, s75
.LBB6_25302:                            ;   in Loop: Header=BB6_22365 Depth=3
	s_delay_alu instid0(SALU_CYCLE_1)
	s_or_b32 exec_lo, exec_lo, s74
.LBB6_25303:                            ;   in Loop: Header=BB6_22365 Depth=3
	s_delay_alu instid0(SALU_CYCLE_1) | instskip(SKIP_2) | instid1(VALU_DEP_1)
	s_or_b32 exec_lo, exec_lo, s73
	v_lshrrev_b16 v2, 8, v18
	s_mov_b32 s73, exec_lo
	v_cmpx_ne_u16_e32 0, v2
	s_cbranch_execz .LBB6_25313
; %bb.25304:                            ;   in Loop: Header=BB6_22365 Depth=3
	v_bfrev_b32_e32 v1, 1
	s_mov_b32 s74, exec_lo
	v_cmpx_ne_u16_e32 0x80, v2
	s_cbranch_execz .LBB6_25312
; %bb.25305:                            ;   in Loop: Header=BB6_22365 Depth=3
	v_and_b32_e32 v5, 0xffff, v2
	s_delay_alu instid0(VALU_DEP_1) | instskip(SKIP_1) | instid1(VALU_DEP_2)
	v_and_b32_e32 v1, 0x7c, v5
	v_and_b32_e32 v3, 3, v5
	v_cmp_ne_u32_e32 vcc_lo, 0x7c, v1
                                        ; implicit-def: $vgpr1
	s_and_saveexec_b32 s13, vcc_lo
	s_delay_alu instid0(SALU_CYCLE_1)
	s_xor_b32 s13, exec_lo, s13
	s_cbranch_execz .LBB6_25309
; %bb.25306:                            ;   in Loop: Header=BB6_22365 Depth=3
	v_bfe_u32 v1, v5, 2, 5
	s_mov_b32 s75, exec_lo
	s_delay_alu instid0(VALU_DEP_1)
	v_cmpx_eq_u32_e32 0, v1
	s_cbranch_execz .LBB6_25308
; %bb.25307:                            ;   in Loop: Header=BB6_22365 Depth=3
	v_clz_i32_u32_e32 v1, v3
	s_delay_alu instid0(VALU_DEP_1) | instskip(SKIP_1) | instid1(VALU_DEP_2)
	v_min_u32_e32 v1, 32, v1
	v_mov_b32_e32 v3, v113
	v_subrev_nc_u32_e32 v5, 29, v1
	v_sub_nc_u32_e32 v1, 30, v1
	s_delay_alu instid0(VALU_DEP_2) | instskip(NEXT) | instid1(VALU_DEP_1)
	v_lshlrev_b64_e32 v[2:3], v5, v[2:3]
	v_and_b32_e32 v3, 3, v2
.LBB6_25308:                            ;   in Loop: Header=BB6_22365 Depth=3
	s_or_b32 exec_lo, exec_lo, s75
	v_lshlrev_b32_e32 v2, 16, v18
	s_delay_alu instid0(VALU_DEP_1) | instskip(NEXT) | instid1(VALU_DEP_1)
	v_and_b32_e32 v2, 0x80000000, v2
	v_lshl_add_u32 v1, v1, 23, v2
	s_delay_alu instid0(VALU_DEP_1) | instskip(NEXT) | instid1(VALU_DEP_1)
	v_lshl_or_b32 v1, v3, 21, v1
                                        ; implicit-def: $vgpr3
	v_add_nc_u32_e32 v1, 0x38000000, v1
.LBB6_25309:                            ;   in Loop: Header=BB6_22365 Depth=3
	s_and_not1_saveexec_b32 s75, s13
; %bb.25310:                            ;   in Loop: Header=BB6_22365 Depth=3
	v_cmp_lt_i16_e64 s13, -1, v18
	v_mov_b32_e32 v1, 0x7f800000
	v_cmp_eq_u32_e32 vcc_lo, 0, v3
	s_delay_alu instid0(VALU_DEP_2) | instskip(NEXT) | instid1(VALU_DEP_1)
	v_cndmask_b32_e64 v1, 0xff800000, v1, s13
	v_cndmask_b32_e32 v1, 0x7f800001, v1, vcc_lo
; %bb.25311:                            ;   in Loop: Header=BB6_22365 Depth=3
	s_or_b32 exec_lo, exec_lo, s75
.LBB6_25312:                            ;   in Loop: Header=BB6_22365 Depth=3
	s_delay_alu instid0(SALU_CYCLE_1)
	s_or_b32 exec_lo, exec_lo, s74
.LBB6_25313:                            ;   in Loop: Header=BB6_22365 Depth=3
	s_delay_alu instid0(SALU_CYCLE_1) | instskip(NEXT) | instid1(VALU_DEP_1)
	s_or_b32 exec_lo, exec_lo, s73
	v_dual_add_f32 v4, v4, v1 :: v_dual_mov_b32 v47, v113
	v_mov_b32_e32 v3, v113
                                        ; implicit-def: $vgpr87
	s_mov_b32 s13, exec_lo
	s_delay_alu instid0(VALU_DEP_2) | instskip(SKIP_2) | instid1(VALU_DEP_3)
	v_and_b32_e32 v46, 0x7f800000, v4
	v_and_b32_e32 v2, 0x7fffff, v4
	v_lshrrev_b32_e32 v1, 24, v4
	v_cmpx_ne_u64_e32 0x7f800000, v[46:47]
	s_xor_b32 s73, exec_lo, s13
	s_cbranch_execz .LBB6_25327
; %bb.25314:                            ;   in Loop: Header=BB6_22365 Depth=3
	v_and_b32_e32 v46, 0x7fffffff, v4
	v_mov_b32_e32 v47, v113
	v_and_b32_e32 v1, 0x80, v1
                                        ; implicit-def: $vgpr87
	s_mov_b32 s13, exec_lo
	s_delay_alu instid0(VALU_DEP_2)
	v_cmpx_gt_u64_e32 0x47600001, v[46:47]
	s_xor_b32 s74, exec_lo, s13
	s_cbranch_execz .LBB6_25324
; %bb.25315:                            ;   in Loop: Header=BB6_22365 Depth=3
	v_mov_b32_e32 v87, 0
	s_mov_b32 s75, exec_lo
	v_cmpx_ne_u32_e32 0, v4
	s_cbranch_execz .LBB6_25323
; %bb.25316:                            ;   in Loop: Header=BB6_22365 Depth=3
	v_bfe_u32 v87, v4, 23, 8
	v_or_b32_e32 v5, 0x800000, v2
	s_delay_alu instid0(VALU_DEP_2) | instskip(SKIP_2) | instid1(VALU_DEP_2)
	v_cmp_gt_u32_e64 s13, 0x72, v87
	v_sub_nc_u32_e32 v4, 0x71, v87
	v_cmp_eq_u32_e32 vcc_lo, 0, v87
	v_dual_cndmask_b32 v4, 0, v4, s13 :: v_dual_cndmask_b32 v2, v5, v2, vcc_lo
	s_delay_alu instid0(VALU_DEP_1) | instskip(NEXT) | instid1(VALU_DEP_1)
	v_cndmask_b32_e64 v100, v4, 0x70, vcc_lo
	v_dual_add_nc_u32 v4, 21, v100 :: v_dual_add_nc_u32 v103, 20, v100
	s_delay_alu instid0(VALU_DEP_1) | instskip(NEXT) | instid1(VALU_DEP_2)
	v_lshlrev_b64_e64 v[4:5], v4, -1
	v_lshlrev_b64_e64 v[46:47], v103, 1
	s_delay_alu instid0(VALU_DEP_2) | instskip(SKIP_1) | instid1(VALU_DEP_4)
	v_bfi_b32 v4, v4, 0, v2
	v_lshrrev_b64 v[2:3], v100, v[2:3]
	v_bfi_b32 v5, v5, 0, 0
	s_delay_alu instid0(VALU_DEP_1) | instskip(NEXT) | instid1(VALU_DEP_3)
	v_cmp_eq_u64_e64 s13, v[4:5], v[46:47]
	v_mov_b64_e32 v[4:5], v[2:3]
	s_and_saveexec_b32 s76, s13
; %bb.25317:                            ;   in Loop: Header=BB6_22365 Depth=3
	v_bfe_u32 v4, v2, 21, 1
	v_mov_b32_e32 v5, v113
	s_delay_alu instid0(VALU_DEP_1) | instskip(NEXT) | instid1(VALU_DEP_1)
	v_add_nc_u64_e32 v[4:5], v[2:3], v[4:5]
	v_add_nc_u64_e32 v[4:5], -1, v[4:5]
; %bb.25318:                            ;   in Loop: Header=BB6_22365 Depth=3
	s_or_b32 exec_lo, exec_lo, s76
	v_add_nc_u32_e32 v3, 0xffffff81, v87
	v_lshrrev_b32_e32 v5, 23, v2
	s_mov_b32 s13, exec_lo
	s_delay_alu instid0(VALU_DEP_2) | instskip(NEXT) | instid1(VALU_DEP_1)
	v_cndmask_b32_e64 v3, v3, 0xffffff82, vcc_lo
	v_add3_u32 v87, v100, v3, v5
	v_and_b32_e32 v3, 0x1fffff, v4
                                        ; implicit-def: $vgpr4
	s_delay_alu instid0(VALU_DEP_1) | instskip(SKIP_1) | instid1(VALU_DEP_2)
	v_dual_add_nc_u32 v5, 14, v87 :: v_dual_add_nc_u32 v2, v3, v2
	v_mov_b32_e32 v3, v113
	v_cmpx_ne_u32_e32 0, v5
	s_xor_b32 s13, exec_lo, s13
; %bb.25319:                            ;   in Loop: Header=BB6_22365 Depth=3
	s_delay_alu instid0(VALU_DEP_2) | instskip(SKIP_1) | instid1(VALU_DEP_1)
	v_cmp_lt_u64_e32 vcc_lo, 0xffffff, v[2:3]
	v_add_nc_u32_e32 v4, 15, v87
	v_cndmask_b32_e32 v4, v5, v4, vcc_lo
	v_cndmask_b32_e64 v5, 0, 1, vcc_lo
	s_delay_alu instid0(VALU_DEP_1)
	v_lshrrev_b64 v[2:3], v5, v[2:3]
; %bb.25320:                            ;   in Loop: Header=BB6_22365 Depth=3
	s_and_not1_saveexec_b32 s13, s13
; %bb.25321:                            ;   in Loop: Header=BB6_22365 Depth=3
	s_delay_alu instid0(VALU_DEP_1)
	v_bfe_u32 v4, v2, 23, 1
; %bb.25322:                            ;   in Loop: Header=BB6_22365 Depth=3
	s_or_b32 exec_lo, exec_lo, s13
	s_delay_alu instid0(VALU_DEP_2) | instskip(NEXT) | instid1(VALU_DEP_2)
	v_lshrrev_b64 v[2:3], 21, v[2:3]
	v_cmp_gt_i32_e32 vcc_lo, 32, v4
	v_min_i32_e32 v5, 31, v4
	v_cmp_eq_u32_e64 s13, 0, v4
	s_delay_alu instid0(VALU_DEP_2) | instskip(SKIP_1) | instid1(VALU_DEP_2)
	v_dual_cndmask_b32 v3, 0, v3, vcc_lo :: v_dual_lshlrev_b32 v5, 2, v5
	v_cndmask_b32_e32 v2, 3, v2, vcc_lo
	v_and_b32_e32 v5, 0xfc, v5
	s_delay_alu instid0(VALU_DEP_2) | instskip(NEXT) | instid1(VALU_DEP_2)
	v_cmp_eq_u64_e32 vcc_lo, 0, v[2:3]
	v_and_or_b32 v2, v2, 3, v5
	s_and_b32 s13, s13, vcc_lo
	s_delay_alu instid0(VALU_DEP_1) | instid1(SALU_CYCLE_1)
	v_cndmask_b32_e64 v2, v2, 0, s13
	s_delay_alu instid0(VALU_DEP_1)
	v_or_b32_e32 v87, v2, v1
.LBB6_25323:                            ;   in Loop: Header=BB6_22365 Depth=3
	s_or_b32 exec_lo, exec_lo, s75
                                        ; implicit-def: $vgpr1
.LBB6_25324:                            ;   in Loop: Header=BB6_22365 Depth=3
	s_and_not1_saveexec_b32 s13, s74
; %bb.25325:                            ;   in Loop: Header=BB6_22365 Depth=3
	v_or_b32_e32 v87, 0x7b, v1
; %bb.25326:                            ;   in Loop: Header=BB6_22365 Depth=3
	s_or_b32 exec_lo, exec_lo, s13
                                        ; implicit-def: $vgpr4
                                        ; implicit-def: $vgpr2_vgpr3
                                        ; implicit-def: $vgpr1
.LBB6_25327:                            ;   in Loop: Header=BB6_22365 Depth=3
	s_and_not1_saveexec_b32 s13, s73
	s_cbranch_execz .LBB6_25333
; %bb.25328:                            ;   in Loop: Header=BB6_22365 Depth=3
	s_mov_b32 s73, exec_lo
                                        ; implicit-def: $vgpr87
	v_cmpx_ne_u64_e32 0, v[2:3]
	s_xor_b32 s73, exec_lo, s73
; %bb.25329:                            ;   in Loop: Header=BB6_22365 Depth=3
	v_or_b32_e32 v87, 0x7f, v1
                                        ; implicit-def: $vgpr4
; %bb.25330:                            ;   in Loop: Header=BB6_22365 Depth=3
	s_and_not1_saveexec_b32 s73, s73
; %bb.25331:                            ;   in Loop: Header=BB6_22365 Depth=3
	v_cmp_lt_i32_e32 vcc_lo, -1, v4
	v_mov_b32_e32 v1, 0x7c
	s_delay_alu instid0(VALU_DEP_1)
	v_cndmask_b32_e32 v87, 0xfc, v1, vcc_lo
; %bb.25332:                            ;   in Loop: Header=BB6_22365 Depth=3
	s_or_b32 exec_lo, exec_lo, s73
.LBB6_25333:                            ;   in Loop: Header=BB6_22365 Depth=3
	s_delay_alu instid0(SALU_CYCLE_1) | instskip(SKIP_3) | instid1(VALU_DEP_2)
	s_or_b32 exec_lo, exec_lo, s13
	v_dual_mov_b32 v1, 0 :: v_dual_lshrrev_b32 v2, 16, v0
	v_mov_b32_e32 v3, 0
	s_mov_b32 s73, exec_lo
	v_and_b32_e32 v4, 0xff, v2
	s_delay_alu instid0(VALU_DEP_1)
	v_cmpx_ne_u16_e32 0, v4
	s_cbranch_execz .LBB6_25343
; %bb.25334:                            ;   in Loop: Header=BB6_22365 Depth=3
	v_bfrev_b32_e32 v3, 1
	s_mov_b32 s74, exec_lo
	v_cmpx_ne_u16_e32 0x80, v4
	s_cbranch_execz .LBB6_25342
; %bb.25335:                            ;   in Loop: Header=BB6_22365 Depth=3
	v_and_b32_e32 v3, 0x7c0000, v0
	v_bfe_u32 v4, v0, 16, 2
	s_delay_alu instid0(VALU_DEP_2) | instskip(SKIP_1) | instid1(SALU_CYCLE_1)
	v_cmp_ne_u32_e32 vcc_lo, 0x7c0000, v3
                                        ; implicit-def: $vgpr3
	s_and_saveexec_b32 s13, vcc_lo
	s_xor_b32 s13, exec_lo, s13
	s_cbranch_execz .LBB6_25339
; %bb.25336:                            ;   in Loop: Header=BB6_22365 Depth=3
	v_bfe_u32 v3, v0, 18, 5
	s_mov_b32 s75, exec_lo
	s_delay_alu instid0(VALU_DEP_1)
	v_cmpx_eq_u32_e32 0, v3
; %bb.25337:                            ;   in Loop: Header=BB6_22365 Depth=3
	v_clz_i32_u32_e32 v3, v4
	s_delay_alu instid0(VALU_DEP_1) | instskip(NEXT) | instid1(VALU_DEP_1)
	v_min_u32_e32 v3, 32, v3
	v_subrev_nc_u32_e32 v4, 29, v3
	s_delay_alu instid0(VALU_DEP_1) | instskip(NEXT) | instid1(VALU_DEP_1)
	v_lshlrev_b64_e32 v[4:5], v4, v[2:3]
	v_dual_sub_nc_u32 v3, 30, v3 :: v_dual_bitop2_b32 v4, 3, v4 bitop3:0x40
; %bb.25338:                            ;   in Loop: Header=BB6_22365 Depth=3
	s_or_b32 exec_lo, exec_lo, s75
	v_lshlrev_b32_e32 v2, 24, v2
	s_delay_alu instid0(VALU_DEP_1) | instskip(NEXT) | instid1(VALU_DEP_1)
	v_and_b32_e32 v2, 0x80000000, v2
	v_lshl_add_u32 v2, v3, 23, v2
	s_delay_alu instid0(VALU_DEP_1) | instskip(NEXT) | instid1(VALU_DEP_1)
	v_lshl_or_b32 v2, v4, 21, v2
                                        ; implicit-def: $vgpr4
	v_add_nc_u32_e32 v3, 0x38000000, v2
                                        ; implicit-def: $vgpr2
.LBB6_25339:                            ;   in Loop: Header=BB6_22365 Depth=3
	s_and_not1_saveexec_b32 s75, s13
; %bb.25340:                            ;   in Loop: Header=BB6_22365 Depth=3
	v_bfe_i32 v2, v2, 0, 8
	v_cmp_eq_u32_e32 vcc_lo, 0, v4
	s_delay_alu instid0(VALU_DEP_2) | instskip(SKIP_1) | instid1(VALU_DEP_1)
	v_cmp_lt_i16_e64 s13, -1, v2
	v_mov_b32_e32 v2, 0x7f800000
	v_cndmask_b32_e64 v2, 0xff800000, v2, s13
	s_delay_alu instid0(VALU_DEP_1)
	v_cndmask_b32_e32 v3, 0x7f800001, v2, vcc_lo
; %bb.25341:                            ;   in Loop: Header=BB6_22365 Depth=3
	s_or_b32 exec_lo, exec_lo, s75
.LBB6_25342:                            ;   in Loop: Header=BB6_22365 Depth=3
	s_delay_alu instid0(SALU_CYCLE_1)
	s_or_b32 exec_lo, exec_lo, s74
.LBB6_25343:                            ;   in Loop: Header=BB6_22365 Depth=3
	s_delay_alu instid0(SALU_CYCLE_1) | instskip(SKIP_2) | instid1(VALU_DEP_1)
	s_or_b32 exec_lo, exec_lo, s73
	v_lshrrev_b32_e32 v2, 16, v18
	s_mov_b32 s73, exec_lo
	v_and_b32_e32 v4, 0xff, v2
	s_delay_alu instid0(VALU_DEP_1)
	v_cmpx_ne_u16_e32 0, v4
	s_cbranch_execz .LBB6_25353
; %bb.25344:                            ;   in Loop: Header=BB6_22365 Depth=3
	v_bfrev_b32_e32 v1, 1
	s_mov_b32 s74, exec_lo
	v_cmpx_ne_u16_e32 0x80, v4
	s_cbranch_execz .LBB6_25352
; %bb.25345:                            ;   in Loop: Header=BB6_22365 Depth=3
	v_and_b32_e32 v1, 0x7c0000, v18
	v_bfe_u32 v4, v18, 16, 2
	s_delay_alu instid0(VALU_DEP_2) | instskip(SKIP_1) | instid1(SALU_CYCLE_1)
	v_cmp_ne_u32_e32 vcc_lo, 0x7c0000, v1
                                        ; implicit-def: $vgpr1
	s_and_saveexec_b32 s13, vcc_lo
	s_xor_b32 s13, exec_lo, s13
	s_cbranch_execz .LBB6_25349
; %bb.25346:                            ;   in Loop: Header=BB6_22365 Depth=3
	v_bfe_u32 v1, v18, 18, 5
	s_mov_b32 s75, exec_lo
	s_delay_alu instid0(VALU_DEP_1)
	v_cmpx_eq_u32_e32 0, v1
; %bb.25347:                            ;   in Loop: Header=BB6_22365 Depth=3
	v_clz_i32_u32_e32 v1, v4
	s_delay_alu instid0(VALU_DEP_1) | instskip(NEXT) | instid1(VALU_DEP_1)
	v_min_u32_e32 v1, 32, v1
	v_subrev_nc_u32_e32 v4, 29, v1
	s_delay_alu instid0(VALU_DEP_1) | instskip(NEXT) | instid1(VALU_DEP_1)
	v_lshlrev_b64_e32 v[4:5], v4, v[2:3]
	v_dual_sub_nc_u32 v1, 30, v1 :: v_dual_bitop2_b32 v4, 3, v4 bitop3:0x40
; %bb.25348:                            ;   in Loop: Header=BB6_22365 Depth=3
	s_or_b32 exec_lo, exec_lo, s75
	v_lshlrev_b32_e32 v2, 24, v2
	s_delay_alu instid0(VALU_DEP_1) | instskip(NEXT) | instid1(VALU_DEP_1)
	v_and_b32_e32 v2, 0x80000000, v2
	v_lshl_add_u32 v1, v1, 23, v2
                                        ; implicit-def: $vgpr2
	s_delay_alu instid0(VALU_DEP_1) | instskip(NEXT) | instid1(VALU_DEP_1)
	v_lshl_or_b32 v1, v4, 21, v1
                                        ; implicit-def: $vgpr4
	v_add_nc_u32_e32 v1, 0x38000000, v1
.LBB6_25349:                            ;   in Loop: Header=BB6_22365 Depth=3
	s_and_not1_saveexec_b32 s75, s13
; %bb.25350:                            ;   in Loop: Header=BB6_22365 Depth=3
	v_bfe_i32 v1, v2, 0, 8
	v_cmp_eq_u32_e32 vcc_lo, 0, v4
	s_delay_alu instid0(VALU_DEP_2) | instskip(SKIP_1) | instid1(VALU_DEP_1)
	v_cmp_lt_i16_e64 s13, -1, v1
	v_mov_b32_e32 v1, 0x7f800000
	v_cndmask_b32_e64 v1, 0xff800000, v1, s13
	s_delay_alu instid0(VALU_DEP_1)
	v_cndmask_b32_e32 v1, 0x7f800001, v1, vcc_lo
; %bb.25351:                            ;   in Loop: Header=BB6_22365 Depth=3
	s_or_b32 exec_lo, exec_lo, s75
.LBB6_25352:                            ;   in Loop: Header=BB6_22365 Depth=3
	s_delay_alu instid0(SALU_CYCLE_1)
	s_or_b32 exec_lo, exec_lo, s74
.LBB6_25353:                            ;   in Loop: Header=BB6_22365 Depth=3
	s_delay_alu instid0(SALU_CYCLE_1) | instskip(NEXT) | instid1(VALU_DEP_1)
	s_or_b32 exec_lo, exec_lo, s73
	v_dual_add_f32 v4, v3, v1 :: v_dual_mov_b32 v47, v113
	v_mov_b32_e32 v3, v113
                                        ; implicit-def: $vgpr100
	s_mov_b32 s13, exec_lo
	s_delay_alu instid0(VALU_DEP_2) | instskip(SKIP_2) | instid1(VALU_DEP_3)
	v_and_b32_e32 v46, 0x7f800000, v4
	v_and_b32_e32 v2, 0x7fffff, v4
	v_lshrrev_b32_e32 v1, 24, v4
	v_cmpx_ne_u64_e32 0x7f800000, v[46:47]
	s_xor_b32 s73, exec_lo, s13
	s_cbranch_execz .LBB6_25367
; %bb.25354:                            ;   in Loop: Header=BB6_22365 Depth=3
	v_and_b32_e32 v46, 0x7fffffff, v4
	v_mov_b32_e32 v47, v113
	v_and_b32_e32 v1, 0x80, v1
                                        ; implicit-def: $vgpr100
	s_mov_b32 s13, exec_lo
	s_delay_alu instid0(VALU_DEP_2)
	v_cmpx_gt_u64_e32 0x47600001, v[46:47]
	s_xor_b32 s74, exec_lo, s13
	s_cbranch_execz .LBB6_25364
; %bb.25355:                            ;   in Loop: Header=BB6_22365 Depth=3
	v_mov_b32_e32 v100, 0
	s_mov_b32 s75, exec_lo
	v_cmpx_ne_u32_e32 0, v4
	s_cbranch_execz .LBB6_25363
; %bb.25356:                            ;   in Loop: Header=BB6_22365 Depth=3
	v_bfe_u32 v100, v4, 23, 8
	v_or_b32_e32 v5, 0x800000, v2
	s_delay_alu instid0(VALU_DEP_2) | instskip(SKIP_2) | instid1(VALU_DEP_2)
	v_cmp_gt_u32_e64 s13, 0x72, v100
	v_sub_nc_u32_e32 v4, 0x71, v100
	v_cmp_eq_u32_e32 vcc_lo, 0, v100
	v_dual_cndmask_b32 v4, 0, v4, s13 :: v_dual_cndmask_b32 v2, v5, v2, vcc_lo
	s_delay_alu instid0(VALU_DEP_1) | instskip(NEXT) | instid1(VALU_DEP_1)
	v_cndmask_b32_e64 v103, v4, 0x70, vcc_lo
	v_dual_add_nc_u32 v4, 21, v103 :: v_dual_add_nc_u32 v116, 20, v103
	s_delay_alu instid0(VALU_DEP_1) | instskip(NEXT) | instid1(VALU_DEP_2)
	v_lshlrev_b64_e64 v[4:5], v4, -1
	v_lshlrev_b64_e64 v[46:47], v116, 1
	s_delay_alu instid0(VALU_DEP_2) | instskip(SKIP_1) | instid1(VALU_DEP_4)
	v_bfi_b32 v4, v4, 0, v2
	v_lshrrev_b64 v[2:3], v103, v[2:3]
	v_bfi_b32 v5, v5, 0, 0
	s_delay_alu instid0(VALU_DEP_1) | instskip(NEXT) | instid1(VALU_DEP_3)
	v_cmp_eq_u64_e64 s13, v[4:5], v[46:47]
	v_mov_b64_e32 v[4:5], v[2:3]
	s_and_saveexec_b32 s76, s13
; %bb.25357:                            ;   in Loop: Header=BB6_22365 Depth=3
	v_bfe_u32 v4, v2, 21, 1
	v_mov_b32_e32 v5, v113
	s_delay_alu instid0(VALU_DEP_1) | instskip(NEXT) | instid1(VALU_DEP_1)
	v_add_nc_u64_e32 v[4:5], v[2:3], v[4:5]
	v_add_nc_u64_e32 v[4:5], -1, v[4:5]
; %bb.25358:                            ;   in Loop: Header=BB6_22365 Depth=3
	s_or_b32 exec_lo, exec_lo, s76
	v_add_nc_u32_e32 v3, 0xffffff81, v100
	v_lshrrev_b32_e32 v5, 23, v2
	s_mov_b32 s13, exec_lo
	s_delay_alu instid0(VALU_DEP_2) | instskip(NEXT) | instid1(VALU_DEP_1)
	v_cndmask_b32_e64 v3, v3, 0xffffff82, vcc_lo
	v_add3_u32 v100, v103, v3, v5
	v_and_b32_e32 v3, 0x1fffff, v4
                                        ; implicit-def: $vgpr4
	s_delay_alu instid0(VALU_DEP_1) | instskip(SKIP_1) | instid1(VALU_DEP_2)
	v_dual_add_nc_u32 v5, 14, v100 :: v_dual_add_nc_u32 v2, v3, v2
	v_mov_b32_e32 v3, v113
	v_cmpx_ne_u32_e32 0, v5
	s_xor_b32 s13, exec_lo, s13
; %bb.25359:                            ;   in Loop: Header=BB6_22365 Depth=3
	s_delay_alu instid0(VALU_DEP_2) | instskip(SKIP_1) | instid1(VALU_DEP_1)
	v_cmp_lt_u64_e32 vcc_lo, 0xffffff, v[2:3]
	v_add_nc_u32_e32 v4, 15, v100
	v_cndmask_b32_e32 v4, v5, v4, vcc_lo
	v_cndmask_b32_e64 v5, 0, 1, vcc_lo
	s_delay_alu instid0(VALU_DEP_1)
	v_lshrrev_b64 v[2:3], v5, v[2:3]
; %bb.25360:                            ;   in Loop: Header=BB6_22365 Depth=3
	s_and_not1_saveexec_b32 s13, s13
; %bb.25361:                            ;   in Loop: Header=BB6_22365 Depth=3
	s_delay_alu instid0(VALU_DEP_1)
	v_bfe_u32 v4, v2, 23, 1
; %bb.25362:                            ;   in Loop: Header=BB6_22365 Depth=3
	s_or_b32 exec_lo, exec_lo, s13
	s_delay_alu instid0(VALU_DEP_2) | instskip(NEXT) | instid1(VALU_DEP_2)
	v_lshrrev_b64 v[2:3], 21, v[2:3]
	v_cmp_gt_i32_e32 vcc_lo, 32, v4
	v_min_i32_e32 v5, 31, v4
	v_cmp_eq_u32_e64 s13, 0, v4
	s_delay_alu instid0(VALU_DEP_2) | instskip(SKIP_1) | instid1(VALU_DEP_2)
	v_dual_cndmask_b32 v3, 0, v3, vcc_lo :: v_dual_lshlrev_b32 v5, 2, v5
	v_cndmask_b32_e32 v2, 3, v2, vcc_lo
	v_and_b32_e32 v5, 0xfc, v5
	s_delay_alu instid0(VALU_DEP_2) | instskip(NEXT) | instid1(VALU_DEP_2)
	v_cmp_eq_u64_e32 vcc_lo, 0, v[2:3]
	v_and_or_b32 v2, v2, 3, v5
	s_and_b32 s13, s13, vcc_lo
	s_delay_alu instid0(VALU_DEP_1) | instid1(SALU_CYCLE_1)
	v_cndmask_b32_e64 v2, v2, 0, s13
	s_delay_alu instid0(VALU_DEP_1)
	v_or_b32_e32 v100, v2, v1
.LBB6_25363:                            ;   in Loop: Header=BB6_22365 Depth=3
	s_or_b32 exec_lo, exec_lo, s75
                                        ; implicit-def: $vgpr1
.LBB6_25364:                            ;   in Loop: Header=BB6_22365 Depth=3
	s_and_not1_saveexec_b32 s13, s74
; %bb.25365:                            ;   in Loop: Header=BB6_22365 Depth=3
	v_or_b32_e32 v100, 0x7b, v1
; %bb.25366:                            ;   in Loop: Header=BB6_22365 Depth=3
	s_or_b32 exec_lo, exec_lo, s13
                                        ; implicit-def: $vgpr4
                                        ; implicit-def: $vgpr2_vgpr3
                                        ; implicit-def: $vgpr1
.LBB6_25367:                            ;   in Loop: Header=BB6_22365 Depth=3
	s_and_not1_saveexec_b32 s13, s73
	s_cbranch_execz .LBB6_25373
; %bb.25368:                            ;   in Loop: Header=BB6_22365 Depth=3
	s_mov_b32 s73, exec_lo
                                        ; implicit-def: $vgpr100
	v_cmpx_ne_u64_e32 0, v[2:3]
	s_xor_b32 s73, exec_lo, s73
; %bb.25369:                            ;   in Loop: Header=BB6_22365 Depth=3
	v_or_b32_e32 v100, 0x7f, v1
                                        ; implicit-def: $vgpr4
; %bb.25370:                            ;   in Loop: Header=BB6_22365 Depth=3
	s_and_not1_saveexec_b32 s73, s73
; %bb.25371:                            ;   in Loop: Header=BB6_22365 Depth=3
	v_cmp_lt_i32_e32 vcc_lo, -1, v4
	v_mov_b32_e32 v1, 0x7c
	s_delay_alu instid0(VALU_DEP_1)
	v_cndmask_b32_e32 v100, 0xfc, v1, vcc_lo
; %bb.25372:                            ;   in Loop: Header=BB6_22365 Depth=3
	s_or_b32 exec_lo, exec_lo, s73
.LBB6_25373:                            ;   in Loop: Header=BB6_22365 Depth=3
	s_delay_alu instid0(SALU_CYCLE_1)
	s_or_b32 exec_lo, exec_lo, s13
	v_dual_mov_b32 v3, 0 :: v_dual_mov_b32 v4, 0
	s_mov_b32 s73, exec_lo
	v_cmpx_lt_u32_e32 0xffffff, v0
	s_cbranch_execz .LBB6_25383
; %bb.25374:                            ;   in Loop: Header=BB6_22365 Depth=3
	v_lshrrev_b32_e32 v2, 24, v0
	v_bfrev_b32_e32 v4, 1
	s_mov_b32 s74, exec_lo
	s_delay_alu instid0(VALU_DEP_2)
	v_cmpx_ne_u32_e32 0x80, v2
	s_cbranch_execz .LBB6_25382
; %bb.25375:                            ;   in Loop: Header=BB6_22365 Depth=3
	v_and_b32_e32 v1, 0x7c000000, v0
	v_bfe_u32 v5, v0, 24, 2
	s_mov_b32 s13, exec_lo
                                        ; implicit-def: $vgpr4
	s_delay_alu instid0(VALU_DEP_2)
	v_cmpx_ne_u32_e32 0x7c000000, v1
	s_xor_b32 s13, exec_lo, s13
	s_cbranch_execz .LBB6_25379
; %bb.25376:                            ;   in Loop: Header=BB6_22365 Depth=3
	v_bfe_u32 v1, v0, 26, 5
	s_mov_b32 s75, exec_lo
	s_delay_alu instid0(VALU_DEP_1)
	v_cmpx_eq_u32_e32 0, v1
; %bb.25377:                            ;   in Loop: Header=BB6_22365 Depth=3
	v_clz_i32_u32_e32 v1, v5
	s_delay_alu instid0(VALU_DEP_1) | instskip(NEXT) | instid1(VALU_DEP_1)
	v_min_u32_e32 v1, 32, v1
	v_subrev_nc_u32_e32 v4, 29, v1
	s_delay_alu instid0(VALU_DEP_1) | instskip(NEXT) | instid1(VALU_DEP_1)
	v_lshlrev_b64_e32 v[4:5], v4, v[2:3]
	v_dual_sub_nc_u32 v1, 30, v1 :: v_dual_bitop2_b32 v5, 3, v4 bitop3:0x40
; %bb.25378:                            ;   in Loop: Header=BB6_22365 Depth=3
	s_or_b32 exec_lo, exec_lo, s75
	v_and_b32_e32 v0, 0x80000000, v0
	s_delay_alu instid0(VALU_DEP_1) | instskip(NEXT) | instid1(VALU_DEP_1)
	v_lshl_add_u32 v0, v1, 23, v0
	v_lshl_or_b32 v0, v5, 21, v0
                                        ; implicit-def: $vgpr5
	s_delay_alu instid0(VALU_DEP_1)
	v_add_nc_u32_e32 v4, 0x38000000, v0
                                        ; implicit-def: $vgpr0_vgpr1
.LBB6_25379:                            ;   in Loop: Header=BB6_22365 Depth=3
	s_and_not1_saveexec_b32 s75, s13
; %bb.25380:                            ;   in Loop: Header=BB6_22365 Depth=3
	v_cmp_lt_i32_e64 s13, -1, v0
	v_mov_b32_e32 v0, 0x7f800000
	v_cmp_eq_u32_e32 vcc_lo, 0, v5
	s_delay_alu instid0(VALU_DEP_2) | instskip(NEXT) | instid1(VALU_DEP_1)
	v_cndmask_b32_e64 v0, 0xff800000, v0, s13
	v_cndmask_b32_e32 v4, 0x7f800001, v0, vcc_lo
; %bb.25381:                            ;   in Loop: Header=BB6_22365 Depth=3
	s_or_b32 exec_lo, exec_lo, s75
.LBB6_25382:                            ;   in Loop: Header=BB6_22365 Depth=3
	s_delay_alu instid0(SALU_CYCLE_1)
	s_or_b32 exec_lo, exec_lo, s74
.LBB6_25383:                            ;   in Loop: Header=BB6_22365 Depth=3
	s_delay_alu instid0(SALU_CYCLE_1) | instskip(NEXT) | instid1(SALU_CYCLE_1)
	s_or_b32 exec_lo, exec_lo, s73
	s_mov_b32 s73, exec_lo
	v_cmpx_lt_u32_e32 0xffffff, v18
	s_cbranch_execz .LBB6_25393
; %bb.25384:                            ;   in Loop: Header=BB6_22365 Depth=3
	v_lshrrev_b32_e32 v0, 24, v18
	v_bfrev_b32_e32 v3, 1
	s_mov_b32 s74, exec_lo
	s_delay_alu instid0(VALU_DEP_2)
	v_cmpx_ne_u32_e32 0x80, v0
	s_cbranch_execz .LBB6_25392
; %bb.25385:                            ;   in Loop: Header=BB6_22365 Depth=3
	v_and_b32_e32 v2, 0x7c000000, v18
	v_bfe_u32 v1, v18, 24, 2
	s_mov_b32 s13, exec_lo
                                        ; implicit-def: $vgpr3
	s_delay_alu instid0(VALU_DEP_2)
	v_cmpx_ne_u32_e32 0x7c000000, v2
	s_xor_b32 s13, exec_lo, s13
	s_cbranch_execz .LBB6_25389
; %bb.25386:                            ;   in Loop: Header=BB6_22365 Depth=3
	v_bfe_u32 v2, v18, 26, 5
	s_mov_b32 s75, exec_lo
	s_delay_alu instid0(VALU_DEP_1)
	v_cmpx_eq_u32_e32 0, v2
; %bb.25387:                            ;   in Loop: Header=BB6_22365 Depth=3
	v_clz_i32_u32_e32 v1, v1
	s_delay_alu instid0(VALU_DEP_1) | instskip(NEXT) | instid1(VALU_DEP_1)
	v_min_u32_e32 v2, 32, v1
	v_subrev_nc_u32_e32 v1, 29, v2
	s_delay_alu instid0(VALU_DEP_1) | instskip(NEXT) | instid1(VALU_DEP_1)
	v_lshlrev_b64_e32 v[0:1], v1, v[0:1]
	v_dual_sub_nc_u32 v2, 30, v2 :: v_dual_bitop2_b32 v1, 3, v0 bitop3:0x40
; %bb.25388:                            ;   in Loop: Header=BB6_22365 Depth=3
	s_or_b32 exec_lo, exec_lo, s75
	v_and_b32_e32 v0, 0x80000000, v18
	s_delay_alu instid0(VALU_DEP_1) | instskip(NEXT) | instid1(VALU_DEP_1)
	v_lshl_add_u32 v0, v2, 23, v0
	v_lshl_or_b32 v0, v1, 21, v0
                                        ; implicit-def: $vgpr1
	s_delay_alu instid0(VALU_DEP_1)
	v_add_nc_u32_e32 v3, 0x38000000, v0
.LBB6_25389:                            ;   in Loop: Header=BB6_22365 Depth=3
	s_and_not1_saveexec_b32 s75, s13
; %bb.25390:                            ;   in Loop: Header=BB6_22365 Depth=3
	v_cmp_lt_i32_e64 s13, -1, v18
	v_mov_b32_e32 v0, 0x7f800000
	v_cmp_eq_u32_e32 vcc_lo, 0, v1
	s_delay_alu instid0(VALU_DEP_2) | instskip(NEXT) | instid1(VALU_DEP_1)
	v_cndmask_b32_e64 v0, 0xff800000, v0, s13
	v_cndmask_b32_e32 v3, 0x7f800001, v0, vcc_lo
; %bb.25391:                            ;   in Loop: Header=BB6_22365 Depth=3
	s_or_b32 exec_lo, exec_lo, s75
.LBB6_25392:                            ;   in Loop: Header=BB6_22365 Depth=3
	s_delay_alu instid0(SALU_CYCLE_1)
	s_or_b32 exec_lo, exec_lo, s74
.LBB6_25393:                            ;   in Loop: Header=BB6_22365 Depth=3
	s_delay_alu instid0(SALU_CYCLE_1) | instskip(NEXT) | instid1(VALU_DEP_1)
	s_or_b32 exec_lo, exec_lo, s73
	v_dual_add_f32 v2, v4, v3 :: v_dual_mov_b32 v5, v113
	v_mov_b32_e32 v1, v113
                                        ; implicit-def: $vgpr103
	s_mov_b32 s13, exec_lo
	s_delay_alu instid0(VALU_DEP_2) | instskip(SKIP_2) | instid1(VALU_DEP_3)
	v_and_b32_e32 v4, 0x7f800000, v2
	v_and_b32_e32 v0, 0x7fffff, v2
	v_lshrrev_b32_e32 v3, 24, v2
	v_cmpx_ne_u64_e32 0x7f800000, v[4:5]
	s_xor_b32 s73, exec_lo, s13
	s_cbranch_execz .LBB6_25407
; %bb.25394:                            ;   in Loop: Header=BB6_22365 Depth=3
	v_and_b32_e32 v4, 0x7fffffff, v2
	v_mov_b32_e32 v5, v113
                                        ; implicit-def: $vgpr103
	s_delay_alu instid0(VALU_DEP_1) | instskip(SKIP_2) | instid1(SALU_CYCLE_1)
	v_cmp_gt_u64_e32 vcc_lo, 0x47600001, v[4:5]
	v_and_b32_e32 v4, 0x80, v3
	s_and_saveexec_b32 s13, vcc_lo
	s_xor_b32 s74, exec_lo, s13
	s_cbranch_execz .LBB6_25404
; %bb.25395:                            ;   in Loop: Header=BB6_22365 Depth=3
	v_mov_b32_e32 v103, 0
	s_mov_b32 s75, exec_lo
	v_cmpx_ne_u32_e32 0, v2
	s_cbranch_execz .LBB6_25403
; %bb.25396:                            ;   in Loop: Header=BB6_22365 Depth=3
	v_bfe_u32 v5, v2, 23, 8
	v_or_b32_e32 v3, 0x800000, v0
	s_delay_alu instid0(VALU_DEP_2) | instskip(SKIP_2) | instid1(VALU_DEP_2)
	v_cmp_gt_u32_e64 s13, 0x72, v5
	v_sub_nc_u32_e32 v2, 0x71, v5
	v_cmp_eq_u32_e32 vcc_lo, 0, v5
	v_dual_cndmask_b32 v2, 0, v2, s13 :: v_dual_cndmask_b32 v0, v3, v0, vcc_lo
	s_delay_alu instid0(VALU_DEP_1) | instskip(NEXT) | instid1(VALU_DEP_1)
	v_cndmask_b32_e64 v103, v2, 0x70, vcc_lo
	v_dual_add_nc_u32 v2, 21, v103 :: v_dual_add_nc_u32 v116, 20, v103
	s_delay_alu instid0(VALU_DEP_1) | instskip(NEXT) | instid1(VALU_DEP_2)
	v_lshlrev_b64_e64 v[2:3], v2, -1
	v_lshlrev_b64_e64 v[46:47], v116, 1
	s_delay_alu instid0(VALU_DEP_2) | instskip(SKIP_1) | instid1(VALU_DEP_4)
	v_bfi_b32 v2, v2, 0, v0
	v_lshrrev_b64 v[0:1], v103, v[0:1]
	v_bfi_b32 v3, v3, 0, 0
	s_delay_alu instid0(VALU_DEP_1) | instskip(NEXT) | instid1(VALU_DEP_3)
	v_cmp_eq_u64_e64 s13, v[2:3], v[46:47]
	v_mov_b64_e32 v[2:3], v[0:1]
	s_and_saveexec_b32 s76, s13
; %bb.25397:                            ;   in Loop: Header=BB6_22365 Depth=3
	v_bfe_u32 v2, v0, 21, 1
	v_mov_b32_e32 v3, v113
	s_delay_alu instid0(VALU_DEP_1) | instskip(NEXT) | instid1(VALU_DEP_1)
	v_add_nc_u64_e32 v[2:3], v[0:1], v[2:3]
	v_add_nc_u64_e32 v[2:3], -1, v[2:3]
; %bb.25398:                            ;   in Loop: Header=BB6_22365 Depth=3
	s_or_b32 exec_lo, exec_lo, s76
	v_add_nc_u32_e32 v1, 0xffffff81, v5
	v_lshrrev_b32_e32 v3, 23, v0
	s_mov_b32 s13, exec_lo
	s_delay_alu instid0(VALU_DEP_2) | instskip(NEXT) | instid1(VALU_DEP_1)
	v_cndmask_b32_e64 v1, v1, 0xffffff82, vcc_lo
	v_add3_u32 v5, v103, v1, v3
	v_and_b32_e32 v1, 0x1fffff, v2
                                        ; implicit-def: $vgpr2
	s_delay_alu instid0(VALU_DEP_1) | instskip(SKIP_1) | instid1(VALU_DEP_2)
	v_dual_add_nc_u32 v3, 14, v5 :: v_dual_add_nc_u32 v0, v1, v0
	v_mov_b32_e32 v1, v113
	v_cmpx_ne_u32_e32 0, v3
	s_xor_b32 s13, exec_lo, s13
; %bb.25399:                            ;   in Loop: Header=BB6_22365 Depth=3
	s_delay_alu instid0(VALU_DEP_2) | instskip(SKIP_1) | instid1(VALU_DEP_1)
	v_cmp_lt_u64_e32 vcc_lo, 0xffffff, v[0:1]
	v_add_nc_u32_e32 v2, 15, v5
	v_cndmask_b32_e32 v2, v3, v2, vcc_lo
	v_cndmask_b32_e64 v3, 0, 1, vcc_lo
	s_delay_alu instid0(VALU_DEP_1)
	v_lshrrev_b64 v[0:1], v3, v[0:1]
; %bb.25400:                            ;   in Loop: Header=BB6_22365 Depth=3
	s_and_not1_saveexec_b32 s13, s13
; %bb.25401:                            ;   in Loop: Header=BB6_22365 Depth=3
	s_delay_alu instid0(VALU_DEP_1)
	v_bfe_u32 v2, v0, 23, 1
; %bb.25402:                            ;   in Loop: Header=BB6_22365 Depth=3
	s_or_b32 exec_lo, exec_lo, s13
	s_delay_alu instid0(VALU_DEP_2) | instskip(NEXT) | instid1(VALU_DEP_2)
	v_lshrrev_b64 v[0:1], 21, v[0:1]
	v_cmp_gt_i32_e32 vcc_lo, 32, v2
	v_min_i32_e32 v3, 31, v2
	v_cmp_eq_u32_e64 s13, 0, v2
	s_delay_alu instid0(VALU_DEP_2) | instskip(SKIP_1) | instid1(VALU_DEP_2)
	v_dual_cndmask_b32 v1, 0, v1, vcc_lo :: v_dual_lshlrev_b32 v3, 2, v3
	v_cndmask_b32_e32 v0, 3, v0, vcc_lo
	v_and_b32_e32 v3, 0xfc, v3
	s_delay_alu instid0(VALU_DEP_2) | instskip(NEXT) | instid1(VALU_DEP_2)
	v_cmp_eq_u64_e32 vcc_lo, 0, v[0:1]
	v_and_or_b32 v0, v0, 3, v3
	s_and_b32 s13, s13, vcc_lo
	s_delay_alu instid0(VALU_DEP_1) | instid1(SALU_CYCLE_1)
	v_cndmask_b32_e64 v0, v0, 0, s13
	s_delay_alu instid0(VALU_DEP_1)
	v_or_b32_e32 v103, v0, v4
.LBB6_25403:                            ;   in Loop: Header=BB6_22365 Depth=3
	s_or_b32 exec_lo, exec_lo, s75
                                        ; implicit-def: $vgpr4
.LBB6_25404:                            ;   in Loop: Header=BB6_22365 Depth=3
	s_and_not1_saveexec_b32 s13, s74
; %bb.25405:                            ;   in Loop: Header=BB6_22365 Depth=3
	v_or_b32_e32 v103, 0x7b, v4
; %bb.25406:                            ;   in Loop: Header=BB6_22365 Depth=3
	s_or_b32 exec_lo, exec_lo, s13
                                        ; implicit-def: $vgpr2
                                        ; implicit-def: $vgpr0_vgpr1
                                        ; implicit-def: $vgpr3
.LBB6_25407:                            ;   in Loop: Header=BB6_22365 Depth=3
	s_and_not1_saveexec_b32 s13, s73
	s_cbranch_execz .LBB6_25413
; %bb.25408:                            ;   in Loop: Header=BB6_22365 Depth=3
	s_mov_b32 s73, exec_lo
                                        ; implicit-def: $vgpr103
	v_cmpx_ne_u64_e32 0, v[0:1]
	s_xor_b32 s73, exec_lo, s73
; %bb.25409:                            ;   in Loop: Header=BB6_22365 Depth=3
	v_or_b32_e32 v103, 0x7f, v3
                                        ; implicit-def: $vgpr2
; %bb.25410:                            ;   in Loop: Header=BB6_22365 Depth=3
	s_and_not1_saveexec_b32 s73, s73
; %bb.25411:                            ;   in Loop: Header=BB6_22365 Depth=3
	v_cmp_lt_i32_e32 vcc_lo, -1, v2
	v_mov_b32_e32 v0, 0x7c
	s_delay_alu instid0(VALU_DEP_1)
	v_cndmask_b32_e32 v103, 0xfc, v0, vcc_lo
; %bb.25412:                            ;   in Loop: Header=BB6_22365 Depth=3
	s_or_b32 exec_lo, exec_lo, s73
.LBB6_25413:                            ;   in Loop: Header=BB6_22365 Depth=3
	s_delay_alu instid0(SALU_CYCLE_1) | instskip(SKIP_4) | instid1(VALU_DEP_1)
	s_or_b32 exec_lo, exec_lo, s13
	v_dual_mov_b32 v1, v113 :: v_dual_lshlrev_b32 v0, 24, v102
	v_dual_mov_b32 v3, 0 :: v_dual_lshlrev_b32 v2, 16, v98
	v_lshl_or_b32 v96, v96, 8, v82
	s_mov_b32 s73, exec_lo
	v_or3_b32 v0, v2, v0, v96
	v_mov_b32_e32 v2, 0
	v_cmpx_ne_u32_e32 0, v82
	s_cbranch_execz .LBB6_25423
; %bb.25414:                            ;   in Loop: Header=BB6_22365 Depth=3
	v_bfrev_b32_e32 v2, 1
	s_mov_b32 s74, exec_lo
	v_cmpx_ne_u32_e32 0x80, v82
	s_cbranch_execz .LBB6_25422
; %bb.25415:                            ;   in Loop: Header=BB6_22365 Depth=3
	v_and_b32_e32 v2, 0x7c, v82
	v_and_b32_e32 v4, 3, v82
	s_delay_alu instid0(VALU_DEP_2) | instskip(SKIP_1) | instid1(SALU_CYCLE_1)
	v_cmp_ne_u32_e32 vcc_lo, 0x7c, v2
                                        ; implicit-def: $vgpr2
	s_and_saveexec_b32 s13, vcc_lo
	s_xor_b32 s13, exec_lo, s13
	s_cbranch_execz .LBB6_25419
; %bb.25416:                            ;   in Loop: Header=BB6_22365 Depth=3
	v_bfe_u32 v2, v82, 2, 5
	s_mov_b32 s75, exec_lo
	s_delay_alu instid0(VALU_DEP_1)
	v_cmpx_eq_u32_e32 0, v2
; %bb.25417:                            ;   in Loop: Header=BB6_22365 Depth=3
	v_clz_i32_u32_e32 v2, v4
	s_delay_alu instid0(VALU_DEP_1) | instskip(NEXT) | instid1(VALU_DEP_1)
	v_min_u32_e32 v2, 32, v2
	v_subrev_nc_u32_e32 v4, 29, v2
	s_delay_alu instid0(VALU_DEP_1) | instskip(NEXT) | instid1(VALU_DEP_1)
	v_lshlrev_b64_e32 v[4:5], v4, v[0:1]
	v_dual_sub_nc_u32 v2, 30, v2 :: v_dual_bitop2_b32 v4, 3, v4 bitop3:0x40
; %bb.25418:                            ;   in Loop: Header=BB6_22365 Depth=3
	s_or_b32 exec_lo, exec_lo, s75
	v_lshlrev_b32_e32 v1, 24, v82
                                        ; implicit-def: $vgpr82
	s_delay_alu instid0(VALU_DEP_1) | instskip(NEXT) | instid1(VALU_DEP_1)
	v_and_b32_e32 v1, 0x80000000, v1
	v_lshl_add_u32 v1, v2, 23, v1
	s_delay_alu instid0(VALU_DEP_1) | instskip(NEXT) | instid1(VALU_DEP_1)
	v_lshl_or_b32 v1, v4, 21, v1
                                        ; implicit-def: $vgpr4
	v_add_nc_u32_e32 v2, 0x38000000, v1
.LBB6_25419:                            ;   in Loop: Header=BB6_22365 Depth=3
	s_and_not1_saveexec_b32 s75, s13
; %bb.25420:                            ;   in Loop: Header=BB6_22365 Depth=3
	v_and_b32_e32 v1, 0x80, v82
	v_cmp_eq_u32_e32 vcc_lo, 0, v4
	s_delay_alu instid0(VALU_DEP_2) | instskip(SKIP_1) | instid1(VALU_DEP_1)
	v_cmp_eq_u32_e64 s13, 0, v1
	v_mov_b32_e32 v1, 0x7f800000
	v_cndmask_b32_e64 v1, 0xff800000, v1, s13
	s_delay_alu instid0(VALU_DEP_1)
	v_cndmask_b32_e32 v2, 0x7f800001, v1, vcc_lo
; %bb.25421:                            ;   in Loop: Header=BB6_22365 Depth=3
	s_or_b32 exec_lo, exec_lo, s75
.LBB6_25422:                            ;   in Loop: Header=BB6_22365 Depth=3
	s_delay_alu instid0(SALU_CYCLE_1)
	s_or_b32 exec_lo, exec_lo, s74
.LBB6_25423:                            ;   in Loop: Header=BB6_22365 Depth=3
	s_delay_alu instid0(SALU_CYCLE_1) | instskip(SKIP_2) | instid1(VALU_DEP_1)
	s_or_b32 exec_lo, exec_lo, s73
	v_and_b32_e32 v1, 0xff, v19
	s_mov_b32 s73, exec_lo
	v_cmpx_ne_u16_e32 0, v1
	s_cbranch_execz .LBB6_25433
; %bb.25424:                            ;   in Loop: Header=BB6_22365 Depth=3
	v_bfrev_b32_e32 v3, 1
	s_mov_b32 s74, exec_lo
	v_cmpx_ne_u16_e32 0x80, v1
	s_cbranch_execz .LBB6_25432
; %bb.25425:                            ;   in Loop: Header=BB6_22365 Depth=3
	v_and_b32_e32 v3, 0x7c, v19
	v_and_b32_e32 v1, 3, v19
	s_delay_alu instid0(VALU_DEP_2) | instskip(SKIP_1) | instid1(SALU_CYCLE_1)
	v_cmp_ne_u32_e32 vcc_lo, 0x7c, v3
                                        ; implicit-def: $vgpr3
	s_and_saveexec_b32 s13, vcc_lo
	s_xor_b32 s13, exec_lo, s13
	s_cbranch_execz .LBB6_25429
; %bb.25426:                            ;   in Loop: Header=BB6_22365 Depth=3
	v_bfe_u32 v3, v19, 2, 5
	s_mov_b32 s75, exec_lo
	s_delay_alu instid0(VALU_DEP_1)
	v_cmpx_eq_u32_e32 0, v3
; %bb.25427:                            ;   in Loop: Header=BB6_22365 Depth=3
	v_clz_i32_u32_e32 v1, v1
	v_dual_mov_b32 v4, v19 :: v_dual_mov_b32 v5, v113
	s_delay_alu instid0(VALU_DEP_2) | instskip(NEXT) | instid1(VALU_DEP_1)
	v_min_u32_e32 v1, 32, v1
	v_subrev_nc_u32_e32 v3, 29, v1
	s_delay_alu instid0(VALU_DEP_1) | instskip(NEXT) | instid1(VALU_DEP_1)
	v_lshlrev_b64_e32 v[4:5], v3, v[4:5]
	v_dual_sub_nc_u32 v3, 30, v1 :: v_dual_bitop2_b32 v1, 3, v4 bitop3:0x40
; %bb.25428:                            ;   in Loop: Header=BB6_22365 Depth=3
	s_or_b32 exec_lo, exec_lo, s75
	v_lshlrev_b32_e32 v4, 24, v19
	s_delay_alu instid0(VALU_DEP_1) | instskip(NEXT) | instid1(VALU_DEP_1)
	v_and_b32_e32 v4, 0x80000000, v4
	v_lshl_add_u32 v3, v3, 23, v4
	s_delay_alu instid0(VALU_DEP_1) | instskip(NEXT) | instid1(VALU_DEP_1)
	v_lshl_or_b32 v1, v1, 21, v3
	v_add_nc_u32_e32 v3, 0x38000000, v1
                                        ; implicit-def: $vgpr1
.LBB6_25429:                            ;   in Loop: Header=BB6_22365 Depth=3
	s_and_not1_saveexec_b32 s75, s13
; %bb.25430:                            ;   in Loop: Header=BB6_22365 Depth=3
	v_bfe_i32 v3, v19, 0, 8
	v_cmp_eq_u32_e32 vcc_lo, 0, v1
	v_mov_b32_e32 v1, 0x7f800000
	s_delay_alu instid0(VALU_DEP_3) | instskip(NEXT) | instid1(VALU_DEP_1)
	v_cmp_lt_i16_e64 s13, -1, v3
	v_cndmask_b32_e64 v1, 0xff800000, v1, s13
	s_delay_alu instid0(VALU_DEP_1)
	v_cndmask_b32_e32 v3, 0x7f800001, v1, vcc_lo
; %bb.25431:                            ;   in Loop: Header=BB6_22365 Depth=3
	s_or_b32 exec_lo, exec_lo, s75
.LBB6_25432:                            ;   in Loop: Header=BB6_22365 Depth=3
	s_delay_alu instid0(SALU_CYCLE_1)
	s_or_b32 exec_lo, exec_lo, s74
.LBB6_25433:                            ;   in Loop: Header=BB6_22365 Depth=3
	s_delay_alu instid0(SALU_CYCLE_1) | instskip(NEXT) | instid1(VALU_DEP_1)
	s_or_b32 exec_lo, exec_lo, s73
	v_dual_add_f32 v4, v2, v3 :: v_dual_mov_b32 v47, v113
	v_mov_b32_e32 v3, v113
                                        ; implicit-def: $vgpr82
	s_mov_b32 s13, exec_lo
	s_delay_alu instid0(VALU_DEP_2) | instskip(SKIP_2) | instid1(VALU_DEP_3)
	v_and_b32_e32 v46, 0x7f800000, v4
	v_and_b32_e32 v2, 0x7fffff, v4
	v_lshrrev_b32_e32 v1, 24, v4
	v_cmpx_ne_u64_e32 0x7f800000, v[46:47]
	s_xor_b32 s73, exec_lo, s13
	s_cbranch_execz .LBB6_25447
; %bb.25434:                            ;   in Loop: Header=BB6_22365 Depth=3
	v_and_b32_e32 v46, 0x7fffffff, v4
	v_mov_b32_e32 v47, v113
	v_and_b32_e32 v1, 0x80, v1
                                        ; implicit-def: $vgpr82
	s_mov_b32 s13, exec_lo
	s_delay_alu instid0(VALU_DEP_2)
	v_cmpx_gt_u64_e32 0x47600001, v[46:47]
	s_xor_b32 s74, exec_lo, s13
	s_cbranch_execz .LBB6_25444
; %bb.25435:                            ;   in Loop: Header=BB6_22365 Depth=3
	v_mov_b32_e32 v82, 0
	s_mov_b32 s75, exec_lo
	v_cmpx_ne_u32_e32 0, v4
	s_cbranch_execz .LBB6_25443
; %bb.25436:                            ;   in Loop: Header=BB6_22365 Depth=3
	v_bfe_u32 v82, v4, 23, 8
	v_or_b32_e32 v5, 0x800000, v2
	s_delay_alu instid0(VALU_DEP_2) | instskip(SKIP_2) | instid1(VALU_DEP_2)
	v_cmp_gt_u32_e64 s13, 0x72, v82
	v_sub_nc_u32_e32 v4, 0x71, v82
	v_cmp_eq_u32_e32 vcc_lo, 0, v82
	v_dual_cndmask_b32 v4, 0, v4, s13 :: v_dual_cndmask_b32 v2, v5, v2, vcc_lo
	s_delay_alu instid0(VALU_DEP_1) | instskip(NEXT) | instid1(VALU_DEP_1)
	v_cndmask_b32_e64 v98, v4, 0x70, vcc_lo
	v_dual_add_nc_u32 v4, 21, v98 :: v_dual_add_nc_u32 v102, 20, v98
	s_delay_alu instid0(VALU_DEP_1) | instskip(NEXT) | instid1(VALU_DEP_2)
	v_lshlrev_b64_e64 v[4:5], v4, -1
	v_lshlrev_b64_e64 v[46:47], v102, 1
	s_delay_alu instid0(VALU_DEP_2) | instskip(SKIP_1) | instid1(VALU_DEP_4)
	v_bfi_b32 v4, v4, 0, v2
	v_lshrrev_b64 v[2:3], v98, v[2:3]
	v_bfi_b32 v5, v5, 0, 0
	s_delay_alu instid0(VALU_DEP_1) | instskip(NEXT) | instid1(VALU_DEP_3)
	v_cmp_eq_u64_e64 s13, v[4:5], v[46:47]
	v_mov_b64_e32 v[4:5], v[2:3]
	s_and_saveexec_b32 s76, s13
; %bb.25437:                            ;   in Loop: Header=BB6_22365 Depth=3
	v_bfe_u32 v4, v2, 21, 1
	v_mov_b32_e32 v5, v113
	s_delay_alu instid0(VALU_DEP_1) | instskip(NEXT) | instid1(VALU_DEP_1)
	v_add_nc_u64_e32 v[4:5], v[2:3], v[4:5]
	v_add_nc_u64_e32 v[4:5], -1, v[4:5]
; %bb.25438:                            ;   in Loop: Header=BB6_22365 Depth=3
	s_or_b32 exec_lo, exec_lo, s76
	v_add_nc_u32_e32 v3, 0xffffff81, v82
	v_lshrrev_b32_e32 v5, 23, v2
	s_mov_b32 s13, exec_lo
	s_delay_alu instid0(VALU_DEP_2) | instskip(NEXT) | instid1(VALU_DEP_1)
	v_cndmask_b32_e64 v3, v3, 0xffffff82, vcc_lo
	v_add3_u32 v82, v98, v3, v5
	v_and_b32_e32 v3, 0x1fffff, v4
                                        ; implicit-def: $vgpr4
	s_delay_alu instid0(VALU_DEP_2) | instskip(NEXT) | instid1(VALU_DEP_2)
	v_add_nc_u32_e32 v5, 14, v82
	v_dual_mov_b32 v3, v113 :: v_dual_add_nc_u32 v2, v3, v2
	s_delay_alu instid0(VALU_DEP_2)
	v_cmpx_ne_u32_e32 0, v5
	s_xor_b32 s13, exec_lo, s13
; %bb.25439:                            ;   in Loop: Header=BB6_22365 Depth=3
	s_delay_alu instid0(VALU_DEP_2) | instskip(SKIP_1) | instid1(VALU_DEP_1)
	v_cmp_lt_u64_e32 vcc_lo, 0xffffff, v[2:3]
	v_add_nc_u32_e32 v4, 15, v82
	v_cndmask_b32_e32 v4, v5, v4, vcc_lo
	v_cndmask_b32_e64 v5, 0, 1, vcc_lo
	s_delay_alu instid0(VALU_DEP_1)
	v_lshrrev_b64 v[2:3], v5, v[2:3]
; %bb.25440:                            ;   in Loop: Header=BB6_22365 Depth=3
	s_and_not1_saveexec_b32 s13, s13
; %bb.25441:                            ;   in Loop: Header=BB6_22365 Depth=3
	s_delay_alu instid0(VALU_DEP_1)
	v_bfe_u32 v4, v2, 23, 1
; %bb.25442:                            ;   in Loop: Header=BB6_22365 Depth=3
	s_or_b32 exec_lo, exec_lo, s13
	s_delay_alu instid0(VALU_DEP_2) | instskip(NEXT) | instid1(VALU_DEP_2)
	v_lshrrev_b64 v[2:3], 21, v[2:3]
	v_cmp_gt_i32_e32 vcc_lo, 32, v4
	v_min_i32_e32 v5, 31, v4
	v_cmp_eq_u32_e64 s13, 0, v4
	s_delay_alu instid0(VALU_DEP_2) | instskip(SKIP_1) | instid1(VALU_DEP_2)
	v_dual_cndmask_b32 v3, 0, v3, vcc_lo :: v_dual_lshlrev_b32 v5, 2, v5
	v_cndmask_b32_e32 v2, 3, v2, vcc_lo
	v_and_b32_e32 v5, 0xfc, v5
	s_delay_alu instid0(VALU_DEP_2) | instskip(NEXT) | instid1(VALU_DEP_2)
	v_cmp_eq_u64_e32 vcc_lo, 0, v[2:3]
	v_and_or_b32 v2, v2, 3, v5
	s_and_b32 s13, s13, vcc_lo
	s_delay_alu instid0(VALU_DEP_1) | instid1(SALU_CYCLE_1)
	v_cndmask_b32_e64 v2, v2, 0, s13
	s_delay_alu instid0(VALU_DEP_1)
	v_or_b32_e32 v82, v2, v1
.LBB6_25443:                            ;   in Loop: Header=BB6_22365 Depth=3
	s_or_b32 exec_lo, exec_lo, s75
                                        ; implicit-def: $vgpr1
.LBB6_25444:                            ;   in Loop: Header=BB6_22365 Depth=3
	s_and_not1_saveexec_b32 s13, s74
; %bb.25445:                            ;   in Loop: Header=BB6_22365 Depth=3
	v_or_b32_e32 v82, 0x7b, v1
; %bb.25446:                            ;   in Loop: Header=BB6_22365 Depth=3
	s_or_b32 exec_lo, exec_lo, s13
                                        ; implicit-def: $vgpr4
                                        ; implicit-def: $vgpr2_vgpr3
                                        ; implicit-def: $vgpr1
.LBB6_25447:                            ;   in Loop: Header=BB6_22365 Depth=3
	s_and_not1_saveexec_b32 s13, s73
	s_cbranch_execz .LBB6_25453
; %bb.25448:                            ;   in Loop: Header=BB6_22365 Depth=3
	s_mov_b32 s73, exec_lo
                                        ; implicit-def: $vgpr82
	v_cmpx_ne_u64_e32 0, v[2:3]
	s_xor_b32 s73, exec_lo, s73
; %bb.25449:                            ;   in Loop: Header=BB6_22365 Depth=3
	v_or_b32_e32 v82, 0x7f, v1
                                        ; implicit-def: $vgpr4
; %bb.25450:                            ;   in Loop: Header=BB6_22365 Depth=3
	s_and_not1_saveexec_b32 s73, s73
; %bb.25451:                            ;   in Loop: Header=BB6_22365 Depth=3
	v_cmp_lt_i32_e32 vcc_lo, -1, v4
	v_mov_b32_e32 v1, 0x7c
	s_delay_alu instid0(VALU_DEP_1)
	v_cndmask_b32_e32 v82, 0xfc, v1, vcc_lo
; %bb.25452:                            ;   in Loop: Header=BB6_22365 Depth=3
	s_or_b32 exec_lo, exec_lo, s73
.LBB6_25453:                            ;   in Loop: Header=BB6_22365 Depth=3
	s_delay_alu instid0(SALU_CYCLE_1) | instskip(SKIP_3) | instid1(VALU_DEP_2)
	s_or_b32 exec_lo, exec_lo, s13
	v_lshrrev_b16 v2, 8, v96
	v_dual_mov_b32 v1, 0 :: v_dual_mov_b32 v4, 0
	s_mov_b32 s73, exec_lo
	v_cmpx_ne_u16_e32 0, v2
	s_cbranch_execz .LBB6_25463
; %bb.25454:                            ;   in Loop: Header=BB6_22365 Depth=3
	v_bfrev_b32_e32 v4, 1
	s_mov_b32 s74, exec_lo
	v_cmpx_ne_u16_e32 0x80, v2
	s_cbranch_execz .LBB6_25462
; %bb.25455:                            ;   in Loop: Header=BB6_22365 Depth=3
	v_and_b32_e32 v5, 0xffff, v2
	s_delay_alu instid0(VALU_DEP_1) | instskip(SKIP_1) | instid1(VALU_DEP_2)
	v_and_b32_e32 v4, 0x7c, v5
	v_and_b32_e32 v3, 3, v5
	v_cmp_ne_u32_e32 vcc_lo, 0x7c, v4
                                        ; implicit-def: $vgpr4
	s_and_saveexec_b32 s13, vcc_lo
	s_delay_alu instid0(SALU_CYCLE_1)
	s_xor_b32 s13, exec_lo, s13
	s_cbranch_execz .LBB6_25459
; %bb.25456:                            ;   in Loop: Header=BB6_22365 Depth=3
	v_bfe_u32 v4, v5, 2, 5
	s_mov_b32 s75, exec_lo
	s_delay_alu instid0(VALU_DEP_1)
	v_cmpx_eq_u32_e32 0, v4
	s_cbranch_execz .LBB6_25458
; %bb.25457:                            ;   in Loop: Header=BB6_22365 Depth=3
	v_clz_i32_u32_e32 v3, v3
	s_delay_alu instid0(VALU_DEP_1) | instskip(SKIP_1) | instid1(VALU_DEP_2)
	v_min_u32_e32 v4, 32, v3
	v_mov_b32_e32 v3, v113
	v_subrev_nc_u32_e32 v5, 29, v4
	v_sub_nc_u32_e32 v4, 30, v4
	s_delay_alu instid0(VALU_DEP_2) | instskip(NEXT) | instid1(VALU_DEP_1)
	v_lshlrev_b64_e32 v[2:3], v5, v[2:3]
	v_and_b32_e32 v3, 3, v2
.LBB6_25458:                            ;   in Loop: Header=BB6_22365 Depth=3
	s_or_b32 exec_lo, exec_lo, s75
	v_lshlrev_b32_e32 v2, 16, v96
                                        ; implicit-def: $vgpr96
	s_delay_alu instid0(VALU_DEP_1) | instskip(NEXT) | instid1(VALU_DEP_1)
	v_and_b32_e32 v2, 0x80000000, v2
	v_lshl_add_u32 v2, v4, 23, v2
	s_delay_alu instid0(VALU_DEP_1) | instskip(NEXT) | instid1(VALU_DEP_1)
	v_lshl_or_b32 v2, v3, 21, v2
                                        ; implicit-def: $vgpr3
	v_add_nc_u32_e32 v4, 0x38000000, v2
.LBB6_25459:                            ;   in Loop: Header=BB6_22365 Depth=3
	s_and_not1_saveexec_b32 s75, s13
; %bb.25460:                            ;   in Loop: Header=BB6_22365 Depth=3
	v_cmp_lt_i16_e64 s13, -1, v96
	v_mov_b32_e32 v2, 0x7f800000
	v_cmp_eq_u32_e32 vcc_lo, 0, v3
	s_delay_alu instid0(VALU_DEP_2) | instskip(NEXT) | instid1(VALU_DEP_1)
	v_cndmask_b32_e64 v2, 0xff800000, v2, s13
	v_cndmask_b32_e32 v4, 0x7f800001, v2, vcc_lo
; %bb.25461:                            ;   in Loop: Header=BB6_22365 Depth=3
	s_or_b32 exec_lo, exec_lo, s75
.LBB6_25462:                            ;   in Loop: Header=BB6_22365 Depth=3
	s_delay_alu instid0(SALU_CYCLE_1)
	s_or_b32 exec_lo, exec_lo, s74
.LBB6_25463:                            ;   in Loop: Header=BB6_22365 Depth=3
	s_delay_alu instid0(SALU_CYCLE_1) | instskip(SKIP_2) | instid1(VALU_DEP_1)
	s_or_b32 exec_lo, exec_lo, s73
	v_lshrrev_b16 v2, 8, v19
	s_mov_b32 s73, exec_lo
	v_cmpx_ne_u16_e32 0, v2
	s_cbranch_execz .LBB6_25473
; %bb.25464:                            ;   in Loop: Header=BB6_22365 Depth=3
	v_bfrev_b32_e32 v1, 1
	s_mov_b32 s74, exec_lo
	v_cmpx_ne_u16_e32 0x80, v2
	s_cbranch_execz .LBB6_25472
; %bb.25465:                            ;   in Loop: Header=BB6_22365 Depth=3
	v_and_b32_e32 v5, 0xffff, v2
	s_delay_alu instid0(VALU_DEP_1) | instskip(SKIP_1) | instid1(VALU_DEP_2)
	v_and_b32_e32 v1, 0x7c, v5
	v_and_b32_e32 v3, 3, v5
	v_cmp_ne_u32_e32 vcc_lo, 0x7c, v1
                                        ; implicit-def: $vgpr1
	s_and_saveexec_b32 s13, vcc_lo
	s_delay_alu instid0(SALU_CYCLE_1)
	s_xor_b32 s13, exec_lo, s13
	s_cbranch_execz .LBB6_25469
; %bb.25466:                            ;   in Loop: Header=BB6_22365 Depth=3
	v_bfe_u32 v1, v5, 2, 5
	s_mov_b32 s75, exec_lo
	s_delay_alu instid0(VALU_DEP_1)
	v_cmpx_eq_u32_e32 0, v1
	s_cbranch_execz .LBB6_25468
; %bb.25467:                            ;   in Loop: Header=BB6_22365 Depth=3
	v_clz_i32_u32_e32 v1, v3
	s_delay_alu instid0(VALU_DEP_1) | instskip(SKIP_1) | instid1(VALU_DEP_2)
	v_min_u32_e32 v1, 32, v1
	v_mov_b32_e32 v3, v113
	v_subrev_nc_u32_e32 v5, 29, v1
	v_sub_nc_u32_e32 v1, 30, v1
	s_delay_alu instid0(VALU_DEP_2) | instskip(NEXT) | instid1(VALU_DEP_1)
	v_lshlrev_b64_e32 v[2:3], v5, v[2:3]
	v_and_b32_e32 v3, 3, v2
.LBB6_25468:                            ;   in Loop: Header=BB6_22365 Depth=3
	s_or_b32 exec_lo, exec_lo, s75
	v_lshlrev_b32_e32 v2, 16, v19
	s_delay_alu instid0(VALU_DEP_1) | instskip(NEXT) | instid1(VALU_DEP_1)
	v_and_b32_e32 v2, 0x80000000, v2
	v_lshl_add_u32 v1, v1, 23, v2
	s_delay_alu instid0(VALU_DEP_1) | instskip(NEXT) | instid1(VALU_DEP_1)
	v_lshl_or_b32 v1, v3, 21, v1
                                        ; implicit-def: $vgpr3
	v_add_nc_u32_e32 v1, 0x38000000, v1
.LBB6_25469:                            ;   in Loop: Header=BB6_22365 Depth=3
	s_and_not1_saveexec_b32 s75, s13
; %bb.25470:                            ;   in Loop: Header=BB6_22365 Depth=3
	v_cmp_lt_i16_e64 s13, -1, v19
	v_mov_b32_e32 v1, 0x7f800000
	v_cmp_eq_u32_e32 vcc_lo, 0, v3
	s_delay_alu instid0(VALU_DEP_2) | instskip(NEXT) | instid1(VALU_DEP_1)
	v_cndmask_b32_e64 v1, 0xff800000, v1, s13
	v_cndmask_b32_e32 v1, 0x7f800001, v1, vcc_lo
; %bb.25471:                            ;   in Loop: Header=BB6_22365 Depth=3
	s_or_b32 exec_lo, exec_lo, s75
.LBB6_25472:                            ;   in Loop: Header=BB6_22365 Depth=3
	s_delay_alu instid0(SALU_CYCLE_1)
	s_or_b32 exec_lo, exec_lo, s74
.LBB6_25473:                            ;   in Loop: Header=BB6_22365 Depth=3
	s_delay_alu instid0(SALU_CYCLE_1) | instskip(NEXT) | instid1(VALU_DEP_1)
	s_or_b32 exec_lo, exec_lo, s73
	v_dual_add_f32 v4, v4, v1 :: v_dual_mov_b32 v47, v113
	v_mov_b32_e32 v3, v113
                                        ; implicit-def: $vgpr96
	s_mov_b32 s13, exec_lo
	s_delay_alu instid0(VALU_DEP_2) | instskip(SKIP_2) | instid1(VALU_DEP_3)
	v_and_b32_e32 v46, 0x7f800000, v4
	v_and_b32_e32 v2, 0x7fffff, v4
	v_lshrrev_b32_e32 v1, 24, v4
	v_cmpx_ne_u64_e32 0x7f800000, v[46:47]
	s_xor_b32 s73, exec_lo, s13
	s_cbranch_execz .LBB6_25487
; %bb.25474:                            ;   in Loop: Header=BB6_22365 Depth=3
	v_and_b32_e32 v46, 0x7fffffff, v4
	v_mov_b32_e32 v47, v113
	v_and_b32_e32 v1, 0x80, v1
                                        ; implicit-def: $vgpr96
	s_mov_b32 s13, exec_lo
	s_delay_alu instid0(VALU_DEP_2)
	v_cmpx_gt_u64_e32 0x47600001, v[46:47]
	s_xor_b32 s74, exec_lo, s13
	s_cbranch_execz .LBB6_25484
; %bb.25475:                            ;   in Loop: Header=BB6_22365 Depth=3
	v_mov_b32_e32 v96, 0
	s_mov_b32 s75, exec_lo
	v_cmpx_ne_u32_e32 0, v4
	s_cbranch_execz .LBB6_25483
; %bb.25476:                            ;   in Loop: Header=BB6_22365 Depth=3
	v_bfe_u32 v96, v4, 23, 8
	v_or_b32_e32 v5, 0x800000, v2
	s_delay_alu instid0(VALU_DEP_2) | instskip(SKIP_2) | instid1(VALU_DEP_2)
	v_cmp_gt_u32_e64 s13, 0x72, v96
	v_sub_nc_u32_e32 v4, 0x71, v96
	v_cmp_eq_u32_e32 vcc_lo, 0, v96
	v_dual_cndmask_b32 v4, 0, v4, s13 :: v_dual_cndmask_b32 v2, v5, v2, vcc_lo
	s_delay_alu instid0(VALU_DEP_1) | instskip(NEXT) | instid1(VALU_DEP_1)
	v_cndmask_b32_e64 v98, v4, 0x70, vcc_lo
	v_dual_add_nc_u32 v4, 21, v98 :: v_dual_add_nc_u32 v102, 20, v98
	s_delay_alu instid0(VALU_DEP_1) | instskip(NEXT) | instid1(VALU_DEP_2)
	v_lshlrev_b64_e64 v[4:5], v4, -1
	v_lshlrev_b64_e64 v[46:47], v102, 1
	s_delay_alu instid0(VALU_DEP_2) | instskip(SKIP_1) | instid1(VALU_DEP_4)
	v_bfi_b32 v4, v4, 0, v2
	v_lshrrev_b64 v[2:3], v98, v[2:3]
	v_bfi_b32 v5, v5, 0, 0
	s_delay_alu instid0(VALU_DEP_1) | instskip(NEXT) | instid1(VALU_DEP_3)
	v_cmp_eq_u64_e64 s13, v[4:5], v[46:47]
	v_mov_b64_e32 v[4:5], v[2:3]
	s_and_saveexec_b32 s76, s13
; %bb.25477:                            ;   in Loop: Header=BB6_22365 Depth=3
	v_bfe_u32 v4, v2, 21, 1
	v_mov_b32_e32 v5, v113
	s_delay_alu instid0(VALU_DEP_1) | instskip(NEXT) | instid1(VALU_DEP_1)
	v_add_nc_u64_e32 v[4:5], v[2:3], v[4:5]
	v_add_nc_u64_e32 v[4:5], -1, v[4:5]
; %bb.25478:                            ;   in Loop: Header=BB6_22365 Depth=3
	s_or_b32 exec_lo, exec_lo, s76
	v_add_nc_u32_e32 v3, 0xffffff81, v96
	v_lshrrev_b32_e32 v5, 23, v2
	s_mov_b32 s13, exec_lo
	s_delay_alu instid0(VALU_DEP_2) | instskip(NEXT) | instid1(VALU_DEP_1)
	v_cndmask_b32_e64 v3, v3, 0xffffff82, vcc_lo
	v_add3_u32 v96, v98, v3, v5
	v_and_b32_e32 v3, 0x1fffff, v4
                                        ; implicit-def: $vgpr4
	s_delay_alu instid0(VALU_DEP_1) | instskip(SKIP_1) | instid1(VALU_DEP_2)
	v_dual_add_nc_u32 v5, 14, v96 :: v_dual_add_nc_u32 v2, v3, v2
	v_mov_b32_e32 v3, v113
	v_cmpx_ne_u32_e32 0, v5
	s_xor_b32 s13, exec_lo, s13
; %bb.25479:                            ;   in Loop: Header=BB6_22365 Depth=3
	s_delay_alu instid0(VALU_DEP_2) | instskip(SKIP_1) | instid1(VALU_DEP_1)
	v_cmp_lt_u64_e32 vcc_lo, 0xffffff, v[2:3]
	v_add_nc_u32_e32 v4, 15, v96
	v_cndmask_b32_e32 v4, v5, v4, vcc_lo
	v_cndmask_b32_e64 v5, 0, 1, vcc_lo
	s_delay_alu instid0(VALU_DEP_1)
	v_lshrrev_b64 v[2:3], v5, v[2:3]
; %bb.25480:                            ;   in Loop: Header=BB6_22365 Depth=3
	s_and_not1_saveexec_b32 s13, s13
; %bb.25481:                            ;   in Loop: Header=BB6_22365 Depth=3
	s_delay_alu instid0(VALU_DEP_1)
	v_bfe_u32 v4, v2, 23, 1
; %bb.25482:                            ;   in Loop: Header=BB6_22365 Depth=3
	s_or_b32 exec_lo, exec_lo, s13
	s_delay_alu instid0(VALU_DEP_2) | instskip(NEXT) | instid1(VALU_DEP_2)
	v_lshrrev_b64 v[2:3], 21, v[2:3]
	v_cmp_gt_i32_e32 vcc_lo, 32, v4
	v_min_i32_e32 v5, 31, v4
	v_cmp_eq_u32_e64 s13, 0, v4
	s_delay_alu instid0(VALU_DEP_2) | instskip(SKIP_1) | instid1(VALU_DEP_2)
	v_dual_cndmask_b32 v3, 0, v3, vcc_lo :: v_dual_lshlrev_b32 v5, 2, v5
	v_cndmask_b32_e32 v2, 3, v2, vcc_lo
	v_and_b32_e32 v5, 0xfc, v5
	s_delay_alu instid0(VALU_DEP_2) | instskip(NEXT) | instid1(VALU_DEP_2)
	v_cmp_eq_u64_e32 vcc_lo, 0, v[2:3]
	v_and_or_b32 v2, v2, 3, v5
	s_and_b32 s13, s13, vcc_lo
	s_delay_alu instid0(VALU_DEP_1) | instid1(SALU_CYCLE_1)
	v_cndmask_b32_e64 v2, v2, 0, s13
	s_delay_alu instid0(VALU_DEP_1)
	v_or_b32_e32 v96, v2, v1
.LBB6_25483:                            ;   in Loop: Header=BB6_22365 Depth=3
	s_or_b32 exec_lo, exec_lo, s75
                                        ; implicit-def: $vgpr1
.LBB6_25484:                            ;   in Loop: Header=BB6_22365 Depth=3
	s_and_not1_saveexec_b32 s13, s74
; %bb.25485:                            ;   in Loop: Header=BB6_22365 Depth=3
	v_or_b32_e32 v96, 0x7b, v1
; %bb.25486:                            ;   in Loop: Header=BB6_22365 Depth=3
	s_or_b32 exec_lo, exec_lo, s13
                                        ; implicit-def: $vgpr4
                                        ; implicit-def: $vgpr2_vgpr3
                                        ; implicit-def: $vgpr1
.LBB6_25487:                            ;   in Loop: Header=BB6_22365 Depth=3
	s_and_not1_saveexec_b32 s13, s73
	s_cbranch_execz .LBB6_25493
; %bb.25488:                            ;   in Loop: Header=BB6_22365 Depth=3
	s_mov_b32 s73, exec_lo
                                        ; implicit-def: $vgpr96
	v_cmpx_ne_u64_e32 0, v[2:3]
	s_xor_b32 s73, exec_lo, s73
; %bb.25489:                            ;   in Loop: Header=BB6_22365 Depth=3
	v_or_b32_e32 v96, 0x7f, v1
                                        ; implicit-def: $vgpr4
; %bb.25490:                            ;   in Loop: Header=BB6_22365 Depth=3
	s_and_not1_saveexec_b32 s73, s73
; %bb.25491:                            ;   in Loop: Header=BB6_22365 Depth=3
	v_cmp_lt_i32_e32 vcc_lo, -1, v4
	v_mov_b32_e32 v1, 0x7c
	s_delay_alu instid0(VALU_DEP_1)
	v_cndmask_b32_e32 v96, 0xfc, v1, vcc_lo
; %bb.25492:                            ;   in Loop: Header=BB6_22365 Depth=3
	s_or_b32 exec_lo, exec_lo, s73
.LBB6_25493:                            ;   in Loop: Header=BB6_22365 Depth=3
	s_delay_alu instid0(SALU_CYCLE_1) | instskip(SKIP_3) | instid1(VALU_DEP_2)
	s_or_b32 exec_lo, exec_lo, s13
	v_dual_mov_b32 v1, 0 :: v_dual_lshrrev_b32 v2, 16, v0
	v_mov_b32_e32 v3, 0
	s_mov_b32 s73, exec_lo
	v_and_b32_e32 v4, 0xff, v2
	s_delay_alu instid0(VALU_DEP_1)
	v_cmpx_ne_u16_e32 0, v4
	s_cbranch_execz .LBB6_25503
; %bb.25494:                            ;   in Loop: Header=BB6_22365 Depth=3
	v_bfrev_b32_e32 v3, 1
	s_mov_b32 s74, exec_lo
	v_cmpx_ne_u16_e32 0x80, v4
	s_cbranch_execz .LBB6_25502
; %bb.25495:                            ;   in Loop: Header=BB6_22365 Depth=3
	v_and_b32_e32 v3, 0x7c0000, v0
	v_bfe_u32 v4, v0, 16, 2
	s_delay_alu instid0(VALU_DEP_2) | instskip(SKIP_1) | instid1(SALU_CYCLE_1)
	v_cmp_ne_u32_e32 vcc_lo, 0x7c0000, v3
                                        ; implicit-def: $vgpr3
	s_and_saveexec_b32 s13, vcc_lo
	s_xor_b32 s13, exec_lo, s13
	s_cbranch_execz .LBB6_25499
; %bb.25496:                            ;   in Loop: Header=BB6_22365 Depth=3
	v_bfe_u32 v3, v0, 18, 5
	s_mov_b32 s75, exec_lo
	s_delay_alu instid0(VALU_DEP_1)
	v_cmpx_eq_u32_e32 0, v3
; %bb.25497:                            ;   in Loop: Header=BB6_22365 Depth=3
	v_clz_i32_u32_e32 v3, v4
	s_delay_alu instid0(VALU_DEP_1) | instskip(NEXT) | instid1(VALU_DEP_1)
	v_min_u32_e32 v3, 32, v3
	v_subrev_nc_u32_e32 v4, 29, v3
	s_delay_alu instid0(VALU_DEP_1) | instskip(NEXT) | instid1(VALU_DEP_1)
	v_lshlrev_b64_e32 v[4:5], v4, v[2:3]
	v_dual_sub_nc_u32 v3, 30, v3 :: v_dual_bitop2_b32 v4, 3, v4 bitop3:0x40
; %bb.25498:                            ;   in Loop: Header=BB6_22365 Depth=3
	s_or_b32 exec_lo, exec_lo, s75
	v_lshlrev_b32_e32 v2, 24, v2
	s_delay_alu instid0(VALU_DEP_1) | instskip(NEXT) | instid1(VALU_DEP_1)
	v_and_b32_e32 v2, 0x80000000, v2
	v_lshl_add_u32 v2, v3, 23, v2
	s_delay_alu instid0(VALU_DEP_1) | instskip(NEXT) | instid1(VALU_DEP_1)
	v_lshl_or_b32 v2, v4, 21, v2
                                        ; implicit-def: $vgpr4
	v_add_nc_u32_e32 v3, 0x38000000, v2
                                        ; implicit-def: $vgpr2
.LBB6_25499:                            ;   in Loop: Header=BB6_22365 Depth=3
	s_and_not1_saveexec_b32 s75, s13
; %bb.25500:                            ;   in Loop: Header=BB6_22365 Depth=3
	v_bfe_i32 v2, v2, 0, 8
	v_cmp_eq_u32_e32 vcc_lo, 0, v4
	s_delay_alu instid0(VALU_DEP_2) | instskip(SKIP_1) | instid1(VALU_DEP_1)
	v_cmp_lt_i16_e64 s13, -1, v2
	v_mov_b32_e32 v2, 0x7f800000
	v_cndmask_b32_e64 v2, 0xff800000, v2, s13
	s_delay_alu instid0(VALU_DEP_1)
	v_cndmask_b32_e32 v3, 0x7f800001, v2, vcc_lo
; %bb.25501:                            ;   in Loop: Header=BB6_22365 Depth=3
	s_or_b32 exec_lo, exec_lo, s75
.LBB6_25502:                            ;   in Loop: Header=BB6_22365 Depth=3
	s_delay_alu instid0(SALU_CYCLE_1)
	s_or_b32 exec_lo, exec_lo, s74
.LBB6_25503:                            ;   in Loop: Header=BB6_22365 Depth=3
	s_delay_alu instid0(SALU_CYCLE_1) | instskip(SKIP_2) | instid1(VALU_DEP_1)
	s_or_b32 exec_lo, exec_lo, s73
	v_lshrrev_b32_e32 v2, 16, v19
	s_mov_b32 s73, exec_lo
	v_and_b32_e32 v4, 0xff, v2
	s_delay_alu instid0(VALU_DEP_1)
	v_cmpx_ne_u16_e32 0, v4
	s_cbranch_execz .LBB6_25513
; %bb.25504:                            ;   in Loop: Header=BB6_22365 Depth=3
	v_bfrev_b32_e32 v1, 1
	s_mov_b32 s74, exec_lo
	v_cmpx_ne_u16_e32 0x80, v4
	s_cbranch_execz .LBB6_25512
; %bb.25505:                            ;   in Loop: Header=BB6_22365 Depth=3
	v_and_b32_e32 v1, 0x7c0000, v19
	v_bfe_u32 v4, v19, 16, 2
	s_delay_alu instid0(VALU_DEP_2) | instskip(SKIP_1) | instid1(SALU_CYCLE_1)
	v_cmp_ne_u32_e32 vcc_lo, 0x7c0000, v1
                                        ; implicit-def: $vgpr1
	s_and_saveexec_b32 s13, vcc_lo
	s_xor_b32 s13, exec_lo, s13
	s_cbranch_execz .LBB6_25509
; %bb.25506:                            ;   in Loop: Header=BB6_22365 Depth=3
	v_bfe_u32 v1, v19, 18, 5
	s_mov_b32 s75, exec_lo
	s_delay_alu instid0(VALU_DEP_1)
	v_cmpx_eq_u32_e32 0, v1
; %bb.25507:                            ;   in Loop: Header=BB6_22365 Depth=3
	v_clz_i32_u32_e32 v1, v4
	s_delay_alu instid0(VALU_DEP_1) | instskip(NEXT) | instid1(VALU_DEP_1)
	v_min_u32_e32 v1, 32, v1
	v_subrev_nc_u32_e32 v4, 29, v1
	s_delay_alu instid0(VALU_DEP_1) | instskip(NEXT) | instid1(VALU_DEP_1)
	v_lshlrev_b64_e32 v[4:5], v4, v[2:3]
	v_dual_sub_nc_u32 v1, 30, v1 :: v_dual_bitop2_b32 v4, 3, v4 bitop3:0x40
; %bb.25508:                            ;   in Loop: Header=BB6_22365 Depth=3
	s_or_b32 exec_lo, exec_lo, s75
	v_lshlrev_b32_e32 v2, 24, v2
	s_delay_alu instid0(VALU_DEP_1) | instskip(NEXT) | instid1(VALU_DEP_1)
	v_and_b32_e32 v2, 0x80000000, v2
	v_lshl_add_u32 v1, v1, 23, v2
                                        ; implicit-def: $vgpr2
	s_delay_alu instid0(VALU_DEP_1) | instskip(NEXT) | instid1(VALU_DEP_1)
	v_lshl_or_b32 v1, v4, 21, v1
                                        ; implicit-def: $vgpr4
	v_add_nc_u32_e32 v1, 0x38000000, v1
.LBB6_25509:                            ;   in Loop: Header=BB6_22365 Depth=3
	s_and_not1_saveexec_b32 s75, s13
; %bb.25510:                            ;   in Loop: Header=BB6_22365 Depth=3
	v_bfe_i32 v1, v2, 0, 8
	v_cmp_eq_u32_e32 vcc_lo, 0, v4
	s_delay_alu instid0(VALU_DEP_2) | instskip(SKIP_1) | instid1(VALU_DEP_1)
	v_cmp_lt_i16_e64 s13, -1, v1
	v_mov_b32_e32 v1, 0x7f800000
	v_cndmask_b32_e64 v1, 0xff800000, v1, s13
	s_delay_alu instid0(VALU_DEP_1)
	v_cndmask_b32_e32 v1, 0x7f800001, v1, vcc_lo
; %bb.25511:                            ;   in Loop: Header=BB6_22365 Depth=3
	s_or_b32 exec_lo, exec_lo, s75
.LBB6_25512:                            ;   in Loop: Header=BB6_22365 Depth=3
	s_delay_alu instid0(SALU_CYCLE_1)
	s_or_b32 exec_lo, exec_lo, s74
.LBB6_25513:                            ;   in Loop: Header=BB6_22365 Depth=3
	s_delay_alu instid0(SALU_CYCLE_1) | instskip(NEXT) | instid1(VALU_DEP_1)
	s_or_b32 exec_lo, exec_lo, s73
	v_dual_add_f32 v4, v3, v1 :: v_dual_mov_b32 v47, v113
	v_mov_b32_e32 v3, v113
                                        ; implicit-def: $vgpr98
	s_mov_b32 s13, exec_lo
	s_delay_alu instid0(VALU_DEP_2) | instskip(SKIP_2) | instid1(VALU_DEP_3)
	v_and_b32_e32 v46, 0x7f800000, v4
	v_and_b32_e32 v2, 0x7fffff, v4
	v_lshrrev_b32_e32 v1, 24, v4
	v_cmpx_ne_u64_e32 0x7f800000, v[46:47]
	s_xor_b32 s73, exec_lo, s13
	s_cbranch_execz .LBB6_25527
; %bb.25514:                            ;   in Loop: Header=BB6_22365 Depth=3
	v_and_b32_e32 v46, 0x7fffffff, v4
	v_mov_b32_e32 v47, v113
	v_and_b32_e32 v1, 0x80, v1
                                        ; implicit-def: $vgpr98
	s_mov_b32 s13, exec_lo
	s_delay_alu instid0(VALU_DEP_2)
	v_cmpx_gt_u64_e32 0x47600001, v[46:47]
	s_xor_b32 s74, exec_lo, s13
	s_cbranch_execz .LBB6_25524
; %bb.25515:                            ;   in Loop: Header=BB6_22365 Depth=3
	v_mov_b32_e32 v98, 0
	s_mov_b32 s75, exec_lo
	v_cmpx_ne_u32_e32 0, v4
	s_cbranch_execz .LBB6_25523
; %bb.25516:                            ;   in Loop: Header=BB6_22365 Depth=3
	v_bfe_u32 v98, v4, 23, 8
	v_or_b32_e32 v5, 0x800000, v2
	s_delay_alu instid0(VALU_DEP_2) | instskip(SKIP_2) | instid1(VALU_DEP_2)
	v_cmp_gt_u32_e64 s13, 0x72, v98
	v_sub_nc_u32_e32 v4, 0x71, v98
	v_cmp_eq_u32_e32 vcc_lo, 0, v98
	v_dual_cndmask_b32 v4, 0, v4, s13 :: v_dual_cndmask_b32 v2, v5, v2, vcc_lo
	s_delay_alu instid0(VALU_DEP_1) | instskip(NEXT) | instid1(VALU_DEP_1)
	v_cndmask_b32_e64 v102, v4, 0x70, vcc_lo
	v_dual_add_nc_u32 v4, 21, v102 :: v_dual_add_nc_u32 v116, 20, v102
	s_delay_alu instid0(VALU_DEP_1) | instskip(NEXT) | instid1(VALU_DEP_2)
	v_lshlrev_b64_e64 v[4:5], v4, -1
	v_lshlrev_b64_e64 v[46:47], v116, 1
	s_delay_alu instid0(VALU_DEP_2) | instskip(SKIP_1) | instid1(VALU_DEP_4)
	v_bfi_b32 v4, v4, 0, v2
	v_lshrrev_b64 v[2:3], v102, v[2:3]
	v_bfi_b32 v5, v5, 0, 0
	s_delay_alu instid0(VALU_DEP_1) | instskip(NEXT) | instid1(VALU_DEP_3)
	v_cmp_eq_u64_e64 s13, v[4:5], v[46:47]
	v_mov_b64_e32 v[4:5], v[2:3]
	s_and_saveexec_b32 s76, s13
; %bb.25517:                            ;   in Loop: Header=BB6_22365 Depth=3
	v_bfe_u32 v4, v2, 21, 1
	v_mov_b32_e32 v5, v113
	s_delay_alu instid0(VALU_DEP_1) | instskip(NEXT) | instid1(VALU_DEP_1)
	v_add_nc_u64_e32 v[4:5], v[2:3], v[4:5]
	v_add_nc_u64_e32 v[4:5], -1, v[4:5]
; %bb.25518:                            ;   in Loop: Header=BB6_22365 Depth=3
	s_or_b32 exec_lo, exec_lo, s76
	v_add_nc_u32_e32 v3, 0xffffff81, v98
	v_lshrrev_b32_e32 v5, 23, v2
	s_mov_b32 s13, exec_lo
	s_delay_alu instid0(VALU_DEP_2) | instskip(NEXT) | instid1(VALU_DEP_1)
	v_cndmask_b32_e64 v3, v3, 0xffffff82, vcc_lo
	v_add3_u32 v98, v102, v3, v5
	v_and_b32_e32 v3, 0x1fffff, v4
                                        ; implicit-def: $vgpr4
	s_delay_alu instid0(VALU_DEP_2) | instskip(NEXT) | instid1(VALU_DEP_2)
	v_add_nc_u32_e32 v5, 14, v98
	v_dual_mov_b32 v3, v113 :: v_dual_add_nc_u32 v2, v3, v2
	s_delay_alu instid0(VALU_DEP_2)
	v_cmpx_ne_u32_e32 0, v5
	s_xor_b32 s13, exec_lo, s13
; %bb.25519:                            ;   in Loop: Header=BB6_22365 Depth=3
	s_delay_alu instid0(VALU_DEP_2) | instskip(SKIP_1) | instid1(VALU_DEP_1)
	v_cmp_lt_u64_e32 vcc_lo, 0xffffff, v[2:3]
	v_add_nc_u32_e32 v4, 15, v98
	v_cndmask_b32_e32 v4, v5, v4, vcc_lo
	v_cndmask_b32_e64 v5, 0, 1, vcc_lo
	s_delay_alu instid0(VALU_DEP_1)
	v_lshrrev_b64 v[2:3], v5, v[2:3]
; %bb.25520:                            ;   in Loop: Header=BB6_22365 Depth=3
	s_and_not1_saveexec_b32 s13, s13
; %bb.25521:                            ;   in Loop: Header=BB6_22365 Depth=3
	s_delay_alu instid0(VALU_DEP_1)
	v_bfe_u32 v4, v2, 23, 1
; %bb.25522:                            ;   in Loop: Header=BB6_22365 Depth=3
	s_or_b32 exec_lo, exec_lo, s13
	s_delay_alu instid0(VALU_DEP_2) | instskip(NEXT) | instid1(VALU_DEP_2)
	v_lshrrev_b64 v[2:3], 21, v[2:3]
	v_cmp_gt_i32_e32 vcc_lo, 32, v4
	v_min_i32_e32 v5, 31, v4
	v_cmp_eq_u32_e64 s13, 0, v4
	s_delay_alu instid0(VALU_DEP_2) | instskip(SKIP_1) | instid1(VALU_DEP_2)
	v_dual_cndmask_b32 v3, 0, v3, vcc_lo :: v_dual_lshlrev_b32 v5, 2, v5
	v_cndmask_b32_e32 v2, 3, v2, vcc_lo
	v_and_b32_e32 v5, 0xfc, v5
	s_delay_alu instid0(VALU_DEP_2) | instskip(NEXT) | instid1(VALU_DEP_2)
	v_cmp_eq_u64_e32 vcc_lo, 0, v[2:3]
	v_and_or_b32 v2, v2, 3, v5
	s_and_b32 s13, s13, vcc_lo
	s_delay_alu instid0(VALU_DEP_1) | instid1(SALU_CYCLE_1)
	v_cndmask_b32_e64 v2, v2, 0, s13
	s_delay_alu instid0(VALU_DEP_1)
	v_or_b32_e32 v98, v2, v1
.LBB6_25523:                            ;   in Loop: Header=BB6_22365 Depth=3
	s_or_b32 exec_lo, exec_lo, s75
                                        ; implicit-def: $vgpr1
.LBB6_25524:                            ;   in Loop: Header=BB6_22365 Depth=3
	s_and_not1_saveexec_b32 s13, s74
; %bb.25525:                            ;   in Loop: Header=BB6_22365 Depth=3
	v_or_b32_e32 v98, 0x7b, v1
; %bb.25526:                            ;   in Loop: Header=BB6_22365 Depth=3
	s_or_b32 exec_lo, exec_lo, s13
                                        ; implicit-def: $vgpr4
                                        ; implicit-def: $vgpr2_vgpr3
                                        ; implicit-def: $vgpr1
.LBB6_25527:                            ;   in Loop: Header=BB6_22365 Depth=3
	s_and_not1_saveexec_b32 s13, s73
	s_cbranch_execz .LBB6_25533
; %bb.25528:                            ;   in Loop: Header=BB6_22365 Depth=3
	s_mov_b32 s73, exec_lo
                                        ; implicit-def: $vgpr98
	v_cmpx_ne_u64_e32 0, v[2:3]
	s_xor_b32 s73, exec_lo, s73
; %bb.25529:                            ;   in Loop: Header=BB6_22365 Depth=3
	v_or_b32_e32 v98, 0x7f, v1
                                        ; implicit-def: $vgpr4
; %bb.25530:                            ;   in Loop: Header=BB6_22365 Depth=3
	s_and_not1_saveexec_b32 s73, s73
; %bb.25531:                            ;   in Loop: Header=BB6_22365 Depth=3
	v_cmp_lt_i32_e32 vcc_lo, -1, v4
	v_mov_b32_e32 v1, 0x7c
	s_delay_alu instid0(VALU_DEP_1)
	v_cndmask_b32_e32 v98, 0xfc, v1, vcc_lo
; %bb.25532:                            ;   in Loop: Header=BB6_22365 Depth=3
	s_or_b32 exec_lo, exec_lo, s73
.LBB6_25533:                            ;   in Loop: Header=BB6_22365 Depth=3
	s_delay_alu instid0(SALU_CYCLE_1)
	s_or_b32 exec_lo, exec_lo, s13
	v_dual_mov_b32 v3, 0 :: v_dual_mov_b32 v4, 0
	s_mov_b32 s73, exec_lo
	v_cmpx_lt_u32_e32 0xffffff, v0
	s_cbranch_execz .LBB6_25543
; %bb.25534:                            ;   in Loop: Header=BB6_22365 Depth=3
	v_lshrrev_b32_e32 v2, 24, v0
	v_bfrev_b32_e32 v4, 1
	s_mov_b32 s74, exec_lo
	s_delay_alu instid0(VALU_DEP_2)
	v_cmpx_ne_u32_e32 0x80, v2
	s_cbranch_execz .LBB6_25542
; %bb.25535:                            ;   in Loop: Header=BB6_22365 Depth=3
	v_and_b32_e32 v1, 0x7c000000, v0
	v_bfe_u32 v5, v0, 24, 2
	s_mov_b32 s13, exec_lo
                                        ; implicit-def: $vgpr4
	s_delay_alu instid0(VALU_DEP_2)
	v_cmpx_ne_u32_e32 0x7c000000, v1
	s_xor_b32 s13, exec_lo, s13
	s_cbranch_execz .LBB6_25539
; %bb.25536:                            ;   in Loop: Header=BB6_22365 Depth=3
	v_bfe_u32 v1, v0, 26, 5
	s_mov_b32 s75, exec_lo
	s_delay_alu instid0(VALU_DEP_1)
	v_cmpx_eq_u32_e32 0, v1
; %bb.25537:                            ;   in Loop: Header=BB6_22365 Depth=3
	v_clz_i32_u32_e32 v1, v5
	s_delay_alu instid0(VALU_DEP_1) | instskip(NEXT) | instid1(VALU_DEP_1)
	v_min_u32_e32 v1, 32, v1
	v_subrev_nc_u32_e32 v4, 29, v1
	s_delay_alu instid0(VALU_DEP_1) | instskip(NEXT) | instid1(VALU_DEP_1)
	v_lshlrev_b64_e32 v[4:5], v4, v[2:3]
	v_dual_sub_nc_u32 v1, 30, v1 :: v_dual_bitop2_b32 v5, 3, v4 bitop3:0x40
; %bb.25538:                            ;   in Loop: Header=BB6_22365 Depth=3
	s_or_b32 exec_lo, exec_lo, s75
	v_and_b32_e32 v0, 0x80000000, v0
	s_delay_alu instid0(VALU_DEP_1) | instskip(NEXT) | instid1(VALU_DEP_1)
	v_lshl_add_u32 v0, v1, 23, v0
	v_lshl_or_b32 v0, v5, 21, v0
                                        ; implicit-def: $vgpr5
	s_delay_alu instid0(VALU_DEP_1)
	v_add_nc_u32_e32 v4, 0x38000000, v0
                                        ; implicit-def: $vgpr0_vgpr1
.LBB6_25539:                            ;   in Loop: Header=BB6_22365 Depth=3
	s_and_not1_saveexec_b32 s75, s13
; %bb.25540:                            ;   in Loop: Header=BB6_22365 Depth=3
	v_cmp_lt_i32_e64 s13, -1, v0
	v_mov_b32_e32 v0, 0x7f800000
	v_cmp_eq_u32_e32 vcc_lo, 0, v5
	s_delay_alu instid0(VALU_DEP_2) | instskip(NEXT) | instid1(VALU_DEP_1)
	v_cndmask_b32_e64 v0, 0xff800000, v0, s13
	v_cndmask_b32_e32 v4, 0x7f800001, v0, vcc_lo
; %bb.25541:                            ;   in Loop: Header=BB6_22365 Depth=3
	s_or_b32 exec_lo, exec_lo, s75
.LBB6_25542:                            ;   in Loop: Header=BB6_22365 Depth=3
	s_delay_alu instid0(SALU_CYCLE_1)
	s_or_b32 exec_lo, exec_lo, s74
.LBB6_25543:                            ;   in Loop: Header=BB6_22365 Depth=3
	s_delay_alu instid0(SALU_CYCLE_1) | instskip(NEXT) | instid1(SALU_CYCLE_1)
	s_or_b32 exec_lo, exec_lo, s73
	s_mov_b32 s73, exec_lo
	v_cmpx_lt_u64_e64 s[22:23], v[18:19]
	s_cbranch_execz .LBB6_25553
; %bb.25544:                            ;   in Loop: Header=BB6_22365 Depth=3
	v_lshrrev_b32_e32 v0, 24, v19
	v_bfrev_b32_e32 v3, 1
	s_mov_b32 s74, exec_lo
	s_delay_alu instid0(VALU_DEP_2)
	v_cmpx_ne_u32_e32 0x80, v0
	s_cbranch_execz .LBB6_25552
; %bb.25545:                            ;   in Loop: Header=BB6_22365 Depth=3
	v_and_b32_e32 v2, 0x7c000000, v19
	v_bfe_u32 v1, v19, 24, 2
	s_mov_b32 s13, exec_lo
                                        ; implicit-def: $vgpr3
	s_delay_alu instid0(VALU_DEP_2)
	v_cmpx_ne_u32_e32 0x7c000000, v2
	s_xor_b32 s13, exec_lo, s13
	s_cbranch_execz .LBB6_25549
; %bb.25546:                            ;   in Loop: Header=BB6_22365 Depth=3
	v_bfe_u32 v2, v19, 26, 5
	s_mov_b32 s75, exec_lo
	s_delay_alu instid0(VALU_DEP_1)
	v_cmpx_eq_u32_e32 0, v2
; %bb.25547:                            ;   in Loop: Header=BB6_22365 Depth=3
	v_clz_i32_u32_e32 v1, v1
	s_delay_alu instid0(VALU_DEP_1) | instskip(NEXT) | instid1(VALU_DEP_1)
	v_min_u32_e32 v2, 32, v1
	v_subrev_nc_u32_e32 v1, 29, v2
	s_delay_alu instid0(VALU_DEP_1) | instskip(NEXT) | instid1(VALU_DEP_1)
	v_lshlrev_b64_e32 v[0:1], v1, v[0:1]
	v_dual_sub_nc_u32 v2, 30, v2 :: v_dual_bitop2_b32 v1, 3, v0 bitop3:0x40
; %bb.25548:                            ;   in Loop: Header=BB6_22365 Depth=3
	s_or_b32 exec_lo, exec_lo, s75
	v_and_b32_e32 v0, 0x80000000, v19
                                        ; implicit-def: $vgpr18_vgpr19
	s_delay_alu instid0(VALU_DEP_1) | instskip(NEXT) | instid1(VALU_DEP_1)
	v_lshl_add_u32 v0, v2, 23, v0
	v_lshl_or_b32 v0, v1, 21, v0
                                        ; implicit-def: $vgpr1
	s_delay_alu instid0(VALU_DEP_1)
	v_add_nc_u32_e32 v3, 0x38000000, v0
.LBB6_25549:                            ;   in Loop: Header=BB6_22365 Depth=3
	s_and_not1_saveexec_b32 s75, s13
; %bb.25550:                            ;   in Loop: Header=BB6_22365 Depth=3
	v_cmp_lt_i64_e64 s13, -1, v[18:19]
	v_mov_b32_e32 v0, 0x7f800000
	v_cmp_eq_u32_e32 vcc_lo, 0, v1
	s_delay_alu instid0(VALU_DEP_2) | instskip(NEXT) | instid1(VALU_DEP_1)
	v_cndmask_b32_e64 v0, 0xff800000, v0, s13
	v_cndmask_b32_e32 v3, 0x7f800001, v0, vcc_lo
; %bb.25551:                            ;   in Loop: Header=BB6_22365 Depth=3
	s_or_b32 exec_lo, exec_lo, s75
.LBB6_25552:                            ;   in Loop: Header=BB6_22365 Depth=3
	s_delay_alu instid0(SALU_CYCLE_1)
	s_or_b32 exec_lo, exec_lo, s74
.LBB6_25553:                            ;   in Loop: Header=BB6_22365 Depth=3
	s_delay_alu instid0(SALU_CYCLE_1) | instskip(NEXT) | instid1(VALU_DEP_1)
	s_or_b32 exec_lo, exec_lo, s73
	v_dual_add_f32 v2, v4, v3 :: v_dual_mov_b32 v5, v113
	v_mov_b32_e32 v1, v113
                                        ; implicit-def: $vgpr18
	s_mov_b32 s13, exec_lo
	s_delay_alu instid0(VALU_DEP_2) | instskip(SKIP_2) | instid1(VALU_DEP_3)
	v_and_b32_e32 v4, 0x7f800000, v2
	v_and_b32_e32 v0, 0x7fffff, v2
	v_lshrrev_b32_e32 v3, 24, v2
	v_cmpx_ne_u64_e32 0x7f800000, v[4:5]
	s_xor_b32 s73, exec_lo, s13
	s_cbranch_execz .LBB6_25567
; %bb.25554:                            ;   in Loop: Header=BB6_22365 Depth=3
	v_and_b32_e32 v4, 0x7fffffff, v2
	v_mov_b32_e32 v5, v113
                                        ; implicit-def: $vgpr18
	s_delay_alu instid0(VALU_DEP_1) | instskip(SKIP_2) | instid1(SALU_CYCLE_1)
	v_cmp_gt_u64_e32 vcc_lo, 0x47600001, v[4:5]
	v_and_b32_e32 v4, 0x80, v3
	s_and_saveexec_b32 s13, vcc_lo
	s_xor_b32 s74, exec_lo, s13
	s_cbranch_execz .LBB6_25564
; %bb.25555:                            ;   in Loop: Header=BB6_22365 Depth=3
	v_mov_b32_e32 v18, 0
	s_mov_b32 s75, exec_lo
	v_cmpx_ne_u32_e32 0, v2
	s_cbranch_execz .LBB6_25563
; %bb.25556:                            ;   in Loop: Header=BB6_22365 Depth=3
	v_bfe_u32 v5, v2, 23, 8
	v_or_b32_e32 v3, 0x800000, v0
	s_delay_alu instid0(VALU_DEP_2) | instskip(SKIP_2) | instid1(VALU_DEP_2)
	v_cmp_gt_u32_e64 s13, 0x72, v5
	v_sub_nc_u32_e32 v2, 0x71, v5
	v_cmp_eq_u32_e32 vcc_lo, 0, v5
	v_dual_cndmask_b32 v2, 0, v2, s13 :: v_dual_cndmask_b32 v0, v3, v0, vcc_lo
	s_delay_alu instid0(VALU_DEP_1) | instskip(NEXT) | instid1(VALU_DEP_1)
	v_cndmask_b32_e64 v18, v2, 0x70, vcc_lo
	v_dual_add_nc_u32 v2, 21, v18 :: v_dual_add_nc_u32 v19, 20, v18
	s_delay_alu instid0(VALU_DEP_1) | instskip(NEXT) | instid1(VALU_DEP_2)
	v_lshlrev_b64_e64 v[2:3], v2, -1
	v_lshlrev_b64_e64 v[46:47], v19, 1
	s_delay_alu instid0(VALU_DEP_2) | instskip(SKIP_1) | instid1(VALU_DEP_4)
	v_bfi_b32 v2, v2, 0, v0
	v_lshrrev_b64 v[0:1], v18, v[0:1]
	v_bfi_b32 v3, v3, 0, 0
	s_delay_alu instid0(VALU_DEP_1) | instskip(NEXT) | instid1(VALU_DEP_3)
	v_cmp_eq_u64_e64 s13, v[2:3], v[46:47]
	v_mov_b64_e32 v[2:3], v[0:1]
	s_and_saveexec_b32 s76, s13
; %bb.25557:                            ;   in Loop: Header=BB6_22365 Depth=3
	v_bfe_u32 v2, v0, 21, 1
	v_mov_b32_e32 v3, v113
	s_delay_alu instid0(VALU_DEP_1) | instskip(NEXT) | instid1(VALU_DEP_1)
	v_add_nc_u64_e32 v[2:3], v[0:1], v[2:3]
	v_add_nc_u64_e32 v[2:3], -1, v[2:3]
; %bb.25558:                            ;   in Loop: Header=BB6_22365 Depth=3
	s_or_b32 exec_lo, exec_lo, s76
	v_add_nc_u32_e32 v1, 0xffffff81, v5
	v_lshrrev_b32_e32 v3, 23, v0
	s_mov_b32 s13, exec_lo
	s_delay_alu instid0(VALU_DEP_2) | instskip(NEXT) | instid1(VALU_DEP_1)
	v_cndmask_b32_e64 v1, v1, 0xffffff82, vcc_lo
	v_add3_u32 v5, v18, v1, v3
	v_and_b32_e32 v1, 0x1fffff, v2
                                        ; implicit-def: $vgpr2
	s_delay_alu instid0(VALU_DEP_1) | instskip(SKIP_1) | instid1(VALU_DEP_2)
	v_dual_add_nc_u32 v3, 14, v5 :: v_dual_add_nc_u32 v0, v1, v0
	v_mov_b32_e32 v1, v113
	v_cmpx_ne_u32_e32 0, v3
	s_xor_b32 s13, exec_lo, s13
; %bb.25559:                            ;   in Loop: Header=BB6_22365 Depth=3
	s_delay_alu instid0(VALU_DEP_2) | instskip(SKIP_1) | instid1(VALU_DEP_1)
	v_cmp_lt_u64_e32 vcc_lo, 0xffffff, v[0:1]
	v_add_nc_u32_e32 v2, 15, v5
	v_cndmask_b32_e32 v2, v3, v2, vcc_lo
	v_cndmask_b32_e64 v3, 0, 1, vcc_lo
	s_delay_alu instid0(VALU_DEP_1)
	v_lshrrev_b64 v[0:1], v3, v[0:1]
; %bb.25560:                            ;   in Loop: Header=BB6_22365 Depth=3
	s_and_not1_saveexec_b32 s13, s13
; %bb.25561:                            ;   in Loop: Header=BB6_22365 Depth=3
	s_delay_alu instid0(VALU_DEP_1)
	v_bfe_u32 v2, v0, 23, 1
; %bb.25562:                            ;   in Loop: Header=BB6_22365 Depth=3
	s_or_b32 exec_lo, exec_lo, s13
	s_delay_alu instid0(VALU_DEP_2) | instskip(NEXT) | instid1(VALU_DEP_2)
	v_lshrrev_b64 v[0:1], 21, v[0:1]
	v_cmp_gt_i32_e32 vcc_lo, 32, v2
	v_min_i32_e32 v3, 31, v2
	v_cmp_eq_u32_e64 s13, 0, v2
	s_delay_alu instid0(VALU_DEP_2) | instskip(SKIP_1) | instid1(VALU_DEP_2)
	v_dual_cndmask_b32 v1, 0, v1, vcc_lo :: v_dual_lshlrev_b32 v3, 2, v3
	v_cndmask_b32_e32 v0, 3, v0, vcc_lo
	v_and_b32_e32 v3, 0xfc, v3
	s_delay_alu instid0(VALU_DEP_2) | instskip(NEXT) | instid1(VALU_DEP_2)
	v_cmp_eq_u64_e32 vcc_lo, 0, v[0:1]
	v_and_or_b32 v0, v0, 3, v3
	s_and_b32 s13, s13, vcc_lo
	s_delay_alu instid0(VALU_DEP_1) | instid1(SALU_CYCLE_1)
	v_cndmask_b32_e64 v0, v0, 0, s13
	s_delay_alu instid0(VALU_DEP_1)
	v_or_b32_e32 v18, v0, v4
.LBB6_25563:                            ;   in Loop: Header=BB6_22365 Depth=3
	s_or_b32 exec_lo, exec_lo, s75
                                        ; implicit-def: $vgpr4
.LBB6_25564:                            ;   in Loop: Header=BB6_22365 Depth=3
	s_and_not1_saveexec_b32 s13, s74
; %bb.25565:                            ;   in Loop: Header=BB6_22365 Depth=3
	v_or_b32_e32 v18, 0x7b, v4
; %bb.25566:                            ;   in Loop: Header=BB6_22365 Depth=3
	s_or_b32 exec_lo, exec_lo, s13
                                        ; implicit-def: $vgpr2
                                        ; implicit-def: $vgpr0_vgpr1
                                        ; implicit-def: $vgpr3
.LBB6_25567:                            ;   in Loop: Header=BB6_22365 Depth=3
	s_and_not1_saveexec_b32 s13, s73
	s_cbranch_execz .LBB6_25573
; %bb.25568:                            ;   in Loop: Header=BB6_22365 Depth=3
	s_mov_b32 s73, exec_lo
                                        ; implicit-def: $vgpr18
	v_cmpx_ne_u64_e32 0, v[0:1]
	s_xor_b32 s73, exec_lo, s73
; %bb.25569:                            ;   in Loop: Header=BB6_22365 Depth=3
	v_or_b32_e32 v18, 0x7f, v3
                                        ; implicit-def: $vgpr2
; %bb.25570:                            ;   in Loop: Header=BB6_22365 Depth=3
	s_and_not1_saveexec_b32 s73, s73
; %bb.25571:                            ;   in Loop: Header=BB6_22365 Depth=3
	v_cmp_lt_i32_e32 vcc_lo, -1, v2
	v_mov_b32_e32 v0, 0x7c
	s_delay_alu instid0(VALU_DEP_1)
	v_cndmask_b32_e32 v18, 0xfc, v0, vcc_lo
; %bb.25572:                            ;   in Loop: Header=BB6_22365 Depth=3
	s_or_b32 exec_lo, exec_lo, s73
.LBB6_25573:                            ;   in Loop: Header=BB6_22365 Depth=3
	s_delay_alu instid0(SALU_CYCLE_1) | instskip(SKIP_4) | instid1(VALU_DEP_2)
	s_or_b32 exec_lo, exec_lo, s13
	v_lshl_or_b32 v84, v84, 8, v70
	v_dual_lshlrev_b32 v0, 16, v86 :: v_dual_lshlrev_b32 v2, 24, v97
	v_dual_mov_b32 v1, v113 :: v_dual_mov_b32 v3, 0
	s_mov_b32 s73, exec_lo
	v_or3_b32 v0, v0, v2, v84
	v_mov_b32_e32 v2, 0
	v_cmpx_ne_u32_e32 0, v70
	s_cbranch_execz .LBB6_25583
; %bb.25574:                            ;   in Loop: Header=BB6_22365 Depth=3
	v_bfrev_b32_e32 v3, 1
	s_mov_b32 s74, exec_lo
	v_cmpx_ne_u32_e32 0x80, v70
	s_cbranch_execz .LBB6_25582
; %bb.25575:                            ;   in Loop: Header=BB6_22365 Depth=3
	v_and_b32_e32 v3, 0x7c, v70
	v_and_b32_e32 v4, 3, v70
	s_delay_alu instid0(VALU_DEP_2) | instskip(SKIP_1) | instid1(SALU_CYCLE_1)
	v_cmp_ne_u32_e32 vcc_lo, 0x7c, v3
                                        ; implicit-def: $vgpr3
	s_and_saveexec_b32 s13, vcc_lo
	s_xor_b32 s13, exec_lo, s13
	s_cbranch_execz .LBB6_25579
; %bb.25576:                            ;   in Loop: Header=BB6_22365 Depth=3
	v_bfe_u32 v3, v70, 2, 5
	s_mov_b32 s75, exec_lo
	s_delay_alu instid0(VALU_DEP_1)
	v_cmpx_eq_u32_e32 0, v3
; %bb.25577:                            ;   in Loop: Header=BB6_22365 Depth=3
	v_clz_i32_u32_e32 v3, v4
	s_delay_alu instid0(VALU_DEP_1) | instskip(NEXT) | instid1(VALU_DEP_1)
	v_min_u32_e32 v3, 32, v3
	v_subrev_nc_u32_e32 v4, 29, v3
	s_delay_alu instid0(VALU_DEP_1) | instskip(NEXT) | instid1(VALU_DEP_1)
	v_lshlrev_b64_e32 v[4:5], v4, v[0:1]
	v_dual_sub_nc_u32 v3, 30, v3 :: v_dual_bitop2_b32 v4, 3, v4 bitop3:0x40
; %bb.25578:                            ;   in Loop: Header=BB6_22365 Depth=3
	s_or_b32 exec_lo, exec_lo, s75
	v_lshlrev_b32_e32 v1, 24, v70
                                        ; implicit-def: $vgpr70
	s_delay_alu instid0(VALU_DEP_1) | instskip(NEXT) | instid1(VALU_DEP_1)
	v_and_b32_e32 v1, 0x80000000, v1
	v_lshl_add_u32 v1, v3, 23, v1
	s_delay_alu instid0(VALU_DEP_1) | instskip(NEXT) | instid1(VALU_DEP_1)
	v_lshl_or_b32 v1, v4, 21, v1
                                        ; implicit-def: $vgpr4
	v_add_nc_u32_e32 v3, 0x38000000, v1
.LBB6_25579:                            ;   in Loop: Header=BB6_22365 Depth=3
	s_and_not1_saveexec_b32 s75, s13
; %bb.25580:                            ;   in Loop: Header=BB6_22365 Depth=3
	v_and_b32_e32 v1, 0x80, v70
	v_cmp_eq_u32_e32 vcc_lo, 0, v4
	s_delay_alu instid0(VALU_DEP_2) | instskip(SKIP_1) | instid1(VALU_DEP_1)
	v_cmp_eq_u32_e64 s13, 0, v1
	v_mov_b32_e32 v1, 0x7f800000
	v_cndmask_b32_e64 v1, 0xff800000, v1, s13
	s_delay_alu instid0(VALU_DEP_1)
	v_cndmask_b32_e32 v3, 0x7f800001, v1, vcc_lo
; %bb.25581:                            ;   in Loop: Header=BB6_22365 Depth=3
	s_or_b32 exec_lo, exec_lo, s75
.LBB6_25582:                            ;   in Loop: Header=BB6_22365 Depth=3
	s_delay_alu instid0(SALU_CYCLE_1)
	s_or_b32 exec_lo, exec_lo, s74
.LBB6_25583:                            ;   in Loop: Header=BB6_22365 Depth=3
	s_delay_alu instid0(SALU_CYCLE_1) | instskip(SKIP_3) | instid1(VALU_DEP_1)
	s_or_b32 exec_lo, exec_lo, s73
	s_wait_loadcnt 0x1
	v_and_b32_e32 v1, 0xff, v12
	s_mov_b32 s73, exec_lo
	v_cmpx_ne_u16_e32 0, v1
	s_cbranch_execz .LBB6_25593
; %bb.25584:                            ;   in Loop: Header=BB6_22365 Depth=3
	v_bfe_i32 v4, v12, 0, 8
	v_bfrev_b32_e32 v2, 1
	s_mov_b32 s74, exec_lo
	s_delay_alu instid0(VALU_DEP_2)
	v_cmpx_ne_u16_e32 0xff80, v4
	s_cbranch_execz .LBB6_25592
; %bb.25585:                            ;   in Loop: Header=BB6_22365 Depth=3
	v_and_b32_e32 v2, 0x7c, v12
	v_and_b32_e32 v1, 3, v12
	s_delay_alu instid0(VALU_DEP_2) | instskip(SKIP_1) | instid1(SALU_CYCLE_1)
	v_cmp_ne_u32_e32 vcc_lo, 0x7c, v2
                                        ; implicit-def: $vgpr2
	s_and_saveexec_b32 s13, vcc_lo
	s_xor_b32 s13, exec_lo, s13
	s_cbranch_execz .LBB6_25589
; %bb.25586:                            ;   in Loop: Header=BB6_22365 Depth=3
	v_bfe_u32 v2, v12, 2, 5
	s_mov_b32 s75, exec_lo
	s_delay_alu instid0(VALU_DEP_1)
	v_cmpx_eq_u32_e32 0, v2
; %bb.25587:                            ;   in Loop: Header=BB6_22365 Depth=3
	v_clz_i32_u32_e32 v1, v1
	s_delay_alu instid0(VALU_DEP_1) | instskip(NEXT) | instid1(VALU_DEP_1)
	v_min_u32_e32 v1, 32, v1
	v_subrev_nc_u32_e32 v2, 29, v1
	s_delay_alu instid0(VALU_DEP_1) | instskip(NEXT) | instid1(VALU_DEP_1)
	v_lshlrev_b64_e32 v[4:5], v2, v[12:13]
	v_dual_sub_nc_u32 v2, 30, v1 :: v_dual_bitop2_b32 v1, 3, v4 bitop3:0x40
; %bb.25588:                            ;   in Loop: Header=BB6_22365 Depth=3
	s_or_b32 exec_lo, exec_lo, s75
	v_lshlrev_b32_e32 v4, 24, v12
	s_delay_alu instid0(VALU_DEP_1) | instskip(NEXT) | instid1(VALU_DEP_1)
	v_and_b32_e32 v4, 0x80000000, v4
	v_lshl_add_u32 v2, v2, 23, v4
                                        ; implicit-def: $vgpr4
	s_delay_alu instid0(VALU_DEP_1) | instskip(NEXT) | instid1(VALU_DEP_1)
	v_lshl_or_b32 v1, v1, 21, v2
	v_add_nc_u32_e32 v2, 0x38000000, v1
                                        ; implicit-def: $vgpr1
.LBB6_25589:                            ;   in Loop: Header=BB6_22365 Depth=3
	s_and_not1_saveexec_b32 s75, s13
; %bb.25590:                            ;   in Loop: Header=BB6_22365 Depth=3
	v_cmp_eq_u32_e32 vcc_lo, 0, v1
	v_cmp_lt_i16_e64 s13, -1, v4
	v_mov_b32_e32 v1, 0x7f800000
	s_delay_alu instid0(VALU_DEP_1) | instskip(NEXT) | instid1(VALU_DEP_1)
	v_cndmask_b32_e64 v1, 0xff800000, v1, s13
	v_cndmask_b32_e32 v2, 0x7f800001, v1, vcc_lo
; %bb.25591:                            ;   in Loop: Header=BB6_22365 Depth=3
	s_or_b32 exec_lo, exec_lo, s75
.LBB6_25592:                            ;   in Loop: Header=BB6_22365 Depth=3
	s_delay_alu instid0(SALU_CYCLE_1)
	s_or_b32 exec_lo, exec_lo, s74
.LBB6_25593:                            ;   in Loop: Header=BB6_22365 Depth=3
	s_delay_alu instid0(SALU_CYCLE_1) | instskip(NEXT) | instid1(VALU_DEP_1)
	s_or_b32 exec_lo, exec_lo, s73
	v_dual_add_f32 v4, v3, v2 :: v_dual_mov_b32 v47, v113
	v_mov_b32_e32 v3, v113
                                        ; implicit-def: $vgpr19
	s_mov_b32 s13, exec_lo
	s_delay_alu instid0(VALU_DEP_2) | instskip(SKIP_2) | instid1(VALU_DEP_3)
	v_and_b32_e32 v46, 0x7f800000, v4
	v_and_b32_e32 v2, 0x7fffff, v4
	v_lshrrev_b32_e32 v1, 24, v4
	v_cmpx_ne_u64_e32 0x7f800000, v[46:47]
	s_xor_b32 s73, exec_lo, s13
	s_cbranch_execz .LBB6_25607
; %bb.25594:                            ;   in Loop: Header=BB6_22365 Depth=3
	v_and_b32_e32 v46, 0x7fffffff, v4
	v_mov_b32_e32 v47, v113
	v_and_b32_e32 v1, 0x80, v1
                                        ; implicit-def: $vgpr19
	s_mov_b32 s13, exec_lo
	s_delay_alu instid0(VALU_DEP_2)
	v_cmpx_gt_u64_e32 0x47600001, v[46:47]
	s_xor_b32 s74, exec_lo, s13
	s_cbranch_execz .LBB6_25604
; %bb.25595:                            ;   in Loop: Header=BB6_22365 Depth=3
	v_mov_b32_e32 v19, 0
	s_mov_b32 s75, exec_lo
	v_cmpx_ne_u32_e32 0, v4
	s_cbranch_execz .LBB6_25603
; %bb.25596:                            ;   in Loop: Header=BB6_22365 Depth=3
	v_bfe_u32 v19, v4, 23, 8
	v_or_b32_e32 v5, 0x800000, v2
	s_delay_alu instid0(VALU_DEP_2) | instskip(SKIP_2) | instid1(VALU_DEP_2)
	v_cmp_gt_u32_e64 s13, 0x72, v19
	v_sub_nc_u32_e32 v4, 0x71, v19
	v_cmp_eq_u32_e32 vcc_lo, 0, v19
	v_dual_cndmask_b32 v4, 0, v4, s13 :: v_dual_cndmask_b32 v2, v5, v2, vcc_lo
	s_delay_alu instid0(VALU_DEP_1) | instskip(NEXT) | instid1(VALU_DEP_1)
	v_cndmask_b32_e64 v70, v4, 0x70, vcc_lo
	v_dual_add_nc_u32 v4, 21, v70 :: v_dual_add_nc_u32 v86, 20, v70
	s_delay_alu instid0(VALU_DEP_1) | instskip(NEXT) | instid1(VALU_DEP_2)
	v_lshlrev_b64_e64 v[4:5], v4, -1
	v_lshlrev_b64_e64 v[46:47], v86, 1
	s_delay_alu instid0(VALU_DEP_2) | instskip(SKIP_1) | instid1(VALU_DEP_4)
	v_bfi_b32 v4, v4, 0, v2
	v_lshrrev_b64 v[2:3], v70, v[2:3]
	v_bfi_b32 v5, v5, 0, 0
	s_delay_alu instid0(VALU_DEP_1) | instskip(NEXT) | instid1(VALU_DEP_3)
	v_cmp_eq_u64_e64 s13, v[4:5], v[46:47]
	v_mov_b64_e32 v[4:5], v[2:3]
	s_and_saveexec_b32 s76, s13
; %bb.25597:                            ;   in Loop: Header=BB6_22365 Depth=3
	v_bfe_u32 v4, v2, 21, 1
	v_mov_b32_e32 v5, v113
	s_delay_alu instid0(VALU_DEP_1) | instskip(NEXT) | instid1(VALU_DEP_1)
	v_add_nc_u64_e32 v[4:5], v[2:3], v[4:5]
	v_add_nc_u64_e32 v[4:5], -1, v[4:5]
; %bb.25598:                            ;   in Loop: Header=BB6_22365 Depth=3
	s_or_b32 exec_lo, exec_lo, s76
	v_add_nc_u32_e32 v3, 0xffffff81, v19
	v_lshrrev_b32_e32 v5, 23, v2
	s_mov_b32 s13, exec_lo
	s_delay_alu instid0(VALU_DEP_2) | instskip(NEXT) | instid1(VALU_DEP_1)
	v_cndmask_b32_e64 v3, v3, 0xffffff82, vcc_lo
	v_add3_u32 v19, v70, v3, v5
	v_and_b32_e32 v3, 0x1fffff, v4
                                        ; implicit-def: $vgpr4
	s_delay_alu instid0(VALU_DEP_1) | instskip(SKIP_1) | instid1(VALU_DEP_2)
	v_dual_add_nc_u32 v5, 14, v19 :: v_dual_add_nc_u32 v2, v3, v2
	v_mov_b32_e32 v3, v113
	v_cmpx_ne_u32_e32 0, v5
	s_xor_b32 s13, exec_lo, s13
; %bb.25599:                            ;   in Loop: Header=BB6_22365 Depth=3
	s_delay_alu instid0(VALU_DEP_2) | instskip(SKIP_1) | instid1(VALU_DEP_1)
	v_cmp_lt_u64_e32 vcc_lo, 0xffffff, v[2:3]
	v_add_nc_u32_e32 v4, 15, v19
	v_cndmask_b32_e32 v4, v5, v4, vcc_lo
	v_cndmask_b32_e64 v5, 0, 1, vcc_lo
	s_delay_alu instid0(VALU_DEP_1)
	v_lshrrev_b64 v[2:3], v5, v[2:3]
; %bb.25600:                            ;   in Loop: Header=BB6_22365 Depth=3
	s_and_not1_saveexec_b32 s13, s13
; %bb.25601:                            ;   in Loop: Header=BB6_22365 Depth=3
	s_delay_alu instid0(VALU_DEP_1)
	v_bfe_u32 v4, v2, 23, 1
; %bb.25602:                            ;   in Loop: Header=BB6_22365 Depth=3
	s_or_b32 exec_lo, exec_lo, s13
	s_delay_alu instid0(VALU_DEP_2) | instskip(NEXT) | instid1(VALU_DEP_2)
	v_lshrrev_b64 v[2:3], 21, v[2:3]
	v_cmp_gt_i32_e32 vcc_lo, 32, v4
	v_min_i32_e32 v5, 31, v4
	v_cmp_eq_u32_e64 s13, 0, v4
	s_delay_alu instid0(VALU_DEP_2) | instskip(SKIP_1) | instid1(VALU_DEP_2)
	v_dual_cndmask_b32 v3, 0, v3, vcc_lo :: v_dual_lshlrev_b32 v5, 2, v5
	v_cndmask_b32_e32 v2, 3, v2, vcc_lo
	v_and_b32_e32 v5, 0xfc, v5
	s_delay_alu instid0(VALU_DEP_2) | instskip(NEXT) | instid1(VALU_DEP_2)
	v_cmp_eq_u64_e32 vcc_lo, 0, v[2:3]
	v_and_or_b32 v2, v2, 3, v5
	s_and_b32 s13, s13, vcc_lo
	s_delay_alu instid0(VALU_DEP_1) | instid1(SALU_CYCLE_1)
	v_cndmask_b32_e64 v2, v2, 0, s13
	s_delay_alu instid0(VALU_DEP_1)
	v_or_b32_e32 v19, v2, v1
.LBB6_25603:                            ;   in Loop: Header=BB6_22365 Depth=3
	s_or_b32 exec_lo, exec_lo, s75
                                        ; implicit-def: $vgpr1
.LBB6_25604:                            ;   in Loop: Header=BB6_22365 Depth=3
	s_and_not1_saveexec_b32 s13, s74
; %bb.25605:                            ;   in Loop: Header=BB6_22365 Depth=3
	v_or_b32_e32 v19, 0x7b, v1
; %bb.25606:                            ;   in Loop: Header=BB6_22365 Depth=3
	s_or_b32 exec_lo, exec_lo, s13
                                        ; implicit-def: $vgpr4
                                        ; implicit-def: $vgpr2_vgpr3
                                        ; implicit-def: $vgpr1
.LBB6_25607:                            ;   in Loop: Header=BB6_22365 Depth=3
	s_and_not1_saveexec_b32 s13, s73
	s_cbranch_execz .LBB6_25613
; %bb.25608:                            ;   in Loop: Header=BB6_22365 Depth=3
	s_mov_b32 s73, exec_lo
                                        ; implicit-def: $vgpr19
	v_cmpx_ne_u64_e32 0, v[2:3]
	s_xor_b32 s73, exec_lo, s73
; %bb.25609:                            ;   in Loop: Header=BB6_22365 Depth=3
	v_or_b32_e32 v19, 0x7f, v1
                                        ; implicit-def: $vgpr4
; %bb.25610:                            ;   in Loop: Header=BB6_22365 Depth=3
	s_and_not1_saveexec_b32 s73, s73
; %bb.25611:                            ;   in Loop: Header=BB6_22365 Depth=3
	v_cmp_lt_i32_e32 vcc_lo, -1, v4
	v_mov_b32_e32 v1, 0x7c
	s_delay_alu instid0(VALU_DEP_1)
	v_cndmask_b32_e32 v19, 0xfc, v1, vcc_lo
; %bb.25612:                            ;   in Loop: Header=BB6_22365 Depth=3
	s_or_b32 exec_lo, exec_lo, s73
.LBB6_25613:                            ;   in Loop: Header=BB6_22365 Depth=3
	s_delay_alu instid0(SALU_CYCLE_1) | instskip(SKIP_3) | instid1(VALU_DEP_2)
	s_or_b32 exec_lo, exec_lo, s13
	v_lshrrev_b16 v2, 8, v84
	v_dual_mov_b32 v1, 0 :: v_dual_mov_b32 v4, 0
	s_mov_b32 s73, exec_lo
	v_cmpx_ne_u16_e32 0, v2
	s_cbranch_execz .LBB6_25623
; %bb.25614:                            ;   in Loop: Header=BB6_22365 Depth=3
	v_bfrev_b32_e32 v4, 1
	s_mov_b32 s74, exec_lo
	v_cmpx_ne_u16_e32 0x80, v2
	s_cbranch_execz .LBB6_25622
; %bb.25615:                            ;   in Loop: Header=BB6_22365 Depth=3
	v_and_b32_e32 v5, 0xffff, v2
	s_delay_alu instid0(VALU_DEP_1) | instskip(SKIP_1) | instid1(VALU_DEP_2)
	v_and_b32_e32 v4, 0x7c, v5
	v_and_b32_e32 v3, 3, v5
	v_cmp_ne_u32_e32 vcc_lo, 0x7c, v4
                                        ; implicit-def: $vgpr4
	s_and_saveexec_b32 s13, vcc_lo
	s_delay_alu instid0(SALU_CYCLE_1)
	s_xor_b32 s13, exec_lo, s13
	s_cbranch_execz .LBB6_25619
; %bb.25616:                            ;   in Loop: Header=BB6_22365 Depth=3
	v_bfe_u32 v4, v5, 2, 5
	s_mov_b32 s75, exec_lo
	s_delay_alu instid0(VALU_DEP_1)
	v_cmpx_eq_u32_e32 0, v4
	s_cbranch_execz .LBB6_25618
; %bb.25617:                            ;   in Loop: Header=BB6_22365 Depth=3
	v_clz_i32_u32_e32 v3, v3
	s_delay_alu instid0(VALU_DEP_1) | instskip(SKIP_1) | instid1(VALU_DEP_2)
	v_min_u32_e32 v4, 32, v3
	v_mov_b32_e32 v3, v113
	v_subrev_nc_u32_e32 v5, 29, v4
	v_sub_nc_u32_e32 v4, 30, v4
	s_delay_alu instid0(VALU_DEP_2) | instskip(NEXT) | instid1(VALU_DEP_1)
	v_lshlrev_b64_e32 v[2:3], v5, v[2:3]
	v_and_b32_e32 v3, 3, v2
.LBB6_25618:                            ;   in Loop: Header=BB6_22365 Depth=3
	s_or_b32 exec_lo, exec_lo, s75
	v_lshlrev_b32_e32 v2, 16, v84
                                        ; implicit-def: $vgpr84
	s_delay_alu instid0(VALU_DEP_1) | instskip(NEXT) | instid1(VALU_DEP_1)
	v_and_b32_e32 v2, 0x80000000, v2
	v_lshl_add_u32 v2, v4, 23, v2
	s_delay_alu instid0(VALU_DEP_1) | instskip(NEXT) | instid1(VALU_DEP_1)
	v_lshl_or_b32 v2, v3, 21, v2
                                        ; implicit-def: $vgpr3
	v_add_nc_u32_e32 v4, 0x38000000, v2
.LBB6_25619:                            ;   in Loop: Header=BB6_22365 Depth=3
	s_and_not1_saveexec_b32 s75, s13
; %bb.25620:                            ;   in Loop: Header=BB6_22365 Depth=3
	v_cmp_lt_i16_e64 s13, -1, v84
	v_mov_b32_e32 v2, 0x7f800000
	v_cmp_eq_u32_e32 vcc_lo, 0, v3
	s_delay_alu instid0(VALU_DEP_2) | instskip(NEXT) | instid1(VALU_DEP_1)
	v_cndmask_b32_e64 v2, 0xff800000, v2, s13
	v_cndmask_b32_e32 v4, 0x7f800001, v2, vcc_lo
; %bb.25621:                            ;   in Loop: Header=BB6_22365 Depth=3
	s_or_b32 exec_lo, exec_lo, s75
.LBB6_25622:                            ;   in Loop: Header=BB6_22365 Depth=3
	s_delay_alu instid0(SALU_CYCLE_1)
	s_or_b32 exec_lo, exec_lo, s74
.LBB6_25623:                            ;   in Loop: Header=BB6_22365 Depth=3
	s_delay_alu instid0(SALU_CYCLE_1) | instskip(SKIP_2) | instid1(VALU_DEP_1)
	s_or_b32 exec_lo, exec_lo, s73
	v_lshrrev_b16 v2, 8, v12
	s_mov_b32 s73, exec_lo
	v_cmpx_ne_u16_e32 0, v2
	s_cbranch_execz .LBB6_25633
; %bb.25624:                            ;   in Loop: Header=BB6_22365 Depth=3
	v_bfrev_b32_e32 v1, 1
	s_mov_b32 s74, exec_lo
	v_cmpx_ne_u16_e32 0x80, v2
	s_cbranch_execz .LBB6_25632
; %bb.25625:                            ;   in Loop: Header=BB6_22365 Depth=3
	v_and_b32_e32 v5, 0xffff, v2
	s_delay_alu instid0(VALU_DEP_1) | instskip(SKIP_1) | instid1(VALU_DEP_2)
	v_and_b32_e32 v1, 0x7c, v5
	v_and_b32_e32 v3, 3, v5
	v_cmp_ne_u32_e32 vcc_lo, 0x7c, v1
                                        ; implicit-def: $vgpr1
	s_and_saveexec_b32 s13, vcc_lo
	s_delay_alu instid0(SALU_CYCLE_1)
	s_xor_b32 s13, exec_lo, s13
	s_cbranch_execz .LBB6_25629
; %bb.25626:                            ;   in Loop: Header=BB6_22365 Depth=3
	v_bfe_u32 v1, v5, 2, 5
	s_mov_b32 s75, exec_lo
	s_delay_alu instid0(VALU_DEP_1)
	v_cmpx_eq_u32_e32 0, v1
	s_cbranch_execz .LBB6_25628
; %bb.25627:                            ;   in Loop: Header=BB6_22365 Depth=3
	v_clz_i32_u32_e32 v1, v3
	s_delay_alu instid0(VALU_DEP_1) | instskip(SKIP_1) | instid1(VALU_DEP_2)
	v_min_u32_e32 v1, 32, v1
	v_mov_b32_e32 v3, v113
	v_subrev_nc_u32_e32 v5, 29, v1
	v_sub_nc_u32_e32 v1, 30, v1
	s_delay_alu instid0(VALU_DEP_2) | instskip(NEXT) | instid1(VALU_DEP_1)
	v_lshlrev_b64_e32 v[2:3], v5, v[2:3]
	v_and_b32_e32 v3, 3, v2
.LBB6_25628:                            ;   in Loop: Header=BB6_22365 Depth=3
	s_or_b32 exec_lo, exec_lo, s75
	v_lshlrev_b32_e32 v2, 16, v12
	s_delay_alu instid0(VALU_DEP_1) | instskip(NEXT) | instid1(VALU_DEP_1)
	v_and_b32_e32 v2, 0x80000000, v2
	v_lshl_add_u32 v1, v1, 23, v2
	s_delay_alu instid0(VALU_DEP_1) | instskip(NEXT) | instid1(VALU_DEP_1)
	v_lshl_or_b32 v1, v3, 21, v1
                                        ; implicit-def: $vgpr3
	v_add_nc_u32_e32 v1, 0x38000000, v1
.LBB6_25629:                            ;   in Loop: Header=BB6_22365 Depth=3
	s_and_not1_saveexec_b32 s75, s13
; %bb.25630:                            ;   in Loop: Header=BB6_22365 Depth=3
	v_cmp_lt_i16_e64 s13, -1, v12
	v_mov_b32_e32 v1, 0x7f800000
	v_cmp_eq_u32_e32 vcc_lo, 0, v3
	s_delay_alu instid0(VALU_DEP_2) | instskip(NEXT) | instid1(VALU_DEP_1)
	v_cndmask_b32_e64 v1, 0xff800000, v1, s13
	v_cndmask_b32_e32 v1, 0x7f800001, v1, vcc_lo
; %bb.25631:                            ;   in Loop: Header=BB6_22365 Depth=3
	s_or_b32 exec_lo, exec_lo, s75
.LBB6_25632:                            ;   in Loop: Header=BB6_22365 Depth=3
	s_delay_alu instid0(SALU_CYCLE_1)
	s_or_b32 exec_lo, exec_lo, s74
.LBB6_25633:                            ;   in Loop: Header=BB6_22365 Depth=3
	s_delay_alu instid0(SALU_CYCLE_1) | instskip(NEXT) | instid1(VALU_DEP_1)
	s_or_b32 exec_lo, exec_lo, s73
	v_dual_add_f32 v4, v4, v1 :: v_dual_mov_b32 v47, v113
	v_mov_b32_e32 v3, v113
                                        ; implicit-def: $vgpr70
	s_mov_b32 s13, exec_lo
	s_delay_alu instid0(VALU_DEP_2) | instskip(SKIP_2) | instid1(VALU_DEP_3)
	v_and_b32_e32 v46, 0x7f800000, v4
	v_and_b32_e32 v2, 0x7fffff, v4
	v_lshrrev_b32_e32 v1, 24, v4
	v_cmpx_ne_u64_e32 0x7f800000, v[46:47]
	s_xor_b32 s73, exec_lo, s13
	s_cbranch_execz .LBB6_25647
; %bb.25634:                            ;   in Loop: Header=BB6_22365 Depth=3
	v_and_b32_e32 v46, 0x7fffffff, v4
	v_mov_b32_e32 v47, v113
	v_and_b32_e32 v1, 0x80, v1
                                        ; implicit-def: $vgpr70
	s_mov_b32 s13, exec_lo
	s_delay_alu instid0(VALU_DEP_2)
	v_cmpx_gt_u64_e32 0x47600001, v[46:47]
	s_xor_b32 s74, exec_lo, s13
	s_cbranch_execz .LBB6_25644
; %bb.25635:                            ;   in Loop: Header=BB6_22365 Depth=3
	v_mov_b32_e32 v70, 0
	s_mov_b32 s75, exec_lo
	v_cmpx_ne_u32_e32 0, v4
	s_cbranch_execz .LBB6_25643
; %bb.25636:                            ;   in Loop: Header=BB6_22365 Depth=3
	v_bfe_u32 v70, v4, 23, 8
	v_or_b32_e32 v5, 0x800000, v2
	s_delay_alu instid0(VALU_DEP_2) | instskip(SKIP_2) | instid1(VALU_DEP_2)
	v_cmp_gt_u32_e64 s13, 0x72, v70
	v_sub_nc_u32_e32 v4, 0x71, v70
	v_cmp_eq_u32_e32 vcc_lo, 0, v70
	v_dual_cndmask_b32 v4, 0, v4, s13 :: v_dual_cndmask_b32 v2, v5, v2, vcc_lo
	s_delay_alu instid0(VALU_DEP_1) | instskip(NEXT) | instid1(VALU_DEP_1)
	v_cndmask_b32_e64 v84, v4, 0x70, vcc_lo
	v_dual_add_nc_u32 v4, 21, v84 :: v_dual_add_nc_u32 v86, 20, v84
	s_delay_alu instid0(VALU_DEP_1) | instskip(NEXT) | instid1(VALU_DEP_2)
	v_lshlrev_b64_e64 v[4:5], v4, -1
	v_lshlrev_b64_e64 v[46:47], v86, 1
	s_delay_alu instid0(VALU_DEP_2) | instskip(SKIP_1) | instid1(VALU_DEP_4)
	v_bfi_b32 v4, v4, 0, v2
	v_lshrrev_b64 v[2:3], v84, v[2:3]
	v_bfi_b32 v5, v5, 0, 0
	s_delay_alu instid0(VALU_DEP_1) | instskip(NEXT) | instid1(VALU_DEP_3)
	v_cmp_eq_u64_e64 s13, v[4:5], v[46:47]
	v_mov_b64_e32 v[4:5], v[2:3]
	s_and_saveexec_b32 s76, s13
; %bb.25637:                            ;   in Loop: Header=BB6_22365 Depth=3
	v_bfe_u32 v4, v2, 21, 1
	v_mov_b32_e32 v5, v113
	s_delay_alu instid0(VALU_DEP_1) | instskip(NEXT) | instid1(VALU_DEP_1)
	v_add_nc_u64_e32 v[4:5], v[2:3], v[4:5]
	v_add_nc_u64_e32 v[4:5], -1, v[4:5]
; %bb.25638:                            ;   in Loop: Header=BB6_22365 Depth=3
	s_or_b32 exec_lo, exec_lo, s76
	v_add_nc_u32_e32 v3, 0xffffff81, v70
	v_lshrrev_b32_e32 v5, 23, v2
	s_mov_b32 s13, exec_lo
	s_delay_alu instid0(VALU_DEP_2) | instskip(NEXT) | instid1(VALU_DEP_1)
	v_cndmask_b32_e64 v3, v3, 0xffffff82, vcc_lo
	v_add3_u32 v70, v84, v3, v5
	v_and_b32_e32 v3, 0x1fffff, v4
                                        ; implicit-def: $vgpr4
	s_delay_alu instid0(VALU_DEP_2) | instskip(NEXT) | instid1(VALU_DEP_2)
	v_add_nc_u32_e32 v5, 14, v70
	v_dual_mov_b32 v3, v113 :: v_dual_add_nc_u32 v2, v3, v2
	s_delay_alu instid0(VALU_DEP_2)
	v_cmpx_ne_u32_e32 0, v5
	s_xor_b32 s13, exec_lo, s13
; %bb.25639:                            ;   in Loop: Header=BB6_22365 Depth=3
	s_delay_alu instid0(VALU_DEP_2) | instskip(SKIP_1) | instid1(VALU_DEP_1)
	v_cmp_lt_u64_e32 vcc_lo, 0xffffff, v[2:3]
	v_add_nc_u32_e32 v4, 15, v70
	v_cndmask_b32_e32 v4, v5, v4, vcc_lo
	v_cndmask_b32_e64 v5, 0, 1, vcc_lo
	s_delay_alu instid0(VALU_DEP_1)
	v_lshrrev_b64 v[2:3], v5, v[2:3]
; %bb.25640:                            ;   in Loop: Header=BB6_22365 Depth=3
	s_and_not1_saveexec_b32 s13, s13
; %bb.25641:                            ;   in Loop: Header=BB6_22365 Depth=3
	s_delay_alu instid0(VALU_DEP_1)
	v_bfe_u32 v4, v2, 23, 1
; %bb.25642:                            ;   in Loop: Header=BB6_22365 Depth=3
	s_or_b32 exec_lo, exec_lo, s13
	s_delay_alu instid0(VALU_DEP_2) | instskip(NEXT) | instid1(VALU_DEP_2)
	v_lshrrev_b64 v[2:3], 21, v[2:3]
	v_cmp_gt_i32_e32 vcc_lo, 32, v4
	v_min_i32_e32 v5, 31, v4
	v_cmp_eq_u32_e64 s13, 0, v4
	s_delay_alu instid0(VALU_DEP_2) | instskip(SKIP_1) | instid1(VALU_DEP_2)
	v_dual_cndmask_b32 v3, 0, v3, vcc_lo :: v_dual_lshlrev_b32 v5, 2, v5
	v_cndmask_b32_e32 v2, 3, v2, vcc_lo
	v_and_b32_e32 v5, 0xfc, v5
	s_delay_alu instid0(VALU_DEP_2) | instskip(NEXT) | instid1(VALU_DEP_2)
	v_cmp_eq_u64_e32 vcc_lo, 0, v[2:3]
	v_and_or_b32 v2, v2, 3, v5
	s_and_b32 s13, s13, vcc_lo
	s_delay_alu instid0(VALU_DEP_1) | instid1(SALU_CYCLE_1)
	v_cndmask_b32_e64 v2, v2, 0, s13
	s_delay_alu instid0(VALU_DEP_1)
	v_or_b32_e32 v70, v2, v1
.LBB6_25643:                            ;   in Loop: Header=BB6_22365 Depth=3
	s_or_b32 exec_lo, exec_lo, s75
                                        ; implicit-def: $vgpr1
.LBB6_25644:                            ;   in Loop: Header=BB6_22365 Depth=3
	s_and_not1_saveexec_b32 s13, s74
; %bb.25645:                            ;   in Loop: Header=BB6_22365 Depth=3
	v_or_b32_e32 v70, 0x7b, v1
; %bb.25646:                            ;   in Loop: Header=BB6_22365 Depth=3
	s_or_b32 exec_lo, exec_lo, s13
                                        ; implicit-def: $vgpr4
                                        ; implicit-def: $vgpr2_vgpr3
                                        ; implicit-def: $vgpr1
.LBB6_25647:                            ;   in Loop: Header=BB6_22365 Depth=3
	s_and_not1_saveexec_b32 s13, s73
	s_cbranch_execz .LBB6_25653
; %bb.25648:                            ;   in Loop: Header=BB6_22365 Depth=3
	s_mov_b32 s73, exec_lo
                                        ; implicit-def: $vgpr70
	v_cmpx_ne_u64_e32 0, v[2:3]
	s_xor_b32 s73, exec_lo, s73
; %bb.25649:                            ;   in Loop: Header=BB6_22365 Depth=3
	v_or_b32_e32 v70, 0x7f, v1
                                        ; implicit-def: $vgpr4
; %bb.25650:                            ;   in Loop: Header=BB6_22365 Depth=3
	s_and_not1_saveexec_b32 s73, s73
; %bb.25651:                            ;   in Loop: Header=BB6_22365 Depth=3
	v_cmp_lt_i32_e32 vcc_lo, -1, v4
	v_mov_b32_e32 v1, 0x7c
	s_delay_alu instid0(VALU_DEP_1)
	v_cndmask_b32_e32 v70, 0xfc, v1, vcc_lo
; %bb.25652:                            ;   in Loop: Header=BB6_22365 Depth=3
	s_or_b32 exec_lo, exec_lo, s73
.LBB6_25653:                            ;   in Loop: Header=BB6_22365 Depth=3
	s_delay_alu instid0(SALU_CYCLE_1) | instskip(SKIP_3) | instid1(VALU_DEP_2)
	s_or_b32 exec_lo, exec_lo, s13
	v_dual_mov_b32 v1, 0 :: v_dual_lshrrev_b32 v2, 16, v0
	v_mov_b32_e32 v3, 0
	s_mov_b32 s73, exec_lo
	v_and_b32_e32 v4, 0xff, v2
	s_delay_alu instid0(VALU_DEP_1)
	v_cmpx_ne_u16_e32 0, v4
	s_cbranch_execz .LBB6_25663
; %bb.25654:                            ;   in Loop: Header=BB6_22365 Depth=3
	v_bfrev_b32_e32 v3, 1
	s_mov_b32 s74, exec_lo
	v_cmpx_ne_u16_e32 0x80, v4
	s_cbranch_execz .LBB6_25662
; %bb.25655:                            ;   in Loop: Header=BB6_22365 Depth=3
	v_and_b32_e32 v3, 0x7c0000, v0
	v_bfe_u32 v4, v0, 16, 2
	s_delay_alu instid0(VALU_DEP_2) | instskip(SKIP_1) | instid1(SALU_CYCLE_1)
	v_cmp_ne_u32_e32 vcc_lo, 0x7c0000, v3
                                        ; implicit-def: $vgpr3
	s_and_saveexec_b32 s13, vcc_lo
	s_xor_b32 s13, exec_lo, s13
	s_cbranch_execz .LBB6_25659
; %bb.25656:                            ;   in Loop: Header=BB6_22365 Depth=3
	v_bfe_u32 v3, v0, 18, 5
	s_mov_b32 s75, exec_lo
	s_delay_alu instid0(VALU_DEP_1)
	v_cmpx_eq_u32_e32 0, v3
; %bb.25657:                            ;   in Loop: Header=BB6_22365 Depth=3
	v_clz_i32_u32_e32 v3, v4
	s_delay_alu instid0(VALU_DEP_1) | instskip(NEXT) | instid1(VALU_DEP_1)
	v_min_u32_e32 v3, 32, v3
	v_subrev_nc_u32_e32 v4, 29, v3
	s_delay_alu instid0(VALU_DEP_1) | instskip(NEXT) | instid1(VALU_DEP_1)
	v_lshlrev_b64_e32 v[4:5], v4, v[2:3]
	v_dual_sub_nc_u32 v3, 30, v3 :: v_dual_bitop2_b32 v4, 3, v4 bitop3:0x40
; %bb.25658:                            ;   in Loop: Header=BB6_22365 Depth=3
	s_or_b32 exec_lo, exec_lo, s75
	v_lshlrev_b32_e32 v2, 24, v2
	s_delay_alu instid0(VALU_DEP_1) | instskip(NEXT) | instid1(VALU_DEP_1)
	v_and_b32_e32 v2, 0x80000000, v2
	v_lshl_add_u32 v2, v3, 23, v2
	s_delay_alu instid0(VALU_DEP_1) | instskip(NEXT) | instid1(VALU_DEP_1)
	v_lshl_or_b32 v2, v4, 21, v2
                                        ; implicit-def: $vgpr4
	v_add_nc_u32_e32 v3, 0x38000000, v2
                                        ; implicit-def: $vgpr2
.LBB6_25659:                            ;   in Loop: Header=BB6_22365 Depth=3
	s_and_not1_saveexec_b32 s75, s13
; %bb.25660:                            ;   in Loop: Header=BB6_22365 Depth=3
	v_bfe_i32 v2, v2, 0, 8
	v_cmp_eq_u32_e32 vcc_lo, 0, v4
	s_delay_alu instid0(VALU_DEP_2) | instskip(SKIP_1) | instid1(VALU_DEP_1)
	v_cmp_lt_i16_e64 s13, -1, v2
	v_mov_b32_e32 v2, 0x7f800000
	v_cndmask_b32_e64 v2, 0xff800000, v2, s13
	s_delay_alu instid0(VALU_DEP_1)
	v_cndmask_b32_e32 v3, 0x7f800001, v2, vcc_lo
; %bb.25661:                            ;   in Loop: Header=BB6_22365 Depth=3
	s_or_b32 exec_lo, exec_lo, s75
.LBB6_25662:                            ;   in Loop: Header=BB6_22365 Depth=3
	s_delay_alu instid0(SALU_CYCLE_1)
	s_or_b32 exec_lo, exec_lo, s74
.LBB6_25663:                            ;   in Loop: Header=BB6_22365 Depth=3
	s_delay_alu instid0(SALU_CYCLE_1) | instskip(SKIP_2) | instid1(VALU_DEP_1)
	s_or_b32 exec_lo, exec_lo, s73
	v_lshrrev_b32_e32 v2, 16, v12
	s_mov_b32 s73, exec_lo
	v_and_b32_e32 v4, 0xff, v2
	s_delay_alu instid0(VALU_DEP_1)
	v_cmpx_ne_u16_e32 0, v4
	s_cbranch_execz .LBB6_25673
; %bb.25664:                            ;   in Loop: Header=BB6_22365 Depth=3
	v_bfrev_b32_e32 v1, 1
	s_mov_b32 s74, exec_lo
	v_cmpx_ne_u16_e32 0x80, v4
	s_cbranch_execz .LBB6_25672
; %bb.25665:                            ;   in Loop: Header=BB6_22365 Depth=3
	v_and_b32_e32 v1, 0x7c0000, v12
	v_bfe_u32 v4, v12, 16, 2
	s_delay_alu instid0(VALU_DEP_2) | instskip(SKIP_1) | instid1(SALU_CYCLE_1)
	v_cmp_ne_u32_e32 vcc_lo, 0x7c0000, v1
                                        ; implicit-def: $vgpr1
	s_and_saveexec_b32 s13, vcc_lo
	s_xor_b32 s13, exec_lo, s13
	s_cbranch_execz .LBB6_25669
; %bb.25666:                            ;   in Loop: Header=BB6_22365 Depth=3
	v_bfe_u32 v1, v12, 18, 5
	s_mov_b32 s75, exec_lo
	s_delay_alu instid0(VALU_DEP_1)
	v_cmpx_eq_u32_e32 0, v1
; %bb.25667:                            ;   in Loop: Header=BB6_22365 Depth=3
	v_clz_i32_u32_e32 v1, v4
	s_delay_alu instid0(VALU_DEP_1) | instskip(NEXT) | instid1(VALU_DEP_1)
	v_min_u32_e32 v1, 32, v1
	v_subrev_nc_u32_e32 v4, 29, v1
	s_delay_alu instid0(VALU_DEP_1) | instskip(NEXT) | instid1(VALU_DEP_1)
	v_lshlrev_b64_e32 v[4:5], v4, v[2:3]
	v_dual_sub_nc_u32 v1, 30, v1 :: v_dual_bitop2_b32 v4, 3, v4 bitop3:0x40
; %bb.25668:                            ;   in Loop: Header=BB6_22365 Depth=3
	s_or_b32 exec_lo, exec_lo, s75
	v_lshlrev_b32_e32 v2, 24, v2
	s_delay_alu instid0(VALU_DEP_1) | instskip(NEXT) | instid1(VALU_DEP_1)
	v_and_b32_e32 v2, 0x80000000, v2
	v_lshl_add_u32 v1, v1, 23, v2
                                        ; implicit-def: $vgpr2
	s_delay_alu instid0(VALU_DEP_1) | instskip(NEXT) | instid1(VALU_DEP_1)
	v_lshl_or_b32 v1, v4, 21, v1
                                        ; implicit-def: $vgpr4
	v_add_nc_u32_e32 v1, 0x38000000, v1
.LBB6_25669:                            ;   in Loop: Header=BB6_22365 Depth=3
	s_and_not1_saveexec_b32 s75, s13
; %bb.25670:                            ;   in Loop: Header=BB6_22365 Depth=3
	v_bfe_i32 v1, v2, 0, 8
	v_cmp_eq_u32_e32 vcc_lo, 0, v4
	s_delay_alu instid0(VALU_DEP_2) | instskip(SKIP_1) | instid1(VALU_DEP_1)
	v_cmp_lt_i16_e64 s13, -1, v1
	v_mov_b32_e32 v1, 0x7f800000
	v_cndmask_b32_e64 v1, 0xff800000, v1, s13
	s_delay_alu instid0(VALU_DEP_1)
	v_cndmask_b32_e32 v1, 0x7f800001, v1, vcc_lo
; %bb.25671:                            ;   in Loop: Header=BB6_22365 Depth=3
	s_or_b32 exec_lo, exec_lo, s75
.LBB6_25672:                            ;   in Loop: Header=BB6_22365 Depth=3
	s_delay_alu instid0(SALU_CYCLE_1)
	s_or_b32 exec_lo, exec_lo, s74
.LBB6_25673:                            ;   in Loop: Header=BB6_22365 Depth=3
	s_delay_alu instid0(SALU_CYCLE_1) | instskip(NEXT) | instid1(VALU_DEP_1)
	s_or_b32 exec_lo, exec_lo, s73
	v_dual_add_f32 v4, v3, v1 :: v_dual_mov_b32 v47, v113
	v_mov_b32_e32 v3, v113
                                        ; implicit-def: $vgpr84
	s_mov_b32 s13, exec_lo
	s_delay_alu instid0(VALU_DEP_2) | instskip(SKIP_2) | instid1(VALU_DEP_3)
	v_and_b32_e32 v46, 0x7f800000, v4
	v_and_b32_e32 v2, 0x7fffff, v4
	v_lshrrev_b32_e32 v1, 24, v4
	v_cmpx_ne_u64_e32 0x7f800000, v[46:47]
	s_xor_b32 s73, exec_lo, s13
	s_cbranch_execz .LBB6_25687
; %bb.25674:                            ;   in Loop: Header=BB6_22365 Depth=3
	v_and_b32_e32 v46, 0x7fffffff, v4
	v_mov_b32_e32 v47, v113
	v_and_b32_e32 v1, 0x80, v1
                                        ; implicit-def: $vgpr84
	s_mov_b32 s13, exec_lo
	s_delay_alu instid0(VALU_DEP_2)
	v_cmpx_gt_u64_e32 0x47600001, v[46:47]
	s_xor_b32 s74, exec_lo, s13
	s_cbranch_execz .LBB6_25684
; %bb.25675:                            ;   in Loop: Header=BB6_22365 Depth=3
	v_mov_b32_e32 v84, 0
	s_mov_b32 s75, exec_lo
	v_cmpx_ne_u32_e32 0, v4
	s_cbranch_execz .LBB6_25683
; %bb.25676:                            ;   in Loop: Header=BB6_22365 Depth=3
	v_bfe_u32 v84, v4, 23, 8
	v_or_b32_e32 v5, 0x800000, v2
	s_delay_alu instid0(VALU_DEP_2) | instskip(SKIP_2) | instid1(VALU_DEP_2)
	v_cmp_gt_u32_e64 s13, 0x72, v84
	v_sub_nc_u32_e32 v4, 0x71, v84
	v_cmp_eq_u32_e32 vcc_lo, 0, v84
	v_dual_cndmask_b32 v4, 0, v4, s13 :: v_dual_cndmask_b32 v2, v5, v2, vcc_lo
	s_delay_alu instid0(VALU_DEP_1) | instskip(NEXT) | instid1(VALU_DEP_1)
	v_cndmask_b32_e64 v86, v4, 0x70, vcc_lo
	v_dual_add_nc_u32 v4, 21, v86 :: v_dual_add_nc_u32 v97, 20, v86
	s_delay_alu instid0(VALU_DEP_1) | instskip(NEXT) | instid1(VALU_DEP_2)
	v_lshlrev_b64_e64 v[4:5], v4, -1
	v_lshlrev_b64_e64 v[46:47], v97, 1
	s_delay_alu instid0(VALU_DEP_2) | instskip(SKIP_1) | instid1(VALU_DEP_4)
	v_bfi_b32 v4, v4, 0, v2
	v_lshrrev_b64 v[2:3], v86, v[2:3]
	v_bfi_b32 v5, v5, 0, 0
	s_delay_alu instid0(VALU_DEP_1) | instskip(NEXT) | instid1(VALU_DEP_3)
	v_cmp_eq_u64_e64 s13, v[4:5], v[46:47]
	v_mov_b64_e32 v[4:5], v[2:3]
	s_and_saveexec_b32 s76, s13
; %bb.25677:                            ;   in Loop: Header=BB6_22365 Depth=3
	v_bfe_u32 v4, v2, 21, 1
	v_mov_b32_e32 v5, v113
	s_delay_alu instid0(VALU_DEP_1) | instskip(NEXT) | instid1(VALU_DEP_1)
	v_add_nc_u64_e32 v[4:5], v[2:3], v[4:5]
	v_add_nc_u64_e32 v[4:5], -1, v[4:5]
; %bb.25678:                            ;   in Loop: Header=BB6_22365 Depth=3
	s_or_b32 exec_lo, exec_lo, s76
	v_add_nc_u32_e32 v3, 0xffffff81, v84
	v_lshrrev_b32_e32 v5, 23, v2
	s_mov_b32 s13, exec_lo
	s_delay_alu instid0(VALU_DEP_2) | instskip(NEXT) | instid1(VALU_DEP_1)
	v_cndmask_b32_e64 v3, v3, 0xffffff82, vcc_lo
	v_add3_u32 v84, v86, v3, v5
	v_and_b32_e32 v3, 0x1fffff, v4
                                        ; implicit-def: $vgpr4
	s_delay_alu instid0(VALU_DEP_1) | instskip(SKIP_1) | instid1(VALU_DEP_2)
	v_dual_add_nc_u32 v5, 14, v84 :: v_dual_add_nc_u32 v2, v3, v2
	v_mov_b32_e32 v3, v113
	v_cmpx_ne_u32_e32 0, v5
	s_xor_b32 s13, exec_lo, s13
; %bb.25679:                            ;   in Loop: Header=BB6_22365 Depth=3
	s_delay_alu instid0(VALU_DEP_2) | instskip(SKIP_1) | instid1(VALU_DEP_1)
	v_cmp_lt_u64_e32 vcc_lo, 0xffffff, v[2:3]
	v_add_nc_u32_e32 v4, 15, v84
	v_cndmask_b32_e32 v4, v5, v4, vcc_lo
	v_cndmask_b32_e64 v5, 0, 1, vcc_lo
	s_delay_alu instid0(VALU_DEP_1)
	v_lshrrev_b64 v[2:3], v5, v[2:3]
; %bb.25680:                            ;   in Loop: Header=BB6_22365 Depth=3
	s_and_not1_saveexec_b32 s13, s13
; %bb.25681:                            ;   in Loop: Header=BB6_22365 Depth=3
	s_delay_alu instid0(VALU_DEP_1)
	v_bfe_u32 v4, v2, 23, 1
; %bb.25682:                            ;   in Loop: Header=BB6_22365 Depth=3
	s_or_b32 exec_lo, exec_lo, s13
	s_delay_alu instid0(VALU_DEP_2) | instskip(NEXT) | instid1(VALU_DEP_2)
	v_lshrrev_b64 v[2:3], 21, v[2:3]
	v_cmp_gt_i32_e32 vcc_lo, 32, v4
	v_min_i32_e32 v5, 31, v4
	v_cmp_eq_u32_e64 s13, 0, v4
	s_delay_alu instid0(VALU_DEP_2) | instskip(SKIP_1) | instid1(VALU_DEP_2)
	v_dual_cndmask_b32 v3, 0, v3, vcc_lo :: v_dual_lshlrev_b32 v5, 2, v5
	v_cndmask_b32_e32 v2, 3, v2, vcc_lo
	v_and_b32_e32 v5, 0xfc, v5
	s_delay_alu instid0(VALU_DEP_2) | instskip(NEXT) | instid1(VALU_DEP_2)
	v_cmp_eq_u64_e32 vcc_lo, 0, v[2:3]
	v_and_or_b32 v2, v2, 3, v5
	s_and_b32 s13, s13, vcc_lo
	s_delay_alu instid0(VALU_DEP_1) | instid1(SALU_CYCLE_1)
	v_cndmask_b32_e64 v2, v2, 0, s13
	s_delay_alu instid0(VALU_DEP_1)
	v_or_b32_e32 v84, v2, v1
.LBB6_25683:                            ;   in Loop: Header=BB6_22365 Depth=3
	s_or_b32 exec_lo, exec_lo, s75
                                        ; implicit-def: $vgpr1
.LBB6_25684:                            ;   in Loop: Header=BB6_22365 Depth=3
	s_and_not1_saveexec_b32 s13, s74
; %bb.25685:                            ;   in Loop: Header=BB6_22365 Depth=3
	v_or_b32_e32 v84, 0x7b, v1
; %bb.25686:                            ;   in Loop: Header=BB6_22365 Depth=3
	s_or_b32 exec_lo, exec_lo, s13
                                        ; implicit-def: $vgpr4
                                        ; implicit-def: $vgpr2_vgpr3
                                        ; implicit-def: $vgpr1
.LBB6_25687:                            ;   in Loop: Header=BB6_22365 Depth=3
	s_and_not1_saveexec_b32 s13, s73
	s_cbranch_execz .LBB6_25693
; %bb.25688:                            ;   in Loop: Header=BB6_22365 Depth=3
	s_mov_b32 s73, exec_lo
                                        ; implicit-def: $vgpr84
	v_cmpx_ne_u64_e32 0, v[2:3]
	s_xor_b32 s73, exec_lo, s73
; %bb.25689:                            ;   in Loop: Header=BB6_22365 Depth=3
	v_or_b32_e32 v84, 0x7f, v1
                                        ; implicit-def: $vgpr4
; %bb.25690:                            ;   in Loop: Header=BB6_22365 Depth=3
	s_and_not1_saveexec_b32 s73, s73
; %bb.25691:                            ;   in Loop: Header=BB6_22365 Depth=3
	v_cmp_lt_i32_e32 vcc_lo, -1, v4
	v_mov_b32_e32 v1, 0x7c
	s_delay_alu instid0(VALU_DEP_1)
	v_cndmask_b32_e32 v84, 0xfc, v1, vcc_lo
; %bb.25692:                            ;   in Loop: Header=BB6_22365 Depth=3
	s_or_b32 exec_lo, exec_lo, s73
.LBB6_25693:                            ;   in Loop: Header=BB6_22365 Depth=3
	s_delay_alu instid0(SALU_CYCLE_1)
	s_or_b32 exec_lo, exec_lo, s13
	v_dual_mov_b32 v3, 0 :: v_dual_mov_b32 v4, 0
	s_mov_b32 s73, exec_lo
	v_cmpx_lt_u32_e32 0xffffff, v0
	s_cbranch_execz .LBB6_25703
; %bb.25694:                            ;   in Loop: Header=BB6_22365 Depth=3
	v_lshrrev_b32_e32 v2, 24, v0
	v_bfrev_b32_e32 v4, 1
	s_mov_b32 s74, exec_lo
	s_delay_alu instid0(VALU_DEP_2)
	v_cmpx_ne_u32_e32 0x80, v2
	s_cbranch_execz .LBB6_25702
; %bb.25695:                            ;   in Loop: Header=BB6_22365 Depth=3
	v_and_b32_e32 v1, 0x7c000000, v0
	v_bfe_u32 v5, v0, 24, 2
	s_mov_b32 s13, exec_lo
                                        ; implicit-def: $vgpr4
	s_delay_alu instid0(VALU_DEP_2)
	v_cmpx_ne_u32_e32 0x7c000000, v1
	s_xor_b32 s13, exec_lo, s13
	s_cbranch_execz .LBB6_25699
; %bb.25696:                            ;   in Loop: Header=BB6_22365 Depth=3
	v_bfe_u32 v1, v0, 26, 5
	s_mov_b32 s75, exec_lo
	s_delay_alu instid0(VALU_DEP_1)
	v_cmpx_eq_u32_e32 0, v1
; %bb.25697:                            ;   in Loop: Header=BB6_22365 Depth=3
	v_clz_i32_u32_e32 v1, v5
	s_delay_alu instid0(VALU_DEP_1) | instskip(NEXT) | instid1(VALU_DEP_1)
	v_min_u32_e32 v1, 32, v1
	v_subrev_nc_u32_e32 v4, 29, v1
	s_delay_alu instid0(VALU_DEP_1) | instskip(NEXT) | instid1(VALU_DEP_1)
	v_lshlrev_b64_e32 v[4:5], v4, v[2:3]
	v_dual_sub_nc_u32 v1, 30, v1 :: v_dual_bitop2_b32 v5, 3, v4 bitop3:0x40
; %bb.25698:                            ;   in Loop: Header=BB6_22365 Depth=3
	s_or_b32 exec_lo, exec_lo, s75
	v_and_b32_e32 v0, 0x80000000, v0
	s_delay_alu instid0(VALU_DEP_1) | instskip(NEXT) | instid1(VALU_DEP_1)
	v_lshl_add_u32 v0, v1, 23, v0
	v_lshl_or_b32 v0, v5, 21, v0
                                        ; implicit-def: $vgpr5
	s_delay_alu instid0(VALU_DEP_1)
	v_add_nc_u32_e32 v4, 0x38000000, v0
                                        ; implicit-def: $vgpr0_vgpr1
.LBB6_25699:                            ;   in Loop: Header=BB6_22365 Depth=3
	s_and_not1_saveexec_b32 s75, s13
; %bb.25700:                            ;   in Loop: Header=BB6_22365 Depth=3
	v_cmp_lt_i32_e64 s13, -1, v0
	v_mov_b32_e32 v0, 0x7f800000
	v_cmp_eq_u32_e32 vcc_lo, 0, v5
	s_delay_alu instid0(VALU_DEP_2) | instskip(NEXT) | instid1(VALU_DEP_1)
	v_cndmask_b32_e64 v0, 0xff800000, v0, s13
	v_cndmask_b32_e32 v4, 0x7f800001, v0, vcc_lo
; %bb.25701:                            ;   in Loop: Header=BB6_22365 Depth=3
	s_or_b32 exec_lo, exec_lo, s75
.LBB6_25702:                            ;   in Loop: Header=BB6_22365 Depth=3
	s_delay_alu instid0(SALU_CYCLE_1)
	s_or_b32 exec_lo, exec_lo, s74
.LBB6_25703:                            ;   in Loop: Header=BB6_22365 Depth=3
	s_delay_alu instid0(SALU_CYCLE_1) | instskip(NEXT) | instid1(SALU_CYCLE_1)
	s_or_b32 exec_lo, exec_lo, s73
	s_mov_b32 s73, exec_lo
	v_cmpx_lt_u32_e32 0xffffff, v12
	s_cbranch_execz .LBB6_25713
; %bb.25704:                            ;   in Loop: Header=BB6_22365 Depth=3
	v_lshrrev_b32_e32 v0, 24, v12
	v_bfrev_b32_e32 v3, 1
	s_mov_b32 s74, exec_lo
	s_delay_alu instid0(VALU_DEP_2)
	v_cmpx_ne_u32_e32 0x80, v0
	s_cbranch_execz .LBB6_25712
; %bb.25705:                            ;   in Loop: Header=BB6_22365 Depth=3
	v_and_b32_e32 v2, 0x7c000000, v12
	v_bfe_u32 v1, v12, 24, 2
	s_mov_b32 s13, exec_lo
                                        ; implicit-def: $vgpr3
	s_delay_alu instid0(VALU_DEP_2)
	v_cmpx_ne_u32_e32 0x7c000000, v2
	s_xor_b32 s13, exec_lo, s13
	s_cbranch_execz .LBB6_25709
; %bb.25706:                            ;   in Loop: Header=BB6_22365 Depth=3
	v_bfe_u32 v2, v12, 26, 5
	s_mov_b32 s75, exec_lo
	s_delay_alu instid0(VALU_DEP_1)
	v_cmpx_eq_u32_e32 0, v2
; %bb.25707:                            ;   in Loop: Header=BB6_22365 Depth=3
	v_clz_i32_u32_e32 v1, v1
	s_delay_alu instid0(VALU_DEP_1) | instskip(NEXT) | instid1(VALU_DEP_1)
	v_min_u32_e32 v2, 32, v1
	v_subrev_nc_u32_e32 v1, 29, v2
	s_delay_alu instid0(VALU_DEP_1) | instskip(NEXT) | instid1(VALU_DEP_1)
	v_lshlrev_b64_e32 v[0:1], v1, v[0:1]
	v_dual_sub_nc_u32 v2, 30, v2 :: v_dual_bitop2_b32 v1, 3, v0 bitop3:0x40
; %bb.25708:                            ;   in Loop: Header=BB6_22365 Depth=3
	s_or_b32 exec_lo, exec_lo, s75
	v_and_b32_e32 v0, 0x80000000, v12
	s_delay_alu instid0(VALU_DEP_1) | instskip(NEXT) | instid1(VALU_DEP_1)
	v_lshl_add_u32 v0, v2, 23, v0
	v_lshl_or_b32 v0, v1, 21, v0
                                        ; implicit-def: $vgpr1
	s_delay_alu instid0(VALU_DEP_1)
	v_add_nc_u32_e32 v3, 0x38000000, v0
.LBB6_25709:                            ;   in Loop: Header=BB6_22365 Depth=3
	s_and_not1_saveexec_b32 s75, s13
; %bb.25710:                            ;   in Loop: Header=BB6_22365 Depth=3
	v_cmp_lt_i32_e64 s13, -1, v12
	v_mov_b32_e32 v0, 0x7f800000
	v_cmp_eq_u32_e32 vcc_lo, 0, v1
	s_delay_alu instid0(VALU_DEP_2) | instskip(NEXT) | instid1(VALU_DEP_1)
	v_cndmask_b32_e64 v0, 0xff800000, v0, s13
	v_cndmask_b32_e32 v3, 0x7f800001, v0, vcc_lo
; %bb.25711:                            ;   in Loop: Header=BB6_22365 Depth=3
	s_or_b32 exec_lo, exec_lo, s75
.LBB6_25712:                            ;   in Loop: Header=BB6_22365 Depth=3
	s_delay_alu instid0(SALU_CYCLE_1)
	s_or_b32 exec_lo, exec_lo, s74
.LBB6_25713:                            ;   in Loop: Header=BB6_22365 Depth=3
	s_delay_alu instid0(SALU_CYCLE_1) | instskip(NEXT) | instid1(VALU_DEP_1)
	s_or_b32 exec_lo, exec_lo, s73
	v_dual_add_f32 v2, v4, v3 :: v_dual_mov_b32 v5, v113
	v_mov_b32_e32 v1, v113
                                        ; implicit-def: $vgpr86
	s_mov_b32 s13, exec_lo
	s_delay_alu instid0(VALU_DEP_2) | instskip(SKIP_2) | instid1(VALU_DEP_3)
	v_and_b32_e32 v4, 0x7f800000, v2
	v_and_b32_e32 v0, 0x7fffff, v2
	v_lshrrev_b32_e32 v3, 24, v2
	v_cmpx_ne_u64_e32 0x7f800000, v[4:5]
	s_xor_b32 s73, exec_lo, s13
	s_cbranch_execz .LBB6_25727
; %bb.25714:                            ;   in Loop: Header=BB6_22365 Depth=3
	v_and_b32_e32 v4, 0x7fffffff, v2
	v_mov_b32_e32 v5, v113
                                        ; implicit-def: $vgpr86
	s_delay_alu instid0(VALU_DEP_1) | instskip(SKIP_2) | instid1(SALU_CYCLE_1)
	v_cmp_gt_u64_e32 vcc_lo, 0x47600001, v[4:5]
	v_and_b32_e32 v4, 0x80, v3
	s_and_saveexec_b32 s13, vcc_lo
	s_xor_b32 s74, exec_lo, s13
	s_cbranch_execz .LBB6_25724
; %bb.25715:                            ;   in Loop: Header=BB6_22365 Depth=3
	v_mov_b32_e32 v86, 0
	s_mov_b32 s75, exec_lo
	v_cmpx_ne_u32_e32 0, v2
	s_cbranch_execz .LBB6_25723
; %bb.25716:                            ;   in Loop: Header=BB6_22365 Depth=3
	v_bfe_u32 v5, v2, 23, 8
	v_or_b32_e32 v3, 0x800000, v0
	s_delay_alu instid0(VALU_DEP_2) | instskip(SKIP_2) | instid1(VALU_DEP_2)
	v_cmp_gt_u32_e64 s13, 0x72, v5
	v_sub_nc_u32_e32 v2, 0x71, v5
	v_cmp_eq_u32_e32 vcc_lo, 0, v5
	v_dual_cndmask_b32 v2, 0, v2, s13 :: v_dual_cndmask_b32 v0, v3, v0, vcc_lo
	s_delay_alu instid0(VALU_DEP_1) | instskip(NEXT) | instid1(VALU_DEP_1)
	v_cndmask_b32_e64 v86, v2, 0x70, vcc_lo
	v_dual_add_nc_u32 v2, 21, v86 :: v_dual_add_nc_u32 v97, 20, v86
	s_delay_alu instid0(VALU_DEP_1) | instskip(NEXT) | instid1(VALU_DEP_2)
	v_lshlrev_b64_e64 v[2:3], v2, -1
	v_lshlrev_b64_e64 v[46:47], v97, 1
	s_delay_alu instid0(VALU_DEP_2) | instskip(SKIP_1) | instid1(VALU_DEP_4)
	v_bfi_b32 v2, v2, 0, v0
	v_lshrrev_b64 v[0:1], v86, v[0:1]
	v_bfi_b32 v3, v3, 0, 0
	s_delay_alu instid0(VALU_DEP_1) | instskip(NEXT) | instid1(VALU_DEP_3)
	v_cmp_eq_u64_e64 s13, v[2:3], v[46:47]
	v_mov_b64_e32 v[2:3], v[0:1]
	s_and_saveexec_b32 s76, s13
; %bb.25717:                            ;   in Loop: Header=BB6_22365 Depth=3
	v_bfe_u32 v2, v0, 21, 1
	v_mov_b32_e32 v3, v113
	s_delay_alu instid0(VALU_DEP_1) | instskip(NEXT) | instid1(VALU_DEP_1)
	v_add_nc_u64_e32 v[2:3], v[0:1], v[2:3]
	v_add_nc_u64_e32 v[2:3], -1, v[2:3]
; %bb.25718:                            ;   in Loop: Header=BB6_22365 Depth=3
	s_or_b32 exec_lo, exec_lo, s76
	v_add_nc_u32_e32 v1, 0xffffff81, v5
	v_lshrrev_b32_e32 v3, 23, v0
	s_mov_b32 s13, exec_lo
	s_delay_alu instid0(VALU_DEP_2) | instskip(NEXT) | instid1(VALU_DEP_1)
	v_cndmask_b32_e64 v1, v1, 0xffffff82, vcc_lo
	v_add3_u32 v5, v86, v1, v3
	v_and_b32_e32 v1, 0x1fffff, v2
                                        ; implicit-def: $vgpr2
	s_delay_alu instid0(VALU_DEP_1) | instskip(SKIP_1) | instid1(VALU_DEP_2)
	v_dual_add_nc_u32 v3, 14, v5 :: v_dual_add_nc_u32 v0, v1, v0
	v_mov_b32_e32 v1, v113
	v_cmpx_ne_u32_e32 0, v3
	s_xor_b32 s13, exec_lo, s13
; %bb.25719:                            ;   in Loop: Header=BB6_22365 Depth=3
	s_delay_alu instid0(VALU_DEP_2) | instskip(SKIP_1) | instid1(VALU_DEP_1)
	v_cmp_lt_u64_e32 vcc_lo, 0xffffff, v[0:1]
	v_add_nc_u32_e32 v2, 15, v5
	v_cndmask_b32_e32 v2, v3, v2, vcc_lo
	v_cndmask_b32_e64 v3, 0, 1, vcc_lo
	s_delay_alu instid0(VALU_DEP_1)
	v_lshrrev_b64 v[0:1], v3, v[0:1]
; %bb.25720:                            ;   in Loop: Header=BB6_22365 Depth=3
	s_and_not1_saveexec_b32 s13, s13
; %bb.25721:                            ;   in Loop: Header=BB6_22365 Depth=3
	s_delay_alu instid0(VALU_DEP_1)
	v_bfe_u32 v2, v0, 23, 1
; %bb.25722:                            ;   in Loop: Header=BB6_22365 Depth=3
	s_or_b32 exec_lo, exec_lo, s13
	s_delay_alu instid0(VALU_DEP_2) | instskip(NEXT) | instid1(VALU_DEP_2)
	v_lshrrev_b64 v[0:1], 21, v[0:1]
	v_cmp_gt_i32_e32 vcc_lo, 32, v2
	v_min_i32_e32 v3, 31, v2
	v_cmp_eq_u32_e64 s13, 0, v2
	s_delay_alu instid0(VALU_DEP_2) | instskip(SKIP_1) | instid1(VALU_DEP_2)
	v_dual_cndmask_b32 v1, 0, v1, vcc_lo :: v_dual_lshlrev_b32 v3, 2, v3
	v_cndmask_b32_e32 v0, 3, v0, vcc_lo
	v_and_b32_e32 v3, 0xfc, v3
	s_delay_alu instid0(VALU_DEP_2) | instskip(NEXT) | instid1(VALU_DEP_2)
	v_cmp_eq_u64_e32 vcc_lo, 0, v[0:1]
	v_and_or_b32 v0, v0, 3, v3
	s_and_b32 s13, s13, vcc_lo
	s_delay_alu instid0(VALU_DEP_1) | instid1(SALU_CYCLE_1)
	v_cndmask_b32_e64 v0, v0, 0, s13
	s_delay_alu instid0(VALU_DEP_1)
	v_or_b32_e32 v86, v0, v4
.LBB6_25723:                            ;   in Loop: Header=BB6_22365 Depth=3
	s_or_b32 exec_lo, exec_lo, s75
                                        ; implicit-def: $vgpr4
.LBB6_25724:                            ;   in Loop: Header=BB6_22365 Depth=3
	s_and_not1_saveexec_b32 s13, s74
; %bb.25725:                            ;   in Loop: Header=BB6_22365 Depth=3
	v_or_b32_e32 v86, 0x7b, v4
; %bb.25726:                            ;   in Loop: Header=BB6_22365 Depth=3
	s_or_b32 exec_lo, exec_lo, s13
                                        ; implicit-def: $vgpr2
                                        ; implicit-def: $vgpr0_vgpr1
                                        ; implicit-def: $vgpr3
.LBB6_25727:                            ;   in Loop: Header=BB6_22365 Depth=3
	s_and_not1_saveexec_b32 s13, s73
	s_cbranch_execz .LBB6_25733
; %bb.25728:                            ;   in Loop: Header=BB6_22365 Depth=3
	s_mov_b32 s73, exec_lo
                                        ; implicit-def: $vgpr86
	v_cmpx_ne_u64_e32 0, v[0:1]
	s_xor_b32 s73, exec_lo, s73
; %bb.25729:                            ;   in Loop: Header=BB6_22365 Depth=3
	v_or_b32_e32 v86, 0x7f, v3
                                        ; implicit-def: $vgpr2
; %bb.25730:                            ;   in Loop: Header=BB6_22365 Depth=3
	s_and_not1_saveexec_b32 s73, s73
; %bb.25731:                            ;   in Loop: Header=BB6_22365 Depth=3
	v_cmp_lt_i32_e32 vcc_lo, -1, v2
	v_mov_b32_e32 v0, 0x7c
	s_delay_alu instid0(VALU_DEP_1)
	v_cndmask_b32_e32 v86, 0xfc, v0, vcc_lo
; %bb.25732:                            ;   in Loop: Header=BB6_22365 Depth=3
	s_or_b32 exec_lo, exec_lo, s73
.LBB6_25733:                            ;   in Loop: Header=BB6_22365 Depth=3
	s_delay_alu instid0(SALU_CYCLE_1) | instskip(SKIP_4) | instid1(VALU_DEP_2)
	s_or_b32 exec_lo, exec_lo, s13
	v_lshl_or_b32 v80, v80, 8, v65
	v_dual_lshlrev_b32 v0, 16, v83 :: v_dual_lshlrev_b32 v2, 24, v85
	v_dual_mov_b32 v1, v113 :: v_dual_mov_b32 v3, 0
	s_mov_b32 s73, exec_lo
	v_or3_b32 v0, v0, v2, v80
	v_mov_b32_e32 v2, 0
	v_cmpx_ne_u32_e32 0, v65
	s_cbranch_execz .LBB6_25743
; %bb.25734:                            ;   in Loop: Header=BB6_22365 Depth=3
	v_bfrev_b32_e32 v2, 1
	s_mov_b32 s74, exec_lo
	v_cmpx_ne_u32_e32 0x80, v65
	s_cbranch_execz .LBB6_25742
; %bb.25735:                            ;   in Loop: Header=BB6_22365 Depth=3
	v_and_b32_e32 v2, 0x7c, v65
	v_and_b32_e32 v4, 3, v65
	s_delay_alu instid0(VALU_DEP_2) | instskip(SKIP_1) | instid1(SALU_CYCLE_1)
	v_cmp_ne_u32_e32 vcc_lo, 0x7c, v2
                                        ; implicit-def: $vgpr2
	s_and_saveexec_b32 s13, vcc_lo
	s_xor_b32 s13, exec_lo, s13
	s_cbranch_execz .LBB6_25739
; %bb.25736:                            ;   in Loop: Header=BB6_22365 Depth=3
	v_bfe_u32 v2, v65, 2, 5
	s_mov_b32 s75, exec_lo
	s_delay_alu instid0(VALU_DEP_1)
	v_cmpx_eq_u32_e32 0, v2
; %bb.25737:                            ;   in Loop: Header=BB6_22365 Depth=3
	v_clz_i32_u32_e32 v2, v4
	s_delay_alu instid0(VALU_DEP_1) | instskip(NEXT) | instid1(VALU_DEP_1)
	v_min_u32_e32 v2, 32, v2
	v_subrev_nc_u32_e32 v4, 29, v2
	s_delay_alu instid0(VALU_DEP_1) | instskip(NEXT) | instid1(VALU_DEP_1)
	v_lshlrev_b64_e32 v[4:5], v4, v[0:1]
	v_dual_sub_nc_u32 v2, 30, v2 :: v_dual_bitop2_b32 v4, 3, v4 bitop3:0x40
; %bb.25738:                            ;   in Loop: Header=BB6_22365 Depth=3
	s_or_b32 exec_lo, exec_lo, s75
	v_lshlrev_b32_e32 v1, 24, v65
                                        ; implicit-def: $vgpr65
	s_delay_alu instid0(VALU_DEP_1) | instskip(NEXT) | instid1(VALU_DEP_1)
	v_and_b32_e32 v1, 0x80000000, v1
	v_lshl_add_u32 v1, v2, 23, v1
	s_delay_alu instid0(VALU_DEP_1) | instskip(NEXT) | instid1(VALU_DEP_1)
	v_lshl_or_b32 v1, v4, 21, v1
                                        ; implicit-def: $vgpr4
	v_add_nc_u32_e32 v2, 0x38000000, v1
.LBB6_25739:                            ;   in Loop: Header=BB6_22365 Depth=3
	s_and_not1_saveexec_b32 s75, s13
; %bb.25740:                            ;   in Loop: Header=BB6_22365 Depth=3
	v_and_b32_e32 v1, 0x80, v65
	v_cmp_eq_u32_e32 vcc_lo, 0, v4
	s_delay_alu instid0(VALU_DEP_2) | instskip(SKIP_1) | instid1(VALU_DEP_1)
	v_cmp_eq_u32_e64 s13, 0, v1
	v_mov_b32_e32 v1, 0x7f800000
	v_cndmask_b32_e64 v1, 0xff800000, v1, s13
	s_delay_alu instid0(VALU_DEP_1)
	v_cndmask_b32_e32 v2, 0x7f800001, v1, vcc_lo
; %bb.25741:                            ;   in Loop: Header=BB6_22365 Depth=3
	s_or_b32 exec_lo, exec_lo, s75
.LBB6_25742:                            ;   in Loop: Header=BB6_22365 Depth=3
	s_delay_alu instid0(SALU_CYCLE_1)
	s_or_b32 exec_lo, exec_lo, s74
.LBB6_25743:                            ;   in Loop: Header=BB6_22365 Depth=3
	s_delay_alu instid0(SALU_CYCLE_1) | instskip(SKIP_2) | instid1(VALU_DEP_1)
	s_or_b32 exec_lo, exec_lo, s73
	v_and_b32_e32 v1, 0xff, v13
	s_mov_b32 s73, exec_lo
	v_cmpx_ne_u16_e32 0, v1
	s_cbranch_execz .LBB6_25753
; %bb.25744:                            ;   in Loop: Header=BB6_22365 Depth=3
	v_bfrev_b32_e32 v3, 1
	s_mov_b32 s74, exec_lo
	v_cmpx_ne_u16_e32 0x80, v1
	s_cbranch_execz .LBB6_25752
; %bb.25745:                            ;   in Loop: Header=BB6_22365 Depth=3
	v_and_b32_e32 v3, 0x7c, v13
	v_and_b32_e32 v1, 3, v13
	s_delay_alu instid0(VALU_DEP_2) | instskip(SKIP_1) | instid1(SALU_CYCLE_1)
	v_cmp_ne_u32_e32 vcc_lo, 0x7c, v3
                                        ; implicit-def: $vgpr3
	s_and_saveexec_b32 s13, vcc_lo
	s_xor_b32 s13, exec_lo, s13
	s_cbranch_execz .LBB6_25749
; %bb.25746:                            ;   in Loop: Header=BB6_22365 Depth=3
	v_bfe_u32 v3, v13, 2, 5
	s_mov_b32 s75, exec_lo
	s_delay_alu instid0(VALU_DEP_1)
	v_cmpx_eq_u32_e32 0, v3
; %bb.25747:                            ;   in Loop: Header=BB6_22365 Depth=3
	v_clz_i32_u32_e32 v1, v1
	v_dual_mov_b32 v4, v13 :: v_dual_mov_b32 v5, v113
	s_delay_alu instid0(VALU_DEP_2) | instskip(NEXT) | instid1(VALU_DEP_1)
	v_min_u32_e32 v1, 32, v1
	v_subrev_nc_u32_e32 v3, 29, v1
	s_delay_alu instid0(VALU_DEP_1) | instskip(NEXT) | instid1(VALU_DEP_1)
	v_lshlrev_b64_e32 v[4:5], v3, v[4:5]
	v_dual_sub_nc_u32 v3, 30, v1 :: v_dual_bitop2_b32 v1, 3, v4 bitop3:0x40
; %bb.25748:                            ;   in Loop: Header=BB6_22365 Depth=3
	s_or_b32 exec_lo, exec_lo, s75
	v_lshlrev_b32_e32 v4, 24, v13
	s_delay_alu instid0(VALU_DEP_1) | instskip(NEXT) | instid1(VALU_DEP_1)
	v_and_b32_e32 v4, 0x80000000, v4
	v_lshl_add_u32 v3, v3, 23, v4
	s_delay_alu instid0(VALU_DEP_1) | instskip(NEXT) | instid1(VALU_DEP_1)
	v_lshl_or_b32 v1, v1, 21, v3
	v_add_nc_u32_e32 v3, 0x38000000, v1
                                        ; implicit-def: $vgpr1
.LBB6_25749:                            ;   in Loop: Header=BB6_22365 Depth=3
	s_and_not1_saveexec_b32 s75, s13
; %bb.25750:                            ;   in Loop: Header=BB6_22365 Depth=3
	v_bfe_i32 v3, v13, 0, 8
	v_cmp_eq_u32_e32 vcc_lo, 0, v1
	v_mov_b32_e32 v1, 0x7f800000
	s_delay_alu instid0(VALU_DEP_3) | instskip(NEXT) | instid1(VALU_DEP_1)
	v_cmp_lt_i16_e64 s13, -1, v3
	v_cndmask_b32_e64 v1, 0xff800000, v1, s13
	s_delay_alu instid0(VALU_DEP_1)
	v_cndmask_b32_e32 v3, 0x7f800001, v1, vcc_lo
; %bb.25751:                            ;   in Loop: Header=BB6_22365 Depth=3
	s_or_b32 exec_lo, exec_lo, s75
.LBB6_25752:                            ;   in Loop: Header=BB6_22365 Depth=3
	s_delay_alu instid0(SALU_CYCLE_1)
	s_or_b32 exec_lo, exec_lo, s74
.LBB6_25753:                            ;   in Loop: Header=BB6_22365 Depth=3
	s_delay_alu instid0(SALU_CYCLE_1) | instskip(NEXT) | instid1(VALU_DEP_1)
	s_or_b32 exec_lo, exec_lo, s73
	v_dual_add_f32 v4, v2, v3 :: v_dual_mov_b32 v47, v113
	v_mov_b32_e32 v3, v113
                                        ; implicit-def: $vgpr65
	s_mov_b32 s13, exec_lo
	s_delay_alu instid0(VALU_DEP_2) | instskip(SKIP_2) | instid1(VALU_DEP_3)
	v_and_b32_e32 v46, 0x7f800000, v4
	v_and_b32_e32 v2, 0x7fffff, v4
	v_lshrrev_b32_e32 v1, 24, v4
	v_cmpx_ne_u64_e32 0x7f800000, v[46:47]
	s_xor_b32 s73, exec_lo, s13
	s_cbranch_execz .LBB6_25767
; %bb.25754:                            ;   in Loop: Header=BB6_22365 Depth=3
	v_and_b32_e32 v46, 0x7fffffff, v4
	v_mov_b32_e32 v47, v113
	v_and_b32_e32 v1, 0x80, v1
                                        ; implicit-def: $vgpr65
	s_mov_b32 s13, exec_lo
	s_delay_alu instid0(VALU_DEP_2)
	v_cmpx_gt_u64_e32 0x47600001, v[46:47]
	s_xor_b32 s74, exec_lo, s13
	s_cbranch_execz .LBB6_25764
; %bb.25755:                            ;   in Loop: Header=BB6_22365 Depth=3
	v_mov_b32_e32 v65, 0
	s_mov_b32 s75, exec_lo
	v_cmpx_ne_u32_e32 0, v4
	s_cbranch_execz .LBB6_25763
; %bb.25756:                            ;   in Loop: Header=BB6_22365 Depth=3
	v_bfe_u32 v65, v4, 23, 8
	v_or_b32_e32 v5, 0x800000, v2
	s_delay_alu instid0(VALU_DEP_2) | instskip(SKIP_2) | instid1(VALU_DEP_2)
	v_cmp_gt_u32_e64 s13, 0x72, v65
	v_sub_nc_u32_e32 v4, 0x71, v65
	v_cmp_eq_u32_e32 vcc_lo, 0, v65
	v_dual_cndmask_b32 v4, 0, v4, s13 :: v_dual_cndmask_b32 v2, v5, v2, vcc_lo
	s_delay_alu instid0(VALU_DEP_1) | instskip(NEXT) | instid1(VALU_DEP_1)
	v_cndmask_b32_e64 v83, v4, 0x70, vcc_lo
	v_dual_add_nc_u32 v4, 21, v83 :: v_dual_add_nc_u32 v85, 20, v83
	s_delay_alu instid0(VALU_DEP_1) | instskip(NEXT) | instid1(VALU_DEP_2)
	v_lshlrev_b64_e64 v[4:5], v4, -1
	v_lshlrev_b64_e64 v[46:47], v85, 1
	s_delay_alu instid0(VALU_DEP_2) | instskip(SKIP_1) | instid1(VALU_DEP_4)
	v_bfi_b32 v4, v4, 0, v2
	v_lshrrev_b64 v[2:3], v83, v[2:3]
	v_bfi_b32 v5, v5, 0, 0
	s_delay_alu instid0(VALU_DEP_1) | instskip(NEXT) | instid1(VALU_DEP_3)
	v_cmp_eq_u64_e64 s13, v[4:5], v[46:47]
	v_mov_b64_e32 v[4:5], v[2:3]
	s_and_saveexec_b32 s76, s13
; %bb.25757:                            ;   in Loop: Header=BB6_22365 Depth=3
	v_bfe_u32 v4, v2, 21, 1
	v_mov_b32_e32 v5, v113
	s_delay_alu instid0(VALU_DEP_1) | instskip(NEXT) | instid1(VALU_DEP_1)
	v_add_nc_u64_e32 v[4:5], v[2:3], v[4:5]
	v_add_nc_u64_e32 v[4:5], -1, v[4:5]
; %bb.25758:                            ;   in Loop: Header=BB6_22365 Depth=3
	s_or_b32 exec_lo, exec_lo, s76
	v_add_nc_u32_e32 v3, 0xffffff81, v65
	v_lshrrev_b32_e32 v5, 23, v2
	s_mov_b32 s13, exec_lo
	s_delay_alu instid0(VALU_DEP_2) | instskip(NEXT) | instid1(VALU_DEP_1)
	v_cndmask_b32_e64 v3, v3, 0xffffff82, vcc_lo
	v_add3_u32 v65, v83, v3, v5
	v_and_b32_e32 v3, 0x1fffff, v4
                                        ; implicit-def: $vgpr4
	s_delay_alu instid0(VALU_DEP_1) | instskip(SKIP_1) | instid1(VALU_DEP_2)
	v_dual_add_nc_u32 v5, 14, v65 :: v_dual_add_nc_u32 v2, v3, v2
	v_mov_b32_e32 v3, v113
	v_cmpx_ne_u32_e32 0, v5
	s_xor_b32 s13, exec_lo, s13
; %bb.25759:                            ;   in Loop: Header=BB6_22365 Depth=3
	s_delay_alu instid0(VALU_DEP_2) | instskip(SKIP_1) | instid1(VALU_DEP_1)
	v_cmp_lt_u64_e32 vcc_lo, 0xffffff, v[2:3]
	v_add_nc_u32_e32 v4, 15, v65
	v_cndmask_b32_e32 v4, v5, v4, vcc_lo
	v_cndmask_b32_e64 v5, 0, 1, vcc_lo
	s_delay_alu instid0(VALU_DEP_1)
	v_lshrrev_b64 v[2:3], v5, v[2:3]
; %bb.25760:                            ;   in Loop: Header=BB6_22365 Depth=3
	s_and_not1_saveexec_b32 s13, s13
; %bb.25761:                            ;   in Loop: Header=BB6_22365 Depth=3
	s_delay_alu instid0(VALU_DEP_1)
	v_bfe_u32 v4, v2, 23, 1
; %bb.25762:                            ;   in Loop: Header=BB6_22365 Depth=3
	s_or_b32 exec_lo, exec_lo, s13
	s_delay_alu instid0(VALU_DEP_2) | instskip(NEXT) | instid1(VALU_DEP_2)
	v_lshrrev_b64 v[2:3], 21, v[2:3]
	v_cmp_gt_i32_e32 vcc_lo, 32, v4
	v_min_i32_e32 v5, 31, v4
	v_cmp_eq_u32_e64 s13, 0, v4
	s_delay_alu instid0(VALU_DEP_2) | instskip(SKIP_1) | instid1(VALU_DEP_2)
	v_dual_cndmask_b32 v3, 0, v3, vcc_lo :: v_dual_lshlrev_b32 v5, 2, v5
	v_cndmask_b32_e32 v2, 3, v2, vcc_lo
	v_and_b32_e32 v5, 0xfc, v5
	s_delay_alu instid0(VALU_DEP_2) | instskip(NEXT) | instid1(VALU_DEP_2)
	v_cmp_eq_u64_e32 vcc_lo, 0, v[2:3]
	v_and_or_b32 v2, v2, 3, v5
	s_and_b32 s13, s13, vcc_lo
	s_delay_alu instid0(VALU_DEP_1) | instid1(SALU_CYCLE_1)
	v_cndmask_b32_e64 v2, v2, 0, s13
	s_delay_alu instid0(VALU_DEP_1)
	v_or_b32_e32 v65, v2, v1
.LBB6_25763:                            ;   in Loop: Header=BB6_22365 Depth=3
	s_or_b32 exec_lo, exec_lo, s75
                                        ; implicit-def: $vgpr1
.LBB6_25764:                            ;   in Loop: Header=BB6_22365 Depth=3
	s_and_not1_saveexec_b32 s13, s74
; %bb.25765:                            ;   in Loop: Header=BB6_22365 Depth=3
	v_or_b32_e32 v65, 0x7b, v1
; %bb.25766:                            ;   in Loop: Header=BB6_22365 Depth=3
	s_or_b32 exec_lo, exec_lo, s13
                                        ; implicit-def: $vgpr4
                                        ; implicit-def: $vgpr2_vgpr3
                                        ; implicit-def: $vgpr1
.LBB6_25767:                            ;   in Loop: Header=BB6_22365 Depth=3
	s_and_not1_saveexec_b32 s13, s73
	s_cbranch_execz .LBB6_25773
; %bb.25768:                            ;   in Loop: Header=BB6_22365 Depth=3
	s_mov_b32 s73, exec_lo
                                        ; implicit-def: $vgpr65
	v_cmpx_ne_u64_e32 0, v[2:3]
	s_xor_b32 s73, exec_lo, s73
; %bb.25769:                            ;   in Loop: Header=BB6_22365 Depth=3
	v_or_b32_e32 v65, 0x7f, v1
                                        ; implicit-def: $vgpr4
; %bb.25770:                            ;   in Loop: Header=BB6_22365 Depth=3
	s_and_not1_saveexec_b32 s73, s73
; %bb.25771:                            ;   in Loop: Header=BB6_22365 Depth=3
	v_cmp_lt_i32_e32 vcc_lo, -1, v4
	v_mov_b32_e32 v1, 0x7c
	s_delay_alu instid0(VALU_DEP_1)
	v_cndmask_b32_e32 v65, 0xfc, v1, vcc_lo
; %bb.25772:                            ;   in Loop: Header=BB6_22365 Depth=3
	s_or_b32 exec_lo, exec_lo, s73
.LBB6_25773:                            ;   in Loop: Header=BB6_22365 Depth=3
	s_delay_alu instid0(SALU_CYCLE_1) | instskip(SKIP_3) | instid1(VALU_DEP_2)
	s_or_b32 exec_lo, exec_lo, s13
	v_lshrrev_b16 v2, 8, v80
	v_dual_mov_b32 v1, 0 :: v_dual_mov_b32 v4, 0
	s_mov_b32 s73, exec_lo
	v_cmpx_ne_u16_e32 0, v2
	s_cbranch_execz .LBB6_25783
; %bb.25774:                            ;   in Loop: Header=BB6_22365 Depth=3
	v_bfrev_b32_e32 v4, 1
	s_mov_b32 s74, exec_lo
	v_cmpx_ne_u16_e32 0x80, v2
	s_cbranch_execz .LBB6_25782
; %bb.25775:                            ;   in Loop: Header=BB6_22365 Depth=3
	v_and_b32_e32 v5, 0xffff, v2
	s_delay_alu instid0(VALU_DEP_1) | instskip(SKIP_1) | instid1(VALU_DEP_2)
	v_and_b32_e32 v4, 0x7c, v5
	v_and_b32_e32 v3, 3, v5
	v_cmp_ne_u32_e32 vcc_lo, 0x7c, v4
                                        ; implicit-def: $vgpr4
	s_and_saveexec_b32 s13, vcc_lo
	s_delay_alu instid0(SALU_CYCLE_1)
	s_xor_b32 s13, exec_lo, s13
	s_cbranch_execz .LBB6_25779
; %bb.25776:                            ;   in Loop: Header=BB6_22365 Depth=3
	v_bfe_u32 v4, v5, 2, 5
	s_mov_b32 s75, exec_lo
	s_delay_alu instid0(VALU_DEP_1)
	v_cmpx_eq_u32_e32 0, v4
	s_cbranch_execz .LBB6_25778
; %bb.25777:                            ;   in Loop: Header=BB6_22365 Depth=3
	v_clz_i32_u32_e32 v3, v3
	s_delay_alu instid0(VALU_DEP_1) | instskip(SKIP_1) | instid1(VALU_DEP_2)
	v_min_u32_e32 v4, 32, v3
	v_mov_b32_e32 v3, v113
	v_subrev_nc_u32_e32 v5, 29, v4
	v_sub_nc_u32_e32 v4, 30, v4
	s_delay_alu instid0(VALU_DEP_2) | instskip(NEXT) | instid1(VALU_DEP_1)
	v_lshlrev_b64_e32 v[2:3], v5, v[2:3]
	v_and_b32_e32 v3, 3, v2
.LBB6_25778:                            ;   in Loop: Header=BB6_22365 Depth=3
	s_or_b32 exec_lo, exec_lo, s75
	v_lshlrev_b32_e32 v2, 16, v80
                                        ; implicit-def: $vgpr80
	s_delay_alu instid0(VALU_DEP_1) | instskip(NEXT) | instid1(VALU_DEP_1)
	v_and_b32_e32 v2, 0x80000000, v2
	v_lshl_add_u32 v2, v4, 23, v2
	s_delay_alu instid0(VALU_DEP_1) | instskip(NEXT) | instid1(VALU_DEP_1)
	v_lshl_or_b32 v2, v3, 21, v2
                                        ; implicit-def: $vgpr3
	v_add_nc_u32_e32 v4, 0x38000000, v2
.LBB6_25779:                            ;   in Loop: Header=BB6_22365 Depth=3
	s_and_not1_saveexec_b32 s75, s13
; %bb.25780:                            ;   in Loop: Header=BB6_22365 Depth=3
	v_cmp_lt_i16_e64 s13, -1, v80
	v_mov_b32_e32 v2, 0x7f800000
	v_cmp_eq_u32_e32 vcc_lo, 0, v3
	s_delay_alu instid0(VALU_DEP_2) | instskip(NEXT) | instid1(VALU_DEP_1)
	v_cndmask_b32_e64 v2, 0xff800000, v2, s13
	v_cndmask_b32_e32 v4, 0x7f800001, v2, vcc_lo
; %bb.25781:                            ;   in Loop: Header=BB6_22365 Depth=3
	s_or_b32 exec_lo, exec_lo, s75
.LBB6_25782:                            ;   in Loop: Header=BB6_22365 Depth=3
	s_delay_alu instid0(SALU_CYCLE_1)
	s_or_b32 exec_lo, exec_lo, s74
.LBB6_25783:                            ;   in Loop: Header=BB6_22365 Depth=3
	s_delay_alu instid0(SALU_CYCLE_1) | instskip(SKIP_2) | instid1(VALU_DEP_1)
	s_or_b32 exec_lo, exec_lo, s73
	v_lshrrev_b16 v2, 8, v13
	s_mov_b32 s73, exec_lo
	v_cmpx_ne_u16_e32 0, v2
	s_cbranch_execz .LBB6_25793
; %bb.25784:                            ;   in Loop: Header=BB6_22365 Depth=3
	v_bfrev_b32_e32 v1, 1
	s_mov_b32 s74, exec_lo
	v_cmpx_ne_u16_e32 0x80, v2
	s_cbranch_execz .LBB6_25792
; %bb.25785:                            ;   in Loop: Header=BB6_22365 Depth=3
	v_and_b32_e32 v5, 0xffff, v2
	s_delay_alu instid0(VALU_DEP_1) | instskip(SKIP_1) | instid1(VALU_DEP_2)
	v_and_b32_e32 v1, 0x7c, v5
	v_and_b32_e32 v3, 3, v5
	v_cmp_ne_u32_e32 vcc_lo, 0x7c, v1
                                        ; implicit-def: $vgpr1
	s_and_saveexec_b32 s13, vcc_lo
	s_delay_alu instid0(SALU_CYCLE_1)
	s_xor_b32 s13, exec_lo, s13
	s_cbranch_execz .LBB6_25789
; %bb.25786:                            ;   in Loop: Header=BB6_22365 Depth=3
	v_bfe_u32 v1, v5, 2, 5
	s_mov_b32 s75, exec_lo
	s_delay_alu instid0(VALU_DEP_1)
	v_cmpx_eq_u32_e32 0, v1
	s_cbranch_execz .LBB6_25788
; %bb.25787:                            ;   in Loop: Header=BB6_22365 Depth=3
	v_clz_i32_u32_e32 v1, v3
	s_delay_alu instid0(VALU_DEP_1) | instskip(SKIP_1) | instid1(VALU_DEP_2)
	v_min_u32_e32 v1, 32, v1
	v_mov_b32_e32 v3, v113
	v_subrev_nc_u32_e32 v5, 29, v1
	v_sub_nc_u32_e32 v1, 30, v1
	s_delay_alu instid0(VALU_DEP_2) | instskip(NEXT) | instid1(VALU_DEP_1)
	v_lshlrev_b64_e32 v[2:3], v5, v[2:3]
	v_and_b32_e32 v3, 3, v2
.LBB6_25788:                            ;   in Loop: Header=BB6_22365 Depth=3
	s_or_b32 exec_lo, exec_lo, s75
	v_lshlrev_b32_e32 v2, 16, v13
	s_delay_alu instid0(VALU_DEP_1) | instskip(NEXT) | instid1(VALU_DEP_1)
	v_and_b32_e32 v2, 0x80000000, v2
	v_lshl_add_u32 v1, v1, 23, v2
	s_delay_alu instid0(VALU_DEP_1) | instskip(NEXT) | instid1(VALU_DEP_1)
	v_lshl_or_b32 v1, v3, 21, v1
                                        ; implicit-def: $vgpr3
	v_add_nc_u32_e32 v1, 0x38000000, v1
.LBB6_25789:                            ;   in Loop: Header=BB6_22365 Depth=3
	s_and_not1_saveexec_b32 s75, s13
; %bb.25790:                            ;   in Loop: Header=BB6_22365 Depth=3
	v_cmp_lt_i16_e64 s13, -1, v13
	v_mov_b32_e32 v1, 0x7f800000
	v_cmp_eq_u32_e32 vcc_lo, 0, v3
	s_delay_alu instid0(VALU_DEP_2) | instskip(NEXT) | instid1(VALU_DEP_1)
	v_cndmask_b32_e64 v1, 0xff800000, v1, s13
	v_cndmask_b32_e32 v1, 0x7f800001, v1, vcc_lo
; %bb.25791:                            ;   in Loop: Header=BB6_22365 Depth=3
	s_or_b32 exec_lo, exec_lo, s75
.LBB6_25792:                            ;   in Loop: Header=BB6_22365 Depth=3
	s_delay_alu instid0(SALU_CYCLE_1)
	s_or_b32 exec_lo, exec_lo, s74
.LBB6_25793:                            ;   in Loop: Header=BB6_22365 Depth=3
	s_delay_alu instid0(SALU_CYCLE_1) | instskip(NEXT) | instid1(VALU_DEP_1)
	s_or_b32 exec_lo, exec_lo, s73
	v_dual_add_f32 v4, v4, v1 :: v_dual_mov_b32 v47, v113
	v_mov_b32_e32 v3, v113
                                        ; implicit-def: $vgpr80
	s_mov_b32 s13, exec_lo
	s_delay_alu instid0(VALU_DEP_2) | instskip(SKIP_2) | instid1(VALU_DEP_3)
	v_and_b32_e32 v46, 0x7f800000, v4
	v_and_b32_e32 v2, 0x7fffff, v4
	v_lshrrev_b32_e32 v1, 24, v4
	v_cmpx_ne_u64_e32 0x7f800000, v[46:47]
	s_xor_b32 s73, exec_lo, s13
	s_cbranch_execz .LBB6_25807
; %bb.25794:                            ;   in Loop: Header=BB6_22365 Depth=3
	v_and_b32_e32 v46, 0x7fffffff, v4
	v_mov_b32_e32 v47, v113
	v_and_b32_e32 v1, 0x80, v1
                                        ; implicit-def: $vgpr80
	s_mov_b32 s13, exec_lo
	s_delay_alu instid0(VALU_DEP_2)
	v_cmpx_gt_u64_e32 0x47600001, v[46:47]
	s_xor_b32 s74, exec_lo, s13
	s_cbranch_execz .LBB6_25804
; %bb.25795:                            ;   in Loop: Header=BB6_22365 Depth=3
	v_mov_b32_e32 v80, 0
	s_mov_b32 s75, exec_lo
	v_cmpx_ne_u32_e32 0, v4
	s_cbranch_execz .LBB6_25803
; %bb.25796:                            ;   in Loop: Header=BB6_22365 Depth=3
	v_bfe_u32 v80, v4, 23, 8
	v_or_b32_e32 v5, 0x800000, v2
	s_delay_alu instid0(VALU_DEP_2) | instskip(SKIP_2) | instid1(VALU_DEP_2)
	v_cmp_gt_u32_e64 s13, 0x72, v80
	v_sub_nc_u32_e32 v4, 0x71, v80
	v_cmp_eq_u32_e32 vcc_lo, 0, v80
	v_dual_cndmask_b32 v4, 0, v4, s13 :: v_dual_cndmask_b32 v2, v5, v2, vcc_lo
	s_delay_alu instid0(VALU_DEP_1) | instskip(NEXT) | instid1(VALU_DEP_1)
	v_cndmask_b32_e64 v83, v4, 0x70, vcc_lo
	v_dual_add_nc_u32 v4, 21, v83 :: v_dual_add_nc_u32 v85, 20, v83
	s_delay_alu instid0(VALU_DEP_1) | instskip(NEXT) | instid1(VALU_DEP_2)
	v_lshlrev_b64_e64 v[4:5], v4, -1
	v_lshlrev_b64_e64 v[46:47], v85, 1
	s_delay_alu instid0(VALU_DEP_2) | instskip(SKIP_1) | instid1(VALU_DEP_4)
	v_bfi_b32 v4, v4, 0, v2
	v_lshrrev_b64 v[2:3], v83, v[2:3]
	v_bfi_b32 v5, v5, 0, 0
	s_delay_alu instid0(VALU_DEP_1) | instskip(NEXT) | instid1(VALU_DEP_3)
	v_cmp_eq_u64_e64 s13, v[4:5], v[46:47]
	v_mov_b64_e32 v[4:5], v[2:3]
	s_and_saveexec_b32 s76, s13
; %bb.25797:                            ;   in Loop: Header=BB6_22365 Depth=3
	v_bfe_u32 v4, v2, 21, 1
	v_mov_b32_e32 v5, v113
	s_delay_alu instid0(VALU_DEP_1) | instskip(NEXT) | instid1(VALU_DEP_1)
	v_add_nc_u64_e32 v[4:5], v[2:3], v[4:5]
	v_add_nc_u64_e32 v[4:5], -1, v[4:5]
; %bb.25798:                            ;   in Loop: Header=BB6_22365 Depth=3
	s_or_b32 exec_lo, exec_lo, s76
	v_add_nc_u32_e32 v3, 0xffffff81, v80
	v_lshrrev_b32_e32 v5, 23, v2
	s_mov_b32 s13, exec_lo
	s_delay_alu instid0(VALU_DEP_2) | instskip(NEXT) | instid1(VALU_DEP_1)
	v_cndmask_b32_e64 v3, v3, 0xffffff82, vcc_lo
	v_add3_u32 v80, v83, v3, v5
	v_and_b32_e32 v3, 0x1fffff, v4
                                        ; implicit-def: $vgpr4
	s_delay_alu instid0(VALU_DEP_1) | instskip(SKIP_1) | instid1(VALU_DEP_2)
	v_dual_add_nc_u32 v5, 14, v80 :: v_dual_add_nc_u32 v2, v3, v2
	v_mov_b32_e32 v3, v113
	v_cmpx_ne_u32_e32 0, v5
	s_xor_b32 s13, exec_lo, s13
; %bb.25799:                            ;   in Loop: Header=BB6_22365 Depth=3
	s_delay_alu instid0(VALU_DEP_2) | instskip(SKIP_1) | instid1(VALU_DEP_1)
	v_cmp_lt_u64_e32 vcc_lo, 0xffffff, v[2:3]
	v_add_nc_u32_e32 v4, 15, v80
	v_cndmask_b32_e32 v4, v5, v4, vcc_lo
	v_cndmask_b32_e64 v5, 0, 1, vcc_lo
	s_delay_alu instid0(VALU_DEP_1)
	v_lshrrev_b64 v[2:3], v5, v[2:3]
; %bb.25800:                            ;   in Loop: Header=BB6_22365 Depth=3
	s_and_not1_saveexec_b32 s13, s13
; %bb.25801:                            ;   in Loop: Header=BB6_22365 Depth=3
	s_delay_alu instid0(VALU_DEP_1)
	v_bfe_u32 v4, v2, 23, 1
; %bb.25802:                            ;   in Loop: Header=BB6_22365 Depth=3
	s_or_b32 exec_lo, exec_lo, s13
	s_delay_alu instid0(VALU_DEP_2) | instskip(NEXT) | instid1(VALU_DEP_2)
	v_lshrrev_b64 v[2:3], 21, v[2:3]
	v_cmp_gt_i32_e32 vcc_lo, 32, v4
	v_min_i32_e32 v5, 31, v4
	v_cmp_eq_u32_e64 s13, 0, v4
	s_delay_alu instid0(VALU_DEP_2) | instskip(SKIP_1) | instid1(VALU_DEP_2)
	v_dual_cndmask_b32 v3, 0, v3, vcc_lo :: v_dual_lshlrev_b32 v5, 2, v5
	v_cndmask_b32_e32 v2, 3, v2, vcc_lo
	v_and_b32_e32 v5, 0xfc, v5
	s_delay_alu instid0(VALU_DEP_2) | instskip(NEXT) | instid1(VALU_DEP_2)
	v_cmp_eq_u64_e32 vcc_lo, 0, v[2:3]
	v_and_or_b32 v2, v2, 3, v5
	s_and_b32 s13, s13, vcc_lo
	s_delay_alu instid0(VALU_DEP_1) | instid1(SALU_CYCLE_1)
	v_cndmask_b32_e64 v2, v2, 0, s13
	s_delay_alu instid0(VALU_DEP_1)
	v_or_b32_e32 v80, v2, v1
.LBB6_25803:                            ;   in Loop: Header=BB6_22365 Depth=3
	s_or_b32 exec_lo, exec_lo, s75
                                        ; implicit-def: $vgpr1
.LBB6_25804:                            ;   in Loop: Header=BB6_22365 Depth=3
	s_and_not1_saveexec_b32 s13, s74
; %bb.25805:                            ;   in Loop: Header=BB6_22365 Depth=3
	v_or_b32_e32 v80, 0x7b, v1
; %bb.25806:                            ;   in Loop: Header=BB6_22365 Depth=3
	s_or_b32 exec_lo, exec_lo, s13
                                        ; implicit-def: $vgpr4
                                        ; implicit-def: $vgpr2_vgpr3
                                        ; implicit-def: $vgpr1
.LBB6_25807:                            ;   in Loop: Header=BB6_22365 Depth=3
	s_and_not1_saveexec_b32 s13, s73
	s_cbranch_execz .LBB6_25813
; %bb.25808:                            ;   in Loop: Header=BB6_22365 Depth=3
	s_mov_b32 s73, exec_lo
                                        ; implicit-def: $vgpr80
	v_cmpx_ne_u64_e32 0, v[2:3]
	s_xor_b32 s73, exec_lo, s73
; %bb.25809:                            ;   in Loop: Header=BB6_22365 Depth=3
	v_or_b32_e32 v80, 0x7f, v1
                                        ; implicit-def: $vgpr4
; %bb.25810:                            ;   in Loop: Header=BB6_22365 Depth=3
	s_and_not1_saveexec_b32 s73, s73
; %bb.25811:                            ;   in Loop: Header=BB6_22365 Depth=3
	v_cmp_lt_i32_e32 vcc_lo, -1, v4
	v_mov_b32_e32 v1, 0x7c
	s_delay_alu instid0(VALU_DEP_1)
	v_cndmask_b32_e32 v80, 0xfc, v1, vcc_lo
; %bb.25812:                            ;   in Loop: Header=BB6_22365 Depth=3
	s_or_b32 exec_lo, exec_lo, s73
.LBB6_25813:                            ;   in Loop: Header=BB6_22365 Depth=3
	s_delay_alu instid0(SALU_CYCLE_1) | instskip(SKIP_3) | instid1(VALU_DEP_2)
	s_or_b32 exec_lo, exec_lo, s13
	v_dual_mov_b32 v1, 0 :: v_dual_lshrrev_b32 v2, 16, v0
	v_mov_b32_e32 v3, 0
	s_mov_b32 s73, exec_lo
	v_and_b32_e32 v4, 0xff, v2
	s_delay_alu instid0(VALU_DEP_1)
	v_cmpx_ne_u16_e32 0, v4
	s_cbranch_execz .LBB6_25823
; %bb.25814:                            ;   in Loop: Header=BB6_22365 Depth=3
	v_bfrev_b32_e32 v3, 1
	s_mov_b32 s74, exec_lo
	v_cmpx_ne_u16_e32 0x80, v4
	s_cbranch_execz .LBB6_25822
; %bb.25815:                            ;   in Loop: Header=BB6_22365 Depth=3
	v_and_b32_e32 v3, 0x7c0000, v0
	v_bfe_u32 v4, v0, 16, 2
	s_delay_alu instid0(VALU_DEP_2) | instskip(SKIP_1) | instid1(SALU_CYCLE_1)
	v_cmp_ne_u32_e32 vcc_lo, 0x7c0000, v3
                                        ; implicit-def: $vgpr3
	s_and_saveexec_b32 s13, vcc_lo
	s_xor_b32 s13, exec_lo, s13
	s_cbranch_execz .LBB6_25819
; %bb.25816:                            ;   in Loop: Header=BB6_22365 Depth=3
	v_bfe_u32 v3, v0, 18, 5
	s_mov_b32 s75, exec_lo
	s_delay_alu instid0(VALU_DEP_1)
	v_cmpx_eq_u32_e32 0, v3
; %bb.25817:                            ;   in Loop: Header=BB6_22365 Depth=3
	v_clz_i32_u32_e32 v3, v4
	s_delay_alu instid0(VALU_DEP_1) | instskip(NEXT) | instid1(VALU_DEP_1)
	v_min_u32_e32 v3, 32, v3
	v_subrev_nc_u32_e32 v4, 29, v3
	s_delay_alu instid0(VALU_DEP_1) | instskip(NEXT) | instid1(VALU_DEP_1)
	v_lshlrev_b64_e32 v[4:5], v4, v[2:3]
	v_dual_sub_nc_u32 v3, 30, v3 :: v_dual_bitop2_b32 v4, 3, v4 bitop3:0x40
; %bb.25818:                            ;   in Loop: Header=BB6_22365 Depth=3
	s_or_b32 exec_lo, exec_lo, s75
	v_lshlrev_b32_e32 v2, 24, v2
	s_delay_alu instid0(VALU_DEP_1) | instskip(NEXT) | instid1(VALU_DEP_1)
	v_and_b32_e32 v2, 0x80000000, v2
	v_lshl_add_u32 v2, v3, 23, v2
	s_delay_alu instid0(VALU_DEP_1) | instskip(NEXT) | instid1(VALU_DEP_1)
	v_lshl_or_b32 v2, v4, 21, v2
                                        ; implicit-def: $vgpr4
	v_add_nc_u32_e32 v3, 0x38000000, v2
                                        ; implicit-def: $vgpr2
.LBB6_25819:                            ;   in Loop: Header=BB6_22365 Depth=3
	s_and_not1_saveexec_b32 s75, s13
; %bb.25820:                            ;   in Loop: Header=BB6_22365 Depth=3
	v_bfe_i32 v2, v2, 0, 8
	v_cmp_eq_u32_e32 vcc_lo, 0, v4
	s_delay_alu instid0(VALU_DEP_2) | instskip(SKIP_1) | instid1(VALU_DEP_1)
	v_cmp_lt_i16_e64 s13, -1, v2
	v_mov_b32_e32 v2, 0x7f800000
	v_cndmask_b32_e64 v2, 0xff800000, v2, s13
	s_delay_alu instid0(VALU_DEP_1)
	v_cndmask_b32_e32 v3, 0x7f800001, v2, vcc_lo
; %bb.25821:                            ;   in Loop: Header=BB6_22365 Depth=3
	s_or_b32 exec_lo, exec_lo, s75
.LBB6_25822:                            ;   in Loop: Header=BB6_22365 Depth=3
	s_delay_alu instid0(SALU_CYCLE_1)
	s_or_b32 exec_lo, exec_lo, s74
.LBB6_25823:                            ;   in Loop: Header=BB6_22365 Depth=3
	s_delay_alu instid0(SALU_CYCLE_1) | instskip(SKIP_2) | instid1(VALU_DEP_1)
	s_or_b32 exec_lo, exec_lo, s73
	v_lshrrev_b32_e32 v2, 16, v13
	s_mov_b32 s73, exec_lo
	v_and_b32_e32 v4, 0xff, v2
	s_delay_alu instid0(VALU_DEP_1)
	v_cmpx_ne_u16_e32 0, v4
	s_cbranch_execz .LBB6_25833
; %bb.25824:                            ;   in Loop: Header=BB6_22365 Depth=3
	v_bfrev_b32_e32 v1, 1
	s_mov_b32 s74, exec_lo
	v_cmpx_ne_u16_e32 0x80, v4
	s_cbranch_execz .LBB6_25832
; %bb.25825:                            ;   in Loop: Header=BB6_22365 Depth=3
	v_and_b32_e32 v1, 0x7c0000, v13
	v_bfe_u32 v4, v13, 16, 2
	s_delay_alu instid0(VALU_DEP_2) | instskip(SKIP_1) | instid1(SALU_CYCLE_1)
	v_cmp_ne_u32_e32 vcc_lo, 0x7c0000, v1
                                        ; implicit-def: $vgpr1
	s_and_saveexec_b32 s13, vcc_lo
	s_xor_b32 s13, exec_lo, s13
	s_cbranch_execz .LBB6_25829
; %bb.25826:                            ;   in Loop: Header=BB6_22365 Depth=3
	v_bfe_u32 v1, v13, 18, 5
	s_mov_b32 s75, exec_lo
	s_delay_alu instid0(VALU_DEP_1)
	v_cmpx_eq_u32_e32 0, v1
; %bb.25827:                            ;   in Loop: Header=BB6_22365 Depth=3
	v_clz_i32_u32_e32 v1, v4
	s_delay_alu instid0(VALU_DEP_1) | instskip(NEXT) | instid1(VALU_DEP_1)
	v_min_u32_e32 v1, 32, v1
	v_subrev_nc_u32_e32 v4, 29, v1
	s_delay_alu instid0(VALU_DEP_1) | instskip(NEXT) | instid1(VALU_DEP_1)
	v_lshlrev_b64_e32 v[4:5], v4, v[2:3]
	v_dual_sub_nc_u32 v1, 30, v1 :: v_dual_bitop2_b32 v4, 3, v4 bitop3:0x40
; %bb.25828:                            ;   in Loop: Header=BB6_22365 Depth=3
	s_or_b32 exec_lo, exec_lo, s75
	v_lshlrev_b32_e32 v2, 24, v2
	s_delay_alu instid0(VALU_DEP_1) | instskip(NEXT) | instid1(VALU_DEP_1)
	v_and_b32_e32 v2, 0x80000000, v2
	v_lshl_add_u32 v1, v1, 23, v2
                                        ; implicit-def: $vgpr2
	s_delay_alu instid0(VALU_DEP_1) | instskip(NEXT) | instid1(VALU_DEP_1)
	v_lshl_or_b32 v1, v4, 21, v1
                                        ; implicit-def: $vgpr4
	v_add_nc_u32_e32 v1, 0x38000000, v1
.LBB6_25829:                            ;   in Loop: Header=BB6_22365 Depth=3
	s_and_not1_saveexec_b32 s75, s13
; %bb.25830:                            ;   in Loop: Header=BB6_22365 Depth=3
	v_bfe_i32 v1, v2, 0, 8
	v_cmp_eq_u32_e32 vcc_lo, 0, v4
	s_delay_alu instid0(VALU_DEP_2) | instskip(SKIP_1) | instid1(VALU_DEP_1)
	v_cmp_lt_i16_e64 s13, -1, v1
	v_mov_b32_e32 v1, 0x7f800000
	v_cndmask_b32_e64 v1, 0xff800000, v1, s13
	s_delay_alu instid0(VALU_DEP_1)
	v_cndmask_b32_e32 v1, 0x7f800001, v1, vcc_lo
; %bb.25831:                            ;   in Loop: Header=BB6_22365 Depth=3
	s_or_b32 exec_lo, exec_lo, s75
.LBB6_25832:                            ;   in Loop: Header=BB6_22365 Depth=3
	s_delay_alu instid0(SALU_CYCLE_1)
	s_or_b32 exec_lo, exec_lo, s74
.LBB6_25833:                            ;   in Loop: Header=BB6_22365 Depth=3
	s_delay_alu instid0(SALU_CYCLE_1) | instskip(NEXT) | instid1(VALU_DEP_1)
	s_or_b32 exec_lo, exec_lo, s73
	v_dual_add_f32 v4, v3, v1 :: v_dual_mov_b32 v47, v113
	v_mov_b32_e32 v3, v113
                                        ; implicit-def: $vgpr83
	s_mov_b32 s13, exec_lo
	s_delay_alu instid0(VALU_DEP_2) | instskip(SKIP_2) | instid1(VALU_DEP_3)
	v_and_b32_e32 v46, 0x7f800000, v4
	v_and_b32_e32 v2, 0x7fffff, v4
	v_lshrrev_b32_e32 v1, 24, v4
	v_cmpx_ne_u64_e32 0x7f800000, v[46:47]
	s_xor_b32 s73, exec_lo, s13
	s_cbranch_execz .LBB6_25847
; %bb.25834:                            ;   in Loop: Header=BB6_22365 Depth=3
	v_and_b32_e32 v46, 0x7fffffff, v4
	v_mov_b32_e32 v47, v113
	v_and_b32_e32 v1, 0x80, v1
                                        ; implicit-def: $vgpr83
	s_mov_b32 s13, exec_lo
	s_delay_alu instid0(VALU_DEP_2)
	v_cmpx_gt_u64_e32 0x47600001, v[46:47]
	s_xor_b32 s74, exec_lo, s13
	s_cbranch_execz .LBB6_25844
; %bb.25835:                            ;   in Loop: Header=BB6_22365 Depth=3
	v_mov_b32_e32 v83, 0
	s_mov_b32 s75, exec_lo
	v_cmpx_ne_u32_e32 0, v4
	s_cbranch_execz .LBB6_25843
; %bb.25836:                            ;   in Loop: Header=BB6_22365 Depth=3
	v_bfe_u32 v83, v4, 23, 8
	v_or_b32_e32 v5, 0x800000, v2
	s_delay_alu instid0(VALU_DEP_2) | instskip(SKIP_2) | instid1(VALU_DEP_2)
	v_cmp_gt_u32_e64 s13, 0x72, v83
	v_sub_nc_u32_e32 v4, 0x71, v83
	v_cmp_eq_u32_e32 vcc_lo, 0, v83
	v_dual_cndmask_b32 v4, 0, v4, s13 :: v_dual_cndmask_b32 v2, v5, v2, vcc_lo
	s_delay_alu instid0(VALU_DEP_1) | instskip(NEXT) | instid1(VALU_DEP_1)
	v_cndmask_b32_e64 v85, v4, 0x70, vcc_lo
	v_dual_add_nc_u32 v4, 21, v85 :: v_dual_add_nc_u32 v97, 20, v85
	s_delay_alu instid0(VALU_DEP_1) | instskip(NEXT) | instid1(VALU_DEP_2)
	v_lshlrev_b64_e64 v[4:5], v4, -1
	v_lshlrev_b64_e64 v[46:47], v97, 1
	s_delay_alu instid0(VALU_DEP_2) | instskip(SKIP_1) | instid1(VALU_DEP_4)
	v_bfi_b32 v4, v4, 0, v2
	v_lshrrev_b64 v[2:3], v85, v[2:3]
	v_bfi_b32 v5, v5, 0, 0
	s_delay_alu instid0(VALU_DEP_1) | instskip(NEXT) | instid1(VALU_DEP_3)
	v_cmp_eq_u64_e64 s13, v[4:5], v[46:47]
	v_mov_b64_e32 v[4:5], v[2:3]
	s_and_saveexec_b32 s76, s13
; %bb.25837:                            ;   in Loop: Header=BB6_22365 Depth=3
	v_bfe_u32 v4, v2, 21, 1
	v_mov_b32_e32 v5, v113
	s_delay_alu instid0(VALU_DEP_1) | instskip(NEXT) | instid1(VALU_DEP_1)
	v_add_nc_u64_e32 v[4:5], v[2:3], v[4:5]
	v_add_nc_u64_e32 v[4:5], -1, v[4:5]
; %bb.25838:                            ;   in Loop: Header=BB6_22365 Depth=3
	s_or_b32 exec_lo, exec_lo, s76
	v_add_nc_u32_e32 v3, 0xffffff81, v83
	v_lshrrev_b32_e32 v5, 23, v2
	s_mov_b32 s13, exec_lo
	s_delay_alu instid0(VALU_DEP_2) | instskip(NEXT) | instid1(VALU_DEP_1)
	v_cndmask_b32_e64 v3, v3, 0xffffff82, vcc_lo
	v_add3_u32 v83, v85, v3, v5
	v_and_b32_e32 v3, 0x1fffff, v4
                                        ; implicit-def: $vgpr4
	s_delay_alu instid0(VALU_DEP_1) | instskip(SKIP_1) | instid1(VALU_DEP_2)
	v_dual_add_nc_u32 v5, 14, v83 :: v_dual_add_nc_u32 v2, v3, v2
	v_mov_b32_e32 v3, v113
	v_cmpx_ne_u32_e32 0, v5
	s_xor_b32 s13, exec_lo, s13
; %bb.25839:                            ;   in Loop: Header=BB6_22365 Depth=3
	s_delay_alu instid0(VALU_DEP_2) | instskip(SKIP_1) | instid1(VALU_DEP_1)
	v_cmp_lt_u64_e32 vcc_lo, 0xffffff, v[2:3]
	v_add_nc_u32_e32 v4, 15, v83
	v_cndmask_b32_e32 v4, v5, v4, vcc_lo
	v_cndmask_b32_e64 v5, 0, 1, vcc_lo
	s_delay_alu instid0(VALU_DEP_1)
	v_lshrrev_b64 v[2:3], v5, v[2:3]
; %bb.25840:                            ;   in Loop: Header=BB6_22365 Depth=3
	s_and_not1_saveexec_b32 s13, s13
; %bb.25841:                            ;   in Loop: Header=BB6_22365 Depth=3
	s_delay_alu instid0(VALU_DEP_1)
	v_bfe_u32 v4, v2, 23, 1
; %bb.25842:                            ;   in Loop: Header=BB6_22365 Depth=3
	s_or_b32 exec_lo, exec_lo, s13
	s_delay_alu instid0(VALU_DEP_2) | instskip(NEXT) | instid1(VALU_DEP_2)
	v_lshrrev_b64 v[2:3], 21, v[2:3]
	v_cmp_gt_i32_e32 vcc_lo, 32, v4
	v_min_i32_e32 v5, 31, v4
	v_cmp_eq_u32_e64 s13, 0, v4
	s_delay_alu instid0(VALU_DEP_2) | instskip(SKIP_1) | instid1(VALU_DEP_2)
	v_dual_cndmask_b32 v3, 0, v3, vcc_lo :: v_dual_lshlrev_b32 v5, 2, v5
	v_cndmask_b32_e32 v2, 3, v2, vcc_lo
	v_and_b32_e32 v5, 0xfc, v5
	s_delay_alu instid0(VALU_DEP_2) | instskip(NEXT) | instid1(VALU_DEP_2)
	v_cmp_eq_u64_e32 vcc_lo, 0, v[2:3]
	v_and_or_b32 v2, v2, 3, v5
	s_and_b32 s13, s13, vcc_lo
	s_delay_alu instid0(VALU_DEP_1) | instid1(SALU_CYCLE_1)
	v_cndmask_b32_e64 v2, v2, 0, s13
	s_delay_alu instid0(VALU_DEP_1)
	v_or_b32_e32 v83, v2, v1
.LBB6_25843:                            ;   in Loop: Header=BB6_22365 Depth=3
	s_or_b32 exec_lo, exec_lo, s75
                                        ; implicit-def: $vgpr1
.LBB6_25844:                            ;   in Loop: Header=BB6_22365 Depth=3
	s_and_not1_saveexec_b32 s13, s74
; %bb.25845:                            ;   in Loop: Header=BB6_22365 Depth=3
	v_or_b32_e32 v83, 0x7b, v1
; %bb.25846:                            ;   in Loop: Header=BB6_22365 Depth=3
	s_or_b32 exec_lo, exec_lo, s13
                                        ; implicit-def: $vgpr4
                                        ; implicit-def: $vgpr2_vgpr3
                                        ; implicit-def: $vgpr1
.LBB6_25847:                            ;   in Loop: Header=BB6_22365 Depth=3
	s_and_not1_saveexec_b32 s13, s73
	s_cbranch_execz .LBB6_25853
; %bb.25848:                            ;   in Loop: Header=BB6_22365 Depth=3
	s_mov_b32 s73, exec_lo
                                        ; implicit-def: $vgpr83
	v_cmpx_ne_u64_e32 0, v[2:3]
	s_xor_b32 s73, exec_lo, s73
; %bb.25849:                            ;   in Loop: Header=BB6_22365 Depth=3
	v_or_b32_e32 v83, 0x7f, v1
                                        ; implicit-def: $vgpr4
; %bb.25850:                            ;   in Loop: Header=BB6_22365 Depth=3
	s_and_not1_saveexec_b32 s73, s73
; %bb.25851:                            ;   in Loop: Header=BB6_22365 Depth=3
	v_cmp_lt_i32_e32 vcc_lo, -1, v4
	v_mov_b32_e32 v1, 0x7c
	s_delay_alu instid0(VALU_DEP_1)
	v_cndmask_b32_e32 v83, 0xfc, v1, vcc_lo
; %bb.25852:                            ;   in Loop: Header=BB6_22365 Depth=3
	s_or_b32 exec_lo, exec_lo, s73
.LBB6_25853:                            ;   in Loop: Header=BB6_22365 Depth=3
	s_delay_alu instid0(SALU_CYCLE_1)
	s_or_b32 exec_lo, exec_lo, s13
	v_dual_mov_b32 v3, 0 :: v_dual_mov_b32 v4, 0
	s_mov_b32 s73, exec_lo
	v_cmpx_lt_u32_e32 0xffffff, v0
	s_cbranch_execz .LBB6_25863
; %bb.25854:                            ;   in Loop: Header=BB6_22365 Depth=3
	v_lshrrev_b32_e32 v2, 24, v0
	v_bfrev_b32_e32 v4, 1
	s_mov_b32 s74, exec_lo
	s_delay_alu instid0(VALU_DEP_2)
	v_cmpx_ne_u32_e32 0x80, v2
	s_cbranch_execz .LBB6_25862
; %bb.25855:                            ;   in Loop: Header=BB6_22365 Depth=3
	v_and_b32_e32 v1, 0x7c000000, v0
	v_bfe_u32 v5, v0, 24, 2
	s_mov_b32 s13, exec_lo
                                        ; implicit-def: $vgpr4
	s_delay_alu instid0(VALU_DEP_2)
	v_cmpx_ne_u32_e32 0x7c000000, v1
	s_xor_b32 s13, exec_lo, s13
	s_cbranch_execz .LBB6_25859
; %bb.25856:                            ;   in Loop: Header=BB6_22365 Depth=3
	v_bfe_u32 v1, v0, 26, 5
	s_mov_b32 s75, exec_lo
	s_delay_alu instid0(VALU_DEP_1)
	v_cmpx_eq_u32_e32 0, v1
; %bb.25857:                            ;   in Loop: Header=BB6_22365 Depth=3
	v_clz_i32_u32_e32 v1, v5
	s_delay_alu instid0(VALU_DEP_1) | instskip(NEXT) | instid1(VALU_DEP_1)
	v_min_u32_e32 v1, 32, v1
	v_subrev_nc_u32_e32 v4, 29, v1
	s_delay_alu instid0(VALU_DEP_1) | instskip(NEXT) | instid1(VALU_DEP_1)
	v_lshlrev_b64_e32 v[4:5], v4, v[2:3]
	v_dual_sub_nc_u32 v1, 30, v1 :: v_dual_bitop2_b32 v5, 3, v4 bitop3:0x40
; %bb.25858:                            ;   in Loop: Header=BB6_22365 Depth=3
	s_or_b32 exec_lo, exec_lo, s75
	v_and_b32_e32 v0, 0x80000000, v0
	s_delay_alu instid0(VALU_DEP_1) | instskip(NEXT) | instid1(VALU_DEP_1)
	v_lshl_add_u32 v0, v1, 23, v0
	v_lshl_or_b32 v0, v5, 21, v0
                                        ; implicit-def: $vgpr5
	s_delay_alu instid0(VALU_DEP_1)
	v_add_nc_u32_e32 v4, 0x38000000, v0
                                        ; implicit-def: $vgpr0_vgpr1
.LBB6_25859:                            ;   in Loop: Header=BB6_22365 Depth=3
	s_and_not1_saveexec_b32 s75, s13
; %bb.25860:                            ;   in Loop: Header=BB6_22365 Depth=3
	v_cmp_lt_i32_e64 s13, -1, v0
	v_mov_b32_e32 v0, 0x7f800000
	v_cmp_eq_u32_e32 vcc_lo, 0, v5
	s_delay_alu instid0(VALU_DEP_2) | instskip(NEXT) | instid1(VALU_DEP_1)
	v_cndmask_b32_e64 v0, 0xff800000, v0, s13
	v_cndmask_b32_e32 v4, 0x7f800001, v0, vcc_lo
; %bb.25861:                            ;   in Loop: Header=BB6_22365 Depth=3
	s_or_b32 exec_lo, exec_lo, s75
.LBB6_25862:                            ;   in Loop: Header=BB6_22365 Depth=3
	s_delay_alu instid0(SALU_CYCLE_1)
	s_or_b32 exec_lo, exec_lo, s74
.LBB6_25863:                            ;   in Loop: Header=BB6_22365 Depth=3
	s_delay_alu instid0(SALU_CYCLE_1) | instskip(NEXT) | instid1(SALU_CYCLE_1)
	s_or_b32 exec_lo, exec_lo, s73
	s_mov_b32 s73, exec_lo
	v_cmpx_lt_u64_e64 s[22:23], v[12:13]
	s_cbranch_execz .LBB6_25873
; %bb.25864:                            ;   in Loop: Header=BB6_22365 Depth=3
	v_lshrrev_b32_e32 v0, 24, v13
	v_bfrev_b32_e32 v3, 1
	s_mov_b32 s74, exec_lo
	s_delay_alu instid0(VALU_DEP_2)
	v_cmpx_ne_u32_e32 0x80, v0
	s_cbranch_execz .LBB6_25872
; %bb.25865:                            ;   in Loop: Header=BB6_22365 Depth=3
	v_and_b32_e32 v2, 0x7c000000, v13
	v_bfe_u32 v1, v13, 24, 2
	s_mov_b32 s13, exec_lo
                                        ; implicit-def: $vgpr3
	s_delay_alu instid0(VALU_DEP_2)
	v_cmpx_ne_u32_e32 0x7c000000, v2
	s_xor_b32 s13, exec_lo, s13
	s_cbranch_execz .LBB6_25869
; %bb.25866:                            ;   in Loop: Header=BB6_22365 Depth=3
	v_bfe_u32 v2, v13, 26, 5
	s_mov_b32 s75, exec_lo
	s_delay_alu instid0(VALU_DEP_1)
	v_cmpx_eq_u32_e32 0, v2
; %bb.25867:                            ;   in Loop: Header=BB6_22365 Depth=3
	v_clz_i32_u32_e32 v1, v1
	s_delay_alu instid0(VALU_DEP_1) | instskip(NEXT) | instid1(VALU_DEP_1)
	v_min_u32_e32 v2, 32, v1
	v_subrev_nc_u32_e32 v1, 29, v2
	s_delay_alu instid0(VALU_DEP_1) | instskip(NEXT) | instid1(VALU_DEP_1)
	v_lshlrev_b64_e32 v[0:1], v1, v[0:1]
	v_dual_sub_nc_u32 v2, 30, v2 :: v_dual_bitop2_b32 v1, 3, v0 bitop3:0x40
; %bb.25868:                            ;   in Loop: Header=BB6_22365 Depth=3
	s_or_b32 exec_lo, exec_lo, s75
	v_and_b32_e32 v0, 0x80000000, v13
	s_delay_alu instid0(VALU_DEP_1) | instskip(NEXT) | instid1(VALU_DEP_1)
	v_lshl_add_u32 v0, v2, 23, v0
	v_lshl_or_b32 v0, v1, 21, v0
                                        ; implicit-def: $vgpr1
	s_delay_alu instid0(VALU_DEP_1)
	v_add_nc_u32_e32 v3, 0x38000000, v0
.LBB6_25869:                            ;   in Loop: Header=BB6_22365 Depth=3
	s_and_not1_saveexec_b32 s75, s13
; %bb.25870:                            ;   in Loop: Header=BB6_22365 Depth=3
	v_cmp_lt_i64_e64 s13, -1, v[12:13]
	v_mov_b32_e32 v0, 0x7f800000
	v_cmp_eq_u32_e32 vcc_lo, 0, v1
	s_delay_alu instid0(VALU_DEP_2) | instskip(NEXT) | instid1(VALU_DEP_1)
	v_cndmask_b32_e64 v0, 0xff800000, v0, s13
	v_cndmask_b32_e32 v3, 0x7f800001, v0, vcc_lo
; %bb.25871:                            ;   in Loop: Header=BB6_22365 Depth=3
	s_or_b32 exec_lo, exec_lo, s75
.LBB6_25872:                            ;   in Loop: Header=BB6_22365 Depth=3
	s_delay_alu instid0(SALU_CYCLE_1)
	s_or_b32 exec_lo, exec_lo, s74
.LBB6_25873:                            ;   in Loop: Header=BB6_22365 Depth=3
	s_delay_alu instid0(SALU_CYCLE_1) | instskip(NEXT) | instid1(VALU_DEP_1)
	s_or_b32 exec_lo, exec_lo, s73
	v_dual_add_f32 v2, v4, v3 :: v_dual_mov_b32 v5, v113
	v_mov_b32_e32 v1, v113
                                        ; implicit-def: $vgpr12
	s_mov_b32 s13, exec_lo
	s_delay_alu instid0(VALU_DEP_2) | instskip(SKIP_2) | instid1(VALU_DEP_3)
	v_and_b32_e32 v4, 0x7f800000, v2
	v_and_b32_e32 v0, 0x7fffff, v2
	v_lshrrev_b32_e32 v3, 24, v2
	v_cmpx_ne_u64_e32 0x7f800000, v[4:5]
	s_xor_b32 s73, exec_lo, s13
	s_cbranch_execz .LBB6_25887
; %bb.25874:                            ;   in Loop: Header=BB6_22365 Depth=3
	v_and_b32_e32 v4, 0x7fffffff, v2
	v_mov_b32_e32 v5, v113
                                        ; implicit-def: $vgpr12
	s_delay_alu instid0(VALU_DEP_1) | instskip(SKIP_2) | instid1(SALU_CYCLE_1)
	v_cmp_gt_u64_e32 vcc_lo, 0x47600001, v[4:5]
	v_and_b32_e32 v4, 0x80, v3
	s_and_saveexec_b32 s13, vcc_lo
	s_xor_b32 s74, exec_lo, s13
	s_cbranch_execz .LBB6_25884
; %bb.25875:                            ;   in Loop: Header=BB6_22365 Depth=3
	v_mov_b32_e32 v12, 0
	s_mov_b32 s75, exec_lo
	v_cmpx_ne_u32_e32 0, v2
	s_cbranch_execz .LBB6_25883
; %bb.25876:                            ;   in Loop: Header=BB6_22365 Depth=3
	v_bfe_u32 v5, v2, 23, 8
	v_or_b32_e32 v3, 0x800000, v0
	s_delay_alu instid0(VALU_DEP_2) | instskip(SKIP_2) | instid1(VALU_DEP_2)
	v_cmp_gt_u32_e64 s13, 0x72, v5
	v_sub_nc_u32_e32 v2, 0x71, v5
	v_cmp_eq_u32_e32 vcc_lo, 0, v5
	v_dual_cndmask_b32 v2, 0, v2, s13 :: v_dual_cndmask_b32 v0, v3, v0, vcc_lo
	s_delay_alu instid0(VALU_DEP_1) | instskip(NEXT) | instid1(VALU_DEP_1)
	v_cndmask_b32_e64 v12, v2, 0x70, vcc_lo
	v_dual_add_nc_u32 v2, 21, v12 :: v_dual_add_nc_u32 v13, 20, v12
	s_delay_alu instid0(VALU_DEP_1) | instskip(NEXT) | instid1(VALU_DEP_2)
	v_lshlrev_b64_e64 v[2:3], v2, -1
	v_lshlrev_b64_e64 v[46:47], v13, 1
	s_delay_alu instid0(VALU_DEP_2) | instskip(SKIP_1) | instid1(VALU_DEP_4)
	v_bfi_b32 v2, v2, 0, v0
	v_lshrrev_b64 v[0:1], v12, v[0:1]
	v_bfi_b32 v3, v3, 0, 0
	s_delay_alu instid0(VALU_DEP_1) | instskip(NEXT) | instid1(VALU_DEP_3)
	v_cmp_eq_u64_e64 s13, v[2:3], v[46:47]
	v_mov_b64_e32 v[2:3], v[0:1]
	s_and_saveexec_b32 s76, s13
; %bb.25877:                            ;   in Loop: Header=BB6_22365 Depth=3
	v_bfe_u32 v2, v0, 21, 1
	v_mov_b32_e32 v3, v113
	s_delay_alu instid0(VALU_DEP_1) | instskip(NEXT) | instid1(VALU_DEP_1)
	v_add_nc_u64_e32 v[2:3], v[0:1], v[2:3]
	v_add_nc_u64_e32 v[2:3], -1, v[2:3]
; %bb.25878:                            ;   in Loop: Header=BB6_22365 Depth=3
	s_or_b32 exec_lo, exec_lo, s76
	v_add_nc_u32_e32 v1, 0xffffff81, v5
	v_lshrrev_b32_e32 v3, 23, v0
	s_mov_b32 s13, exec_lo
	s_delay_alu instid0(VALU_DEP_2) | instskip(NEXT) | instid1(VALU_DEP_1)
	v_cndmask_b32_e64 v1, v1, 0xffffff82, vcc_lo
	v_add3_u32 v5, v12, v1, v3
	v_and_b32_e32 v1, 0x1fffff, v2
                                        ; implicit-def: $vgpr2
	s_delay_alu instid0(VALU_DEP_1) | instskip(SKIP_1) | instid1(VALU_DEP_2)
	v_dual_add_nc_u32 v3, 14, v5 :: v_dual_add_nc_u32 v0, v1, v0
	v_mov_b32_e32 v1, v113
	v_cmpx_ne_u32_e32 0, v3
	s_xor_b32 s13, exec_lo, s13
; %bb.25879:                            ;   in Loop: Header=BB6_22365 Depth=3
	s_delay_alu instid0(VALU_DEP_2) | instskip(SKIP_1) | instid1(VALU_DEP_1)
	v_cmp_lt_u64_e32 vcc_lo, 0xffffff, v[0:1]
	v_add_nc_u32_e32 v2, 15, v5
	v_cndmask_b32_e32 v2, v3, v2, vcc_lo
	v_cndmask_b32_e64 v3, 0, 1, vcc_lo
	s_delay_alu instid0(VALU_DEP_1)
	v_lshrrev_b64 v[0:1], v3, v[0:1]
; %bb.25880:                            ;   in Loop: Header=BB6_22365 Depth=3
	s_and_not1_saveexec_b32 s13, s13
; %bb.25881:                            ;   in Loop: Header=BB6_22365 Depth=3
	s_delay_alu instid0(VALU_DEP_1)
	v_bfe_u32 v2, v0, 23, 1
; %bb.25882:                            ;   in Loop: Header=BB6_22365 Depth=3
	s_or_b32 exec_lo, exec_lo, s13
	s_delay_alu instid0(VALU_DEP_2) | instskip(NEXT) | instid1(VALU_DEP_2)
	v_lshrrev_b64 v[0:1], 21, v[0:1]
	v_cmp_gt_i32_e32 vcc_lo, 32, v2
	v_min_i32_e32 v3, 31, v2
	v_cmp_eq_u32_e64 s13, 0, v2
	s_delay_alu instid0(VALU_DEP_2) | instskip(SKIP_1) | instid1(VALU_DEP_2)
	v_dual_cndmask_b32 v1, 0, v1, vcc_lo :: v_dual_lshlrev_b32 v3, 2, v3
	v_cndmask_b32_e32 v0, 3, v0, vcc_lo
	v_and_b32_e32 v3, 0xfc, v3
	s_delay_alu instid0(VALU_DEP_2) | instskip(NEXT) | instid1(VALU_DEP_2)
	v_cmp_eq_u64_e32 vcc_lo, 0, v[0:1]
	v_and_or_b32 v0, v0, 3, v3
	s_and_b32 s13, s13, vcc_lo
	s_delay_alu instid0(VALU_DEP_1) | instid1(SALU_CYCLE_1)
	v_cndmask_b32_e64 v0, v0, 0, s13
	s_delay_alu instid0(VALU_DEP_1)
	v_or_b32_e32 v12, v0, v4
.LBB6_25883:                            ;   in Loop: Header=BB6_22365 Depth=3
	s_or_b32 exec_lo, exec_lo, s75
                                        ; implicit-def: $vgpr4
.LBB6_25884:                            ;   in Loop: Header=BB6_22365 Depth=3
	s_and_not1_saveexec_b32 s13, s74
; %bb.25885:                            ;   in Loop: Header=BB6_22365 Depth=3
	v_or_b32_e32 v12, 0x7b, v4
; %bb.25886:                            ;   in Loop: Header=BB6_22365 Depth=3
	s_or_b32 exec_lo, exec_lo, s13
                                        ; implicit-def: $vgpr2
                                        ; implicit-def: $vgpr0_vgpr1
                                        ; implicit-def: $vgpr3
.LBB6_25887:                            ;   in Loop: Header=BB6_22365 Depth=3
	s_and_not1_saveexec_b32 s13, s73
	s_cbranch_execz .LBB6_25893
; %bb.25888:                            ;   in Loop: Header=BB6_22365 Depth=3
	s_mov_b32 s73, exec_lo
                                        ; implicit-def: $vgpr12
	v_cmpx_ne_u64_e32 0, v[0:1]
	s_xor_b32 s73, exec_lo, s73
; %bb.25889:                            ;   in Loop: Header=BB6_22365 Depth=3
	v_or_b32_e32 v12, 0x7f, v3
                                        ; implicit-def: $vgpr2
; %bb.25890:                            ;   in Loop: Header=BB6_22365 Depth=3
	s_and_not1_saveexec_b32 s73, s73
; %bb.25891:                            ;   in Loop: Header=BB6_22365 Depth=3
	v_cmp_lt_i32_e32 vcc_lo, -1, v2
	v_mov_b32_e32 v0, 0x7c
	s_delay_alu instid0(VALU_DEP_1)
	v_cndmask_b32_e32 v12, 0xfc, v0, vcc_lo
; %bb.25892:                            ;   in Loop: Header=BB6_22365 Depth=3
	s_or_b32 exec_lo, exec_lo, s73
.LBB6_25893:                            ;   in Loop: Header=BB6_22365 Depth=3
	s_delay_alu instid0(SALU_CYCLE_1) | instskip(SKIP_4) | instid1(VALU_DEP_2)
	s_or_b32 exec_lo, exec_lo, s13
	v_lshl_or_b32 v67, v67, 8, v52
	v_dual_lshlrev_b32 v0, 16, v71 :: v_dual_lshlrev_b32 v2, 24, v81
	v_dual_mov_b32 v1, v113 :: v_dual_mov_b32 v3, 0
	s_mov_b32 s73, exec_lo
	v_or3_b32 v0, v0, v2, v67
	v_mov_b32_e32 v2, 0
	v_cmpx_ne_u32_e32 0, v52
	s_cbranch_execz .LBB6_25903
; %bb.25894:                            ;   in Loop: Header=BB6_22365 Depth=3
	v_bfrev_b32_e32 v3, 1
	s_mov_b32 s74, exec_lo
	v_cmpx_ne_u32_e32 0x80, v52
	s_cbranch_execz .LBB6_25902
; %bb.25895:                            ;   in Loop: Header=BB6_22365 Depth=3
	v_and_b32_e32 v3, 0x7c, v52
	v_and_b32_e32 v4, 3, v52
	s_delay_alu instid0(VALU_DEP_2) | instskip(SKIP_1) | instid1(SALU_CYCLE_1)
	v_cmp_ne_u32_e32 vcc_lo, 0x7c, v3
                                        ; implicit-def: $vgpr3
	s_and_saveexec_b32 s13, vcc_lo
	s_xor_b32 s13, exec_lo, s13
	s_cbranch_execz .LBB6_25899
; %bb.25896:                            ;   in Loop: Header=BB6_22365 Depth=3
	v_bfe_u32 v3, v52, 2, 5
	s_mov_b32 s75, exec_lo
	s_delay_alu instid0(VALU_DEP_1)
	v_cmpx_eq_u32_e32 0, v3
; %bb.25897:                            ;   in Loop: Header=BB6_22365 Depth=3
	v_clz_i32_u32_e32 v3, v4
	s_delay_alu instid0(VALU_DEP_1) | instskip(NEXT) | instid1(VALU_DEP_1)
	v_min_u32_e32 v3, 32, v3
	v_subrev_nc_u32_e32 v4, 29, v3
	s_delay_alu instid0(VALU_DEP_1) | instskip(NEXT) | instid1(VALU_DEP_1)
	v_lshlrev_b64_e32 v[4:5], v4, v[0:1]
	v_dual_sub_nc_u32 v3, 30, v3 :: v_dual_bitop2_b32 v4, 3, v4 bitop3:0x40
; %bb.25898:                            ;   in Loop: Header=BB6_22365 Depth=3
	s_or_b32 exec_lo, exec_lo, s75
	v_lshlrev_b32_e32 v1, 24, v52
                                        ; implicit-def: $vgpr52
	s_delay_alu instid0(VALU_DEP_1) | instskip(NEXT) | instid1(VALU_DEP_1)
	v_and_b32_e32 v1, 0x80000000, v1
	v_lshl_add_u32 v1, v3, 23, v1
	s_delay_alu instid0(VALU_DEP_1) | instskip(NEXT) | instid1(VALU_DEP_1)
	v_lshl_or_b32 v1, v4, 21, v1
                                        ; implicit-def: $vgpr4
	v_add_nc_u32_e32 v3, 0x38000000, v1
.LBB6_25899:                            ;   in Loop: Header=BB6_22365 Depth=3
	s_and_not1_saveexec_b32 s75, s13
; %bb.25900:                            ;   in Loop: Header=BB6_22365 Depth=3
	v_and_b32_e32 v1, 0x80, v52
	v_cmp_eq_u32_e32 vcc_lo, 0, v4
	s_delay_alu instid0(VALU_DEP_2) | instskip(SKIP_1) | instid1(VALU_DEP_1)
	v_cmp_eq_u32_e64 s13, 0, v1
	v_mov_b32_e32 v1, 0x7f800000
	v_cndmask_b32_e64 v1, 0xff800000, v1, s13
	s_delay_alu instid0(VALU_DEP_1)
	v_cndmask_b32_e32 v3, 0x7f800001, v1, vcc_lo
; %bb.25901:                            ;   in Loop: Header=BB6_22365 Depth=3
	s_or_b32 exec_lo, exec_lo, s75
.LBB6_25902:                            ;   in Loop: Header=BB6_22365 Depth=3
	s_delay_alu instid0(SALU_CYCLE_1)
	s_or_b32 exec_lo, exec_lo, s74
.LBB6_25903:                            ;   in Loop: Header=BB6_22365 Depth=3
	s_delay_alu instid0(SALU_CYCLE_1) | instskip(SKIP_2) | instid1(VALU_DEP_1)
	s_or_b32 exec_lo, exec_lo, s73
	v_and_b32_e32 v1, 0xff, v14
	s_mov_b32 s73, exec_lo
	v_cmpx_ne_u16_e32 0, v1
	s_cbranch_execz .LBB6_25913
; %bb.25904:                            ;   in Loop: Header=BB6_22365 Depth=3
	v_bfe_i32 v4, v14, 0, 8
	v_bfrev_b32_e32 v2, 1
	s_mov_b32 s74, exec_lo
	s_delay_alu instid0(VALU_DEP_2)
	v_cmpx_ne_u16_e32 0xff80, v4
	s_cbranch_execz .LBB6_25912
; %bb.25905:                            ;   in Loop: Header=BB6_22365 Depth=3
	v_and_b32_e32 v2, 0x7c, v14
	v_and_b32_e32 v1, 3, v14
	s_delay_alu instid0(VALU_DEP_2) | instskip(SKIP_1) | instid1(SALU_CYCLE_1)
	v_cmp_ne_u32_e32 vcc_lo, 0x7c, v2
                                        ; implicit-def: $vgpr2
	s_and_saveexec_b32 s13, vcc_lo
	s_xor_b32 s13, exec_lo, s13
	s_cbranch_execz .LBB6_25909
; %bb.25906:                            ;   in Loop: Header=BB6_22365 Depth=3
	v_bfe_u32 v2, v14, 2, 5
	s_mov_b32 s75, exec_lo
	s_delay_alu instid0(VALU_DEP_1)
	v_cmpx_eq_u32_e32 0, v2
; %bb.25907:                            ;   in Loop: Header=BB6_22365 Depth=3
	v_clz_i32_u32_e32 v1, v1
	s_delay_alu instid0(VALU_DEP_1) | instskip(NEXT) | instid1(VALU_DEP_1)
	v_min_u32_e32 v1, 32, v1
	v_subrev_nc_u32_e32 v2, 29, v1
	s_delay_alu instid0(VALU_DEP_1) | instskip(NEXT) | instid1(VALU_DEP_1)
	v_lshlrev_b64_e32 v[4:5], v2, v[14:15]
	v_dual_sub_nc_u32 v2, 30, v1 :: v_dual_bitop2_b32 v1, 3, v4 bitop3:0x40
; %bb.25908:                            ;   in Loop: Header=BB6_22365 Depth=3
	s_or_b32 exec_lo, exec_lo, s75
	v_lshlrev_b32_e32 v4, 24, v14
	s_delay_alu instid0(VALU_DEP_1) | instskip(NEXT) | instid1(VALU_DEP_1)
	v_and_b32_e32 v4, 0x80000000, v4
	v_lshl_add_u32 v2, v2, 23, v4
                                        ; implicit-def: $vgpr4
	s_delay_alu instid0(VALU_DEP_1) | instskip(NEXT) | instid1(VALU_DEP_1)
	v_lshl_or_b32 v1, v1, 21, v2
	v_add_nc_u32_e32 v2, 0x38000000, v1
                                        ; implicit-def: $vgpr1
.LBB6_25909:                            ;   in Loop: Header=BB6_22365 Depth=3
	s_and_not1_saveexec_b32 s75, s13
; %bb.25910:                            ;   in Loop: Header=BB6_22365 Depth=3
	v_cmp_eq_u32_e32 vcc_lo, 0, v1
	v_cmp_lt_i16_e64 s13, -1, v4
	v_mov_b32_e32 v1, 0x7f800000
	s_delay_alu instid0(VALU_DEP_1) | instskip(NEXT) | instid1(VALU_DEP_1)
	v_cndmask_b32_e64 v1, 0xff800000, v1, s13
	v_cndmask_b32_e32 v2, 0x7f800001, v1, vcc_lo
; %bb.25911:                            ;   in Loop: Header=BB6_22365 Depth=3
	s_or_b32 exec_lo, exec_lo, s75
.LBB6_25912:                            ;   in Loop: Header=BB6_22365 Depth=3
	s_delay_alu instid0(SALU_CYCLE_1)
	s_or_b32 exec_lo, exec_lo, s74
.LBB6_25913:                            ;   in Loop: Header=BB6_22365 Depth=3
	s_delay_alu instid0(SALU_CYCLE_1) | instskip(NEXT) | instid1(VALU_DEP_1)
	s_or_b32 exec_lo, exec_lo, s73
	v_dual_add_f32 v4, v3, v2 :: v_dual_mov_b32 v47, v113
	v_mov_b32_e32 v3, v113
                                        ; implicit-def: $vgpr13
	s_mov_b32 s13, exec_lo
	s_delay_alu instid0(VALU_DEP_2) | instskip(SKIP_2) | instid1(VALU_DEP_3)
	v_and_b32_e32 v46, 0x7f800000, v4
	v_and_b32_e32 v2, 0x7fffff, v4
	v_lshrrev_b32_e32 v1, 24, v4
	v_cmpx_ne_u64_e32 0x7f800000, v[46:47]
	s_xor_b32 s73, exec_lo, s13
	s_cbranch_execz .LBB6_25927
; %bb.25914:                            ;   in Loop: Header=BB6_22365 Depth=3
	v_and_b32_e32 v46, 0x7fffffff, v4
	v_mov_b32_e32 v47, v113
	v_and_b32_e32 v1, 0x80, v1
                                        ; implicit-def: $vgpr13
	s_mov_b32 s13, exec_lo
	s_delay_alu instid0(VALU_DEP_2)
	v_cmpx_gt_u64_e32 0x47600001, v[46:47]
	s_xor_b32 s74, exec_lo, s13
	s_cbranch_execz .LBB6_25924
; %bb.25915:                            ;   in Loop: Header=BB6_22365 Depth=3
	v_mov_b32_e32 v13, 0
	s_mov_b32 s75, exec_lo
	v_cmpx_ne_u32_e32 0, v4
	s_cbranch_execz .LBB6_25923
; %bb.25916:                            ;   in Loop: Header=BB6_22365 Depth=3
	v_bfe_u32 v13, v4, 23, 8
	v_or_b32_e32 v5, 0x800000, v2
	s_delay_alu instid0(VALU_DEP_2) | instskip(SKIP_2) | instid1(VALU_DEP_2)
	v_cmp_gt_u32_e64 s13, 0x72, v13
	v_sub_nc_u32_e32 v4, 0x71, v13
	v_cmp_eq_u32_e32 vcc_lo, 0, v13
	v_dual_cndmask_b32 v4, 0, v4, s13 :: v_dual_cndmask_b32 v2, v5, v2, vcc_lo
	s_delay_alu instid0(VALU_DEP_1) | instskip(NEXT) | instid1(VALU_DEP_1)
	v_cndmask_b32_e64 v52, v4, 0x70, vcc_lo
	v_dual_add_nc_u32 v4, 21, v52 :: v_dual_add_nc_u32 v71, 20, v52
	s_delay_alu instid0(VALU_DEP_1) | instskip(NEXT) | instid1(VALU_DEP_2)
	v_lshlrev_b64_e64 v[4:5], v4, -1
	v_lshlrev_b64_e64 v[46:47], v71, 1
	s_delay_alu instid0(VALU_DEP_2) | instskip(SKIP_1) | instid1(VALU_DEP_4)
	v_bfi_b32 v4, v4, 0, v2
	v_lshrrev_b64 v[2:3], v52, v[2:3]
	v_bfi_b32 v5, v5, 0, 0
	s_delay_alu instid0(VALU_DEP_1) | instskip(NEXT) | instid1(VALU_DEP_3)
	v_cmp_eq_u64_e64 s13, v[4:5], v[46:47]
	v_mov_b64_e32 v[4:5], v[2:3]
	s_and_saveexec_b32 s76, s13
; %bb.25917:                            ;   in Loop: Header=BB6_22365 Depth=3
	v_bfe_u32 v4, v2, 21, 1
	v_mov_b32_e32 v5, v113
	s_delay_alu instid0(VALU_DEP_1) | instskip(NEXT) | instid1(VALU_DEP_1)
	v_add_nc_u64_e32 v[4:5], v[2:3], v[4:5]
	v_add_nc_u64_e32 v[4:5], -1, v[4:5]
; %bb.25918:                            ;   in Loop: Header=BB6_22365 Depth=3
	s_or_b32 exec_lo, exec_lo, s76
	v_add_nc_u32_e32 v3, 0xffffff81, v13
	v_lshrrev_b32_e32 v5, 23, v2
	s_mov_b32 s13, exec_lo
	s_delay_alu instid0(VALU_DEP_2) | instskip(NEXT) | instid1(VALU_DEP_1)
	v_cndmask_b32_e64 v3, v3, 0xffffff82, vcc_lo
	v_add3_u32 v13, v52, v3, v5
	v_and_b32_e32 v3, 0x1fffff, v4
                                        ; implicit-def: $vgpr4
	s_delay_alu instid0(VALU_DEP_1) | instskip(SKIP_1) | instid1(VALU_DEP_2)
	v_dual_add_nc_u32 v5, 14, v13 :: v_dual_add_nc_u32 v2, v3, v2
	v_mov_b32_e32 v3, v113
	v_cmpx_ne_u32_e32 0, v5
	s_xor_b32 s13, exec_lo, s13
; %bb.25919:                            ;   in Loop: Header=BB6_22365 Depth=3
	s_delay_alu instid0(VALU_DEP_2) | instskip(SKIP_1) | instid1(VALU_DEP_1)
	v_cmp_lt_u64_e32 vcc_lo, 0xffffff, v[2:3]
	v_add_nc_u32_e32 v4, 15, v13
	v_cndmask_b32_e32 v4, v5, v4, vcc_lo
	v_cndmask_b32_e64 v5, 0, 1, vcc_lo
	s_delay_alu instid0(VALU_DEP_1)
	v_lshrrev_b64 v[2:3], v5, v[2:3]
; %bb.25920:                            ;   in Loop: Header=BB6_22365 Depth=3
	s_and_not1_saveexec_b32 s13, s13
; %bb.25921:                            ;   in Loop: Header=BB6_22365 Depth=3
	s_delay_alu instid0(VALU_DEP_1)
	v_bfe_u32 v4, v2, 23, 1
; %bb.25922:                            ;   in Loop: Header=BB6_22365 Depth=3
	s_or_b32 exec_lo, exec_lo, s13
	s_delay_alu instid0(VALU_DEP_2) | instskip(NEXT) | instid1(VALU_DEP_2)
	v_lshrrev_b64 v[2:3], 21, v[2:3]
	v_cmp_gt_i32_e32 vcc_lo, 32, v4
	v_min_i32_e32 v5, 31, v4
	v_cmp_eq_u32_e64 s13, 0, v4
	s_delay_alu instid0(VALU_DEP_2) | instskip(SKIP_1) | instid1(VALU_DEP_2)
	v_dual_cndmask_b32 v3, 0, v3, vcc_lo :: v_dual_lshlrev_b32 v5, 2, v5
	v_cndmask_b32_e32 v2, 3, v2, vcc_lo
	v_and_b32_e32 v5, 0xfc, v5
	s_delay_alu instid0(VALU_DEP_2) | instskip(NEXT) | instid1(VALU_DEP_2)
	v_cmp_eq_u64_e32 vcc_lo, 0, v[2:3]
	v_and_or_b32 v2, v2, 3, v5
	s_and_b32 s13, s13, vcc_lo
	s_delay_alu instid0(VALU_DEP_1) | instid1(SALU_CYCLE_1)
	v_cndmask_b32_e64 v2, v2, 0, s13
	s_delay_alu instid0(VALU_DEP_1)
	v_or_b32_e32 v13, v2, v1
.LBB6_25923:                            ;   in Loop: Header=BB6_22365 Depth=3
	s_or_b32 exec_lo, exec_lo, s75
                                        ; implicit-def: $vgpr1
.LBB6_25924:                            ;   in Loop: Header=BB6_22365 Depth=3
	s_and_not1_saveexec_b32 s13, s74
; %bb.25925:                            ;   in Loop: Header=BB6_22365 Depth=3
	v_or_b32_e32 v13, 0x7b, v1
; %bb.25926:                            ;   in Loop: Header=BB6_22365 Depth=3
	s_or_b32 exec_lo, exec_lo, s13
                                        ; implicit-def: $vgpr4
                                        ; implicit-def: $vgpr2_vgpr3
                                        ; implicit-def: $vgpr1
.LBB6_25927:                            ;   in Loop: Header=BB6_22365 Depth=3
	s_and_not1_saveexec_b32 s13, s73
	s_cbranch_execz .LBB6_25933
; %bb.25928:                            ;   in Loop: Header=BB6_22365 Depth=3
	s_mov_b32 s73, exec_lo
                                        ; implicit-def: $vgpr13
	v_cmpx_ne_u64_e32 0, v[2:3]
	s_xor_b32 s73, exec_lo, s73
; %bb.25929:                            ;   in Loop: Header=BB6_22365 Depth=3
	v_or_b32_e32 v13, 0x7f, v1
                                        ; implicit-def: $vgpr4
; %bb.25930:                            ;   in Loop: Header=BB6_22365 Depth=3
	s_and_not1_saveexec_b32 s73, s73
; %bb.25931:                            ;   in Loop: Header=BB6_22365 Depth=3
	v_cmp_lt_i32_e32 vcc_lo, -1, v4
	v_mov_b32_e32 v1, 0x7c
	s_delay_alu instid0(VALU_DEP_1)
	v_cndmask_b32_e32 v13, 0xfc, v1, vcc_lo
; %bb.25932:                            ;   in Loop: Header=BB6_22365 Depth=3
	s_or_b32 exec_lo, exec_lo, s73
.LBB6_25933:                            ;   in Loop: Header=BB6_22365 Depth=3
	s_delay_alu instid0(SALU_CYCLE_1) | instskip(SKIP_3) | instid1(VALU_DEP_2)
	s_or_b32 exec_lo, exec_lo, s13
	v_lshrrev_b16 v2, 8, v67
	v_dual_mov_b32 v1, 0 :: v_dual_mov_b32 v4, 0
	s_mov_b32 s73, exec_lo
	v_cmpx_ne_u16_e32 0, v2
	s_cbranch_execz .LBB6_25943
; %bb.25934:                            ;   in Loop: Header=BB6_22365 Depth=3
	v_bfrev_b32_e32 v4, 1
	s_mov_b32 s74, exec_lo
	v_cmpx_ne_u16_e32 0x80, v2
	s_cbranch_execz .LBB6_25942
; %bb.25935:                            ;   in Loop: Header=BB6_22365 Depth=3
	v_and_b32_e32 v5, 0xffff, v2
	s_delay_alu instid0(VALU_DEP_1) | instskip(SKIP_1) | instid1(VALU_DEP_2)
	v_and_b32_e32 v4, 0x7c, v5
	v_and_b32_e32 v3, 3, v5
	v_cmp_ne_u32_e32 vcc_lo, 0x7c, v4
                                        ; implicit-def: $vgpr4
	s_and_saveexec_b32 s13, vcc_lo
	s_delay_alu instid0(SALU_CYCLE_1)
	s_xor_b32 s13, exec_lo, s13
	s_cbranch_execz .LBB6_25939
; %bb.25936:                            ;   in Loop: Header=BB6_22365 Depth=3
	v_bfe_u32 v4, v5, 2, 5
	s_mov_b32 s75, exec_lo
	s_delay_alu instid0(VALU_DEP_1)
	v_cmpx_eq_u32_e32 0, v4
	s_cbranch_execz .LBB6_25938
; %bb.25937:                            ;   in Loop: Header=BB6_22365 Depth=3
	v_clz_i32_u32_e32 v3, v3
	s_delay_alu instid0(VALU_DEP_1) | instskip(SKIP_1) | instid1(VALU_DEP_2)
	v_min_u32_e32 v4, 32, v3
	v_mov_b32_e32 v3, v113
	v_subrev_nc_u32_e32 v5, 29, v4
	v_sub_nc_u32_e32 v4, 30, v4
	s_delay_alu instid0(VALU_DEP_2) | instskip(NEXT) | instid1(VALU_DEP_1)
	v_lshlrev_b64_e32 v[2:3], v5, v[2:3]
	v_and_b32_e32 v3, 3, v2
.LBB6_25938:                            ;   in Loop: Header=BB6_22365 Depth=3
	s_or_b32 exec_lo, exec_lo, s75
	v_lshlrev_b32_e32 v2, 16, v67
                                        ; implicit-def: $vgpr67
	s_delay_alu instid0(VALU_DEP_1) | instskip(NEXT) | instid1(VALU_DEP_1)
	v_and_b32_e32 v2, 0x80000000, v2
	v_lshl_add_u32 v2, v4, 23, v2
	s_delay_alu instid0(VALU_DEP_1) | instskip(NEXT) | instid1(VALU_DEP_1)
	v_lshl_or_b32 v2, v3, 21, v2
                                        ; implicit-def: $vgpr3
	v_add_nc_u32_e32 v4, 0x38000000, v2
.LBB6_25939:                            ;   in Loop: Header=BB6_22365 Depth=3
	s_and_not1_saveexec_b32 s75, s13
; %bb.25940:                            ;   in Loop: Header=BB6_22365 Depth=3
	v_cmp_lt_i16_e64 s13, -1, v67
	v_mov_b32_e32 v2, 0x7f800000
	v_cmp_eq_u32_e32 vcc_lo, 0, v3
	s_delay_alu instid0(VALU_DEP_2) | instskip(NEXT) | instid1(VALU_DEP_1)
	v_cndmask_b32_e64 v2, 0xff800000, v2, s13
	v_cndmask_b32_e32 v4, 0x7f800001, v2, vcc_lo
; %bb.25941:                            ;   in Loop: Header=BB6_22365 Depth=3
	s_or_b32 exec_lo, exec_lo, s75
.LBB6_25942:                            ;   in Loop: Header=BB6_22365 Depth=3
	s_delay_alu instid0(SALU_CYCLE_1)
	s_or_b32 exec_lo, exec_lo, s74
.LBB6_25943:                            ;   in Loop: Header=BB6_22365 Depth=3
	s_delay_alu instid0(SALU_CYCLE_1) | instskip(SKIP_2) | instid1(VALU_DEP_1)
	s_or_b32 exec_lo, exec_lo, s73
	v_lshrrev_b16 v2, 8, v14
	s_mov_b32 s73, exec_lo
	v_cmpx_ne_u16_e32 0, v2
	s_cbranch_execz .LBB6_25953
; %bb.25944:                            ;   in Loop: Header=BB6_22365 Depth=3
	v_bfrev_b32_e32 v1, 1
	s_mov_b32 s74, exec_lo
	v_cmpx_ne_u16_e32 0x80, v2
	s_cbranch_execz .LBB6_25952
; %bb.25945:                            ;   in Loop: Header=BB6_22365 Depth=3
	v_and_b32_e32 v5, 0xffff, v2
	s_delay_alu instid0(VALU_DEP_1) | instskip(SKIP_1) | instid1(VALU_DEP_2)
	v_and_b32_e32 v1, 0x7c, v5
	v_and_b32_e32 v3, 3, v5
	v_cmp_ne_u32_e32 vcc_lo, 0x7c, v1
                                        ; implicit-def: $vgpr1
	s_and_saveexec_b32 s13, vcc_lo
	s_delay_alu instid0(SALU_CYCLE_1)
	s_xor_b32 s13, exec_lo, s13
	s_cbranch_execz .LBB6_25949
; %bb.25946:                            ;   in Loop: Header=BB6_22365 Depth=3
	v_bfe_u32 v1, v5, 2, 5
	s_mov_b32 s75, exec_lo
	s_delay_alu instid0(VALU_DEP_1)
	v_cmpx_eq_u32_e32 0, v1
	s_cbranch_execz .LBB6_25948
; %bb.25947:                            ;   in Loop: Header=BB6_22365 Depth=3
	v_clz_i32_u32_e32 v1, v3
	s_delay_alu instid0(VALU_DEP_1) | instskip(SKIP_1) | instid1(VALU_DEP_2)
	v_min_u32_e32 v1, 32, v1
	v_mov_b32_e32 v3, v113
	v_subrev_nc_u32_e32 v5, 29, v1
	v_sub_nc_u32_e32 v1, 30, v1
	s_delay_alu instid0(VALU_DEP_2) | instskip(NEXT) | instid1(VALU_DEP_1)
	v_lshlrev_b64_e32 v[2:3], v5, v[2:3]
	v_and_b32_e32 v3, 3, v2
.LBB6_25948:                            ;   in Loop: Header=BB6_22365 Depth=3
	s_or_b32 exec_lo, exec_lo, s75
	v_lshlrev_b32_e32 v2, 16, v14
	s_delay_alu instid0(VALU_DEP_1) | instskip(NEXT) | instid1(VALU_DEP_1)
	v_and_b32_e32 v2, 0x80000000, v2
	v_lshl_add_u32 v1, v1, 23, v2
	s_delay_alu instid0(VALU_DEP_1) | instskip(NEXT) | instid1(VALU_DEP_1)
	v_lshl_or_b32 v1, v3, 21, v1
                                        ; implicit-def: $vgpr3
	v_add_nc_u32_e32 v1, 0x38000000, v1
.LBB6_25949:                            ;   in Loop: Header=BB6_22365 Depth=3
	s_and_not1_saveexec_b32 s75, s13
; %bb.25950:                            ;   in Loop: Header=BB6_22365 Depth=3
	v_cmp_lt_i16_e64 s13, -1, v14
	v_mov_b32_e32 v1, 0x7f800000
	v_cmp_eq_u32_e32 vcc_lo, 0, v3
	s_delay_alu instid0(VALU_DEP_2) | instskip(NEXT) | instid1(VALU_DEP_1)
	v_cndmask_b32_e64 v1, 0xff800000, v1, s13
	v_cndmask_b32_e32 v1, 0x7f800001, v1, vcc_lo
; %bb.25951:                            ;   in Loop: Header=BB6_22365 Depth=3
	s_or_b32 exec_lo, exec_lo, s75
.LBB6_25952:                            ;   in Loop: Header=BB6_22365 Depth=3
	s_delay_alu instid0(SALU_CYCLE_1)
	s_or_b32 exec_lo, exec_lo, s74
.LBB6_25953:                            ;   in Loop: Header=BB6_22365 Depth=3
	s_delay_alu instid0(SALU_CYCLE_1) | instskip(NEXT) | instid1(VALU_DEP_1)
	s_or_b32 exec_lo, exec_lo, s73
	v_dual_add_f32 v4, v4, v1 :: v_dual_mov_b32 v47, v113
	v_mov_b32_e32 v3, v113
                                        ; implicit-def: $vgpr52
	s_mov_b32 s13, exec_lo
	s_delay_alu instid0(VALU_DEP_2) | instskip(SKIP_2) | instid1(VALU_DEP_3)
	v_and_b32_e32 v46, 0x7f800000, v4
	v_and_b32_e32 v2, 0x7fffff, v4
	v_lshrrev_b32_e32 v1, 24, v4
	v_cmpx_ne_u64_e32 0x7f800000, v[46:47]
	s_xor_b32 s73, exec_lo, s13
	s_cbranch_execz .LBB6_25967
; %bb.25954:                            ;   in Loop: Header=BB6_22365 Depth=3
	v_and_b32_e32 v46, 0x7fffffff, v4
	v_mov_b32_e32 v47, v113
	v_and_b32_e32 v1, 0x80, v1
                                        ; implicit-def: $vgpr52
	s_mov_b32 s13, exec_lo
	s_delay_alu instid0(VALU_DEP_2)
	v_cmpx_gt_u64_e32 0x47600001, v[46:47]
	s_xor_b32 s74, exec_lo, s13
	s_cbranch_execz .LBB6_25964
; %bb.25955:                            ;   in Loop: Header=BB6_22365 Depth=3
	v_mov_b32_e32 v52, 0
	s_mov_b32 s75, exec_lo
	v_cmpx_ne_u32_e32 0, v4
	s_cbranch_execz .LBB6_25963
; %bb.25956:                            ;   in Loop: Header=BB6_22365 Depth=3
	v_bfe_u32 v52, v4, 23, 8
	v_or_b32_e32 v5, 0x800000, v2
	s_delay_alu instid0(VALU_DEP_2) | instskip(SKIP_2) | instid1(VALU_DEP_2)
	v_cmp_gt_u32_e64 s13, 0x72, v52
	v_sub_nc_u32_e32 v4, 0x71, v52
	v_cmp_eq_u32_e32 vcc_lo, 0, v52
	v_dual_cndmask_b32 v4, 0, v4, s13 :: v_dual_cndmask_b32 v2, v5, v2, vcc_lo
	s_delay_alu instid0(VALU_DEP_1) | instskip(NEXT) | instid1(VALU_DEP_1)
	v_cndmask_b32_e64 v67, v4, 0x70, vcc_lo
	v_dual_add_nc_u32 v4, 21, v67 :: v_dual_add_nc_u32 v71, 20, v67
	s_delay_alu instid0(VALU_DEP_1) | instskip(NEXT) | instid1(VALU_DEP_2)
	v_lshlrev_b64_e64 v[4:5], v4, -1
	v_lshlrev_b64_e64 v[46:47], v71, 1
	s_delay_alu instid0(VALU_DEP_2) | instskip(SKIP_1) | instid1(VALU_DEP_4)
	v_bfi_b32 v4, v4, 0, v2
	v_lshrrev_b64 v[2:3], v67, v[2:3]
	v_bfi_b32 v5, v5, 0, 0
	s_delay_alu instid0(VALU_DEP_1) | instskip(NEXT) | instid1(VALU_DEP_3)
	v_cmp_eq_u64_e64 s13, v[4:5], v[46:47]
	v_mov_b64_e32 v[4:5], v[2:3]
	s_and_saveexec_b32 s76, s13
; %bb.25957:                            ;   in Loop: Header=BB6_22365 Depth=3
	v_bfe_u32 v4, v2, 21, 1
	v_mov_b32_e32 v5, v113
	s_delay_alu instid0(VALU_DEP_1) | instskip(NEXT) | instid1(VALU_DEP_1)
	v_add_nc_u64_e32 v[4:5], v[2:3], v[4:5]
	v_add_nc_u64_e32 v[4:5], -1, v[4:5]
; %bb.25958:                            ;   in Loop: Header=BB6_22365 Depth=3
	s_or_b32 exec_lo, exec_lo, s76
	v_add_nc_u32_e32 v3, 0xffffff81, v52
	v_lshrrev_b32_e32 v5, 23, v2
	s_mov_b32 s13, exec_lo
	s_delay_alu instid0(VALU_DEP_2) | instskip(NEXT) | instid1(VALU_DEP_1)
	v_cndmask_b32_e64 v3, v3, 0xffffff82, vcc_lo
	v_add3_u32 v52, v67, v3, v5
	v_and_b32_e32 v3, 0x1fffff, v4
                                        ; implicit-def: $vgpr4
	s_delay_alu instid0(VALU_DEP_1) | instskip(SKIP_1) | instid1(VALU_DEP_2)
	v_dual_add_nc_u32 v5, 14, v52 :: v_dual_add_nc_u32 v2, v3, v2
	v_mov_b32_e32 v3, v113
	v_cmpx_ne_u32_e32 0, v5
	s_xor_b32 s13, exec_lo, s13
; %bb.25959:                            ;   in Loop: Header=BB6_22365 Depth=3
	s_delay_alu instid0(VALU_DEP_2) | instskip(SKIP_1) | instid1(VALU_DEP_1)
	v_cmp_lt_u64_e32 vcc_lo, 0xffffff, v[2:3]
	v_add_nc_u32_e32 v4, 15, v52
	v_cndmask_b32_e32 v4, v5, v4, vcc_lo
	v_cndmask_b32_e64 v5, 0, 1, vcc_lo
	s_delay_alu instid0(VALU_DEP_1)
	v_lshrrev_b64 v[2:3], v5, v[2:3]
; %bb.25960:                            ;   in Loop: Header=BB6_22365 Depth=3
	s_and_not1_saveexec_b32 s13, s13
; %bb.25961:                            ;   in Loop: Header=BB6_22365 Depth=3
	s_delay_alu instid0(VALU_DEP_1)
	v_bfe_u32 v4, v2, 23, 1
; %bb.25962:                            ;   in Loop: Header=BB6_22365 Depth=3
	s_or_b32 exec_lo, exec_lo, s13
	s_delay_alu instid0(VALU_DEP_2) | instskip(NEXT) | instid1(VALU_DEP_2)
	v_lshrrev_b64 v[2:3], 21, v[2:3]
	v_cmp_gt_i32_e32 vcc_lo, 32, v4
	v_min_i32_e32 v5, 31, v4
	v_cmp_eq_u32_e64 s13, 0, v4
	s_delay_alu instid0(VALU_DEP_2) | instskip(SKIP_1) | instid1(VALU_DEP_2)
	v_dual_cndmask_b32 v3, 0, v3, vcc_lo :: v_dual_lshlrev_b32 v5, 2, v5
	v_cndmask_b32_e32 v2, 3, v2, vcc_lo
	v_and_b32_e32 v5, 0xfc, v5
	s_delay_alu instid0(VALU_DEP_2) | instskip(NEXT) | instid1(VALU_DEP_2)
	v_cmp_eq_u64_e32 vcc_lo, 0, v[2:3]
	v_and_or_b32 v2, v2, 3, v5
	s_and_b32 s13, s13, vcc_lo
	s_delay_alu instid0(VALU_DEP_1) | instid1(SALU_CYCLE_1)
	v_cndmask_b32_e64 v2, v2, 0, s13
	s_delay_alu instid0(VALU_DEP_1)
	v_or_b32_e32 v52, v2, v1
.LBB6_25963:                            ;   in Loop: Header=BB6_22365 Depth=3
	s_or_b32 exec_lo, exec_lo, s75
                                        ; implicit-def: $vgpr1
.LBB6_25964:                            ;   in Loop: Header=BB6_22365 Depth=3
	s_and_not1_saveexec_b32 s13, s74
; %bb.25965:                            ;   in Loop: Header=BB6_22365 Depth=3
	v_or_b32_e32 v52, 0x7b, v1
; %bb.25966:                            ;   in Loop: Header=BB6_22365 Depth=3
	s_or_b32 exec_lo, exec_lo, s13
                                        ; implicit-def: $vgpr4
                                        ; implicit-def: $vgpr2_vgpr3
                                        ; implicit-def: $vgpr1
.LBB6_25967:                            ;   in Loop: Header=BB6_22365 Depth=3
	s_and_not1_saveexec_b32 s13, s73
	s_cbranch_execz .LBB6_25973
; %bb.25968:                            ;   in Loop: Header=BB6_22365 Depth=3
	s_mov_b32 s73, exec_lo
                                        ; implicit-def: $vgpr52
	v_cmpx_ne_u64_e32 0, v[2:3]
	s_xor_b32 s73, exec_lo, s73
; %bb.25969:                            ;   in Loop: Header=BB6_22365 Depth=3
	v_or_b32_e32 v52, 0x7f, v1
                                        ; implicit-def: $vgpr4
; %bb.25970:                            ;   in Loop: Header=BB6_22365 Depth=3
	s_and_not1_saveexec_b32 s73, s73
; %bb.25971:                            ;   in Loop: Header=BB6_22365 Depth=3
	v_cmp_lt_i32_e32 vcc_lo, -1, v4
	v_mov_b32_e32 v1, 0x7c
	s_delay_alu instid0(VALU_DEP_1)
	v_cndmask_b32_e32 v52, 0xfc, v1, vcc_lo
; %bb.25972:                            ;   in Loop: Header=BB6_22365 Depth=3
	s_or_b32 exec_lo, exec_lo, s73
.LBB6_25973:                            ;   in Loop: Header=BB6_22365 Depth=3
	s_delay_alu instid0(SALU_CYCLE_1) | instskip(SKIP_3) | instid1(VALU_DEP_2)
	s_or_b32 exec_lo, exec_lo, s13
	v_dual_mov_b32 v1, 0 :: v_dual_lshrrev_b32 v2, 16, v0
	v_mov_b32_e32 v3, 0
	s_mov_b32 s73, exec_lo
	v_and_b32_e32 v4, 0xff, v2
	s_delay_alu instid0(VALU_DEP_1)
	v_cmpx_ne_u16_e32 0, v4
	s_cbranch_execz .LBB6_25983
; %bb.25974:                            ;   in Loop: Header=BB6_22365 Depth=3
	v_bfrev_b32_e32 v3, 1
	s_mov_b32 s74, exec_lo
	v_cmpx_ne_u16_e32 0x80, v4
	s_cbranch_execz .LBB6_25982
; %bb.25975:                            ;   in Loop: Header=BB6_22365 Depth=3
	v_and_b32_e32 v3, 0x7c0000, v0
	v_bfe_u32 v4, v0, 16, 2
	s_delay_alu instid0(VALU_DEP_2) | instskip(SKIP_1) | instid1(SALU_CYCLE_1)
	v_cmp_ne_u32_e32 vcc_lo, 0x7c0000, v3
                                        ; implicit-def: $vgpr3
	s_and_saveexec_b32 s13, vcc_lo
	s_xor_b32 s13, exec_lo, s13
	s_cbranch_execz .LBB6_25979
; %bb.25976:                            ;   in Loop: Header=BB6_22365 Depth=3
	v_bfe_u32 v3, v0, 18, 5
	s_mov_b32 s75, exec_lo
	s_delay_alu instid0(VALU_DEP_1)
	v_cmpx_eq_u32_e32 0, v3
; %bb.25977:                            ;   in Loop: Header=BB6_22365 Depth=3
	v_clz_i32_u32_e32 v3, v4
	s_delay_alu instid0(VALU_DEP_1) | instskip(NEXT) | instid1(VALU_DEP_1)
	v_min_u32_e32 v3, 32, v3
	v_subrev_nc_u32_e32 v4, 29, v3
	s_delay_alu instid0(VALU_DEP_1) | instskip(NEXT) | instid1(VALU_DEP_1)
	v_lshlrev_b64_e32 v[4:5], v4, v[2:3]
	v_dual_sub_nc_u32 v3, 30, v3 :: v_dual_bitop2_b32 v4, 3, v4 bitop3:0x40
; %bb.25978:                            ;   in Loop: Header=BB6_22365 Depth=3
	s_or_b32 exec_lo, exec_lo, s75
	v_lshlrev_b32_e32 v2, 24, v2
	s_delay_alu instid0(VALU_DEP_1) | instskip(NEXT) | instid1(VALU_DEP_1)
	v_and_b32_e32 v2, 0x80000000, v2
	v_lshl_add_u32 v2, v3, 23, v2
	s_delay_alu instid0(VALU_DEP_1) | instskip(NEXT) | instid1(VALU_DEP_1)
	v_lshl_or_b32 v2, v4, 21, v2
                                        ; implicit-def: $vgpr4
	v_add_nc_u32_e32 v3, 0x38000000, v2
                                        ; implicit-def: $vgpr2
.LBB6_25979:                            ;   in Loop: Header=BB6_22365 Depth=3
	s_and_not1_saveexec_b32 s75, s13
; %bb.25980:                            ;   in Loop: Header=BB6_22365 Depth=3
	v_bfe_i32 v2, v2, 0, 8
	v_cmp_eq_u32_e32 vcc_lo, 0, v4
	s_delay_alu instid0(VALU_DEP_2) | instskip(SKIP_1) | instid1(VALU_DEP_1)
	v_cmp_lt_i16_e64 s13, -1, v2
	v_mov_b32_e32 v2, 0x7f800000
	v_cndmask_b32_e64 v2, 0xff800000, v2, s13
	s_delay_alu instid0(VALU_DEP_1)
	v_cndmask_b32_e32 v3, 0x7f800001, v2, vcc_lo
; %bb.25981:                            ;   in Loop: Header=BB6_22365 Depth=3
	s_or_b32 exec_lo, exec_lo, s75
.LBB6_25982:                            ;   in Loop: Header=BB6_22365 Depth=3
	s_delay_alu instid0(SALU_CYCLE_1)
	s_or_b32 exec_lo, exec_lo, s74
.LBB6_25983:                            ;   in Loop: Header=BB6_22365 Depth=3
	s_delay_alu instid0(SALU_CYCLE_1) | instskip(SKIP_2) | instid1(VALU_DEP_1)
	s_or_b32 exec_lo, exec_lo, s73
	v_lshrrev_b32_e32 v2, 16, v14
	s_mov_b32 s73, exec_lo
	v_and_b32_e32 v4, 0xff, v2
	s_delay_alu instid0(VALU_DEP_1)
	v_cmpx_ne_u16_e32 0, v4
	s_cbranch_execz .LBB6_25993
; %bb.25984:                            ;   in Loop: Header=BB6_22365 Depth=3
	v_bfrev_b32_e32 v1, 1
	s_mov_b32 s74, exec_lo
	v_cmpx_ne_u16_e32 0x80, v4
	s_cbranch_execz .LBB6_25992
; %bb.25985:                            ;   in Loop: Header=BB6_22365 Depth=3
	v_and_b32_e32 v1, 0x7c0000, v14
	v_bfe_u32 v4, v14, 16, 2
	s_delay_alu instid0(VALU_DEP_2) | instskip(SKIP_1) | instid1(SALU_CYCLE_1)
	v_cmp_ne_u32_e32 vcc_lo, 0x7c0000, v1
                                        ; implicit-def: $vgpr1
	s_and_saveexec_b32 s13, vcc_lo
	s_xor_b32 s13, exec_lo, s13
	s_cbranch_execz .LBB6_25989
; %bb.25986:                            ;   in Loop: Header=BB6_22365 Depth=3
	v_bfe_u32 v1, v14, 18, 5
	s_mov_b32 s75, exec_lo
	s_delay_alu instid0(VALU_DEP_1)
	v_cmpx_eq_u32_e32 0, v1
; %bb.25987:                            ;   in Loop: Header=BB6_22365 Depth=3
	v_clz_i32_u32_e32 v1, v4
	s_delay_alu instid0(VALU_DEP_1) | instskip(NEXT) | instid1(VALU_DEP_1)
	v_min_u32_e32 v1, 32, v1
	v_subrev_nc_u32_e32 v4, 29, v1
	s_delay_alu instid0(VALU_DEP_1) | instskip(NEXT) | instid1(VALU_DEP_1)
	v_lshlrev_b64_e32 v[4:5], v4, v[2:3]
	v_dual_sub_nc_u32 v1, 30, v1 :: v_dual_bitop2_b32 v4, 3, v4 bitop3:0x40
; %bb.25988:                            ;   in Loop: Header=BB6_22365 Depth=3
	s_or_b32 exec_lo, exec_lo, s75
	v_lshlrev_b32_e32 v2, 24, v2
	s_delay_alu instid0(VALU_DEP_1) | instskip(NEXT) | instid1(VALU_DEP_1)
	v_and_b32_e32 v2, 0x80000000, v2
	v_lshl_add_u32 v1, v1, 23, v2
                                        ; implicit-def: $vgpr2
	s_delay_alu instid0(VALU_DEP_1) | instskip(NEXT) | instid1(VALU_DEP_1)
	v_lshl_or_b32 v1, v4, 21, v1
                                        ; implicit-def: $vgpr4
	v_add_nc_u32_e32 v1, 0x38000000, v1
.LBB6_25989:                            ;   in Loop: Header=BB6_22365 Depth=3
	s_and_not1_saveexec_b32 s75, s13
; %bb.25990:                            ;   in Loop: Header=BB6_22365 Depth=3
	v_bfe_i32 v1, v2, 0, 8
	v_cmp_eq_u32_e32 vcc_lo, 0, v4
	s_delay_alu instid0(VALU_DEP_2) | instskip(SKIP_1) | instid1(VALU_DEP_1)
	v_cmp_lt_i16_e64 s13, -1, v1
	v_mov_b32_e32 v1, 0x7f800000
	v_cndmask_b32_e64 v1, 0xff800000, v1, s13
	s_delay_alu instid0(VALU_DEP_1)
	v_cndmask_b32_e32 v1, 0x7f800001, v1, vcc_lo
; %bb.25991:                            ;   in Loop: Header=BB6_22365 Depth=3
	s_or_b32 exec_lo, exec_lo, s75
.LBB6_25992:                            ;   in Loop: Header=BB6_22365 Depth=3
	s_delay_alu instid0(SALU_CYCLE_1)
	s_or_b32 exec_lo, exec_lo, s74
.LBB6_25993:                            ;   in Loop: Header=BB6_22365 Depth=3
	s_delay_alu instid0(SALU_CYCLE_1) | instskip(NEXT) | instid1(VALU_DEP_1)
	s_or_b32 exec_lo, exec_lo, s73
	v_dual_add_f32 v4, v3, v1 :: v_dual_mov_b32 v47, v113
	v_mov_b32_e32 v3, v113
                                        ; implicit-def: $vgpr67
	s_mov_b32 s13, exec_lo
	s_delay_alu instid0(VALU_DEP_2) | instskip(SKIP_2) | instid1(VALU_DEP_3)
	v_and_b32_e32 v46, 0x7f800000, v4
	v_and_b32_e32 v2, 0x7fffff, v4
	v_lshrrev_b32_e32 v1, 24, v4
	v_cmpx_ne_u64_e32 0x7f800000, v[46:47]
	s_xor_b32 s73, exec_lo, s13
	s_cbranch_execz .LBB6_26007
; %bb.25994:                            ;   in Loop: Header=BB6_22365 Depth=3
	v_and_b32_e32 v46, 0x7fffffff, v4
	v_mov_b32_e32 v47, v113
	v_and_b32_e32 v1, 0x80, v1
                                        ; implicit-def: $vgpr67
	s_mov_b32 s13, exec_lo
	s_delay_alu instid0(VALU_DEP_2)
	v_cmpx_gt_u64_e32 0x47600001, v[46:47]
	s_xor_b32 s74, exec_lo, s13
	s_cbranch_execz .LBB6_26004
; %bb.25995:                            ;   in Loop: Header=BB6_22365 Depth=3
	v_mov_b32_e32 v67, 0
	s_mov_b32 s75, exec_lo
	v_cmpx_ne_u32_e32 0, v4
	s_cbranch_execz .LBB6_26003
; %bb.25996:                            ;   in Loop: Header=BB6_22365 Depth=3
	v_bfe_u32 v67, v4, 23, 8
	v_or_b32_e32 v5, 0x800000, v2
	s_delay_alu instid0(VALU_DEP_2) | instskip(SKIP_2) | instid1(VALU_DEP_2)
	v_cmp_gt_u32_e64 s13, 0x72, v67
	v_sub_nc_u32_e32 v4, 0x71, v67
	v_cmp_eq_u32_e32 vcc_lo, 0, v67
	v_dual_cndmask_b32 v4, 0, v4, s13 :: v_dual_cndmask_b32 v2, v5, v2, vcc_lo
	s_delay_alu instid0(VALU_DEP_1) | instskip(NEXT) | instid1(VALU_DEP_1)
	v_cndmask_b32_e64 v71, v4, 0x70, vcc_lo
	v_dual_add_nc_u32 v4, 21, v71 :: v_dual_add_nc_u32 v81, 20, v71
	s_delay_alu instid0(VALU_DEP_1) | instskip(NEXT) | instid1(VALU_DEP_2)
	v_lshlrev_b64_e64 v[4:5], v4, -1
	v_lshlrev_b64_e64 v[46:47], v81, 1
	s_delay_alu instid0(VALU_DEP_2) | instskip(SKIP_1) | instid1(VALU_DEP_4)
	v_bfi_b32 v4, v4, 0, v2
	v_lshrrev_b64 v[2:3], v71, v[2:3]
	v_bfi_b32 v5, v5, 0, 0
	s_delay_alu instid0(VALU_DEP_1) | instskip(NEXT) | instid1(VALU_DEP_3)
	v_cmp_eq_u64_e64 s13, v[4:5], v[46:47]
	v_mov_b64_e32 v[4:5], v[2:3]
	s_and_saveexec_b32 s76, s13
; %bb.25997:                            ;   in Loop: Header=BB6_22365 Depth=3
	v_bfe_u32 v4, v2, 21, 1
	v_mov_b32_e32 v5, v113
	s_delay_alu instid0(VALU_DEP_1) | instskip(NEXT) | instid1(VALU_DEP_1)
	v_add_nc_u64_e32 v[4:5], v[2:3], v[4:5]
	v_add_nc_u64_e32 v[4:5], -1, v[4:5]
; %bb.25998:                            ;   in Loop: Header=BB6_22365 Depth=3
	s_or_b32 exec_lo, exec_lo, s76
	v_add_nc_u32_e32 v3, 0xffffff81, v67
	v_lshrrev_b32_e32 v5, 23, v2
	s_mov_b32 s13, exec_lo
	s_delay_alu instid0(VALU_DEP_2) | instskip(NEXT) | instid1(VALU_DEP_1)
	v_cndmask_b32_e64 v3, v3, 0xffffff82, vcc_lo
	v_add3_u32 v67, v71, v3, v5
	v_and_b32_e32 v3, 0x1fffff, v4
                                        ; implicit-def: $vgpr4
	s_delay_alu instid0(VALU_DEP_1) | instskip(SKIP_1) | instid1(VALU_DEP_2)
	v_dual_add_nc_u32 v5, 14, v67 :: v_dual_add_nc_u32 v2, v3, v2
	v_mov_b32_e32 v3, v113
	v_cmpx_ne_u32_e32 0, v5
	s_xor_b32 s13, exec_lo, s13
; %bb.25999:                            ;   in Loop: Header=BB6_22365 Depth=3
	s_delay_alu instid0(VALU_DEP_2) | instskip(SKIP_1) | instid1(VALU_DEP_1)
	v_cmp_lt_u64_e32 vcc_lo, 0xffffff, v[2:3]
	v_add_nc_u32_e32 v4, 15, v67
	v_cndmask_b32_e32 v4, v5, v4, vcc_lo
	v_cndmask_b32_e64 v5, 0, 1, vcc_lo
	s_delay_alu instid0(VALU_DEP_1)
	v_lshrrev_b64 v[2:3], v5, v[2:3]
; %bb.26000:                            ;   in Loop: Header=BB6_22365 Depth=3
	s_and_not1_saveexec_b32 s13, s13
; %bb.26001:                            ;   in Loop: Header=BB6_22365 Depth=3
	s_delay_alu instid0(VALU_DEP_1)
	v_bfe_u32 v4, v2, 23, 1
; %bb.26002:                            ;   in Loop: Header=BB6_22365 Depth=3
	s_or_b32 exec_lo, exec_lo, s13
	s_delay_alu instid0(VALU_DEP_2) | instskip(NEXT) | instid1(VALU_DEP_2)
	v_lshrrev_b64 v[2:3], 21, v[2:3]
	v_cmp_gt_i32_e32 vcc_lo, 32, v4
	v_min_i32_e32 v5, 31, v4
	v_cmp_eq_u32_e64 s13, 0, v4
	s_delay_alu instid0(VALU_DEP_2) | instskip(SKIP_1) | instid1(VALU_DEP_2)
	v_dual_cndmask_b32 v3, 0, v3, vcc_lo :: v_dual_lshlrev_b32 v5, 2, v5
	v_cndmask_b32_e32 v2, 3, v2, vcc_lo
	v_and_b32_e32 v5, 0xfc, v5
	s_delay_alu instid0(VALU_DEP_2) | instskip(NEXT) | instid1(VALU_DEP_2)
	v_cmp_eq_u64_e32 vcc_lo, 0, v[2:3]
	v_and_or_b32 v2, v2, 3, v5
	s_and_b32 s13, s13, vcc_lo
	s_delay_alu instid0(VALU_DEP_1) | instid1(SALU_CYCLE_1)
	v_cndmask_b32_e64 v2, v2, 0, s13
	s_delay_alu instid0(VALU_DEP_1)
	v_or_b32_e32 v67, v2, v1
.LBB6_26003:                            ;   in Loop: Header=BB6_22365 Depth=3
	s_or_b32 exec_lo, exec_lo, s75
                                        ; implicit-def: $vgpr1
.LBB6_26004:                            ;   in Loop: Header=BB6_22365 Depth=3
	s_and_not1_saveexec_b32 s13, s74
; %bb.26005:                            ;   in Loop: Header=BB6_22365 Depth=3
	v_or_b32_e32 v67, 0x7b, v1
; %bb.26006:                            ;   in Loop: Header=BB6_22365 Depth=3
	s_or_b32 exec_lo, exec_lo, s13
                                        ; implicit-def: $vgpr4
                                        ; implicit-def: $vgpr2_vgpr3
                                        ; implicit-def: $vgpr1
.LBB6_26007:                            ;   in Loop: Header=BB6_22365 Depth=3
	s_and_not1_saveexec_b32 s13, s73
	s_cbranch_execz .LBB6_26013
; %bb.26008:                            ;   in Loop: Header=BB6_22365 Depth=3
	s_mov_b32 s73, exec_lo
                                        ; implicit-def: $vgpr67
	v_cmpx_ne_u64_e32 0, v[2:3]
	s_xor_b32 s73, exec_lo, s73
; %bb.26009:                            ;   in Loop: Header=BB6_22365 Depth=3
	v_or_b32_e32 v67, 0x7f, v1
                                        ; implicit-def: $vgpr4
; %bb.26010:                            ;   in Loop: Header=BB6_22365 Depth=3
	s_and_not1_saveexec_b32 s73, s73
; %bb.26011:                            ;   in Loop: Header=BB6_22365 Depth=3
	v_cmp_lt_i32_e32 vcc_lo, -1, v4
	v_mov_b32_e32 v1, 0x7c
	s_delay_alu instid0(VALU_DEP_1)
	v_cndmask_b32_e32 v67, 0xfc, v1, vcc_lo
; %bb.26012:                            ;   in Loop: Header=BB6_22365 Depth=3
	s_or_b32 exec_lo, exec_lo, s73
.LBB6_26013:                            ;   in Loop: Header=BB6_22365 Depth=3
	s_delay_alu instid0(SALU_CYCLE_1)
	s_or_b32 exec_lo, exec_lo, s13
	v_dual_mov_b32 v3, 0 :: v_dual_mov_b32 v4, 0
	s_mov_b32 s73, exec_lo
	v_cmpx_lt_u32_e32 0xffffff, v0
	s_cbranch_execz .LBB6_26023
; %bb.26014:                            ;   in Loop: Header=BB6_22365 Depth=3
	v_lshrrev_b32_e32 v2, 24, v0
	v_bfrev_b32_e32 v4, 1
	s_mov_b32 s74, exec_lo
	s_delay_alu instid0(VALU_DEP_2)
	v_cmpx_ne_u32_e32 0x80, v2
	s_cbranch_execz .LBB6_26022
; %bb.26015:                            ;   in Loop: Header=BB6_22365 Depth=3
	v_and_b32_e32 v1, 0x7c000000, v0
	v_bfe_u32 v5, v0, 24, 2
	s_mov_b32 s13, exec_lo
                                        ; implicit-def: $vgpr4
	s_delay_alu instid0(VALU_DEP_2)
	v_cmpx_ne_u32_e32 0x7c000000, v1
	s_xor_b32 s13, exec_lo, s13
	s_cbranch_execz .LBB6_26019
; %bb.26016:                            ;   in Loop: Header=BB6_22365 Depth=3
	v_bfe_u32 v1, v0, 26, 5
	s_mov_b32 s75, exec_lo
	s_delay_alu instid0(VALU_DEP_1)
	v_cmpx_eq_u32_e32 0, v1
; %bb.26017:                            ;   in Loop: Header=BB6_22365 Depth=3
	v_clz_i32_u32_e32 v1, v5
	s_delay_alu instid0(VALU_DEP_1) | instskip(NEXT) | instid1(VALU_DEP_1)
	v_min_u32_e32 v1, 32, v1
	v_subrev_nc_u32_e32 v4, 29, v1
	s_delay_alu instid0(VALU_DEP_1) | instskip(NEXT) | instid1(VALU_DEP_1)
	v_lshlrev_b64_e32 v[4:5], v4, v[2:3]
	v_dual_sub_nc_u32 v1, 30, v1 :: v_dual_bitop2_b32 v5, 3, v4 bitop3:0x40
; %bb.26018:                            ;   in Loop: Header=BB6_22365 Depth=3
	s_or_b32 exec_lo, exec_lo, s75
	v_and_b32_e32 v0, 0x80000000, v0
	s_delay_alu instid0(VALU_DEP_1) | instskip(NEXT) | instid1(VALU_DEP_1)
	v_lshl_add_u32 v0, v1, 23, v0
	v_lshl_or_b32 v0, v5, 21, v0
                                        ; implicit-def: $vgpr5
	s_delay_alu instid0(VALU_DEP_1)
	v_add_nc_u32_e32 v4, 0x38000000, v0
                                        ; implicit-def: $vgpr0_vgpr1
.LBB6_26019:                            ;   in Loop: Header=BB6_22365 Depth=3
	s_and_not1_saveexec_b32 s75, s13
; %bb.26020:                            ;   in Loop: Header=BB6_22365 Depth=3
	v_cmp_lt_i32_e64 s13, -1, v0
	v_mov_b32_e32 v0, 0x7f800000
	v_cmp_eq_u32_e32 vcc_lo, 0, v5
	s_delay_alu instid0(VALU_DEP_2) | instskip(NEXT) | instid1(VALU_DEP_1)
	v_cndmask_b32_e64 v0, 0xff800000, v0, s13
	v_cndmask_b32_e32 v4, 0x7f800001, v0, vcc_lo
; %bb.26021:                            ;   in Loop: Header=BB6_22365 Depth=3
	s_or_b32 exec_lo, exec_lo, s75
.LBB6_26022:                            ;   in Loop: Header=BB6_22365 Depth=3
	s_delay_alu instid0(SALU_CYCLE_1)
	s_or_b32 exec_lo, exec_lo, s74
.LBB6_26023:                            ;   in Loop: Header=BB6_22365 Depth=3
	s_delay_alu instid0(SALU_CYCLE_1) | instskip(NEXT) | instid1(SALU_CYCLE_1)
	s_or_b32 exec_lo, exec_lo, s73
	s_mov_b32 s73, exec_lo
	v_cmpx_lt_u32_e32 0xffffff, v14
	s_cbranch_execz .LBB6_26033
; %bb.26024:                            ;   in Loop: Header=BB6_22365 Depth=3
	v_lshrrev_b32_e32 v0, 24, v14
	v_bfrev_b32_e32 v3, 1
	s_mov_b32 s74, exec_lo
	s_delay_alu instid0(VALU_DEP_2)
	v_cmpx_ne_u32_e32 0x80, v0
	s_cbranch_execz .LBB6_26032
; %bb.26025:                            ;   in Loop: Header=BB6_22365 Depth=3
	v_and_b32_e32 v2, 0x7c000000, v14
	v_bfe_u32 v1, v14, 24, 2
	s_mov_b32 s13, exec_lo
                                        ; implicit-def: $vgpr3
	s_delay_alu instid0(VALU_DEP_2)
	v_cmpx_ne_u32_e32 0x7c000000, v2
	s_xor_b32 s13, exec_lo, s13
	s_cbranch_execz .LBB6_26029
; %bb.26026:                            ;   in Loop: Header=BB6_22365 Depth=3
	v_bfe_u32 v2, v14, 26, 5
	s_mov_b32 s75, exec_lo
	s_delay_alu instid0(VALU_DEP_1)
	v_cmpx_eq_u32_e32 0, v2
; %bb.26027:                            ;   in Loop: Header=BB6_22365 Depth=3
	v_clz_i32_u32_e32 v1, v1
	s_delay_alu instid0(VALU_DEP_1) | instskip(NEXT) | instid1(VALU_DEP_1)
	v_min_u32_e32 v2, 32, v1
	v_subrev_nc_u32_e32 v1, 29, v2
	s_delay_alu instid0(VALU_DEP_1) | instskip(NEXT) | instid1(VALU_DEP_1)
	v_lshlrev_b64_e32 v[0:1], v1, v[0:1]
	v_dual_sub_nc_u32 v2, 30, v2 :: v_dual_bitop2_b32 v1, 3, v0 bitop3:0x40
; %bb.26028:                            ;   in Loop: Header=BB6_22365 Depth=3
	s_or_b32 exec_lo, exec_lo, s75
	v_and_b32_e32 v0, 0x80000000, v14
	s_delay_alu instid0(VALU_DEP_1) | instskip(NEXT) | instid1(VALU_DEP_1)
	v_lshl_add_u32 v0, v2, 23, v0
	v_lshl_or_b32 v0, v1, 21, v0
                                        ; implicit-def: $vgpr1
	s_delay_alu instid0(VALU_DEP_1)
	v_add_nc_u32_e32 v3, 0x38000000, v0
.LBB6_26029:                            ;   in Loop: Header=BB6_22365 Depth=3
	s_and_not1_saveexec_b32 s75, s13
; %bb.26030:                            ;   in Loop: Header=BB6_22365 Depth=3
	v_cmp_lt_i32_e64 s13, -1, v14
	v_mov_b32_e32 v0, 0x7f800000
	v_cmp_eq_u32_e32 vcc_lo, 0, v1
	s_delay_alu instid0(VALU_DEP_2) | instskip(NEXT) | instid1(VALU_DEP_1)
	v_cndmask_b32_e64 v0, 0xff800000, v0, s13
	v_cndmask_b32_e32 v3, 0x7f800001, v0, vcc_lo
; %bb.26031:                            ;   in Loop: Header=BB6_22365 Depth=3
	s_or_b32 exec_lo, exec_lo, s75
.LBB6_26032:                            ;   in Loop: Header=BB6_22365 Depth=3
	s_delay_alu instid0(SALU_CYCLE_1)
	s_or_b32 exec_lo, exec_lo, s74
.LBB6_26033:                            ;   in Loop: Header=BB6_22365 Depth=3
	s_delay_alu instid0(SALU_CYCLE_1) | instskip(NEXT) | instid1(VALU_DEP_1)
	s_or_b32 exec_lo, exec_lo, s73
	v_dual_add_f32 v2, v4, v3 :: v_dual_mov_b32 v5, v113
	v_mov_b32_e32 v1, v113
                                        ; implicit-def: $vgpr71
	s_mov_b32 s13, exec_lo
	s_delay_alu instid0(VALU_DEP_2) | instskip(SKIP_2) | instid1(VALU_DEP_3)
	v_and_b32_e32 v4, 0x7f800000, v2
	v_and_b32_e32 v0, 0x7fffff, v2
	v_lshrrev_b32_e32 v3, 24, v2
	v_cmpx_ne_u64_e32 0x7f800000, v[4:5]
	s_xor_b32 s73, exec_lo, s13
	s_cbranch_execz .LBB6_26047
; %bb.26034:                            ;   in Loop: Header=BB6_22365 Depth=3
	v_and_b32_e32 v4, 0x7fffffff, v2
	v_mov_b32_e32 v5, v113
                                        ; implicit-def: $vgpr71
	s_delay_alu instid0(VALU_DEP_1) | instskip(SKIP_2) | instid1(SALU_CYCLE_1)
	v_cmp_gt_u64_e32 vcc_lo, 0x47600001, v[4:5]
	v_and_b32_e32 v4, 0x80, v3
	s_and_saveexec_b32 s13, vcc_lo
	s_xor_b32 s74, exec_lo, s13
	s_cbranch_execz .LBB6_26044
; %bb.26035:                            ;   in Loop: Header=BB6_22365 Depth=3
	v_mov_b32_e32 v71, 0
	s_mov_b32 s75, exec_lo
	v_cmpx_ne_u32_e32 0, v2
	s_cbranch_execz .LBB6_26043
; %bb.26036:                            ;   in Loop: Header=BB6_22365 Depth=3
	v_bfe_u32 v5, v2, 23, 8
	v_or_b32_e32 v3, 0x800000, v0
	s_delay_alu instid0(VALU_DEP_2) | instskip(SKIP_2) | instid1(VALU_DEP_2)
	v_cmp_gt_u32_e64 s13, 0x72, v5
	v_sub_nc_u32_e32 v2, 0x71, v5
	v_cmp_eq_u32_e32 vcc_lo, 0, v5
	v_dual_cndmask_b32 v2, 0, v2, s13 :: v_dual_cndmask_b32 v0, v3, v0, vcc_lo
	s_delay_alu instid0(VALU_DEP_1) | instskip(NEXT) | instid1(VALU_DEP_1)
	v_cndmask_b32_e64 v71, v2, 0x70, vcc_lo
	v_dual_add_nc_u32 v2, 21, v71 :: v_dual_add_nc_u32 v81, 20, v71
	s_delay_alu instid0(VALU_DEP_1) | instskip(NEXT) | instid1(VALU_DEP_2)
	v_lshlrev_b64_e64 v[2:3], v2, -1
	v_lshlrev_b64_e64 v[46:47], v81, 1
	s_delay_alu instid0(VALU_DEP_2) | instskip(SKIP_1) | instid1(VALU_DEP_4)
	v_bfi_b32 v2, v2, 0, v0
	v_lshrrev_b64 v[0:1], v71, v[0:1]
	v_bfi_b32 v3, v3, 0, 0
	s_delay_alu instid0(VALU_DEP_1) | instskip(NEXT) | instid1(VALU_DEP_3)
	v_cmp_eq_u64_e64 s13, v[2:3], v[46:47]
	v_mov_b64_e32 v[2:3], v[0:1]
	s_and_saveexec_b32 s76, s13
; %bb.26037:                            ;   in Loop: Header=BB6_22365 Depth=3
	v_bfe_u32 v2, v0, 21, 1
	v_mov_b32_e32 v3, v113
	s_delay_alu instid0(VALU_DEP_1) | instskip(NEXT) | instid1(VALU_DEP_1)
	v_add_nc_u64_e32 v[2:3], v[0:1], v[2:3]
	v_add_nc_u64_e32 v[2:3], -1, v[2:3]
; %bb.26038:                            ;   in Loop: Header=BB6_22365 Depth=3
	s_or_b32 exec_lo, exec_lo, s76
	v_add_nc_u32_e32 v1, 0xffffff81, v5
	v_lshrrev_b32_e32 v3, 23, v0
	s_mov_b32 s13, exec_lo
	s_delay_alu instid0(VALU_DEP_2) | instskip(NEXT) | instid1(VALU_DEP_1)
	v_cndmask_b32_e64 v1, v1, 0xffffff82, vcc_lo
	v_add3_u32 v5, v71, v1, v3
	v_and_b32_e32 v1, 0x1fffff, v2
                                        ; implicit-def: $vgpr2
	s_delay_alu instid0(VALU_DEP_1) | instskip(SKIP_1) | instid1(VALU_DEP_2)
	v_dual_add_nc_u32 v3, 14, v5 :: v_dual_add_nc_u32 v0, v1, v0
	v_mov_b32_e32 v1, v113
	v_cmpx_ne_u32_e32 0, v3
	s_xor_b32 s13, exec_lo, s13
; %bb.26039:                            ;   in Loop: Header=BB6_22365 Depth=3
	s_delay_alu instid0(VALU_DEP_2) | instskip(SKIP_1) | instid1(VALU_DEP_1)
	v_cmp_lt_u64_e32 vcc_lo, 0xffffff, v[0:1]
	v_add_nc_u32_e32 v2, 15, v5
	v_cndmask_b32_e32 v2, v3, v2, vcc_lo
	v_cndmask_b32_e64 v3, 0, 1, vcc_lo
	s_delay_alu instid0(VALU_DEP_1)
	v_lshrrev_b64 v[0:1], v3, v[0:1]
; %bb.26040:                            ;   in Loop: Header=BB6_22365 Depth=3
	s_and_not1_saveexec_b32 s13, s13
; %bb.26041:                            ;   in Loop: Header=BB6_22365 Depth=3
	s_delay_alu instid0(VALU_DEP_1)
	v_bfe_u32 v2, v0, 23, 1
; %bb.26042:                            ;   in Loop: Header=BB6_22365 Depth=3
	s_or_b32 exec_lo, exec_lo, s13
	s_delay_alu instid0(VALU_DEP_2) | instskip(NEXT) | instid1(VALU_DEP_2)
	v_lshrrev_b64 v[0:1], 21, v[0:1]
	v_cmp_gt_i32_e32 vcc_lo, 32, v2
	v_min_i32_e32 v3, 31, v2
	v_cmp_eq_u32_e64 s13, 0, v2
	s_delay_alu instid0(VALU_DEP_2) | instskip(SKIP_1) | instid1(VALU_DEP_2)
	v_dual_cndmask_b32 v1, 0, v1, vcc_lo :: v_dual_lshlrev_b32 v3, 2, v3
	v_cndmask_b32_e32 v0, 3, v0, vcc_lo
	v_and_b32_e32 v3, 0xfc, v3
	s_delay_alu instid0(VALU_DEP_2) | instskip(NEXT) | instid1(VALU_DEP_2)
	v_cmp_eq_u64_e32 vcc_lo, 0, v[0:1]
	v_and_or_b32 v0, v0, 3, v3
	s_and_b32 s13, s13, vcc_lo
	s_delay_alu instid0(VALU_DEP_1) | instid1(SALU_CYCLE_1)
	v_cndmask_b32_e64 v0, v0, 0, s13
	s_delay_alu instid0(VALU_DEP_1)
	v_or_b32_e32 v71, v0, v4
.LBB6_26043:                            ;   in Loop: Header=BB6_22365 Depth=3
	s_or_b32 exec_lo, exec_lo, s75
                                        ; implicit-def: $vgpr4
.LBB6_26044:                            ;   in Loop: Header=BB6_22365 Depth=3
	s_and_not1_saveexec_b32 s13, s74
; %bb.26045:                            ;   in Loop: Header=BB6_22365 Depth=3
	v_or_b32_e32 v71, 0x7b, v4
; %bb.26046:                            ;   in Loop: Header=BB6_22365 Depth=3
	s_or_b32 exec_lo, exec_lo, s13
                                        ; implicit-def: $vgpr2
                                        ; implicit-def: $vgpr0_vgpr1
                                        ; implicit-def: $vgpr3
.LBB6_26047:                            ;   in Loop: Header=BB6_22365 Depth=3
	s_and_not1_saveexec_b32 s13, s73
	s_cbranch_execz .LBB6_26053
; %bb.26048:                            ;   in Loop: Header=BB6_22365 Depth=3
	s_mov_b32 s73, exec_lo
                                        ; implicit-def: $vgpr71
	v_cmpx_ne_u64_e32 0, v[0:1]
	s_xor_b32 s73, exec_lo, s73
; %bb.26049:                            ;   in Loop: Header=BB6_22365 Depth=3
	v_or_b32_e32 v71, 0x7f, v3
                                        ; implicit-def: $vgpr2
; %bb.26050:                            ;   in Loop: Header=BB6_22365 Depth=3
	s_and_not1_saveexec_b32 s73, s73
; %bb.26051:                            ;   in Loop: Header=BB6_22365 Depth=3
	v_cmp_lt_i32_e32 vcc_lo, -1, v2
	v_mov_b32_e32 v0, 0x7c
	s_delay_alu instid0(VALU_DEP_1)
	v_cndmask_b32_e32 v71, 0xfc, v0, vcc_lo
; %bb.26052:                            ;   in Loop: Header=BB6_22365 Depth=3
	s_or_b32 exec_lo, exec_lo, s73
.LBB6_26053:                            ;   in Loop: Header=BB6_22365 Depth=3
	s_delay_alu instid0(SALU_CYCLE_1) | instskip(SKIP_4) | instid1(VALU_DEP_2)
	s_or_b32 exec_lo, exec_lo, s13
	v_dual_lshlrev_b32 v0, 24, v69 :: v_dual_lshlrev_b32 v2, 16, v66
	v_lshl_or_b32 v54, v54, 8, v39
	v_dual_mov_b32 v1, v113 :: v_dual_mov_b32 v3, 0
	s_mov_b32 s73, exec_lo
	v_or3_b32 v0, v2, v0, v54
	v_mov_b32_e32 v2, 0
	v_cmpx_ne_u32_e32 0, v39
	s_cbranch_execz .LBB6_26063
; %bb.26054:                            ;   in Loop: Header=BB6_22365 Depth=3
	v_bfrev_b32_e32 v2, 1
	s_mov_b32 s74, exec_lo
	v_cmpx_ne_u32_e32 0x80, v39
	s_cbranch_execz .LBB6_26062
; %bb.26055:                            ;   in Loop: Header=BB6_22365 Depth=3
	v_and_b32_e32 v2, 0x7c, v39
	v_and_b32_e32 v4, 3, v39
	s_delay_alu instid0(VALU_DEP_2) | instskip(SKIP_1) | instid1(SALU_CYCLE_1)
	v_cmp_ne_u32_e32 vcc_lo, 0x7c, v2
                                        ; implicit-def: $vgpr2
	s_and_saveexec_b32 s13, vcc_lo
	s_xor_b32 s13, exec_lo, s13
	s_cbranch_execz .LBB6_26059
; %bb.26056:                            ;   in Loop: Header=BB6_22365 Depth=3
	v_bfe_u32 v2, v39, 2, 5
	s_mov_b32 s75, exec_lo
	s_delay_alu instid0(VALU_DEP_1)
	v_cmpx_eq_u32_e32 0, v2
; %bb.26057:                            ;   in Loop: Header=BB6_22365 Depth=3
	v_clz_i32_u32_e32 v2, v4
	s_delay_alu instid0(VALU_DEP_1) | instskip(NEXT) | instid1(VALU_DEP_1)
	v_min_u32_e32 v2, 32, v2
	v_subrev_nc_u32_e32 v4, 29, v2
	s_delay_alu instid0(VALU_DEP_1) | instskip(NEXT) | instid1(VALU_DEP_1)
	v_lshlrev_b64_e32 v[4:5], v4, v[0:1]
	v_dual_sub_nc_u32 v2, 30, v2 :: v_dual_bitop2_b32 v4, 3, v4 bitop3:0x40
; %bb.26058:                            ;   in Loop: Header=BB6_22365 Depth=3
	s_or_b32 exec_lo, exec_lo, s75
	v_lshlrev_b32_e32 v1, 24, v39
                                        ; implicit-def: $vgpr39
	s_delay_alu instid0(VALU_DEP_1) | instskip(NEXT) | instid1(VALU_DEP_1)
	v_and_b32_e32 v1, 0x80000000, v1
	v_lshl_add_u32 v1, v2, 23, v1
	s_delay_alu instid0(VALU_DEP_1) | instskip(NEXT) | instid1(VALU_DEP_1)
	v_lshl_or_b32 v1, v4, 21, v1
                                        ; implicit-def: $vgpr4
	v_add_nc_u32_e32 v2, 0x38000000, v1
.LBB6_26059:                            ;   in Loop: Header=BB6_22365 Depth=3
	s_and_not1_saveexec_b32 s75, s13
; %bb.26060:                            ;   in Loop: Header=BB6_22365 Depth=3
	v_and_b32_e32 v1, 0x80, v39
	v_cmp_eq_u32_e32 vcc_lo, 0, v4
	s_delay_alu instid0(VALU_DEP_2) | instskip(SKIP_1) | instid1(VALU_DEP_1)
	v_cmp_eq_u32_e64 s13, 0, v1
	v_mov_b32_e32 v1, 0x7f800000
	v_cndmask_b32_e64 v1, 0xff800000, v1, s13
	s_delay_alu instid0(VALU_DEP_1)
	v_cndmask_b32_e32 v2, 0x7f800001, v1, vcc_lo
; %bb.26061:                            ;   in Loop: Header=BB6_22365 Depth=3
	s_or_b32 exec_lo, exec_lo, s75
.LBB6_26062:                            ;   in Loop: Header=BB6_22365 Depth=3
	s_delay_alu instid0(SALU_CYCLE_1)
	s_or_b32 exec_lo, exec_lo, s74
.LBB6_26063:                            ;   in Loop: Header=BB6_22365 Depth=3
	s_delay_alu instid0(SALU_CYCLE_1) | instskip(SKIP_2) | instid1(VALU_DEP_1)
	s_or_b32 exec_lo, exec_lo, s73
	v_and_b32_e32 v1, 0xff, v15
	s_mov_b32 s73, exec_lo
	v_cmpx_ne_u16_e32 0, v1
	s_cbranch_execz .LBB6_26073
; %bb.26064:                            ;   in Loop: Header=BB6_22365 Depth=3
	v_bfrev_b32_e32 v3, 1
	s_mov_b32 s74, exec_lo
	v_cmpx_ne_u16_e32 0x80, v1
	s_cbranch_execz .LBB6_26072
; %bb.26065:                            ;   in Loop: Header=BB6_22365 Depth=3
	v_and_b32_e32 v3, 0x7c, v15
	v_and_b32_e32 v1, 3, v15
	s_delay_alu instid0(VALU_DEP_2) | instskip(SKIP_1) | instid1(SALU_CYCLE_1)
	v_cmp_ne_u32_e32 vcc_lo, 0x7c, v3
                                        ; implicit-def: $vgpr3
	s_and_saveexec_b32 s13, vcc_lo
	s_xor_b32 s13, exec_lo, s13
	s_cbranch_execz .LBB6_26069
; %bb.26066:                            ;   in Loop: Header=BB6_22365 Depth=3
	v_bfe_u32 v3, v15, 2, 5
	s_mov_b32 s75, exec_lo
	s_delay_alu instid0(VALU_DEP_1)
	v_cmpx_eq_u32_e32 0, v3
; %bb.26067:                            ;   in Loop: Header=BB6_22365 Depth=3
	v_clz_i32_u32_e32 v1, v1
	v_dual_mov_b32 v4, v15 :: v_dual_mov_b32 v5, v113
	s_delay_alu instid0(VALU_DEP_2) | instskip(NEXT) | instid1(VALU_DEP_1)
	v_min_u32_e32 v1, 32, v1
	v_subrev_nc_u32_e32 v3, 29, v1
	s_delay_alu instid0(VALU_DEP_1) | instskip(NEXT) | instid1(VALU_DEP_1)
	v_lshlrev_b64_e32 v[4:5], v3, v[4:5]
	v_dual_sub_nc_u32 v3, 30, v1 :: v_dual_bitop2_b32 v1, 3, v4 bitop3:0x40
; %bb.26068:                            ;   in Loop: Header=BB6_22365 Depth=3
	s_or_b32 exec_lo, exec_lo, s75
	v_lshlrev_b32_e32 v4, 24, v15
	s_delay_alu instid0(VALU_DEP_1) | instskip(NEXT) | instid1(VALU_DEP_1)
	v_and_b32_e32 v4, 0x80000000, v4
	v_lshl_add_u32 v3, v3, 23, v4
	s_delay_alu instid0(VALU_DEP_1) | instskip(NEXT) | instid1(VALU_DEP_1)
	v_lshl_or_b32 v1, v1, 21, v3
	v_add_nc_u32_e32 v3, 0x38000000, v1
                                        ; implicit-def: $vgpr1
.LBB6_26069:                            ;   in Loop: Header=BB6_22365 Depth=3
	s_and_not1_saveexec_b32 s75, s13
; %bb.26070:                            ;   in Loop: Header=BB6_22365 Depth=3
	v_bfe_i32 v3, v15, 0, 8
	v_cmp_eq_u32_e32 vcc_lo, 0, v1
	v_mov_b32_e32 v1, 0x7f800000
	s_delay_alu instid0(VALU_DEP_3) | instskip(NEXT) | instid1(VALU_DEP_1)
	v_cmp_lt_i16_e64 s13, -1, v3
	v_cndmask_b32_e64 v1, 0xff800000, v1, s13
	s_delay_alu instid0(VALU_DEP_1)
	v_cndmask_b32_e32 v3, 0x7f800001, v1, vcc_lo
; %bb.26071:                            ;   in Loop: Header=BB6_22365 Depth=3
	s_or_b32 exec_lo, exec_lo, s75
.LBB6_26072:                            ;   in Loop: Header=BB6_22365 Depth=3
	s_delay_alu instid0(SALU_CYCLE_1)
	s_or_b32 exec_lo, exec_lo, s74
.LBB6_26073:                            ;   in Loop: Header=BB6_22365 Depth=3
	s_delay_alu instid0(SALU_CYCLE_1) | instskip(NEXT) | instid1(VALU_DEP_1)
	s_or_b32 exec_lo, exec_lo, s73
	v_dual_add_f32 v4, v2, v3 :: v_dual_mov_b32 v47, v113
	v_mov_b32_e32 v3, v113
                                        ; implicit-def: $vgpr39
	s_mov_b32 s13, exec_lo
	s_delay_alu instid0(VALU_DEP_2) | instskip(SKIP_2) | instid1(VALU_DEP_3)
	v_and_b32_e32 v46, 0x7f800000, v4
	v_and_b32_e32 v2, 0x7fffff, v4
	v_lshrrev_b32_e32 v1, 24, v4
	v_cmpx_ne_u64_e32 0x7f800000, v[46:47]
	s_xor_b32 s73, exec_lo, s13
	s_cbranch_execz .LBB6_26087
; %bb.26074:                            ;   in Loop: Header=BB6_22365 Depth=3
	v_and_b32_e32 v46, 0x7fffffff, v4
	v_mov_b32_e32 v47, v113
	v_and_b32_e32 v1, 0x80, v1
                                        ; implicit-def: $vgpr39
	s_mov_b32 s13, exec_lo
	s_delay_alu instid0(VALU_DEP_2)
	v_cmpx_gt_u64_e32 0x47600001, v[46:47]
	s_xor_b32 s74, exec_lo, s13
	s_cbranch_execz .LBB6_26084
; %bb.26075:                            ;   in Loop: Header=BB6_22365 Depth=3
	v_mov_b32_e32 v39, 0
	s_mov_b32 s75, exec_lo
	v_cmpx_ne_u32_e32 0, v4
	s_cbranch_execz .LBB6_26083
; %bb.26076:                            ;   in Loop: Header=BB6_22365 Depth=3
	v_bfe_u32 v39, v4, 23, 8
	v_or_b32_e32 v5, 0x800000, v2
	s_delay_alu instid0(VALU_DEP_2) | instskip(SKIP_2) | instid1(VALU_DEP_2)
	v_cmp_gt_u32_e64 s13, 0x72, v39
	v_sub_nc_u32_e32 v4, 0x71, v39
	v_cmp_eq_u32_e32 vcc_lo, 0, v39
	v_dual_cndmask_b32 v4, 0, v4, s13 :: v_dual_cndmask_b32 v2, v5, v2, vcc_lo
	s_delay_alu instid0(VALU_DEP_1) | instskip(NEXT) | instid1(VALU_DEP_1)
	v_cndmask_b32_e64 v66, v4, 0x70, vcc_lo
	v_dual_add_nc_u32 v4, 21, v66 :: v_dual_add_nc_u32 v69, 20, v66
	s_delay_alu instid0(VALU_DEP_1) | instskip(NEXT) | instid1(VALU_DEP_2)
	v_lshlrev_b64_e64 v[4:5], v4, -1
	v_lshlrev_b64_e64 v[46:47], v69, 1
	s_delay_alu instid0(VALU_DEP_2) | instskip(SKIP_1) | instid1(VALU_DEP_4)
	v_bfi_b32 v4, v4, 0, v2
	v_lshrrev_b64 v[2:3], v66, v[2:3]
	v_bfi_b32 v5, v5, 0, 0
	s_delay_alu instid0(VALU_DEP_1) | instskip(NEXT) | instid1(VALU_DEP_3)
	v_cmp_eq_u64_e64 s13, v[4:5], v[46:47]
	v_mov_b64_e32 v[4:5], v[2:3]
	s_and_saveexec_b32 s76, s13
; %bb.26077:                            ;   in Loop: Header=BB6_22365 Depth=3
	v_bfe_u32 v4, v2, 21, 1
	v_mov_b32_e32 v5, v113
	s_delay_alu instid0(VALU_DEP_1) | instskip(NEXT) | instid1(VALU_DEP_1)
	v_add_nc_u64_e32 v[4:5], v[2:3], v[4:5]
	v_add_nc_u64_e32 v[4:5], -1, v[4:5]
; %bb.26078:                            ;   in Loop: Header=BB6_22365 Depth=3
	s_or_b32 exec_lo, exec_lo, s76
	v_add_nc_u32_e32 v3, 0xffffff81, v39
	v_lshrrev_b32_e32 v5, 23, v2
	s_mov_b32 s13, exec_lo
	s_delay_alu instid0(VALU_DEP_2) | instskip(NEXT) | instid1(VALU_DEP_1)
	v_cndmask_b32_e64 v3, v3, 0xffffff82, vcc_lo
	v_add3_u32 v39, v66, v3, v5
	v_and_b32_e32 v3, 0x1fffff, v4
                                        ; implicit-def: $vgpr4
	s_delay_alu instid0(VALU_DEP_1) | instskip(SKIP_1) | instid1(VALU_DEP_2)
	v_dual_add_nc_u32 v5, 14, v39 :: v_dual_add_nc_u32 v2, v3, v2
	v_mov_b32_e32 v3, v113
	v_cmpx_ne_u32_e32 0, v5
	s_xor_b32 s13, exec_lo, s13
; %bb.26079:                            ;   in Loop: Header=BB6_22365 Depth=3
	s_delay_alu instid0(VALU_DEP_2) | instskip(SKIP_1) | instid1(VALU_DEP_1)
	v_cmp_lt_u64_e32 vcc_lo, 0xffffff, v[2:3]
	v_add_nc_u32_e32 v4, 15, v39
	v_cndmask_b32_e32 v4, v5, v4, vcc_lo
	v_cndmask_b32_e64 v5, 0, 1, vcc_lo
	s_delay_alu instid0(VALU_DEP_1)
	v_lshrrev_b64 v[2:3], v5, v[2:3]
; %bb.26080:                            ;   in Loop: Header=BB6_22365 Depth=3
	s_and_not1_saveexec_b32 s13, s13
; %bb.26081:                            ;   in Loop: Header=BB6_22365 Depth=3
	s_delay_alu instid0(VALU_DEP_1)
	v_bfe_u32 v4, v2, 23, 1
; %bb.26082:                            ;   in Loop: Header=BB6_22365 Depth=3
	s_or_b32 exec_lo, exec_lo, s13
	s_delay_alu instid0(VALU_DEP_2) | instskip(NEXT) | instid1(VALU_DEP_2)
	v_lshrrev_b64 v[2:3], 21, v[2:3]
	v_cmp_gt_i32_e32 vcc_lo, 32, v4
	v_min_i32_e32 v5, 31, v4
	v_cmp_eq_u32_e64 s13, 0, v4
	s_delay_alu instid0(VALU_DEP_2) | instskip(SKIP_1) | instid1(VALU_DEP_2)
	v_dual_cndmask_b32 v3, 0, v3, vcc_lo :: v_dual_lshlrev_b32 v5, 2, v5
	v_cndmask_b32_e32 v2, 3, v2, vcc_lo
	v_and_b32_e32 v5, 0xfc, v5
	s_delay_alu instid0(VALU_DEP_2) | instskip(NEXT) | instid1(VALU_DEP_2)
	v_cmp_eq_u64_e32 vcc_lo, 0, v[2:3]
	v_and_or_b32 v2, v2, 3, v5
	s_and_b32 s13, s13, vcc_lo
	s_delay_alu instid0(VALU_DEP_1) | instid1(SALU_CYCLE_1)
	v_cndmask_b32_e64 v2, v2, 0, s13
	s_delay_alu instid0(VALU_DEP_1)
	v_or_b32_e32 v39, v2, v1
.LBB6_26083:                            ;   in Loop: Header=BB6_22365 Depth=3
	s_or_b32 exec_lo, exec_lo, s75
                                        ; implicit-def: $vgpr1
.LBB6_26084:                            ;   in Loop: Header=BB6_22365 Depth=3
	s_and_not1_saveexec_b32 s13, s74
; %bb.26085:                            ;   in Loop: Header=BB6_22365 Depth=3
	v_or_b32_e32 v39, 0x7b, v1
; %bb.26086:                            ;   in Loop: Header=BB6_22365 Depth=3
	s_or_b32 exec_lo, exec_lo, s13
                                        ; implicit-def: $vgpr4
                                        ; implicit-def: $vgpr2_vgpr3
                                        ; implicit-def: $vgpr1
.LBB6_26087:                            ;   in Loop: Header=BB6_22365 Depth=3
	s_and_not1_saveexec_b32 s13, s73
	s_cbranch_execz .LBB6_26093
; %bb.26088:                            ;   in Loop: Header=BB6_22365 Depth=3
	s_mov_b32 s73, exec_lo
                                        ; implicit-def: $vgpr39
	v_cmpx_ne_u64_e32 0, v[2:3]
	s_xor_b32 s73, exec_lo, s73
; %bb.26089:                            ;   in Loop: Header=BB6_22365 Depth=3
	v_or_b32_e32 v39, 0x7f, v1
                                        ; implicit-def: $vgpr4
; %bb.26090:                            ;   in Loop: Header=BB6_22365 Depth=3
	s_and_not1_saveexec_b32 s73, s73
; %bb.26091:                            ;   in Loop: Header=BB6_22365 Depth=3
	v_cmp_lt_i32_e32 vcc_lo, -1, v4
	v_mov_b32_e32 v1, 0x7c
	s_delay_alu instid0(VALU_DEP_1)
	v_cndmask_b32_e32 v39, 0xfc, v1, vcc_lo
; %bb.26092:                            ;   in Loop: Header=BB6_22365 Depth=3
	s_or_b32 exec_lo, exec_lo, s73
.LBB6_26093:                            ;   in Loop: Header=BB6_22365 Depth=3
	s_delay_alu instid0(SALU_CYCLE_1) | instskip(SKIP_3) | instid1(VALU_DEP_2)
	s_or_b32 exec_lo, exec_lo, s13
	v_lshrrev_b16 v2, 8, v54
	v_dual_mov_b32 v1, 0 :: v_dual_mov_b32 v4, 0
	s_mov_b32 s73, exec_lo
	v_cmpx_ne_u16_e32 0, v2
	s_cbranch_execz .LBB6_26103
; %bb.26094:                            ;   in Loop: Header=BB6_22365 Depth=3
	v_bfrev_b32_e32 v4, 1
	s_mov_b32 s74, exec_lo
	v_cmpx_ne_u16_e32 0x80, v2
	s_cbranch_execz .LBB6_26102
; %bb.26095:                            ;   in Loop: Header=BB6_22365 Depth=3
	v_and_b32_e32 v5, 0xffff, v2
	s_delay_alu instid0(VALU_DEP_1) | instskip(SKIP_1) | instid1(VALU_DEP_2)
	v_and_b32_e32 v4, 0x7c, v5
	v_and_b32_e32 v3, 3, v5
	v_cmp_ne_u32_e32 vcc_lo, 0x7c, v4
                                        ; implicit-def: $vgpr4
	s_and_saveexec_b32 s13, vcc_lo
	s_delay_alu instid0(SALU_CYCLE_1)
	s_xor_b32 s13, exec_lo, s13
	s_cbranch_execz .LBB6_26099
; %bb.26096:                            ;   in Loop: Header=BB6_22365 Depth=3
	v_bfe_u32 v4, v5, 2, 5
	s_mov_b32 s75, exec_lo
	s_delay_alu instid0(VALU_DEP_1)
	v_cmpx_eq_u32_e32 0, v4
	s_cbranch_execz .LBB6_26098
; %bb.26097:                            ;   in Loop: Header=BB6_22365 Depth=3
	v_clz_i32_u32_e32 v3, v3
	s_delay_alu instid0(VALU_DEP_1) | instskip(SKIP_1) | instid1(VALU_DEP_2)
	v_min_u32_e32 v4, 32, v3
	v_mov_b32_e32 v3, v113
	v_subrev_nc_u32_e32 v5, 29, v4
	v_sub_nc_u32_e32 v4, 30, v4
	s_delay_alu instid0(VALU_DEP_2) | instskip(NEXT) | instid1(VALU_DEP_1)
	v_lshlrev_b64_e32 v[2:3], v5, v[2:3]
	v_and_b32_e32 v3, 3, v2
.LBB6_26098:                            ;   in Loop: Header=BB6_22365 Depth=3
	s_or_b32 exec_lo, exec_lo, s75
	v_lshlrev_b32_e32 v2, 16, v54
                                        ; implicit-def: $vgpr54
	s_delay_alu instid0(VALU_DEP_1) | instskip(NEXT) | instid1(VALU_DEP_1)
	v_and_b32_e32 v2, 0x80000000, v2
	v_lshl_add_u32 v2, v4, 23, v2
	s_delay_alu instid0(VALU_DEP_1) | instskip(NEXT) | instid1(VALU_DEP_1)
	v_lshl_or_b32 v2, v3, 21, v2
                                        ; implicit-def: $vgpr3
	v_add_nc_u32_e32 v4, 0x38000000, v2
.LBB6_26099:                            ;   in Loop: Header=BB6_22365 Depth=3
	s_and_not1_saveexec_b32 s75, s13
; %bb.26100:                            ;   in Loop: Header=BB6_22365 Depth=3
	v_cmp_lt_i16_e64 s13, -1, v54
	v_mov_b32_e32 v2, 0x7f800000
	v_cmp_eq_u32_e32 vcc_lo, 0, v3
	s_delay_alu instid0(VALU_DEP_2) | instskip(NEXT) | instid1(VALU_DEP_1)
	v_cndmask_b32_e64 v2, 0xff800000, v2, s13
	v_cndmask_b32_e32 v4, 0x7f800001, v2, vcc_lo
; %bb.26101:                            ;   in Loop: Header=BB6_22365 Depth=3
	s_or_b32 exec_lo, exec_lo, s75
.LBB6_26102:                            ;   in Loop: Header=BB6_22365 Depth=3
	s_delay_alu instid0(SALU_CYCLE_1)
	s_or_b32 exec_lo, exec_lo, s74
.LBB6_26103:                            ;   in Loop: Header=BB6_22365 Depth=3
	s_delay_alu instid0(SALU_CYCLE_1) | instskip(SKIP_2) | instid1(VALU_DEP_1)
	s_or_b32 exec_lo, exec_lo, s73
	v_lshrrev_b16 v2, 8, v15
	s_mov_b32 s73, exec_lo
	v_cmpx_ne_u16_e32 0, v2
	s_cbranch_execz .LBB6_26113
; %bb.26104:                            ;   in Loop: Header=BB6_22365 Depth=3
	v_bfrev_b32_e32 v1, 1
	s_mov_b32 s74, exec_lo
	v_cmpx_ne_u16_e32 0x80, v2
	s_cbranch_execz .LBB6_26112
; %bb.26105:                            ;   in Loop: Header=BB6_22365 Depth=3
	v_and_b32_e32 v5, 0xffff, v2
	s_delay_alu instid0(VALU_DEP_1) | instskip(SKIP_1) | instid1(VALU_DEP_2)
	v_and_b32_e32 v1, 0x7c, v5
	v_and_b32_e32 v3, 3, v5
	v_cmp_ne_u32_e32 vcc_lo, 0x7c, v1
                                        ; implicit-def: $vgpr1
	s_and_saveexec_b32 s13, vcc_lo
	s_delay_alu instid0(SALU_CYCLE_1)
	s_xor_b32 s13, exec_lo, s13
	s_cbranch_execz .LBB6_26109
; %bb.26106:                            ;   in Loop: Header=BB6_22365 Depth=3
	v_bfe_u32 v1, v5, 2, 5
	s_mov_b32 s75, exec_lo
	s_delay_alu instid0(VALU_DEP_1)
	v_cmpx_eq_u32_e32 0, v1
	s_cbranch_execz .LBB6_26108
; %bb.26107:                            ;   in Loop: Header=BB6_22365 Depth=3
	v_clz_i32_u32_e32 v1, v3
	s_delay_alu instid0(VALU_DEP_1) | instskip(SKIP_1) | instid1(VALU_DEP_2)
	v_min_u32_e32 v1, 32, v1
	v_mov_b32_e32 v3, v113
	v_subrev_nc_u32_e32 v5, 29, v1
	v_sub_nc_u32_e32 v1, 30, v1
	s_delay_alu instid0(VALU_DEP_2) | instskip(NEXT) | instid1(VALU_DEP_1)
	v_lshlrev_b64_e32 v[2:3], v5, v[2:3]
	v_and_b32_e32 v3, 3, v2
.LBB6_26108:                            ;   in Loop: Header=BB6_22365 Depth=3
	s_or_b32 exec_lo, exec_lo, s75
	v_lshlrev_b32_e32 v2, 16, v15
	s_delay_alu instid0(VALU_DEP_1) | instskip(NEXT) | instid1(VALU_DEP_1)
	v_and_b32_e32 v2, 0x80000000, v2
	v_lshl_add_u32 v1, v1, 23, v2
	s_delay_alu instid0(VALU_DEP_1) | instskip(NEXT) | instid1(VALU_DEP_1)
	v_lshl_or_b32 v1, v3, 21, v1
                                        ; implicit-def: $vgpr3
	v_add_nc_u32_e32 v1, 0x38000000, v1
.LBB6_26109:                            ;   in Loop: Header=BB6_22365 Depth=3
	s_and_not1_saveexec_b32 s75, s13
; %bb.26110:                            ;   in Loop: Header=BB6_22365 Depth=3
	v_cmp_lt_i16_e64 s13, -1, v15
	v_mov_b32_e32 v1, 0x7f800000
	v_cmp_eq_u32_e32 vcc_lo, 0, v3
	s_delay_alu instid0(VALU_DEP_2) | instskip(NEXT) | instid1(VALU_DEP_1)
	v_cndmask_b32_e64 v1, 0xff800000, v1, s13
	v_cndmask_b32_e32 v1, 0x7f800001, v1, vcc_lo
; %bb.26111:                            ;   in Loop: Header=BB6_22365 Depth=3
	s_or_b32 exec_lo, exec_lo, s75
.LBB6_26112:                            ;   in Loop: Header=BB6_22365 Depth=3
	s_delay_alu instid0(SALU_CYCLE_1)
	s_or_b32 exec_lo, exec_lo, s74
.LBB6_26113:                            ;   in Loop: Header=BB6_22365 Depth=3
	s_delay_alu instid0(SALU_CYCLE_1) | instskip(NEXT) | instid1(VALU_DEP_1)
	s_or_b32 exec_lo, exec_lo, s73
	v_dual_add_f32 v4, v4, v1 :: v_dual_mov_b32 v47, v113
	v_mov_b32_e32 v3, v113
                                        ; implicit-def: $vgpr54
	s_mov_b32 s13, exec_lo
	s_delay_alu instid0(VALU_DEP_2) | instskip(SKIP_2) | instid1(VALU_DEP_3)
	v_and_b32_e32 v46, 0x7f800000, v4
	v_and_b32_e32 v2, 0x7fffff, v4
	v_lshrrev_b32_e32 v1, 24, v4
	v_cmpx_ne_u64_e32 0x7f800000, v[46:47]
	s_xor_b32 s73, exec_lo, s13
	s_cbranch_execz .LBB6_26127
; %bb.26114:                            ;   in Loop: Header=BB6_22365 Depth=3
	v_and_b32_e32 v46, 0x7fffffff, v4
	v_mov_b32_e32 v47, v113
	v_and_b32_e32 v1, 0x80, v1
                                        ; implicit-def: $vgpr54
	s_mov_b32 s13, exec_lo
	s_delay_alu instid0(VALU_DEP_2)
	v_cmpx_gt_u64_e32 0x47600001, v[46:47]
	s_xor_b32 s74, exec_lo, s13
	s_cbranch_execz .LBB6_26124
; %bb.26115:                            ;   in Loop: Header=BB6_22365 Depth=3
	v_mov_b32_e32 v54, 0
	s_mov_b32 s75, exec_lo
	v_cmpx_ne_u32_e32 0, v4
	s_cbranch_execz .LBB6_26123
; %bb.26116:                            ;   in Loop: Header=BB6_22365 Depth=3
	v_bfe_u32 v54, v4, 23, 8
	v_or_b32_e32 v5, 0x800000, v2
	s_delay_alu instid0(VALU_DEP_2) | instskip(SKIP_2) | instid1(VALU_DEP_2)
	v_cmp_gt_u32_e64 s13, 0x72, v54
	v_sub_nc_u32_e32 v4, 0x71, v54
	v_cmp_eq_u32_e32 vcc_lo, 0, v54
	v_dual_cndmask_b32 v4, 0, v4, s13 :: v_dual_cndmask_b32 v2, v5, v2, vcc_lo
	s_delay_alu instid0(VALU_DEP_1) | instskip(NEXT) | instid1(VALU_DEP_1)
	v_cndmask_b32_e64 v66, v4, 0x70, vcc_lo
	v_dual_add_nc_u32 v4, 21, v66 :: v_dual_add_nc_u32 v69, 20, v66
	s_delay_alu instid0(VALU_DEP_1) | instskip(NEXT) | instid1(VALU_DEP_2)
	v_lshlrev_b64_e64 v[4:5], v4, -1
	v_lshlrev_b64_e64 v[46:47], v69, 1
	s_delay_alu instid0(VALU_DEP_2) | instskip(SKIP_1) | instid1(VALU_DEP_4)
	v_bfi_b32 v4, v4, 0, v2
	v_lshrrev_b64 v[2:3], v66, v[2:3]
	v_bfi_b32 v5, v5, 0, 0
	s_delay_alu instid0(VALU_DEP_1) | instskip(NEXT) | instid1(VALU_DEP_3)
	v_cmp_eq_u64_e64 s13, v[4:5], v[46:47]
	v_mov_b64_e32 v[4:5], v[2:3]
	s_and_saveexec_b32 s76, s13
; %bb.26117:                            ;   in Loop: Header=BB6_22365 Depth=3
	v_bfe_u32 v4, v2, 21, 1
	v_mov_b32_e32 v5, v113
	s_delay_alu instid0(VALU_DEP_1) | instskip(NEXT) | instid1(VALU_DEP_1)
	v_add_nc_u64_e32 v[4:5], v[2:3], v[4:5]
	v_add_nc_u64_e32 v[4:5], -1, v[4:5]
; %bb.26118:                            ;   in Loop: Header=BB6_22365 Depth=3
	s_or_b32 exec_lo, exec_lo, s76
	v_add_nc_u32_e32 v3, 0xffffff81, v54
	v_lshrrev_b32_e32 v5, 23, v2
	s_mov_b32 s13, exec_lo
	s_delay_alu instid0(VALU_DEP_2) | instskip(NEXT) | instid1(VALU_DEP_1)
	v_cndmask_b32_e64 v3, v3, 0xffffff82, vcc_lo
	v_add3_u32 v54, v66, v3, v5
	v_and_b32_e32 v3, 0x1fffff, v4
                                        ; implicit-def: $vgpr4
	s_delay_alu instid0(VALU_DEP_2) | instskip(NEXT) | instid1(VALU_DEP_2)
	v_add_nc_u32_e32 v5, 14, v54
	v_dual_mov_b32 v3, v113 :: v_dual_add_nc_u32 v2, v3, v2
	s_delay_alu instid0(VALU_DEP_2)
	v_cmpx_ne_u32_e32 0, v5
	s_xor_b32 s13, exec_lo, s13
; %bb.26119:                            ;   in Loop: Header=BB6_22365 Depth=3
	s_delay_alu instid0(VALU_DEP_2) | instskip(SKIP_1) | instid1(VALU_DEP_1)
	v_cmp_lt_u64_e32 vcc_lo, 0xffffff, v[2:3]
	v_add_nc_u32_e32 v4, 15, v54
	v_cndmask_b32_e32 v4, v5, v4, vcc_lo
	v_cndmask_b32_e64 v5, 0, 1, vcc_lo
	s_delay_alu instid0(VALU_DEP_1)
	v_lshrrev_b64 v[2:3], v5, v[2:3]
; %bb.26120:                            ;   in Loop: Header=BB6_22365 Depth=3
	s_and_not1_saveexec_b32 s13, s13
; %bb.26121:                            ;   in Loop: Header=BB6_22365 Depth=3
	s_delay_alu instid0(VALU_DEP_1)
	v_bfe_u32 v4, v2, 23, 1
; %bb.26122:                            ;   in Loop: Header=BB6_22365 Depth=3
	s_or_b32 exec_lo, exec_lo, s13
	s_delay_alu instid0(VALU_DEP_2) | instskip(NEXT) | instid1(VALU_DEP_2)
	v_lshrrev_b64 v[2:3], 21, v[2:3]
	v_cmp_gt_i32_e32 vcc_lo, 32, v4
	v_min_i32_e32 v5, 31, v4
	v_cmp_eq_u32_e64 s13, 0, v4
	s_delay_alu instid0(VALU_DEP_2) | instskip(SKIP_1) | instid1(VALU_DEP_2)
	v_dual_cndmask_b32 v3, 0, v3, vcc_lo :: v_dual_lshlrev_b32 v5, 2, v5
	v_cndmask_b32_e32 v2, 3, v2, vcc_lo
	v_and_b32_e32 v5, 0xfc, v5
	s_delay_alu instid0(VALU_DEP_2) | instskip(NEXT) | instid1(VALU_DEP_2)
	v_cmp_eq_u64_e32 vcc_lo, 0, v[2:3]
	v_and_or_b32 v2, v2, 3, v5
	s_and_b32 s13, s13, vcc_lo
	s_delay_alu instid0(VALU_DEP_1) | instid1(SALU_CYCLE_1)
	v_cndmask_b32_e64 v2, v2, 0, s13
	s_delay_alu instid0(VALU_DEP_1)
	v_or_b32_e32 v54, v2, v1
.LBB6_26123:                            ;   in Loop: Header=BB6_22365 Depth=3
	s_or_b32 exec_lo, exec_lo, s75
                                        ; implicit-def: $vgpr1
.LBB6_26124:                            ;   in Loop: Header=BB6_22365 Depth=3
	s_and_not1_saveexec_b32 s13, s74
; %bb.26125:                            ;   in Loop: Header=BB6_22365 Depth=3
	v_or_b32_e32 v54, 0x7b, v1
; %bb.26126:                            ;   in Loop: Header=BB6_22365 Depth=3
	s_or_b32 exec_lo, exec_lo, s13
                                        ; implicit-def: $vgpr4
                                        ; implicit-def: $vgpr2_vgpr3
                                        ; implicit-def: $vgpr1
.LBB6_26127:                            ;   in Loop: Header=BB6_22365 Depth=3
	s_and_not1_saveexec_b32 s13, s73
	s_cbranch_execz .LBB6_26133
; %bb.26128:                            ;   in Loop: Header=BB6_22365 Depth=3
	s_mov_b32 s73, exec_lo
                                        ; implicit-def: $vgpr54
	v_cmpx_ne_u64_e32 0, v[2:3]
	s_xor_b32 s73, exec_lo, s73
; %bb.26129:                            ;   in Loop: Header=BB6_22365 Depth=3
	v_or_b32_e32 v54, 0x7f, v1
                                        ; implicit-def: $vgpr4
; %bb.26130:                            ;   in Loop: Header=BB6_22365 Depth=3
	s_and_not1_saveexec_b32 s73, s73
; %bb.26131:                            ;   in Loop: Header=BB6_22365 Depth=3
	v_cmp_lt_i32_e32 vcc_lo, -1, v4
	v_mov_b32_e32 v1, 0x7c
	s_delay_alu instid0(VALU_DEP_1)
	v_cndmask_b32_e32 v54, 0xfc, v1, vcc_lo
; %bb.26132:                            ;   in Loop: Header=BB6_22365 Depth=3
	s_or_b32 exec_lo, exec_lo, s73
.LBB6_26133:                            ;   in Loop: Header=BB6_22365 Depth=3
	s_delay_alu instid0(SALU_CYCLE_1) | instskip(SKIP_3) | instid1(VALU_DEP_2)
	s_or_b32 exec_lo, exec_lo, s13
	v_dual_mov_b32 v1, 0 :: v_dual_lshrrev_b32 v2, 16, v0
	v_mov_b32_e32 v3, 0
	s_mov_b32 s73, exec_lo
	v_and_b32_e32 v4, 0xff, v2
	s_delay_alu instid0(VALU_DEP_1)
	v_cmpx_ne_u16_e32 0, v4
	s_cbranch_execz .LBB6_26143
; %bb.26134:                            ;   in Loop: Header=BB6_22365 Depth=3
	v_bfrev_b32_e32 v3, 1
	s_mov_b32 s74, exec_lo
	v_cmpx_ne_u16_e32 0x80, v4
	s_cbranch_execz .LBB6_26142
; %bb.26135:                            ;   in Loop: Header=BB6_22365 Depth=3
	v_and_b32_e32 v3, 0x7c0000, v0
	v_bfe_u32 v4, v0, 16, 2
	s_delay_alu instid0(VALU_DEP_2) | instskip(SKIP_1) | instid1(SALU_CYCLE_1)
	v_cmp_ne_u32_e32 vcc_lo, 0x7c0000, v3
                                        ; implicit-def: $vgpr3
	s_and_saveexec_b32 s13, vcc_lo
	s_xor_b32 s13, exec_lo, s13
	s_cbranch_execz .LBB6_26139
; %bb.26136:                            ;   in Loop: Header=BB6_22365 Depth=3
	v_bfe_u32 v3, v0, 18, 5
	s_mov_b32 s75, exec_lo
	s_delay_alu instid0(VALU_DEP_1)
	v_cmpx_eq_u32_e32 0, v3
; %bb.26137:                            ;   in Loop: Header=BB6_22365 Depth=3
	v_clz_i32_u32_e32 v3, v4
	s_delay_alu instid0(VALU_DEP_1) | instskip(NEXT) | instid1(VALU_DEP_1)
	v_min_u32_e32 v3, 32, v3
	v_subrev_nc_u32_e32 v4, 29, v3
	s_delay_alu instid0(VALU_DEP_1) | instskip(NEXT) | instid1(VALU_DEP_1)
	v_lshlrev_b64_e32 v[4:5], v4, v[2:3]
	v_dual_sub_nc_u32 v3, 30, v3 :: v_dual_bitop2_b32 v4, 3, v4 bitop3:0x40
; %bb.26138:                            ;   in Loop: Header=BB6_22365 Depth=3
	s_or_b32 exec_lo, exec_lo, s75
	v_lshlrev_b32_e32 v2, 24, v2
	s_delay_alu instid0(VALU_DEP_1) | instskip(NEXT) | instid1(VALU_DEP_1)
	v_and_b32_e32 v2, 0x80000000, v2
	v_lshl_add_u32 v2, v3, 23, v2
	s_delay_alu instid0(VALU_DEP_1) | instskip(NEXT) | instid1(VALU_DEP_1)
	v_lshl_or_b32 v2, v4, 21, v2
                                        ; implicit-def: $vgpr4
	v_add_nc_u32_e32 v3, 0x38000000, v2
                                        ; implicit-def: $vgpr2
.LBB6_26139:                            ;   in Loop: Header=BB6_22365 Depth=3
	s_and_not1_saveexec_b32 s75, s13
; %bb.26140:                            ;   in Loop: Header=BB6_22365 Depth=3
	v_bfe_i32 v2, v2, 0, 8
	v_cmp_eq_u32_e32 vcc_lo, 0, v4
	s_delay_alu instid0(VALU_DEP_2) | instskip(SKIP_1) | instid1(VALU_DEP_1)
	v_cmp_lt_i16_e64 s13, -1, v2
	v_mov_b32_e32 v2, 0x7f800000
	v_cndmask_b32_e64 v2, 0xff800000, v2, s13
	s_delay_alu instid0(VALU_DEP_1)
	v_cndmask_b32_e32 v3, 0x7f800001, v2, vcc_lo
; %bb.26141:                            ;   in Loop: Header=BB6_22365 Depth=3
	s_or_b32 exec_lo, exec_lo, s75
.LBB6_26142:                            ;   in Loop: Header=BB6_22365 Depth=3
	s_delay_alu instid0(SALU_CYCLE_1)
	s_or_b32 exec_lo, exec_lo, s74
.LBB6_26143:                            ;   in Loop: Header=BB6_22365 Depth=3
	s_delay_alu instid0(SALU_CYCLE_1) | instskip(SKIP_2) | instid1(VALU_DEP_1)
	s_or_b32 exec_lo, exec_lo, s73
	v_lshrrev_b32_e32 v2, 16, v15
	s_mov_b32 s73, exec_lo
	v_and_b32_e32 v4, 0xff, v2
	s_delay_alu instid0(VALU_DEP_1)
	v_cmpx_ne_u16_e32 0, v4
	s_cbranch_execz .LBB6_26153
; %bb.26144:                            ;   in Loop: Header=BB6_22365 Depth=3
	v_bfrev_b32_e32 v1, 1
	s_mov_b32 s74, exec_lo
	v_cmpx_ne_u16_e32 0x80, v4
	s_cbranch_execz .LBB6_26152
; %bb.26145:                            ;   in Loop: Header=BB6_22365 Depth=3
	v_and_b32_e32 v1, 0x7c0000, v15
	v_bfe_u32 v4, v15, 16, 2
	s_delay_alu instid0(VALU_DEP_2) | instskip(SKIP_1) | instid1(SALU_CYCLE_1)
	v_cmp_ne_u32_e32 vcc_lo, 0x7c0000, v1
                                        ; implicit-def: $vgpr1
	s_and_saveexec_b32 s13, vcc_lo
	s_xor_b32 s13, exec_lo, s13
	s_cbranch_execz .LBB6_26149
; %bb.26146:                            ;   in Loop: Header=BB6_22365 Depth=3
	v_bfe_u32 v1, v15, 18, 5
	s_mov_b32 s75, exec_lo
	s_delay_alu instid0(VALU_DEP_1)
	v_cmpx_eq_u32_e32 0, v1
; %bb.26147:                            ;   in Loop: Header=BB6_22365 Depth=3
	v_clz_i32_u32_e32 v1, v4
	s_delay_alu instid0(VALU_DEP_1) | instskip(NEXT) | instid1(VALU_DEP_1)
	v_min_u32_e32 v1, 32, v1
	v_subrev_nc_u32_e32 v4, 29, v1
	s_delay_alu instid0(VALU_DEP_1) | instskip(NEXT) | instid1(VALU_DEP_1)
	v_lshlrev_b64_e32 v[4:5], v4, v[2:3]
	v_dual_sub_nc_u32 v1, 30, v1 :: v_dual_bitop2_b32 v4, 3, v4 bitop3:0x40
; %bb.26148:                            ;   in Loop: Header=BB6_22365 Depth=3
	s_or_b32 exec_lo, exec_lo, s75
	v_lshlrev_b32_e32 v2, 24, v2
	s_delay_alu instid0(VALU_DEP_1) | instskip(NEXT) | instid1(VALU_DEP_1)
	v_and_b32_e32 v2, 0x80000000, v2
	v_lshl_add_u32 v1, v1, 23, v2
                                        ; implicit-def: $vgpr2
	s_delay_alu instid0(VALU_DEP_1) | instskip(NEXT) | instid1(VALU_DEP_1)
	v_lshl_or_b32 v1, v4, 21, v1
                                        ; implicit-def: $vgpr4
	v_add_nc_u32_e32 v1, 0x38000000, v1
.LBB6_26149:                            ;   in Loop: Header=BB6_22365 Depth=3
	s_and_not1_saveexec_b32 s75, s13
; %bb.26150:                            ;   in Loop: Header=BB6_22365 Depth=3
	v_bfe_i32 v1, v2, 0, 8
	v_cmp_eq_u32_e32 vcc_lo, 0, v4
	s_delay_alu instid0(VALU_DEP_2) | instskip(SKIP_1) | instid1(VALU_DEP_1)
	v_cmp_lt_i16_e64 s13, -1, v1
	v_mov_b32_e32 v1, 0x7f800000
	v_cndmask_b32_e64 v1, 0xff800000, v1, s13
	s_delay_alu instid0(VALU_DEP_1)
	v_cndmask_b32_e32 v1, 0x7f800001, v1, vcc_lo
; %bb.26151:                            ;   in Loop: Header=BB6_22365 Depth=3
	s_or_b32 exec_lo, exec_lo, s75
.LBB6_26152:                            ;   in Loop: Header=BB6_22365 Depth=3
	s_delay_alu instid0(SALU_CYCLE_1)
	s_or_b32 exec_lo, exec_lo, s74
.LBB6_26153:                            ;   in Loop: Header=BB6_22365 Depth=3
	s_delay_alu instid0(SALU_CYCLE_1) | instskip(NEXT) | instid1(VALU_DEP_1)
	s_or_b32 exec_lo, exec_lo, s73
	v_dual_add_f32 v4, v3, v1 :: v_dual_mov_b32 v47, v113
	v_mov_b32_e32 v3, v113
                                        ; implicit-def: $vgpr66
	s_mov_b32 s13, exec_lo
	s_delay_alu instid0(VALU_DEP_2) | instskip(SKIP_2) | instid1(VALU_DEP_3)
	v_and_b32_e32 v46, 0x7f800000, v4
	v_and_b32_e32 v2, 0x7fffff, v4
	v_lshrrev_b32_e32 v1, 24, v4
	v_cmpx_ne_u64_e32 0x7f800000, v[46:47]
	s_xor_b32 s73, exec_lo, s13
	s_cbranch_execz .LBB6_26167
; %bb.26154:                            ;   in Loop: Header=BB6_22365 Depth=3
	v_and_b32_e32 v46, 0x7fffffff, v4
	v_mov_b32_e32 v47, v113
	v_and_b32_e32 v1, 0x80, v1
                                        ; implicit-def: $vgpr66
	s_mov_b32 s13, exec_lo
	s_delay_alu instid0(VALU_DEP_2)
	v_cmpx_gt_u64_e32 0x47600001, v[46:47]
	s_xor_b32 s74, exec_lo, s13
	s_cbranch_execz .LBB6_26164
; %bb.26155:                            ;   in Loop: Header=BB6_22365 Depth=3
	v_mov_b32_e32 v66, 0
	s_mov_b32 s75, exec_lo
	v_cmpx_ne_u32_e32 0, v4
	s_cbranch_execz .LBB6_26163
; %bb.26156:                            ;   in Loop: Header=BB6_22365 Depth=3
	v_bfe_u32 v66, v4, 23, 8
	v_or_b32_e32 v5, 0x800000, v2
	s_delay_alu instid0(VALU_DEP_2) | instskip(SKIP_2) | instid1(VALU_DEP_2)
	v_cmp_gt_u32_e64 s13, 0x72, v66
	v_sub_nc_u32_e32 v4, 0x71, v66
	v_cmp_eq_u32_e32 vcc_lo, 0, v66
	v_dual_cndmask_b32 v4, 0, v4, s13 :: v_dual_cndmask_b32 v2, v5, v2, vcc_lo
	s_delay_alu instid0(VALU_DEP_1) | instskip(NEXT) | instid1(VALU_DEP_1)
	v_cndmask_b32_e64 v69, v4, 0x70, vcc_lo
	v_dual_add_nc_u32 v4, 21, v69 :: v_dual_add_nc_u32 v81, 20, v69
	s_delay_alu instid0(VALU_DEP_1) | instskip(NEXT) | instid1(VALU_DEP_2)
	v_lshlrev_b64_e64 v[4:5], v4, -1
	v_lshlrev_b64_e64 v[46:47], v81, 1
	s_delay_alu instid0(VALU_DEP_2) | instskip(SKIP_1) | instid1(VALU_DEP_4)
	v_bfi_b32 v4, v4, 0, v2
	v_lshrrev_b64 v[2:3], v69, v[2:3]
	v_bfi_b32 v5, v5, 0, 0
	s_delay_alu instid0(VALU_DEP_1) | instskip(NEXT) | instid1(VALU_DEP_3)
	v_cmp_eq_u64_e64 s13, v[4:5], v[46:47]
	v_mov_b64_e32 v[4:5], v[2:3]
	s_and_saveexec_b32 s76, s13
; %bb.26157:                            ;   in Loop: Header=BB6_22365 Depth=3
	v_bfe_u32 v4, v2, 21, 1
	v_mov_b32_e32 v5, v113
	s_delay_alu instid0(VALU_DEP_1) | instskip(NEXT) | instid1(VALU_DEP_1)
	v_add_nc_u64_e32 v[4:5], v[2:3], v[4:5]
	v_add_nc_u64_e32 v[4:5], -1, v[4:5]
; %bb.26158:                            ;   in Loop: Header=BB6_22365 Depth=3
	s_or_b32 exec_lo, exec_lo, s76
	v_add_nc_u32_e32 v3, 0xffffff81, v66
	v_lshrrev_b32_e32 v5, 23, v2
	s_mov_b32 s13, exec_lo
	s_delay_alu instid0(VALU_DEP_2) | instskip(NEXT) | instid1(VALU_DEP_1)
	v_cndmask_b32_e64 v3, v3, 0xffffff82, vcc_lo
	v_add3_u32 v66, v69, v3, v5
	v_and_b32_e32 v3, 0x1fffff, v4
                                        ; implicit-def: $vgpr4
	s_delay_alu instid0(VALU_DEP_2) | instskip(NEXT) | instid1(VALU_DEP_2)
	v_add_nc_u32_e32 v5, 14, v66
	v_dual_mov_b32 v3, v113 :: v_dual_add_nc_u32 v2, v3, v2
	s_delay_alu instid0(VALU_DEP_2)
	v_cmpx_ne_u32_e32 0, v5
	s_xor_b32 s13, exec_lo, s13
; %bb.26159:                            ;   in Loop: Header=BB6_22365 Depth=3
	s_delay_alu instid0(VALU_DEP_2) | instskip(SKIP_1) | instid1(VALU_DEP_1)
	v_cmp_lt_u64_e32 vcc_lo, 0xffffff, v[2:3]
	v_add_nc_u32_e32 v4, 15, v66
	v_cndmask_b32_e32 v4, v5, v4, vcc_lo
	v_cndmask_b32_e64 v5, 0, 1, vcc_lo
	s_delay_alu instid0(VALU_DEP_1)
	v_lshrrev_b64 v[2:3], v5, v[2:3]
; %bb.26160:                            ;   in Loop: Header=BB6_22365 Depth=3
	s_and_not1_saveexec_b32 s13, s13
; %bb.26161:                            ;   in Loop: Header=BB6_22365 Depth=3
	s_delay_alu instid0(VALU_DEP_1)
	v_bfe_u32 v4, v2, 23, 1
; %bb.26162:                            ;   in Loop: Header=BB6_22365 Depth=3
	s_or_b32 exec_lo, exec_lo, s13
	s_delay_alu instid0(VALU_DEP_2) | instskip(NEXT) | instid1(VALU_DEP_2)
	v_lshrrev_b64 v[2:3], 21, v[2:3]
	v_cmp_gt_i32_e32 vcc_lo, 32, v4
	v_min_i32_e32 v5, 31, v4
	v_cmp_eq_u32_e64 s13, 0, v4
	s_delay_alu instid0(VALU_DEP_2) | instskip(SKIP_1) | instid1(VALU_DEP_2)
	v_dual_cndmask_b32 v3, 0, v3, vcc_lo :: v_dual_lshlrev_b32 v5, 2, v5
	v_cndmask_b32_e32 v2, 3, v2, vcc_lo
	v_and_b32_e32 v5, 0xfc, v5
	s_delay_alu instid0(VALU_DEP_2) | instskip(NEXT) | instid1(VALU_DEP_2)
	v_cmp_eq_u64_e32 vcc_lo, 0, v[2:3]
	v_and_or_b32 v2, v2, 3, v5
	s_and_b32 s13, s13, vcc_lo
	s_delay_alu instid0(VALU_DEP_1) | instid1(SALU_CYCLE_1)
	v_cndmask_b32_e64 v2, v2, 0, s13
	s_delay_alu instid0(VALU_DEP_1)
	v_or_b32_e32 v66, v2, v1
.LBB6_26163:                            ;   in Loop: Header=BB6_22365 Depth=3
	s_or_b32 exec_lo, exec_lo, s75
                                        ; implicit-def: $vgpr1
.LBB6_26164:                            ;   in Loop: Header=BB6_22365 Depth=3
	s_and_not1_saveexec_b32 s13, s74
; %bb.26165:                            ;   in Loop: Header=BB6_22365 Depth=3
	v_or_b32_e32 v66, 0x7b, v1
; %bb.26166:                            ;   in Loop: Header=BB6_22365 Depth=3
	s_or_b32 exec_lo, exec_lo, s13
                                        ; implicit-def: $vgpr4
                                        ; implicit-def: $vgpr2_vgpr3
                                        ; implicit-def: $vgpr1
.LBB6_26167:                            ;   in Loop: Header=BB6_22365 Depth=3
	s_and_not1_saveexec_b32 s13, s73
	s_cbranch_execz .LBB6_26173
; %bb.26168:                            ;   in Loop: Header=BB6_22365 Depth=3
	s_mov_b32 s73, exec_lo
                                        ; implicit-def: $vgpr66
	v_cmpx_ne_u64_e32 0, v[2:3]
	s_xor_b32 s73, exec_lo, s73
; %bb.26169:                            ;   in Loop: Header=BB6_22365 Depth=3
	v_or_b32_e32 v66, 0x7f, v1
                                        ; implicit-def: $vgpr4
; %bb.26170:                            ;   in Loop: Header=BB6_22365 Depth=3
	s_and_not1_saveexec_b32 s73, s73
; %bb.26171:                            ;   in Loop: Header=BB6_22365 Depth=3
	v_cmp_lt_i32_e32 vcc_lo, -1, v4
	v_mov_b32_e32 v1, 0x7c
	s_delay_alu instid0(VALU_DEP_1)
	v_cndmask_b32_e32 v66, 0xfc, v1, vcc_lo
; %bb.26172:                            ;   in Loop: Header=BB6_22365 Depth=3
	s_or_b32 exec_lo, exec_lo, s73
.LBB6_26173:                            ;   in Loop: Header=BB6_22365 Depth=3
	s_delay_alu instid0(SALU_CYCLE_1)
	s_or_b32 exec_lo, exec_lo, s13
	v_dual_mov_b32 v3, 0 :: v_dual_mov_b32 v4, 0
	s_mov_b32 s73, exec_lo
	v_cmpx_lt_u32_e32 0xffffff, v0
	s_cbranch_execz .LBB6_26183
; %bb.26174:                            ;   in Loop: Header=BB6_22365 Depth=3
	v_lshrrev_b32_e32 v2, 24, v0
	v_bfrev_b32_e32 v4, 1
	s_mov_b32 s74, exec_lo
	s_delay_alu instid0(VALU_DEP_2)
	v_cmpx_ne_u32_e32 0x80, v2
	s_cbranch_execz .LBB6_26182
; %bb.26175:                            ;   in Loop: Header=BB6_22365 Depth=3
	v_and_b32_e32 v1, 0x7c000000, v0
	v_bfe_u32 v5, v0, 24, 2
	s_mov_b32 s13, exec_lo
                                        ; implicit-def: $vgpr4
	s_delay_alu instid0(VALU_DEP_2)
	v_cmpx_ne_u32_e32 0x7c000000, v1
	s_xor_b32 s13, exec_lo, s13
	s_cbranch_execz .LBB6_26179
; %bb.26176:                            ;   in Loop: Header=BB6_22365 Depth=3
	v_bfe_u32 v1, v0, 26, 5
	s_mov_b32 s75, exec_lo
	s_delay_alu instid0(VALU_DEP_1)
	v_cmpx_eq_u32_e32 0, v1
; %bb.26177:                            ;   in Loop: Header=BB6_22365 Depth=3
	v_clz_i32_u32_e32 v1, v5
	s_delay_alu instid0(VALU_DEP_1) | instskip(NEXT) | instid1(VALU_DEP_1)
	v_min_u32_e32 v1, 32, v1
	v_subrev_nc_u32_e32 v4, 29, v1
	s_delay_alu instid0(VALU_DEP_1) | instskip(NEXT) | instid1(VALU_DEP_1)
	v_lshlrev_b64_e32 v[4:5], v4, v[2:3]
	v_dual_sub_nc_u32 v1, 30, v1 :: v_dual_bitop2_b32 v5, 3, v4 bitop3:0x40
; %bb.26178:                            ;   in Loop: Header=BB6_22365 Depth=3
	s_or_b32 exec_lo, exec_lo, s75
	v_and_b32_e32 v0, 0x80000000, v0
	s_delay_alu instid0(VALU_DEP_1) | instskip(NEXT) | instid1(VALU_DEP_1)
	v_lshl_add_u32 v0, v1, 23, v0
	v_lshl_or_b32 v0, v5, 21, v0
                                        ; implicit-def: $vgpr5
	s_delay_alu instid0(VALU_DEP_1)
	v_add_nc_u32_e32 v4, 0x38000000, v0
                                        ; implicit-def: $vgpr0_vgpr1
.LBB6_26179:                            ;   in Loop: Header=BB6_22365 Depth=3
	s_and_not1_saveexec_b32 s75, s13
; %bb.26180:                            ;   in Loop: Header=BB6_22365 Depth=3
	v_cmp_lt_i32_e64 s13, -1, v0
	v_mov_b32_e32 v0, 0x7f800000
	v_cmp_eq_u32_e32 vcc_lo, 0, v5
	s_delay_alu instid0(VALU_DEP_2) | instskip(NEXT) | instid1(VALU_DEP_1)
	v_cndmask_b32_e64 v0, 0xff800000, v0, s13
	v_cndmask_b32_e32 v4, 0x7f800001, v0, vcc_lo
; %bb.26181:                            ;   in Loop: Header=BB6_22365 Depth=3
	s_or_b32 exec_lo, exec_lo, s75
.LBB6_26182:                            ;   in Loop: Header=BB6_22365 Depth=3
	s_delay_alu instid0(SALU_CYCLE_1)
	s_or_b32 exec_lo, exec_lo, s74
.LBB6_26183:                            ;   in Loop: Header=BB6_22365 Depth=3
	s_delay_alu instid0(SALU_CYCLE_1) | instskip(NEXT) | instid1(SALU_CYCLE_1)
	s_or_b32 exec_lo, exec_lo, s73
	s_mov_b32 s73, exec_lo
	v_cmpx_lt_u64_e64 s[22:23], v[14:15]
	s_cbranch_execz .LBB6_26193
; %bb.26184:                            ;   in Loop: Header=BB6_22365 Depth=3
	v_lshrrev_b32_e32 v0, 24, v15
	v_bfrev_b32_e32 v3, 1
	s_mov_b32 s74, exec_lo
	s_delay_alu instid0(VALU_DEP_2)
	v_cmpx_ne_u32_e32 0x80, v0
	s_cbranch_execz .LBB6_26192
; %bb.26185:                            ;   in Loop: Header=BB6_22365 Depth=3
	v_and_b32_e32 v2, 0x7c000000, v15
	v_bfe_u32 v1, v15, 24, 2
	s_mov_b32 s13, exec_lo
                                        ; implicit-def: $vgpr3
	s_delay_alu instid0(VALU_DEP_2)
	v_cmpx_ne_u32_e32 0x7c000000, v2
	s_xor_b32 s13, exec_lo, s13
	s_cbranch_execz .LBB6_26189
; %bb.26186:                            ;   in Loop: Header=BB6_22365 Depth=3
	v_bfe_u32 v2, v15, 26, 5
	s_mov_b32 s75, exec_lo
	s_delay_alu instid0(VALU_DEP_1)
	v_cmpx_eq_u32_e32 0, v2
; %bb.26187:                            ;   in Loop: Header=BB6_22365 Depth=3
	v_clz_i32_u32_e32 v1, v1
	s_delay_alu instid0(VALU_DEP_1) | instskip(NEXT) | instid1(VALU_DEP_1)
	v_min_u32_e32 v2, 32, v1
	v_subrev_nc_u32_e32 v1, 29, v2
	s_delay_alu instid0(VALU_DEP_1) | instskip(NEXT) | instid1(VALU_DEP_1)
	v_lshlrev_b64_e32 v[0:1], v1, v[0:1]
	v_dual_sub_nc_u32 v2, 30, v2 :: v_dual_bitop2_b32 v1, 3, v0 bitop3:0x40
; %bb.26188:                            ;   in Loop: Header=BB6_22365 Depth=3
	s_or_b32 exec_lo, exec_lo, s75
	v_and_b32_e32 v0, 0x80000000, v15
                                        ; implicit-def: $vgpr14_vgpr15
	s_delay_alu instid0(VALU_DEP_1) | instskip(NEXT) | instid1(VALU_DEP_1)
	v_lshl_add_u32 v0, v2, 23, v0
	v_lshl_or_b32 v0, v1, 21, v0
                                        ; implicit-def: $vgpr1
	s_delay_alu instid0(VALU_DEP_1)
	v_add_nc_u32_e32 v3, 0x38000000, v0
.LBB6_26189:                            ;   in Loop: Header=BB6_22365 Depth=3
	s_and_not1_saveexec_b32 s75, s13
; %bb.26190:                            ;   in Loop: Header=BB6_22365 Depth=3
	v_cmp_lt_i64_e64 s13, -1, v[14:15]
	v_mov_b32_e32 v0, 0x7f800000
	v_cmp_eq_u32_e32 vcc_lo, 0, v1
	s_delay_alu instid0(VALU_DEP_2) | instskip(NEXT) | instid1(VALU_DEP_1)
	v_cndmask_b32_e64 v0, 0xff800000, v0, s13
	v_cndmask_b32_e32 v3, 0x7f800001, v0, vcc_lo
; %bb.26191:                            ;   in Loop: Header=BB6_22365 Depth=3
	s_or_b32 exec_lo, exec_lo, s75
.LBB6_26192:                            ;   in Loop: Header=BB6_22365 Depth=3
	s_delay_alu instid0(SALU_CYCLE_1)
	s_or_b32 exec_lo, exec_lo, s74
.LBB6_26193:                            ;   in Loop: Header=BB6_22365 Depth=3
	s_delay_alu instid0(SALU_CYCLE_1) | instskip(NEXT) | instid1(VALU_DEP_1)
	s_or_b32 exec_lo, exec_lo, s73
	v_dual_add_f32 v2, v4, v3 :: v_dual_mov_b32 v5, v113
	v_mov_b32_e32 v1, v113
                                        ; implicit-def: $vgpr14
	s_mov_b32 s13, exec_lo
	s_delay_alu instid0(VALU_DEP_2) | instskip(SKIP_2) | instid1(VALU_DEP_3)
	v_and_b32_e32 v4, 0x7f800000, v2
	v_and_b32_e32 v0, 0x7fffff, v2
	v_lshrrev_b32_e32 v3, 24, v2
	v_cmpx_ne_u64_e32 0x7f800000, v[4:5]
	s_xor_b32 s73, exec_lo, s13
	s_cbranch_execz .LBB6_26207
; %bb.26194:                            ;   in Loop: Header=BB6_22365 Depth=3
	v_and_b32_e32 v4, 0x7fffffff, v2
	v_mov_b32_e32 v5, v113
                                        ; implicit-def: $vgpr14
	s_delay_alu instid0(VALU_DEP_1) | instskip(SKIP_2) | instid1(SALU_CYCLE_1)
	v_cmp_gt_u64_e32 vcc_lo, 0x47600001, v[4:5]
	v_and_b32_e32 v4, 0x80, v3
	s_and_saveexec_b32 s13, vcc_lo
	s_xor_b32 s74, exec_lo, s13
	s_cbranch_execz .LBB6_26204
; %bb.26195:                            ;   in Loop: Header=BB6_22365 Depth=3
	v_mov_b32_e32 v14, 0
	s_mov_b32 s75, exec_lo
	v_cmpx_ne_u32_e32 0, v2
	s_cbranch_execz .LBB6_26203
; %bb.26196:                            ;   in Loop: Header=BB6_22365 Depth=3
	v_bfe_u32 v5, v2, 23, 8
	v_or_b32_e32 v3, 0x800000, v0
	s_delay_alu instid0(VALU_DEP_2) | instskip(SKIP_2) | instid1(VALU_DEP_2)
	v_cmp_gt_u32_e64 s13, 0x72, v5
	v_sub_nc_u32_e32 v2, 0x71, v5
	v_cmp_eq_u32_e32 vcc_lo, 0, v5
	v_dual_cndmask_b32 v2, 0, v2, s13 :: v_dual_cndmask_b32 v0, v3, v0, vcc_lo
	s_delay_alu instid0(VALU_DEP_1) | instskip(NEXT) | instid1(VALU_DEP_1)
	v_cndmask_b32_e64 v14, v2, 0x70, vcc_lo
	v_dual_add_nc_u32 v2, 21, v14 :: v_dual_add_nc_u32 v15, 20, v14
	s_delay_alu instid0(VALU_DEP_1) | instskip(NEXT) | instid1(VALU_DEP_2)
	v_lshlrev_b64_e64 v[2:3], v2, -1
	v_lshlrev_b64_e64 v[46:47], v15, 1
	s_delay_alu instid0(VALU_DEP_2) | instskip(SKIP_1) | instid1(VALU_DEP_4)
	v_bfi_b32 v2, v2, 0, v0
	v_lshrrev_b64 v[0:1], v14, v[0:1]
	v_bfi_b32 v3, v3, 0, 0
	s_delay_alu instid0(VALU_DEP_1) | instskip(NEXT) | instid1(VALU_DEP_3)
	v_cmp_eq_u64_e64 s13, v[2:3], v[46:47]
	v_mov_b64_e32 v[2:3], v[0:1]
	s_and_saveexec_b32 s76, s13
; %bb.26197:                            ;   in Loop: Header=BB6_22365 Depth=3
	v_bfe_u32 v2, v0, 21, 1
	v_mov_b32_e32 v3, v113
	s_delay_alu instid0(VALU_DEP_1) | instskip(NEXT) | instid1(VALU_DEP_1)
	v_add_nc_u64_e32 v[2:3], v[0:1], v[2:3]
	v_add_nc_u64_e32 v[2:3], -1, v[2:3]
; %bb.26198:                            ;   in Loop: Header=BB6_22365 Depth=3
	s_or_b32 exec_lo, exec_lo, s76
	v_add_nc_u32_e32 v1, 0xffffff81, v5
	v_lshrrev_b32_e32 v3, 23, v0
	s_mov_b32 s13, exec_lo
	s_delay_alu instid0(VALU_DEP_2) | instskip(NEXT) | instid1(VALU_DEP_1)
	v_cndmask_b32_e64 v1, v1, 0xffffff82, vcc_lo
	v_add3_u32 v5, v14, v1, v3
	v_and_b32_e32 v1, 0x1fffff, v2
                                        ; implicit-def: $vgpr2
	s_delay_alu instid0(VALU_DEP_1) | instskip(SKIP_1) | instid1(VALU_DEP_2)
	v_dual_add_nc_u32 v3, 14, v5 :: v_dual_add_nc_u32 v0, v1, v0
	v_mov_b32_e32 v1, v113
	v_cmpx_ne_u32_e32 0, v3
	s_xor_b32 s13, exec_lo, s13
; %bb.26199:                            ;   in Loop: Header=BB6_22365 Depth=3
	s_delay_alu instid0(VALU_DEP_2) | instskip(SKIP_1) | instid1(VALU_DEP_1)
	v_cmp_lt_u64_e32 vcc_lo, 0xffffff, v[0:1]
	v_add_nc_u32_e32 v2, 15, v5
	v_cndmask_b32_e32 v2, v3, v2, vcc_lo
	v_cndmask_b32_e64 v3, 0, 1, vcc_lo
	s_delay_alu instid0(VALU_DEP_1)
	v_lshrrev_b64 v[0:1], v3, v[0:1]
; %bb.26200:                            ;   in Loop: Header=BB6_22365 Depth=3
	s_and_not1_saveexec_b32 s13, s13
; %bb.26201:                            ;   in Loop: Header=BB6_22365 Depth=3
	s_delay_alu instid0(VALU_DEP_1)
	v_bfe_u32 v2, v0, 23, 1
; %bb.26202:                            ;   in Loop: Header=BB6_22365 Depth=3
	s_or_b32 exec_lo, exec_lo, s13
	s_delay_alu instid0(VALU_DEP_2) | instskip(NEXT) | instid1(VALU_DEP_2)
	v_lshrrev_b64 v[0:1], 21, v[0:1]
	v_cmp_gt_i32_e32 vcc_lo, 32, v2
	v_min_i32_e32 v3, 31, v2
	v_cmp_eq_u32_e64 s13, 0, v2
	s_delay_alu instid0(VALU_DEP_2) | instskip(SKIP_1) | instid1(VALU_DEP_2)
	v_dual_cndmask_b32 v1, 0, v1, vcc_lo :: v_dual_lshlrev_b32 v3, 2, v3
	v_cndmask_b32_e32 v0, 3, v0, vcc_lo
	v_and_b32_e32 v3, 0xfc, v3
	s_delay_alu instid0(VALU_DEP_2) | instskip(NEXT) | instid1(VALU_DEP_2)
	v_cmp_eq_u64_e32 vcc_lo, 0, v[0:1]
	v_and_or_b32 v0, v0, 3, v3
	s_and_b32 s13, s13, vcc_lo
	s_delay_alu instid0(VALU_DEP_1) | instid1(SALU_CYCLE_1)
	v_cndmask_b32_e64 v0, v0, 0, s13
	s_delay_alu instid0(VALU_DEP_1)
	v_or_b32_e32 v14, v0, v4
.LBB6_26203:                            ;   in Loop: Header=BB6_22365 Depth=3
	s_or_b32 exec_lo, exec_lo, s75
                                        ; implicit-def: $vgpr4
.LBB6_26204:                            ;   in Loop: Header=BB6_22365 Depth=3
	s_and_not1_saveexec_b32 s13, s74
; %bb.26205:                            ;   in Loop: Header=BB6_22365 Depth=3
	v_or_b32_e32 v14, 0x7b, v4
; %bb.26206:                            ;   in Loop: Header=BB6_22365 Depth=3
	s_or_b32 exec_lo, exec_lo, s13
                                        ; implicit-def: $vgpr2
                                        ; implicit-def: $vgpr0_vgpr1
                                        ; implicit-def: $vgpr3
.LBB6_26207:                            ;   in Loop: Header=BB6_22365 Depth=3
	s_and_not1_saveexec_b32 s13, s73
	s_cbranch_execz .LBB6_26213
; %bb.26208:                            ;   in Loop: Header=BB6_22365 Depth=3
	s_mov_b32 s73, exec_lo
                                        ; implicit-def: $vgpr14
	v_cmpx_ne_u64_e32 0, v[0:1]
	s_xor_b32 s73, exec_lo, s73
; %bb.26209:                            ;   in Loop: Header=BB6_22365 Depth=3
	v_or_b32_e32 v14, 0x7f, v3
                                        ; implicit-def: $vgpr2
; %bb.26210:                            ;   in Loop: Header=BB6_22365 Depth=3
	s_and_not1_saveexec_b32 s73, s73
; %bb.26211:                            ;   in Loop: Header=BB6_22365 Depth=3
	v_cmp_lt_i32_e32 vcc_lo, -1, v2
	v_mov_b32_e32 v0, 0x7c
	s_delay_alu instid0(VALU_DEP_1)
	v_cndmask_b32_e32 v14, 0xfc, v0, vcc_lo
; %bb.26212:                            ;   in Loop: Header=BB6_22365 Depth=3
	s_or_b32 exec_lo, exec_lo, s73
.LBB6_26213:                            ;   in Loop: Header=BB6_22365 Depth=3
	s_delay_alu instid0(SALU_CYCLE_1) | instskip(SKIP_4) | instid1(VALU_DEP_2)
	s_or_b32 exec_lo, exec_lo, s13
	v_lshl_or_b32 v49, v49, 8, v35
	v_dual_lshlrev_b32 v0, 16, v53 :: v_dual_lshlrev_b32 v2, 24, v64
	v_dual_mov_b32 v1, v113 :: v_dual_mov_b32 v3, 0
	s_mov_b32 s73, exec_lo
	v_or3_b32 v0, v0, v2, v49
	v_mov_b32_e32 v2, 0
	v_cmpx_ne_u32_e32 0, v35
	s_cbranch_execz .LBB6_26223
; %bb.26214:                            ;   in Loop: Header=BB6_22365 Depth=3
	v_bfrev_b32_e32 v3, 1
	s_mov_b32 s74, exec_lo
	v_cmpx_ne_u32_e32 0x80, v35
	s_cbranch_execz .LBB6_26222
; %bb.26215:                            ;   in Loop: Header=BB6_22365 Depth=3
	v_and_b32_e32 v3, 0x7c, v35
	v_and_b32_e32 v4, 3, v35
	s_delay_alu instid0(VALU_DEP_2) | instskip(SKIP_1) | instid1(SALU_CYCLE_1)
	v_cmp_ne_u32_e32 vcc_lo, 0x7c, v3
                                        ; implicit-def: $vgpr3
	s_and_saveexec_b32 s13, vcc_lo
	s_xor_b32 s13, exec_lo, s13
	s_cbranch_execz .LBB6_26219
; %bb.26216:                            ;   in Loop: Header=BB6_22365 Depth=3
	v_bfe_u32 v3, v35, 2, 5
	s_mov_b32 s75, exec_lo
	s_delay_alu instid0(VALU_DEP_1)
	v_cmpx_eq_u32_e32 0, v3
; %bb.26217:                            ;   in Loop: Header=BB6_22365 Depth=3
	v_clz_i32_u32_e32 v3, v4
	s_delay_alu instid0(VALU_DEP_1) | instskip(NEXT) | instid1(VALU_DEP_1)
	v_min_u32_e32 v3, 32, v3
	v_subrev_nc_u32_e32 v4, 29, v3
	s_delay_alu instid0(VALU_DEP_1) | instskip(NEXT) | instid1(VALU_DEP_1)
	v_lshlrev_b64_e32 v[4:5], v4, v[0:1]
	v_dual_sub_nc_u32 v3, 30, v3 :: v_dual_bitop2_b32 v4, 3, v4 bitop3:0x40
; %bb.26218:                            ;   in Loop: Header=BB6_22365 Depth=3
	s_or_b32 exec_lo, exec_lo, s75
	v_lshlrev_b32_e32 v1, 24, v35
                                        ; implicit-def: $vgpr35
	s_delay_alu instid0(VALU_DEP_1) | instskip(NEXT) | instid1(VALU_DEP_1)
	v_and_b32_e32 v1, 0x80000000, v1
	v_lshl_add_u32 v1, v3, 23, v1
	s_delay_alu instid0(VALU_DEP_1) | instskip(NEXT) | instid1(VALU_DEP_1)
	v_lshl_or_b32 v1, v4, 21, v1
                                        ; implicit-def: $vgpr4
	v_add_nc_u32_e32 v3, 0x38000000, v1
.LBB6_26219:                            ;   in Loop: Header=BB6_22365 Depth=3
	s_and_not1_saveexec_b32 s75, s13
; %bb.26220:                            ;   in Loop: Header=BB6_22365 Depth=3
	v_and_b32_e32 v1, 0x80, v35
	v_cmp_eq_u32_e32 vcc_lo, 0, v4
	s_delay_alu instid0(VALU_DEP_2) | instskip(SKIP_1) | instid1(VALU_DEP_1)
	v_cmp_eq_u32_e64 s13, 0, v1
	v_mov_b32_e32 v1, 0x7f800000
	v_cndmask_b32_e64 v1, 0xff800000, v1, s13
	s_delay_alu instid0(VALU_DEP_1)
	v_cndmask_b32_e32 v3, 0x7f800001, v1, vcc_lo
; %bb.26221:                            ;   in Loop: Header=BB6_22365 Depth=3
	s_or_b32 exec_lo, exec_lo, s75
.LBB6_26222:                            ;   in Loop: Header=BB6_22365 Depth=3
	s_delay_alu instid0(SALU_CYCLE_1)
	s_or_b32 exec_lo, exec_lo, s74
.LBB6_26223:                            ;   in Loop: Header=BB6_22365 Depth=3
	s_delay_alu instid0(SALU_CYCLE_1) | instskip(SKIP_3) | instid1(VALU_DEP_1)
	s_or_b32 exec_lo, exec_lo, s73
	s_wait_loadcnt 0x0
	v_and_b32_e32 v1, 0xff, v8
	s_mov_b32 s73, exec_lo
	v_cmpx_ne_u16_e32 0, v1
	s_cbranch_execz .LBB6_26233
; %bb.26224:                            ;   in Loop: Header=BB6_22365 Depth=3
	v_bfe_i32 v4, v8, 0, 8
	v_bfrev_b32_e32 v2, 1
	s_mov_b32 s74, exec_lo
	s_delay_alu instid0(VALU_DEP_2)
	v_cmpx_ne_u16_e32 0xff80, v4
	s_cbranch_execz .LBB6_26232
; %bb.26225:                            ;   in Loop: Header=BB6_22365 Depth=3
	v_and_b32_e32 v2, 0x7c, v8
	v_and_b32_e32 v1, 3, v8
	s_delay_alu instid0(VALU_DEP_2) | instskip(SKIP_1) | instid1(SALU_CYCLE_1)
	v_cmp_ne_u32_e32 vcc_lo, 0x7c, v2
                                        ; implicit-def: $vgpr2
	s_and_saveexec_b32 s13, vcc_lo
	s_xor_b32 s13, exec_lo, s13
	s_cbranch_execz .LBB6_26229
; %bb.26226:                            ;   in Loop: Header=BB6_22365 Depth=3
	v_bfe_u32 v2, v8, 2, 5
	s_mov_b32 s75, exec_lo
	s_delay_alu instid0(VALU_DEP_1)
	v_cmpx_eq_u32_e32 0, v2
; %bb.26227:                            ;   in Loop: Header=BB6_22365 Depth=3
	v_clz_i32_u32_e32 v1, v1
	s_delay_alu instid0(VALU_DEP_1) | instskip(NEXT) | instid1(VALU_DEP_1)
	v_min_u32_e32 v1, 32, v1
	v_subrev_nc_u32_e32 v2, 29, v1
	s_delay_alu instid0(VALU_DEP_1) | instskip(NEXT) | instid1(VALU_DEP_1)
	v_lshlrev_b64_e32 v[4:5], v2, v[8:9]
	v_dual_sub_nc_u32 v2, 30, v1 :: v_dual_bitop2_b32 v1, 3, v4 bitop3:0x40
; %bb.26228:                            ;   in Loop: Header=BB6_22365 Depth=3
	s_or_b32 exec_lo, exec_lo, s75
	v_lshlrev_b32_e32 v4, 24, v8
	s_delay_alu instid0(VALU_DEP_1) | instskip(NEXT) | instid1(VALU_DEP_1)
	v_and_b32_e32 v4, 0x80000000, v4
	v_lshl_add_u32 v2, v2, 23, v4
                                        ; implicit-def: $vgpr4
	s_delay_alu instid0(VALU_DEP_1) | instskip(NEXT) | instid1(VALU_DEP_1)
	v_lshl_or_b32 v1, v1, 21, v2
	v_add_nc_u32_e32 v2, 0x38000000, v1
                                        ; implicit-def: $vgpr1
.LBB6_26229:                            ;   in Loop: Header=BB6_22365 Depth=3
	s_and_not1_saveexec_b32 s75, s13
; %bb.26230:                            ;   in Loop: Header=BB6_22365 Depth=3
	v_cmp_eq_u32_e32 vcc_lo, 0, v1
	v_cmp_lt_i16_e64 s13, -1, v4
	v_mov_b32_e32 v1, 0x7f800000
	s_delay_alu instid0(VALU_DEP_1) | instskip(NEXT) | instid1(VALU_DEP_1)
	v_cndmask_b32_e64 v1, 0xff800000, v1, s13
	v_cndmask_b32_e32 v2, 0x7f800001, v1, vcc_lo
; %bb.26231:                            ;   in Loop: Header=BB6_22365 Depth=3
	s_or_b32 exec_lo, exec_lo, s75
.LBB6_26232:                            ;   in Loop: Header=BB6_22365 Depth=3
	s_delay_alu instid0(SALU_CYCLE_1)
	s_or_b32 exec_lo, exec_lo, s74
.LBB6_26233:                            ;   in Loop: Header=BB6_22365 Depth=3
	s_delay_alu instid0(SALU_CYCLE_1) | instskip(NEXT) | instid1(VALU_DEP_1)
	s_or_b32 exec_lo, exec_lo, s73
	v_dual_add_f32 v4, v3, v2 :: v_dual_mov_b32 v47, v113
	v_mov_b32_e32 v3, v113
                                        ; implicit-def: $vgpr15
	s_mov_b32 s13, exec_lo
	s_delay_alu instid0(VALU_DEP_2) | instskip(SKIP_2) | instid1(VALU_DEP_3)
	v_and_b32_e32 v46, 0x7f800000, v4
	v_and_b32_e32 v2, 0x7fffff, v4
	v_lshrrev_b32_e32 v1, 24, v4
	v_cmpx_ne_u64_e32 0x7f800000, v[46:47]
	s_xor_b32 s73, exec_lo, s13
	s_cbranch_execz .LBB6_26247
; %bb.26234:                            ;   in Loop: Header=BB6_22365 Depth=3
	v_and_b32_e32 v46, 0x7fffffff, v4
	v_mov_b32_e32 v47, v113
	v_and_b32_e32 v1, 0x80, v1
                                        ; implicit-def: $vgpr15
	s_mov_b32 s13, exec_lo
	s_delay_alu instid0(VALU_DEP_2)
	v_cmpx_gt_u64_e32 0x47600001, v[46:47]
	s_xor_b32 s74, exec_lo, s13
	s_cbranch_execz .LBB6_26244
; %bb.26235:                            ;   in Loop: Header=BB6_22365 Depth=3
	v_mov_b32_e32 v15, 0
	s_mov_b32 s75, exec_lo
	v_cmpx_ne_u32_e32 0, v4
	s_cbranch_execz .LBB6_26243
; %bb.26236:                            ;   in Loop: Header=BB6_22365 Depth=3
	v_bfe_u32 v15, v4, 23, 8
	v_or_b32_e32 v5, 0x800000, v2
	s_delay_alu instid0(VALU_DEP_2) | instskip(SKIP_2) | instid1(VALU_DEP_2)
	v_cmp_gt_u32_e64 s13, 0x72, v15
	v_sub_nc_u32_e32 v4, 0x71, v15
	v_cmp_eq_u32_e32 vcc_lo, 0, v15
	v_dual_cndmask_b32 v4, 0, v4, s13 :: v_dual_cndmask_b32 v2, v5, v2, vcc_lo
	s_delay_alu instid0(VALU_DEP_1) | instskip(NEXT) | instid1(VALU_DEP_1)
	v_cndmask_b32_e64 v35, v4, 0x70, vcc_lo
	v_dual_add_nc_u32 v4, 21, v35 :: v_dual_add_nc_u32 v53, 20, v35
	s_delay_alu instid0(VALU_DEP_1) | instskip(NEXT) | instid1(VALU_DEP_2)
	v_lshlrev_b64_e64 v[4:5], v4, -1
	v_lshlrev_b64_e64 v[46:47], v53, 1
	s_delay_alu instid0(VALU_DEP_2) | instskip(SKIP_1) | instid1(VALU_DEP_4)
	v_bfi_b32 v4, v4, 0, v2
	v_lshrrev_b64 v[2:3], v35, v[2:3]
	v_bfi_b32 v5, v5, 0, 0
	s_delay_alu instid0(VALU_DEP_1) | instskip(NEXT) | instid1(VALU_DEP_3)
	v_cmp_eq_u64_e64 s13, v[4:5], v[46:47]
	v_mov_b64_e32 v[4:5], v[2:3]
	s_and_saveexec_b32 s76, s13
; %bb.26237:                            ;   in Loop: Header=BB6_22365 Depth=3
	v_bfe_u32 v4, v2, 21, 1
	v_mov_b32_e32 v5, v113
	s_delay_alu instid0(VALU_DEP_1) | instskip(NEXT) | instid1(VALU_DEP_1)
	v_add_nc_u64_e32 v[4:5], v[2:3], v[4:5]
	v_add_nc_u64_e32 v[4:5], -1, v[4:5]
; %bb.26238:                            ;   in Loop: Header=BB6_22365 Depth=3
	s_or_b32 exec_lo, exec_lo, s76
	v_add_nc_u32_e32 v3, 0xffffff81, v15
	v_lshrrev_b32_e32 v5, 23, v2
	s_mov_b32 s13, exec_lo
	s_delay_alu instid0(VALU_DEP_2) | instskip(NEXT) | instid1(VALU_DEP_1)
	v_cndmask_b32_e64 v3, v3, 0xffffff82, vcc_lo
	v_add3_u32 v15, v35, v3, v5
	v_and_b32_e32 v3, 0x1fffff, v4
                                        ; implicit-def: $vgpr4
	s_delay_alu instid0(VALU_DEP_1) | instskip(SKIP_1) | instid1(VALU_DEP_2)
	v_dual_add_nc_u32 v5, 14, v15 :: v_dual_add_nc_u32 v2, v3, v2
	v_mov_b32_e32 v3, v113
	v_cmpx_ne_u32_e32 0, v5
	s_xor_b32 s13, exec_lo, s13
; %bb.26239:                            ;   in Loop: Header=BB6_22365 Depth=3
	s_delay_alu instid0(VALU_DEP_2) | instskip(SKIP_1) | instid1(VALU_DEP_1)
	v_cmp_lt_u64_e32 vcc_lo, 0xffffff, v[2:3]
	v_add_nc_u32_e32 v4, 15, v15
	v_cndmask_b32_e32 v4, v5, v4, vcc_lo
	v_cndmask_b32_e64 v5, 0, 1, vcc_lo
	s_delay_alu instid0(VALU_DEP_1)
	v_lshrrev_b64 v[2:3], v5, v[2:3]
; %bb.26240:                            ;   in Loop: Header=BB6_22365 Depth=3
	s_and_not1_saveexec_b32 s13, s13
; %bb.26241:                            ;   in Loop: Header=BB6_22365 Depth=3
	s_delay_alu instid0(VALU_DEP_1)
	v_bfe_u32 v4, v2, 23, 1
; %bb.26242:                            ;   in Loop: Header=BB6_22365 Depth=3
	s_or_b32 exec_lo, exec_lo, s13
	s_delay_alu instid0(VALU_DEP_2) | instskip(NEXT) | instid1(VALU_DEP_2)
	v_lshrrev_b64 v[2:3], 21, v[2:3]
	v_cmp_gt_i32_e32 vcc_lo, 32, v4
	v_min_i32_e32 v5, 31, v4
	v_cmp_eq_u32_e64 s13, 0, v4
	s_delay_alu instid0(VALU_DEP_2) | instskip(SKIP_1) | instid1(VALU_DEP_2)
	v_dual_cndmask_b32 v3, 0, v3, vcc_lo :: v_dual_lshlrev_b32 v5, 2, v5
	v_cndmask_b32_e32 v2, 3, v2, vcc_lo
	v_and_b32_e32 v5, 0xfc, v5
	s_delay_alu instid0(VALU_DEP_2) | instskip(NEXT) | instid1(VALU_DEP_2)
	v_cmp_eq_u64_e32 vcc_lo, 0, v[2:3]
	v_and_or_b32 v2, v2, 3, v5
	s_and_b32 s13, s13, vcc_lo
	s_delay_alu instid0(VALU_DEP_1) | instid1(SALU_CYCLE_1)
	v_cndmask_b32_e64 v2, v2, 0, s13
	s_delay_alu instid0(VALU_DEP_1)
	v_or_b32_e32 v15, v2, v1
.LBB6_26243:                            ;   in Loop: Header=BB6_22365 Depth=3
	s_or_b32 exec_lo, exec_lo, s75
                                        ; implicit-def: $vgpr1
.LBB6_26244:                            ;   in Loop: Header=BB6_22365 Depth=3
	s_and_not1_saveexec_b32 s13, s74
; %bb.26245:                            ;   in Loop: Header=BB6_22365 Depth=3
	v_or_b32_e32 v15, 0x7b, v1
; %bb.26246:                            ;   in Loop: Header=BB6_22365 Depth=3
	s_or_b32 exec_lo, exec_lo, s13
                                        ; implicit-def: $vgpr4
                                        ; implicit-def: $vgpr2_vgpr3
                                        ; implicit-def: $vgpr1
.LBB6_26247:                            ;   in Loop: Header=BB6_22365 Depth=3
	s_and_not1_saveexec_b32 s13, s73
	s_cbranch_execz .LBB6_26253
; %bb.26248:                            ;   in Loop: Header=BB6_22365 Depth=3
	s_mov_b32 s73, exec_lo
                                        ; implicit-def: $vgpr15
	v_cmpx_ne_u64_e32 0, v[2:3]
	s_xor_b32 s73, exec_lo, s73
; %bb.26249:                            ;   in Loop: Header=BB6_22365 Depth=3
	v_or_b32_e32 v15, 0x7f, v1
                                        ; implicit-def: $vgpr4
; %bb.26250:                            ;   in Loop: Header=BB6_22365 Depth=3
	s_and_not1_saveexec_b32 s73, s73
; %bb.26251:                            ;   in Loop: Header=BB6_22365 Depth=3
	v_cmp_lt_i32_e32 vcc_lo, -1, v4
	v_mov_b32_e32 v1, 0x7c
	s_delay_alu instid0(VALU_DEP_1)
	v_cndmask_b32_e32 v15, 0xfc, v1, vcc_lo
; %bb.26252:                            ;   in Loop: Header=BB6_22365 Depth=3
	s_or_b32 exec_lo, exec_lo, s73
.LBB6_26253:                            ;   in Loop: Header=BB6_22365 Depth=3
	s_delay_alu instid0(SALU_CYCLE_1) | instskip(SKIP_3) | instid1(VALU_DEP_2)
	s_or_b32 exec_lo, exec_lo, s13
	v_lshrrev_b16 v2, 8, v49
	v_dual_mov_b32 v1, 0 :: v_dual_mov_b32 v4, 0
	s_mov_b32 s73, exec_lo
	v_cmpx_ne_u16_e32 0, v2
	s_cbranch_execz .LBB6_26263
; %bb.26254:                            ;   in Loop: Header=BB6_22365 Depth=3
	v_bfrev_b32_e32 v4, 1
	s_mov_b32 s74, exec_lo
	v_cmpx_ne_u16_e32 0x80, v2
	s_cbranch_execz .LBB6_26262
; %bb.26255:                            ;   in Loop: Header=BB6_22365 Depth=3
	v_and_b32_e32 v5, 0xffff, v2
	s_delay_alu instid0(VALU_DEP_1) | instskip(SKIP_1) | instid1(VALU_DEP_2)
	v_and_b32_e32 v4, 0x7c, v5
	v_and_b32_e32 v3, 3, v5
	v_cmp_ne_u32_e32 vcc_lo, 0x7c, v4
                                        ; implicit-def: $vgpr4
	s_and_saveexec_b32 s13, vcc_lo
	s_delay_alu instid0(SALU_CYCLE_1)
	s_xor_b32 s13, exec_lo, s13
	s_cbranch_execz .LBB6_26259
; %bb.26256:                            ;   in Loop: Header=BB6_22365 Depth=3
	v_bfe_u32 v4, v5, 2, 5
	s_mov_b32 s75, exec_lo
	s_delay_alu instid0(VALU_DEP_1)
	v_cmpx_eq_u32_e32 0, v4
	s_cbranch_execz .LBB6_26258
; %bb.26257:                            ;   in Loop: Header=BB6_22365 Depth=3
	v_clz_i32_u32_e32 v3, v3
	s_delay_alu instid0(VALU_DEP_1) | instskip(SKIP_1) | instid1(VALU_DEP_2)
	v_min_u32_e32 v4, 32, v3
	v_mov_b32_e32 v3, v113
	v_subrev_nc_u32_e32 v5, 29, v4
	v_sub_nc_u32_e32 v4, 30, v4
	s_delay_alu instid0(VALU_DEP_2) | instskip(NEXT) | instid1(VALU_DEP_1)
	v_lshlrev_b64_e32 v[2:3], v5, v[2:3]
	v_and_b32_e32 v3, 3, v2
.LBB6_26258:                            ;   in Loop: Header=BB6_22365 Depth=3
	s_or_b32 exec_lo, exec_lo, s75
	v_lshlrev_b32_e32 v2, 16, v49
                                        ; implicit-def: $vgpr49
	s_delay_alu instid0(VALU_DEP_1) | instskip(NEXT) | instid1(VALU_DEP_1)
	v_and_b32_e32 v2, 0x80000000, v2
	v_lshl_add_u32 v2, v4, 23, v2
	s_delay_alu instid0(VALU_DEP_1) | instskip(NEXT) | instid1(VALU_DEP_1)
	v_lshl_or_b32 v2, v3, 21, v2
                                        ; implicit-def: $vgpr3
	v_add_nc_u32_e32 v4, 0x38000000, v2
.LBB6_26259:                            ;   in Loop: Header=BB6_22365 Depth=3
	s_and_not1_saveexec_b32 s75, s13
; %bb.26260:                            ;   in Loop: Header=BB6_22365 Depth=3
	v_cmp_lt_i16_e64 s13, -1, v49
	v_mov_b32_e32 v2, 0x7f800000
	v_cmp_eq_u32_e32 vcc_lo, 0, v3
	s_delay_alu instid0(VALU_DEP_2) | instskip(NEXT) | instid1(VALU_DEP_1)
	v_cndmask_b32_e64 v2, 0xff800000, v2, s13
	v_cndmask_b32_e32 v4, 0x7f800001, v2, vcc_lo
; %bb.26261:                            ;   in Loop: Header=BB6_22365 Depth=3
	s_or_b32 exec_lo, exec_lo, s75
.LBB6_26262:                            ;   in Loop: Header=BB6_22365 Depth=3
	s_delay_alu instid0(SALU_CYCLE_1)
	s_or_b32 exec_lo, exec_lo, s74
.LBB6_26263:                            ;   in Loop: Header=BB6_22365 Depth=3
	s_delay_alu instid0(SALU_CYCLE_1) | instskip(SKIP_2) | instid1(VALU_DEP_1)
	s_or_b32 exec_lo, exec_lo, s73
	v_lshrrev_b16 v2, 8, v8
	s_mov_b32 s73, exec_lo
	v_cmpx_ne_u16_e32 0, v2
	s_cbranch_execz .LBB6_26273
; %bb.26264:                            ;   in Loop: Header=BB6_22365 Depth=3
	v_bfrev_b32_e32 v1, 1
	s_mov_b32 s74, exec_lo
	v_cmpx_ne_u16_e32 0x80, v2
	s_cbranch_execz .LBB6_26272
; %bb.26265:                            ;   in Loop: Header=BB6_22365 Depth=3
	v_and_b32_e32 v5, 0xffff, v2
	s_delay_alu instid0(VALU_DEP_1) | instskip(SKIP_1) | instid1(VALU_DEP_2)
	v_and_b32_e32 v1, 0x7c, v5
	v_and_b32_e32 v3, 3, v5
	v_cmp_ne_u32_e32 vcc_lo, 0x7c, v1
                                        ; implicit-def: $vgpr1
	s_and_saveexec_b32 s13, vcc_lo
	s_delay_alu instid0(SALU_CYCLE_1)
	s_xor_b32 s13, exec_lo, s13
	s_cbranch_execz .LBB6_26269
; %bb.26266:                            ;   in Loop: Header=BB6_22365 Depth=3
	v_bfe_u32 v1, v5, 2, 5
	s_mov_b32 s75, exec_lo
	s_delay_alu instid0(VALU_DEP_1)
	v_cmpx_eq_u32_e32 0, v1
	s_cbranch_execz .LBB6_26268
; %bb.26267:                            ;   in Loop: Header=BB6_22365 Depth=3
	v_clz_i32_u32_e32 v1, v3
	s_delay_alu instid0(VALU_DEP_1) | instskip(SKIP_1) | instid1(VALU_DEP_2)
	v_min_u32_e32 v1, 32, v1
	v_mov_b32_e32 v3, v113
	v_subrev_nc_u32_e32 v5, 29, v1
	v_sub_nc_u32_e32 v1, 30, v1
	s_delay_alu instid0(VALU_DEP_2) | instskip(NEXT) | instid1(VALU_DEP_1)
	v_lshlrev_b64_e32 v[2:3], v5, v[2:3]
	v_and_b32_e32 v3, 3, v2
.LBB6_26268:                            ;   in Loop: Header=BB6_22365 Depth=3
	s_or_b32 exec_lo, exec_lo, s75
	v_lshlrev_b32_e32 v2, 16, v8
	s_delay_alu instid0(VALU_DEP_1) | instskip(NEXT) | instid1(VALU_DEP_1)
	v_and_b32_e32 v2, 0x80000000, v2
	v_lshl_add_u32 v1, v1, 23, v2
	s_delay_alu instid0(VALU_DEP_1) | instskip(NEXT) | instid1(VALU_DEP_1)
	v_lshl_or_b32 v1, v3, 21, v1
                                        ; implicit-def: $vgpr3
	v_add_nc_u32_e32 v1, 0x38000000, v1
.LBB6_26269:                            ;   in Loop: Header=BB6_22365 Depth=3
	s_and_not1_saveexec_b32 s75, s13
; %bb.26270:                            ;   in Loop: Header=BB6_22365 Depth=3
	v_cmp_lt_i16_e64 s13, -1, v8
	v_mov_b32_e32 v1, 0x7f800000
	v_cmp_eq_u32_e32 vcc_lo, 0, v3
	s_delay_alu instid0(VALU_DEP_2) | instskip(NEXT) | instid1(VALU_DEP_1)
	v_cndmask_b32_e64 v1, 0xff800000, v1, s13
	v_cndmask_b32_e32 v1, 0x7f800001, v1, vcc_lo
; %bb.26271:                            ;   in Loop: Header=BB6_22365 Depth=3
	s_or_b32 exec_lo, exec_lo, s75
.LBB6_26272:                            ;   in Loop: Header=BB6_22365 Depth=3
	s_delay_alu instid0(SALU_CYCLE_1)
	s_or_b32 exec_lo, exec_lo, s74
.LBB6_26273:                            ;   in Loop: Header=BB6_22365 Depth=3
	s_delay_alu instid0(SALU_CYCLE_1) | instskip(NEXT) | instid1(VALU_DEP_1)
	s_or_b32 exec_lo, exec_lo, s73
	v_dual_add_f32 v4, v4, v1 :: v_dual_mov_b32 v47, v113
	v_mov_b32_e32 v3, v113
                                        ; implicit-def: $vgpr35
	s_mov_b32 s13, exec_lo
	s_delay_alu instid0(VALU_DEP_2) | instskip(SKIP_2) | instid1(VALU_DEP_3)
	v_and_b32_e32 v46, 0x7f800000, v4
	v_and_b32_e32 v2, 0x7fffff, v4
	v_lshrrev_b32_e32 v1, 24, v4
	v_cmpx_ne_u64_e32 0x7f800000, v[46:47]
	s_xor_b32 s73, exec_lo, s13
	s_cbranch_execz .LBB6_26287
; %bb.26274:                            ;   in Loop: Header=BB6_22365 Depth=3
	v_and_b32_e32 v46, 0x7fffffff, v4
	v_mov_b32_e32 v47, v113
	v_and_b32_e32 v1, 0x80, v1
                                        ; implicit-def: $vgpr35
	s_mov_b32 s13, exec_lo
	s_delay_alu instid0(VALU_DEP_2)
	v_cmpx_gt_u64_e32 0x47600001, v[46:47]
	s_xor_b32 s74, exec_lo, s13
	s_cbranch_execz .LBB6_26284
; %bb.26275:                            ;   in Loop: Header=BB6_22365 Depth=3
	v_mov_b32_e32 v35, 0
	s_mov_b32 s75, exec_lo
	v_cmpx_ne_u32_e32 0, v4
	s_cbranch_execz .LBB6_26283
; %bb.26276:                            ;   in Loop: Header=BB6_22365 Depth=3
	v_bfe_u32 v35, v4, 23, 8
	v_or_b32_e32 v5, 0x800000, v2
	s_delay_alu instid0(VALU_DEP_2) | instskip(SKIP_2) | instid1(VALU_DEP_2)
	v_cmp_gt_u32_e64 s13, 0x72, v35
	v_sub_nc_u32_e32 v4, 0x71, v35
	v_cmp_eq_u32_e32 vcc_lo, 0, v35
	v_dual_cndmask_b32 v4, 0, v4, s13 :: v_dual_cndmask_b32 v2, v5, v2, vcc_lo
	s_delay_alu instid0(VALU_DEP_1) | instskip(NEXT) | instid1(VALU_DEP_1)
	v_cndmask_b32_e64 v49, v4, 0x70, vcc_lo
	v_dual_add_nc_u32 v4, 21, v49 :: v_dual_add_nc_u32 v53, 20, v49
	s_delay_alu instid0(VALU_DEP_1) | instskip(NEXT) | instid1(VALU_DEP_2)
	v_lshlrev_b64_e64 v[4:5], v4, -1
	v_lshlrev_b64_e64 v[46:47], v53, 1
	s_delay_alu instid0(VALU_DEP_2) | instskip(SKIP_1) | instid1(VALU_DEP_4)
	v_bfi_b32 v4, v4, 0, v2
	v_lshrrev_b64 v[2:3], v49, v[2:3]
	v_bfi_b32 v5, v5, 0, 0
	s_delay_alu instid0(VALU_DEP_1) | instskip(NEXT) | instid1(VALU_DEP_3)
	v_cmp_eq_u64_e64 s13, v[4:5], v[46:47]
	v_mov_b64_e32 v[4:5], v[2:3]
	s_and_saveexec_b32 s76, s13
; %bb.26277:                            ;   in Loop: Header=BB6_22365 Depth=3
	v_bfe_u32 v4, v2, 21, 1
	v_mov_b32_e32 v5, v113
	s_delay_alu instid0(VALU_DEP_1) | instskip(NEXT) | instid1(VALU_DEP_1)
	v_add_nc_u64_e32 v[4:5], v[2:3], v[4:5]
	v_add_nc_u64_e32 v[4:5], -1, v[4:5]
; %bb.26278:                            ;   in Loop: Header=BB6_22365 Depth=3
	s_or_b32 exec_lo, exec_lo, s76
	v_add_nc_u32_e32 v3, 0xffffff81, v35
	v_lshrrev_b32_e32 v5, 23, v2
	s_mov_b32 s13, exec_lo
	s_delay_alu instid0(VALU_DEP_2) | instskip(NEXT) | instid1(VALU_DEP_1)
	v_cndmask_b32_e64 v3, v3, 0xffffff82, vcc_lo
	v_add3_u32 v35, v49, v3, v5
	v_and_b32_e32 v3, 0x1fffff, v4
                                        ; implicit-def: $vgpr4
	s_delay_alu instid0(VALU_DEP_1) | instskip(SKIP_1) | instid1(VALU_DEP_2)
	v_dual_add_nc_u32 v5, 14, v35 :: v_dual_add_nc_u32 v2, v3, v2
	v_mov_b32_e32 v3, v113
	v_cmpx_ne_u32_e32 0, v5
	s_xor_b32 s13, exec_lo, s13
; %bb.26279:                            ;   in Loop: Header=BB6_22365 Depth=3
	s_delay_alu instid0(VALU_DEP_2) | instskip(SKIP_1) | instid1(VALU_DEP_1)
	v_cmp_lt_u64_e32 vcc_lo, 0xffffff, v[2:3]
	v_add_nc_u32_e32 v4, 15, v35
	v_cndmask_b32_e32 v4, v5, v4, vcc_lo
	v_cndmask_b32_e64 v5, 0, 1, vcc_lo
	s_delay_alu instid0(VALU_DEP_1)
	v_lshrrev_b64 v[2:3], v5, v[2:3]
; %bb.26280:                            ;   in Loop: Header=BB6_22365 Depth=3
	s_and_not1_saveexec_b32 s13, s13
; %bb.26281:                            ;   in Loop: Header=BB6_22365 Depth=3
	s_delay_alu instid0(VALU_DEP_1)
	v_bfe_u32 v4, v2, 23, 1
; %bb.26282:                            ;   in Loop: Header=BB6_22365 Depth=3
	s_or_b32 exec_lo, exec_lo, s13
	s_delay_alu instid0(VALU_DEP_2) | instskip(NEXT) | instid1(VALU_DEP_2)
	v_lshrrev_b64 v[2:3], 21, v[2:3]
	v_cmp_gt_i32_e32 vcc_lo, 32, v4
	v_min_i32_e32 v5, 31, v4
	v_cmp_eq_u32_e64 s13, 0, v4
	s_delay_alu instid0(VALU_DEP_2) | instskip(SKIP_1) | instid1(VALU_DEP_2)
	v_dual_cndmask_b32 v3, 0, v3, vcc_lo :: v_dual_lshlrev_b32 v5, 2, v5
	v_cndmask_b32_e32 v2, 3, v2, vcc_lo
	v_and_b32_e32 v5, 0xfc, v5
	s_delay_alu instid0(VALU_DEP_2) | instskip(NEXT) | instid1(VALU_DEP_2)
	v_cmp_eq_u64_e32 vcc_lo, 0, v[2:3]
	v_and_or_b32 v2, v2, 3, v5
	s_and_b32 s13, s13, vcc_lo
	s_delay_alu instid0(VALU_DEP_1) | instid1(SALU_CYCLE_1)
	v_cndmask_b32_e64 v2, v2, 0, s13
	s_delay_alu instid0(VALU_DEP_1)
	v_or_b32_e32 v35, v2, v1
.LBB6_26283:                            ;   in Loop: Header=BB6_22365 Depth=3
	s_or_b32 exec_lo, exec_lo, s75
                                        ; implicit-def: $vgpr1
.LBB6_26284:                            ;   in Loop: Header=BB6_22365 Depth=3
	s_and_not1_saveexec_b32 s13, s74
; %bb.26285:                            ;   in Loop: Header=BB6_22365 Depth=3
	v_or_b32_e32 v35, 0x7b, v1
; %bb.26286:                            ;   in Loop: Header=BB6_22365 Depth=3
	s_or_b32 exec_lo, exec_lo, s13
                                        ; implicit-def: $vgpr4
                                        ; implicit-def: $vgpr2_vgpr3
                                        ; implicit-def: $vgpr1
.LBB6_26287:                            ;   in Loop: Header=BB6_22365 Depth=3
	s_and_not1_saveexec_b32 s13, s73
	s_cbranch_execz .LBB6_26293
; %bb.26288:                            ;   in Loop: Header=BB6_22365 Depth=3
	s_mov_b32 s73, exec_lo
                                        ; implicit-def: $vgpr35
	v_cmpx_ne_u64_e32 0, v[2:3]
	s_xor_b32 s73, exec_lo, s73
; %bb.26289:                            ;   in Loop: Header=BB6_22365 Depth=3
	v_or_b32_e32 v35, 0x7f, v1
                                        ; implicit-def: $vgpr4
; %bb.26290:                            ;   in Loop: Header=BB6_22365 Depth=3
	s_and_not1_saveexec_b32 s73, s73
; %bb.26291:                            ;   in Loop: Header=BB6_22365 Depth=3
	v_cmp_lt_i32_e32 vcc_lo, -1, v4
	v_mov_b32_e32 v1, 0x7c
	s_delay_alu instid0(VALU_DEP_1)
	v_cndmask_b32_e32 v35, 0xfc, v1, vcc_lo
; %bb.26292:                            ;   in Loop: Header=BB6_22365 Depth=3
	s_or_b32 exec_lo, exec_lo, s73
.LBB6_26293:                            ;   in Loop: Header=BB6_22365 Depth=3
	s_delay_alu instid0(SALU_CYCLE_1) | instskip(SKIP_3) | instid1(VALU_DEP_2)
	s_or_b32 exec_lo, exec_lo, s13
	v_dual_mov_b32 v1, 0 :: v_dual_lshrrev_b32 v2, 16, v0
	v_mov_b32_e32 v3, 0
	s_mov_b32 s73, exec_lo
	v_and_b32_e32 v4, 0xff, v2
	s_delay_alu instid0(VALU_DEP_1)
	v_cmpx_ne_u16_e32 0, v4
	s_cbranch_execz .LBB6_26303
; %bb.26294:                            ;   in Loop: Header=BB6_22365 Depth=3
	v_bfrev_b32_e32 v3, 1
	s_mov_b32 s74, exec_lo
	v_cmpx_ne_u16_e32 0x80, v4
	s_cbranch_execz .LBB6_26302
; %bb.26295:                            ;   in Loop: Header=BB6_22365 Depth=3
	v_and_b32_e32 v3, 0x7c0000, v0
	v_bfe_u32 v4, v0, 16, 2
	s_delay_alu instid0(VALU_DEP_2) | instskip(SKIP_1) | instid1(SALU_CYCLE_1)
	v_cmp_ne_u32_e32 vcc_lo, 0x7c0000, v3
                                        ; implicit-def: $vgpr3
	s_and_saveexec_b32 s13, vcc_lo
	s_xor_b32 s13, exec_lo, s13
	s_cbranch_execz .LBB6_26299
; %bb.26296:                            ;   in Loop: Header=BB6_22365 Depth=3
	v_bfe_u32 v3, v0, 18, 5
	s_mov_b32 s75, exec_lo
	s_delay_alu instid0(VALU_DEP_1)
	v_cmpx_eq_u32_e32 0, v3
; %bb.26297:                            ;   in Loop: Header=BB6_22365 Depth=3
	v_clz_i32_u32_e32 v3, v4
	s_delay_alu instid0(VALU_DEP_1) | instskip(NEXT) | instid1(VALU_DEP_1)
	v_min_u32_e32 v3, 32, v3
	v_subrev_nc_u32_e32 v4, 29, v3
	s_delay_alu instid0(VALU_DEP_1) | instskip(NEXT) | instid1(VALU_DEP_1)
	v_lshlrev_b64_e32 v[4:5], v4, v[2:3]
	v_dual_sub_nc_u32 v3, 30, v3 :: v_dual_bitop2_b32 v4, 3, v4 bitop3:0x40
; %bb.26298:                            ;   in Loop: Header=BB6_22365 Depth=3
	s_or_b32 exec_lo, exec_lo, s75
	v_lshlrev_b32_e32 v2, 24, v2
	s_delay_alu instid0(VALU_DEP_1) | instskip(NEXT) | instid1(VALU_DEP_1)
	v_and_b32_e32 v2, 0x80000000, v2
	v_lshl_add_u32 v2, v3, 23, v2
	s_delay_alu instid0(VALU_DEP_1) | instskip(NEXT) | instid1(VALU_DEP_1)
	v_lshl_or_b32 v2, v4, 21, v2
                                        ; implicit-def: $vgpr4
	v_add_nc_u32_e32 v3, 0x38000000, v2
                                        ; implicit-def: $vgpr2
.LBB6_26299:                            ;   in Loop: Header=BB6_22365 Depth=3
	s_and_not1_saveexec_b32 s75, s13
; %bb.26300:                            ;   in Loop: Header=BB6_22365 Depth=3
	v_bfe_i32 v2, v2, 0, 8
	v_cmp_eq_u32_e32 vcc_lo, 0, v4
	s_delay_alu instid0(VALU_DEP_2) | instskip(SKIP_1) | instid1(VALU_DEP_1)
	v_cmp_lt_i16_e64 s13, -1, v2
	v_mov_b32_e32 v2, 0x7f800000
	v_cndmask_b32_e64 v2, 0xff800000, v2, s13
	s_delay_alu instid0(VALU_DEP_1)
	v_cndmask_b32_e32 v3, 0x7f800001, v2, vcc_lo
; %bb.26301:                            ;   in Loop: Header=BB6_22365 Depth=3
	s_or_b32 exec_lo, exec_lo, s75
.LBB6_26302:                            ;   in Loop: Header=BB6_22365 Depth=3
	s_delay_alu instid0(SALU_CYCLE_1)
	s_or_b32 exec_lo, exec_lo, s74
.LBB6_26303:                            ;   in Loop: Header=BB6_22365 Depth=3
	s_delay_alu instid0(SALU_CYCLE_1) | instskip(SKIP_2) | instid1(VALU_DEP_1)
	s_or_b32 exec_lo, exec_lo, s73
	v_lshrrev_b32_e32 v2, 16, v8
	s_mov_b32 s73, exec_lo
	v_and_b32_e32 v4, 0xff, v2
	s_delay_alu instid0(VALU_DEP_1)
	v_cmpx_ne_u16_e32 0, v4
	s_cbranch_execz .LBB6_26313
; %bb.26304:                            ;   in Loop: Header=BB6_22365 Depth=3
	v_bfrev_b32_e32 v1, 1
	s_mov_b32 s74, exec_lo
	v_cmpx_ne_u16_e32 0x80, v4
	s_cbranch_execz .LBB6_26312
; %bb.26305:                            ;   in Loop: Header=BB6_22365 Depth=3
	v_and_b32_e32 v1, 0x7c0000, v8
	v_bfe_u32 v4, v8, 16, 2
	s_delay_alu instid0(VALU_DEP_2) | instskip(SKIP_1) | instid1(SALU_CYCLE_1)
	v_cmp_ne_u32_e32 vcc_lo, 0x7c0000, v1
                                        ; implicit-def: $vgpr1
	s_and_saveexec_b32 s13, vcc_lo
	s_xor_b32 s13, exec_lo, s13
	s_cbranch_execz .LBB6_26309
; %bb.26306:                            ;   in Loop: Header=BB6_22365 Depth=3
	v_bfe_u32 v1, v8, 18, 5
	s_mov_b32 s75, exec_lo
	s_delay_alu instid0(VALU_DEP_1)
	v_cmpx_eq_u32_e32 0, v1
; %bb.26307:                            ;   in Loop: Header=BB6_22365 Depth=3
	v_clz_i32_u32_e32 v1, v4
	s_delay_alu instid0(VALU_DEP_1) | instskip(NEXT) | instid1(VALU_DEP_1)
	v_min_u32_e32 v1, 32, v1
	v_subrev_nc_u32_e32 v4, 29, v1
	s_delay_alu instid0(VALU_DEP_1) | instskip(NEXT) | instid1(VALU_DEP_1)
	v_lshlrev_b64_e32 v[4:5], v4, v[2:3]
	v_dual_sub_nc_u32 v1, 30, v1 :: v_dual_bitop2_b32 v4, 3, v4 bitop3:0x40
; %bb.26308:                            ;   in Loop: Header=BB6_22365 Depth=3
	s_or_b32 exec_lo, exec_lo, s75
	v_lshlrev_b32_e32 v2, 24, v2
	s_delay_alu instid0(VALU_DEP_1) | instskip(NEXT) | instid1(VALU_DEP_1)
	v_and_b32_e32 v2, 0x80000000, v2
	v_lshl_add_u32 v1, v1, 23, v2
                                        ; implicit-def: $vgpr2
	s_delay_alu instid0(VALU_DEP_1) | instskip(NEXT) | instid1(VALU_DEP_1)
	v_lshl_or_b32 v1, v4, 21, v1
                                        ; implicit-def: $vgpr4
	v_add_nc_u32_e32 v1, 0x38000000, v1
.LBB6_26309:                            ;   in Loop: Header=BB6_22365 Depth=3
	s_and_not1_saveexec_b32 s75, s13
; %bb.26310:                            ;   in Loop: Header=BB6_22365 Depth=3
	v_bfe_i32 v1, v2, 0, 8
	v_cmp_eq_u32_e32 vcc_lo, 0, v4
	s_delay_alu instid0(VALU_DEP_2) | instskip(SKIP_1) | instid1(VALU_DEP_1)
	v_cmp_lt_i16_e64 s13, -1, v1
	v_mov_b32_e32 v1, 0x7f800000
	v_cndmask_b32_e64 v1, 0xff800000, v1, s13
	s_delay_alu instid0(VALU_DEP_1)
	v_cndmask_b32_e32 v1, 0x7f800001, v1, vcc_lo
; %bb.26311:                            ;   in Loop: Header=BB6_22365 Depth=3
	s_or_b32 exec_lo, exec_lo, s75
.LBB6_26312:                            ;   in Loop: Header=BB6_22365 Depth=3
	s_delay_alu instid0(SALU_CYCLE_1)
	s_or_b32 exec_lo, exec_lo, s74
.LBB6_26313:                            ;   in Loop: Header=BB6_22365 Depth=3
	s_delay_alu instid0(SALU_CYCLE_1) | instskip(NEXT) | instid1(VALU_DEP_1)
	s_or_b32 exec_lo, exec_lo, s73
	v_dual_add_f32 v4, v3, v1 :: v_dual_mov_b32 v47, v113
	v_mov_b32_e32 v3, v113
                                        ; implicit-def: $vgpr49
	s_mov_b32 s13, exec_lo
	s_delay_alu instid0(VALU_DEP_2) | instskip(SKIP_2) | instid1(VALU_DEP_3)
	v_and_b32_e32 v46, 0x7f800000, v4
	v_and_b32_e32 v2, 0x7fffff, v4
	v_lshrrev_b32_e32 v1, 24, v4
	v_cmpx_ne_u64_e32 0x7f800000, v[46:47]
	s_xor_b32 s73, exec_lo, s13
	s_cbranch_execz .LBB6_26327
; %bb.26314:                            ;   in Loop: Header=BB6_22365 Depth=3
	v_and_b32_e32 v46, 0x7fffffff, v4
	v_mov_b32_e32 v47, v113
	v_and_b32_e32 v1, 0x80, v1
                                        ; implicit-def: $vgpr49
	s_mov_b32 s13, exec_lo
	s_delay_alu instid0(VALU_DEP_2)
	v_cmpx_gt_u64_e32 0x47600001, v[46:47]
	s_xor_b32 s74, exec_lo, s13
	s_cbranch_execz .LBB6_26324
; %bb.26315:                            ;   in Loop: Header=BB6_22365 Depth=3
	v_mov_b32_e32 v49, 0
	s_mov_b32 s75, exec_lo
	v_cmpx_ne_u32_e32 0, v4
	s_cbranch_execz .LBB6_26323
; %bb.26316:                            ;   in Loop: Header=BB6_22365 Depth=3
	v_bfe_u32 v49, v4, 23, 8
	v_or_b32_e32 v5, 0x800000, v2
	s_delay_alu instid0(VALU_DEP_2) | instskip(SKIP_2) | instid1(VALU_DEP_2)
	v_cmp_gt_u32_e64 s13, 0x72, v49
	v_sub_nc_u32_e32 v4, 0x71, v49
	v_cmp_eq_u32_e32 vcc_lo, 0, v49
	v_dual_cndmask_b32 v4, 0, v4, s13 :: v_dual_cndmask_b32 v2, v5, v2, vcc_lo
	s_delay_alu instid0(VALU_DEP_1) | instskip(NEXT) | instid1(VALU_DEP_1)
	v_cndmask_b32_e64 v53, v4, 0x70, vcc_lo
	v_dual_add_nc_u32 v4, 21, v53 :: v_dual_add_nc_u32 v64, 20, v53
	s_delay_alu instid0(VALU_DEP_1) | instskip(NEXT) | instid1(VALU_DEP_2)
	v_lshlrev_b64_e64 v[4:5], v4, -1
	v_lshlrev_b64_e64 v[46:47], v64, 1
	s_delay_alu instid0(VALU_DEP_2) | instskip(SKIP_1) | instid1(VALU_DEP_4)
	v_bfi_b32 v4, v4, 0, v2
	v_lshrrev_b64 v[2:3], v53, v[2:3]
	v_bfi_b32 v5, v5, 0, 0
	s_delay_alu instid0(VALU_DEP_1) | instskip(NEXT) | instid1(VALU_DEP_3)
	v_cmp_eq_u64_e64 s13, v[4:5], v[46:47]
	v_mov_b64_e32 v[4:5], v[2:3]
	s_and_saveexec_b32 s76, s13
; %bb.26317:                            ;   in Loop: Header=BB6_22365 Depth=3
	v_bfe_u32 v4, v2, 21, 1
	v_mov_b32_e32 v5, v113
	s_delay_alu instid0(VALU_DEP_1) | instskip(NEXT) | instid1(VALU_DEP_1)
	v_add_nc_u64_e32 v[4:5], v[2:3], v[4:5]
	v_add_nc_u64_e32 v[4:5], -1, v[4:5]
; %bb.26318:                            ;   in Loop: Header=BB6_22365 Depth=3
	s_or_b32 exec_lo, exec_lo, s76
	v_add_nc_u32_e32 v3, 0xffffff81, v49
	v_lshrrev_b32_e32 v5, 23, v2
	s_mov_b32 s13, exec_lo
	s_delay_alu instid0(VALU_DEP_2) | instskip(NEXT) | instid1(VALU_DEP_1)
	v_cndmask_b32_e64 v3, v3, 0xffffff82, vcc_lo
	v_add3_u32 v49, v53, v3, v5
	v_and_b32_e32 v3, 0x1fffff, v4
                                        ; implicit-def: $vgpr4
	s_delay_alu instid0(VALU_DEP_1) | instskip(SKIP_1) | instid1(VALU_DEP_2)
	v_dual_add_nc_u32 v5, 14, v49 :: v_dual_add_nc_u32 v2, v3, v2
	v_mov_b32_e32 v3, v113
	v_cmpx_ne_u32_e32 0, v5
	s_xor_b32 s13, exec_lo, s13
; %bb.26319:                            ;   in Loop: Header=BB6_22365 Depth=3
	s_delay_alu instid0(VALU_DEP_2) | instskip(SKIP_1) | instid1(VALU_DEP_1)
	v_cmp_lt_u64_e32 vcc_lo, 0xffffff, v[2:3]
	v_add_nc_u32_e32 v4, 15, v49
	v_cndmask_b32_e32 v4, v5, v4, vcc_lo
	v_cndmask_b32_e64 v5, 0, 1, vcc_lo
	s_delay_alu instid0(VALU_DEP_1)
	v_lshrrev_b64 v[2:3], v5, v[2:3]
; %bb.26320:                            ;   in Loop: Header=BB6_22365 Depth=3
	s_and_not1_saveexec_b32 s13, s13
; %bb.26321:                            ;   in Loop: Header=BB6_22365 Depth=3
	s_delay_alu instid0(VALU_DEP_1)
	v_bfe_u32 v4, v2, 23, 1
; %bb.26322:                            ;   in Loop: Header=BB6_22365 Depth=3
	s_or_b32 exec_lo, exec_lo, s13
	s_delay_alu instid0(VALU_DEP_2) | instskip(NEXT) | instid1(VALU_DEP_2)
	v_lshrrev_b64 v[2:3], 21, v[2:3]
	v_cmp_gt_i32_e32 vcc_lo, 32, v4
	v_min_i32_e32 v5, 31, v4
	v_cmp_eq_u32_e64 s13, 0, v4
	s_delay_alu instid0(VALU_DEP_2) | instskip(SKIP_1) | instid1(VALU_DEP_2)
	v_dual_cndmask_b32 v3, 0, v3, vcc_lo :: v_dual_lshlrev_b32 v5, 2, v5
	v_cndmask_b32_e32 v2, 3, v2, vcc_lo
	v_and_b32_e32 v5, 0xfc, v5
	s_delay_alu instid0(VALU_DEP_2) | instskip(NEXT) | instid1(VALU_DEP_2)
	v_cmp_eq_u64_e32 vcc_lo, 0, v[2:3]
	v_and_or_b32 v2, v2, 3, v5
	s_and_b32 s13, s13, vcc_lo
	s_delay_alu instid0(VALU_DEP_1) | instid1(SALU_CYCLE_1)
	v_cndmask_b32_e64 v2, v2, 0, s13
	s_delay_alu instid0(VALU_DEP_1)
	v_or_b32_e32 v49, v2, v1
.LBB6_26323:                            ;   in Loop: Header=BB6_22365 Depth=3
	s_or_b32 exec_lo, exec_lo, s75
                                        ; implicit-def: $vgpr1
.LBB6_26324:                            ;   in Loop: Header=BB6_22365 Depth=3
	s_and_not1_saveexec_b32 s13, s74
; %bb.26325:                            ;   in Loop: Header=BB6_22365 Depth=3
	v_or_b32_e32 v49, 0x7b, v1
; %bb.26326:                            ;   in Loop: Header=BB6_22365 Depth=3
	s_or_b32 exec_lo, exec_lo, s13
                                        ; implicit-def: $vgpr4
                                        ; implicit-def: $vgpr2_vgpr3
                                        ; implicit-def: $vgpr1
.LBB6_26327:                            ;   in Loop: Header=BB6_22365 Depth=3
	s_and_not1_saveexec_b32 s13, s73
	s_cbranch_execz .LBB6_26333
; %bb.26328:                            ;   in Loop: Header=BB6_22365 Depth=3
	s_mov_b32 s73, exec_lo
                                        ; implicit-def: $vgpr49
	v_cmpx_ne_u64_e32 0, v[2:3]
	s_xor_b32 s73, exec_lo, s73
; %bb.26329:                            ;   in Loop: Header=BB6_22365 Depth=3
	v_or_b32_e32 v49, 0x7f, v1
                                        ; implicit-def: $vgpr4
; %bb.26330:                            ;   in Loop: Header=BB6_22365 Depth=3
	s_and_not1_saveexec_b32 s73, s73
; %bb.26331:                            ;   in Loop: Header=BB6_22365 Depth=3
	v_cmp_lt_i32_e32 vcc_lo, -1, v4
	v_mov_b32_e32 v1, 0x7c
	s_delay_alu instid0(VALU_DEP_1)
	v_cndmask_b32_e32 v49, 0xfc, v1, vcc_lo
; %bb.26332:                            ;   in Loop: Header=BB6_22365 Depth=3
	s_or_b32 exec_lo, exec_lo, s73
.LBB6_26333:                            ;   in Loop: Header=BB6_22365 Depth=3
	s_delay_alu instid0(SALU_CYCLE_1)
	s_or_b32 exec_lo, exec_lo, s13
	v_dual_mov_b32 v3, 0 :: v_dual_mov_b32 v4, 0
	s_mov_b32 s73, exec_lo
	v_cmpx_lt_u32_e32 0xffffff, v0
	s_cbranch_execz .LBB6_26343
; %bb.26334:                            ;   in Loop: Header=BB6_22365 Depth=3
	v_lshrrev_b32_e32 v2, 24, v0
	v_bfrev_b32_e32 v4, 1
	s_mov_b32 s74, exec_lo
	s_delay_alu instid0(VALU_DEP_2)
	v_cmpx_ne_u32_e32 0x80, v2
	s_cbranch_execz .LBB6_26342
; %bb.26335:                            ;   in Loop: Header=BB6_22365 Depth=3
	v_and_b32_e32 v1, 0x7c000000, v0
	v_bfe_u32 v5, v0, 24, 2
	s_mov_b32 s13, exec_lo
                                        ; implicit-def: $vgpr4
	s_delay_alu instid0(VALU_DEP_2)
	v_cmpx_ne_u32_e32 0x7c000000, v1
	s_xor_b32 s13, exec_lo, s13
	s_cbranch_execz .LBB6_26339
; %bb.26336:                            ;   in Loop: Header=BB6_22365 Depth=3
	v_bfe_u32 v1, v0, 26, 5
	s_mov_b32 s75, exec_lo
	s_delay_alu instid0(VALU_DEP_1)
	v_cmpx_eq_u32_e32 0, v1
; %bb.26337:                            ;   in Loop: Header=BB6_22365 Depth=3
	v_clz_i32_u32_e32 v1, v5
	s_delay_alu instid0(VALU_DEP_1) | instskip(NEXT) | instid1(VALU_DEP_1)
	v_min_u32_e32 v1, 32, v1
	v_subrev_nc_u32_e32 v4, 29, v1
	s_delay_alu instid0(VALU_DEP_1) | instskip(NEXT) | instid1(VALU_DEP_1)
	v_lshlrev_b64_e32 v[4:5], v4, v[2:3]
	v_dual_sub_nc_u32 v1, 30, v1 :: v_dual_bitop2_b32 v5, 3, v4 bitop3:0x40
; %bb.26338:                            ;   in Loop: Header=BB6_22365 Depth=3
	s_or_b32 exec_lo, exec_lo, s75
	v_and_b32_e32 v0, 0x80000000, v0
	s_delay_alu instid0(VALU_DEP_1) | instskip(NEXT) | instid1(VALU_DEP_1)
	v_lshl_add_u32 v0, v1, 23, v0
	v_lshl_or_b32 v0, v5, 21, v0
                                        ; implicit-def: $vgpr5
	s_delay_alu instid0(VALU_DEP_1)
	v_add_nc_u32_e32 v4, 0x38000000, v0
                                        ; implicit-def: $vgpr0_vgpr1
.LBB6_26339:                            ;   in Loop: Header=BB6_22365 Depth=3
	s_and_not1_saveexec_b32 s75, s13
; %bb.26340:                            ;   in Loop: Header=BB6_22365 Depth=3
	v_cmp_lt_i32_e64 s13, -1, v0
	v_mov_b32_e32 v0, 0x7f800000
	v_cmp_eq_u32_e32 vcc_lo, 0, v5
	s_delay_alu instid0(VALU_DEP_2) | instskip(NEXT) | instid1(VALU_DEP_1)
	v_cndmask_b32_e64 v0, 0xff800000, v0, s13
	v_cndmask_b32_e32 v4, 0x7f800001, v0, vcc_lo
; %bb.26341:                            ;   in Loop: Header=BB6_22365 Depth=3
	s_or_b32 exec_lo, exec_lo, s75
.LBB6_26342:                            ;   in Loop: Header=BB6_22365 Depth=3
	s_delay_alu instid0(SALU_CYCLE_1)
	s_or_b32 exec_lo, exec_lo, s74
.LBB6_26343:                            ;   in Loop: Header=BB6_22365 Depth=3
	s_delay_alu instid0(SALU_CYCLE_1) | instskip(NEXT) | instid1(SALU_CYCLE_1)
	s_or_b32 exec_lo, exec_lo, s73
	s_mov_b32 s73, exec_lo
	v_cmpx_lt_u32_e32 0xffffff, v8
	s_cbranch_execz .LBB6_26353
; %bb.26344:                            ;   in Loop: Header=BB6_22365 Depth=3
	v_lshrrev_b32_e32 v0, 24, v8
	v_bfrev_b32_e32 v3, 1
	s_mov_b32 s74, exec_lo
	s_delay_alu instid0(VALU_DEP_2)
	v_cmpx_ne_u32_e32 0x80, v0
	s_cbranch_execz .LBB6_26352
; %bb.26345:                            ;   in Loop: Header=BB6_22365 Depth=3
	v_and_b32_e32 v2, 0x7c000000, v8
	v_bfe_u32 v1, v8, 24, 2
	s_mov_b32 s13, exec_lo
                                        ; implicit-def: $vgpr3
	s_delay_alu instid0(VALU_DEP_2)
	v_cmpx_ne_u32_e32 0x7c000000, v2
	s_xor_b32 s13, exec_lo, s13
	s_cbranch_execz .LBB6_26349
; %bb.26346:                            ;   in Loop: Header=BB6_22365 Depth=3
	v_bfe_u32 v2, v8, 26, 5
	s_mov_b32 s75, exec_lo
	s_delay_alu instid0(VALU_DEP_1)
	v_cmpx_eq_u32_e32 0, v2
; %bb.26347:                            ;   in Loop: Header=BB6_22365 Depth=3
	v_clz_i32_u32_e32 v1, v1
	s_delay_alu instid0(VALU_DEP_1) | instskip(NEXT) | instid1(VALU_DEP_1)
	v_min_u32_e32 v2, 32, v1
	v_subrev_nc_u32_e32 v1, 29, v2
	s_delay_alu instid0(VALU_DEP_1) | instskip(NEXT) | instid1(VALU_DEP_1)
	v_lshlrev_b64_e32 v[0:1], v1, v[0:1]
	v_dual_sub_nc_u32 v2, 30, v2 :: v_dual_bitop2_b32 v1, 3, v0 bitop3:0x40
; %bb.26348:                            ;   in Loop: Header=BB6_22365 Depth=3
	s_or_b32 exec_lo, exec_lo, s75
	v_and_b32_e32 v0, 0x80000000, v8
	s_delay_alu instid0(VALU_DEP_1) | instskip(NEXT) | instid1(VALU_DEP_1)
	v_lshl_add_u32 v0, v2, 23, v0
	v_lshl_or_b32 v0, v1, 21, v0
                                        ; implicit-def: $vgpr1
	s_delay_alu instid0(VALU_DEP_1)
	v_add_nc_u32_e32 v3, 0x38000000, v0
.LBB6_26349:                            ;   in Loop: Header=BB6_22365 Depth=3
	s_and_not1_saveexec_b32 s75, s13
; %bb.26350:                            ;   in Loop: Header=BB6_22365 Depth=3
	v_cmp_lt_i32_e64 s13, -1, v8
	v_mov_b32_e32 v0, 0x7f800000
	v_cmp_eq_u32_e32 vcc_lo, 0, v1
	s_delay_alu instid0(VALU_DEP_2) | instskip(NEXT) | instid1(VALU_DEP_1)
	v_cndmask_b32_e64 v0, 0xff800000, v0, s13
	v_cndmask_b32_e32 v3, 0x7f800001, v0, vcc_lo
; %bb.26351:                            ;   in Loop: Header=BB6_22365 Depth=3
	s_or_b32 exec_lo, exec_lo, s75
.LBB6_26352:                            ;   in Loop: Header=BB6_22365 Depth=3
	s_delay_alu instid0(SALU_CYCLE_1)
	s_or_b32 exec_lo, exec_lo, s74
.LBB6_26353:                            ;   in Loop: Header=BB6_22365 Depth=3
	s_delay_alu instid0(SALU_CYCLE_1) | instskip(NEXT) | instid1(VALU_DEP_1)
	s_or_b32 exec_lo, exec_lo, s73
	v_dual_add_f32 v2, v4, v3 :: v_dual_mov_b32 v5, v113
	v_mov_b32_e32 v1, v113
                                        ; implicit-def: $vgpr53
	s_mov_b32 s13, exec_lo
	s_delay_alu instid0(VALU_DEP_2) | instskip(SKIP_2) | instid1(VALU_DEP_3)
	v_and_b32_e32 v4, 0x7f800000, v2
	v_and_b32_e32 v0, 0x7fffff, v2
	v_lshrrev_b32_e32 v3, 24, v2
	v_cmpx_ne_u64_e32 0x7f800000, v[4:5]
	s_xor_b32 s73, exec_lo, s13
	s_cbranch_execz .LBB6_26367
; %bb.26354:                            ;   in Loop: Header=BB6_22365 Depth=3
	v_and_b32_e32 v4, 0x7fffffff, v2
	v_mov_b32_e32 v5, v113
                                        ; implicit-def: $vgpr53
	s_delay_alu instid0(VALU_DEP_1) | instskip(SKIP_2) | instid1(SALU_CYCLE_1)
	v_cmp_gt_u64_e32 vcc_lo, 0x47600001, v[4:5]
	v_and_b32_e32 v4, 0x80, v3
	s_and_saveexec_b32 s13, vcc_lo
	s_xor_b32 s74, exec_lo, s13
	s_cbranch_execz .LBB6_26364
; %bb.26355:                            ;   in Loop: Header=BB6_22365 Depth=3
	v_mov_b32_e32 v53, 0
	s_mov_b32 s75, exec_lo
	v_cmpx_ne_u32_e32 0, v2
	s_cbranch_execz .LBB6_26363
; %bb.26356:                            ;   in Loop: Header=BB6_22365 Depth=3
	v_bfe_u32 v5, v2, 23, 8
	v_or_b32_e32 v3, 0x800000, v0
	s_delay_alu instid0(VALU_DEP_2) | instskip(SKIP_2) | instid1(VALU_DEP_2)
	v_cmp_gt_u32_e64 s13, 0x72, v5
	v_sub_nc_u32_e32 v2, 0x71, v5
	v_cmp_eq_u32_e32 vcc_lo, 0, v5
	v_dual_cndmask_b32 v2, 0, v2, s13 :: v_dual_cndmask_b32 v0, v3, v0, vcc_lo
	s_delay_alu instid0(VALU_DEP_1) | instskip(NEXT) | instid1(VALU_DEP_1)
	v_cndmask_b32_e64 v53, v2, 0x70, vcc_lo
	v_dual_add_nc_u32 v2, 21, v53 :: v_dual_add_nc_u32 v64, 20, v53
	s_delay_alu instid0(VALU_DEP_1) | instskip(NEXT) | instid1(VALU_DEP_2)
	v_lshlrev_b64_e64 v[2:3], v2, -1
	v_lshlrev_b64_e64 v[46:47], v64, 1
	s_delay_alu instid0(VALU_DEP_2) | instskip(SKIP_1) | instid1(VALU_DEP_4)
	v_bfi_b32 v2, v2, 0, v0
	v_lshrrev_b64 v[0:1], v53, v[0:1]
	v_bfi_b32 v3, v3, 0, 0
	s_delay_alu instid0(VALU_DEP_1) | instskip(NEXT) | instid1(VALU_DEP_3)
	v_cmp_eq_u64_e64 s13, v[2:3], v[46:47]
	v_mov_b64_e32 v[2:3], v[0:1]
	s_and_saveexec_b32 s76, s13
; %bb.26357:                            ;   in Loop: Header=BB6_22365 Depth=3
	v_bfe_u32 v2, v0, 21, 1
	v_mov_b32_e32 v3, v113
	s_delay_alu instid0(VALU_DEP_1) | instskip(NEXT) | instid1(VALU_DEP_1)
	v_add_nc_u64_e32 v[2:3], v[0:1], v[2:3]
	v_add_nc_u64_e32 v[2:3], -1, v[2:3]
; %bb.26358:                            ;   in Loop: Header=BB6_22365 Depth=3
	s_or_b32 exec_lo, exec_lo, s76
	v_add_nc_u32_e32 v1, 0xffffff81, v5
	v_lshrrev_b32_e32 v3, 23, v0
	s_mov_b32 s13, exec_lo
	s_delay_alu instid0(VALU_DEP_2) | instskip(NEXT) | instid1(VALU_DEP_1)
	v_cndmask_b32_e64 v1, v1, 0xffffff82, vcc_lo
	v_add3_u32 v5, v53, v1, v3
	v_and_b32_e32 v1, 0x1fffff, v2
                                        ; implicit-def: $vgpr2
	s_delay_alu instid0(VALU_DEP_1) | instskip(SKIP_1) | instid1(VALU_DEP_2)
	v_dual_add_nc_u32 v3, 14, v5 :: v_dual_add_nc_u32 v0, v1, v0
	v_mov_b32_e32 v1, v113
	v_cmpx_ne_u32_e32 0, v3
	s_xor_b32 s13, exec_lo, s13
; %bb.26359:                            ;   in Loop: Header=BB6_22365 Depth=3
	s_delay_alu instid0(VALU_DEP_2) | instskip(SKIP_1) | instid1(VALU_DEP_1)
	v_cmp_lt_u64_e32 vcc_lo, 0xffffff, v[0:1]
	v_add_nc_u32_e32 v2, 15, v5
	v_cndmask_b32_e32 v2, v3, v2, vcc_lo
	v_cndmask_b32_e64 v3, 0, 1, vcc_lo
	s_delay_alu instid0(VALU_DEP_1)
	v_lshrrev_b64 v[0:1], v3, v[0:1]
; %bb.26360:                            ;   in Loop: Header=BB6_22365 Depth=3
	s_and_not1_saveexec_b32 s13, s13
; %bb.26361:                            ;   in Loop: Header=BB6_22365 Depth=3
	s_delay_alu instid0(VALU_DEP_1)
	v_bfe_u32 v2, v0, 23, 1
; %bb.26362:                            ;   in Loop: Header=BB6_22365 Depth=3
	s_or_b32 exec_lo, exec_lo, s13
	s_delay_alu instid0(VALU_DEP_2) | instskip(NEXT) | instid1(VALU_DEP_2)
	v_lshrrev_b64 v[0:1], 21, v[0:1]
	v_cmp_gt_i32_e32 vcc_lo, 32, v2
	v_min_i32_e32 v3, 31, v2
	v_cmp_eq_u32_e64 s13, 0, v2
	s_delay_alu instid0(VALU_DEP_2) | instskip(SKIP_1) | instid1(VALU_DEP_2)
	v_dual_cndmask_b32 v1, 0, v1, vcc_lo :: v_dual_lshlrev_b32 v3, 2, v3
	v_cndmask_b32_e32 v0, 3, v0, vcc_lo
	v_and_b32_e32 v3, 0xfc, v3
	s_delay_alu instid0(VALU_DEP_2) | instskip(NEXT) | instid1(VALU_DEP_2)
	v_cmp_eq_u64_e32 vcc_lo, 0, v[0:1]
	v_and_or_b32 v0, v0, 3, v3
	s_and_b32 s13, s13, vcc_lo
	s_delay_alu instid0(VALU_DEP_1) | instid1(SALU_CYCLE_1)
	v_cndmask_b32_e64 v0, v0, 0, s13
	s_delay_alu instid0(VALU_DEP_1)
	v_or_b32_e32 v53, v0, v4
.LBB6_26363:                            ;   in Loop: Header=BB6_22365 Depth=3
	s_or_b32 exec_lo, exec_lo, s75
                                        ; implicit-def: $vgpr4
.LBB6_26364:                            ;   in Loop: Header=BB6_22365 Depth=3
	s_and_not1_saveexec_b32 s13, s74
; %bb.26365:                            ;   in Loop: Header=BB6_22365 Depth=3
	v_or_b32_e32 v53, 0x7b, v4
; %bb.26366:                            ;   in Loop: Header=BB6_22365 Depth=3
	s_or_b32 exec_lo, exec_lo, s13
                                        ; implicit-def: $vgpr2
                                        ; implicit-def: $vgpr0_vgpr1
                                        ; implicit-def: $vgpr3
.LBB6_26367:                            ;   in Loop: Header=BB6_22365 Depth=3
	s_and_not1_saveexec_b32 s13, s73
	s_cbranch_execz .LBB6_26373
; %bb.26368:                            ;   in Loop: Header=BB6_22365 Depth=3
	s_mov_b32 s73, exec_lo
                                        ; implicit-def: $vgpr53
	v_cmpx_ne_u64_e32 0, v[0:1]
	s_xor_b32 s73, exec_lo, s73
; %bb.26369:                            ;   in Loop: Header=BB6_22365 Depth=3
	v_or_b32_e32 v53, 0x7f, v3
                                        ; implicit-def: $vgpr2
; %bb.26370:                            ;   in Loop: Header=BB6_22365 Depth=3
	s_and_not1_saveexec_b32 s73, s73
; %bb.26371:                            ;   in Loop: Header=BB6_22365 Depth=3
	v_cmp_lt_i32_e32 vcc_lo, -1, v2
	v_mov_b32_e32 v0, 0x7c
	s_delay_alu instid0(VALU_DEP_1)
	v_cndmask_b32_e32 v53, 0xfc, v0, vcc_lo
; %bb.26372:                            ;   in Loop: Header=BB6_22365 Depth=3
	s_or_b32 exec_lo, exec_lo, s73
.LBB6_26373:                            ;   in Loop: Header=BB6_22365 Depth=3
	s_delay_alu instid0(SALU_CYCLE_1) | instskip(SKIP_4) | instid1(VALU_DEP_2)
	s_or_b32 exec_lo, exec_lo, s13
	v_lshl_or_b32 v37, v37, 8, v30
	v_dual_lshlrev_b32 v0, 16, v48 :: v_dual_lshlrev_b32 v2, 24, v51
	v_dual_mov_b32 v1, v113 :: v_dual_mov_b32 v3, 0
	s_mov_b32 s73, exec_lo
	v_or3_b32 v0, v0, v2, v37
	v_mov_b32_e32 v2, 0
	v_cmpx_ne_u32_e32 0, v30
	s_cbranch_execz .LBB6_26383
; %bb.26374:                            ;   in Loop: Header=BB6_22365 Depth=3
	v_bfrev_b32_e32 v2, 1
	s_mov_b32 s74, exec_lo
	v_cmpx_ne_u32_e32 0x80, v30
	s_cbranch_execz .LBB6_26382
; %bb.26375:                            ;   in Loop: Header=BB6_22365 Depth=3
	v_and_b32_e32 v2, 0x7c, v30
	v_and_b32_e32 v4, 3, v30
	s_delay_alu instid0(VALU_DEP_2) | instskip(SKIP_1) | instid1(SALU_CYCLE_1)
	v_cmp_ne_u32_e32 vcc_lo, 0x7c, v2
                                        ; implicit-def: $vgpr2
	s_and_saveexec_b32 s13, vcc_lo
	s_xor_b32 s13, exec_lo, s13
	s_cbranch_execz .LBB6_26379
; %bb.26376:                            ;   in Loop: Header=BB6_22365 Depth=3
	v_bfe_u32 v2, v30, 2, 5
	s_mov_b32 s75, exec_lo
	s_delay_alu instid0(VALU_DEP_1)
	v_cmpx_eq_u32_e32 0, v2
; %bb.26377:                            ;   in Loop: Header=BB6_22365 Depth=3
	v_clz_i32_u32_e32 v2, v4
	s_delay_alu instid0(VALU_DEP_1) | instskip(NEXT) | instid1(VALU_DEP_1)
	v_min_u32_e32 v2, 32, v2
	v_subrev_nc_u32_e32 v4, 29, v2
	s_delay_alu instid0(VALU_DEP_1) | instskip(NEXT) | instid1(VALU_DEP_1)
	v_lshlrev_b64_e32 v[4:5], v4, v[0:1]
	v_dual_sub_nc_u32 v2, 30, v2 :: v_dual_bitop2_b32 v4, 3, v4 bitop3:0x40
; %bb.26378:                            ;   in Loop: Header=BB6_22365 Depth=3
	s_or_b32 exec_lo, exec_lo, s75
	v_lshlrev_b32_e32 v1, 24, v30
                                        ; implicit-def: $vgpr30
	s_delay_alu instid0(VALU_DEP_1) | instskip(NEXT) | instid1(VALU_DEP_1)
	v_and_b32_e32 v1, 0x80000000, v1
	v_lshl_add_u32 v1, v2, 23, v1
	s_delay_alu instid0(VALU_DEP_1) | instskip(NEXT) | instid1(VALU_DEP_1)
	v_lshl_or_b32 v1, v4, 21, v1
                                        ; implicit-def: $vgpr4
	v_add_nc_u32_e32 v2, 0x38000000, v1
.LBB6_26379:                            ;   in Loop: Header=BB6_22365 Depth=3
	s_and_not1_saveexec_b32 s75, s13
; %bb.26380:                            ;   in Loop: Header=BB6_22365 Depth=3
	v_and_b32_e32 v1, 0x80, v30
	v_cmp_eq_u32_e32 vcc_lo, 0, v4
	s_delay_alu instid0(VALU_DEP_2) | instskip(SKIP_1) | instid1(VALU_DEP_1)
	v_cmp_eq_u32_e64 s13, 0, v1
	v_mov_b32_e32 v1, 0x7f800000
	v_cndmask_b32_e64 v1, 0xff800000, v1, s13
	s_delay_alu instid0(VALU_DEP_1)
	v_cndmask_b32_e32 v2, 0x7f800001, v1, vcc_lo
; %bb.26381:                            ;   in Loop: Header=BB6_22365 Depth=3
	s_or_b32 exec_lo, exec_lo, s75
.LBB6_26382:                            ;   in Loop: Header=BB6_22365 Depth=3
	s_delay_alu instid0(SALU_CYCLE_1)
	s_or_b32 exec_lo, exec_lo, s74
.LBB6_26383:                            ;   in Loop: Header=BB6_22365 Depth=3
	s_delay_alu instid0(SALU_CYCLE_1) | instskip(SKIP_2) | instid1(VALU_DEP_1)
	s_or_b32 exec_lo, exec_lo, s73
	v_and_b32_e32 v1, 0xff, v9
	s_mov_b32 s73, exec_lo
	v_cmpx_ne_u16_e32 0, v1
	s_cbranch_execz .LBB6_26393
; %bb.26384:                            ;   in Loop: Header=BB6_22365 Depth=3
	v_bfrev_b32_e32 v3, 1
	s_mov_b32 s74, exec_lo
	v_cmpx_ne_u16_e32 0x80, v1
	s_cbranch_execz .LBB6_26392
; %bb.26385:                            ;   in Loop: Header=BB6_22365 Depth=3
	v_and_b32_e32 v3, 0x7c, v9
	v_and_b32_e32 v1, 3, v9
	s_delay_alu instid0(VALU_DEP_2) | instskip(SKIP_1) | instid1(SALU_CYCLE_1)
	v_cmp_ne_u32_e32 vcc_lo, 0x7c, v3
                                        ; implicit-def: $vgpr3
	s_and_saveexec_b32 s13, vcc_lo
	s_xor_b32 s13, exec_lo, s13
	s_cbranch_execz .LBB6_26389
; %bb.26386:                            ;   in Loop: Header=BB6_22365 Depth=3
	v_bfe_u32 v3, v9, 2, 5
	s_mov_b32 s75, exec_lo
	s_delay_alu instid0(VALU_DEP_1)
	v_cmpx_eq_u32_e32 0, v3
; %bb.26387:                            ;   in Loop: Header=BB6_22365 Depth=3
	v_clz_i32_u32_e32 v1, v1
	v_dual_mov_b32 v4, v9 :: v_dual_mov_b32 v5, v113
	s_delay_alu instid0(VALU_DEP_2) | instskip(NEXT) | instid1(VALU_DEP_1)
	v_min_u32_e32 v1, 32, v1
	v_subrev_nc_u32_e32 v3, 29, v1
	s_delay_alu instid0(VALU_DEP_1) | instskip(NEXT) | instid1(VALU_DEP_1)
	v_lshlrev_b64_e32 v[4:5], v3, v[4:5]
	v_dual_sub_nc_u32 v3, 30, v1 :: v_dual_bitop2_b32 v1, 3, v4 bitop3:0x40
; %bb.26388:                            ;   in Loop: Header=BB6_22365 Depth=3
	s_or_b32 exec_lo, exec_lo, s75
	v_lshlrev_b32_e32 v4, 24, v9
	s_delay_alu instid0(VALU_DEP_1) | instskip(NEXT) | instid1(VALU_DEP_1)
	v_and_b32_e32 v4, 0x80000000, v4
	v_lshl_add_u32 v3, v3, 23, v4
	s_delay_alu instid0(VALU_DEP_1) | instskip(NEXT) | instid1(VALU_DEP_1)
	v_lshl_or_b32 v1, v1, 21, v3
	v_add_nc_u32_e32 v3, 0x38000000, v1
                                        ; implicit-def: $vgpr1
.LBB6_26389:                            ;   in Loop: Header=BB6_22365 Depth=3
	s_and_not1_saveexec_b32 s75, s13
; %bb.26390:                            ;   in Loop: Header=BB6_22365 Depth=3
	v_bfe_i32 v3, v9, 0, 8
	v_cmp_eq_u32_e32 vcc_lo, 0, v1
	v_mov_b32_e32 v1, 0x7f800000
	s_delay_alu instid0(VALU_DEP_3) | instskip(NEXT) | instid1(VALU_DEP_1)
	v_cmp_lt_i16_e64 s13, -1, v3
	v_cndmask_b32_e64 v1, 0xff800000, v1, s13
	s_delay_alu instid0(VALU_DEP_1)
	v_cndmask_b32_e32 v3, 0x7f800001, v1, vcc_lo
; %bb.26391:                            ;   in Loop: Header=BB6_22365 Depth=3
	s_or_b32 exec_lo, exec_lo, s75
.LBB6_26392:                            ;   in Loop: Header=BB6_22365 Depth=3
	s_delay_alu instid0(SALU_CYCLE_1)
	s_or_b32 exec_lo, exec_lo, s74
.LBB6_26393:                            ;   in Loop: Header=BB6_22365 Depth=3
	s_delay_alu instid0(SALU_CYCLE_1) | instskip(NEXT) | instid1(VALU_DEP_1)
	s_or_b32 exec_lo, exec_lo, s73
	v_dual_add_f32 v4, v2, v3 :: v_dual_mov_b32 v47, v113
	v_mov_b32_e32 v3, v113
                                        ; implicit-def: $vgpr30
	s_mov_b32 s13, exec_lo
	s_delay_alu instid0(VALU_DEP_2) | instskip(SKIP_2) | instid1(VALU_DEP_3)
	v_and_b32_e32 v46, 0x7f800000, v4
	v_and_b32_e32 v2, 0x7fffff, v4
	v_lshrrev_b32_e32 v1, 24, v4
	v_cmpx_ne_u64_e32 0x7f800000, v[46:47]
	s_xor_b32 s73, exec_lo, s13
	s_cbranch_execz .LBB6_26407
; %bb.26394:                            ;   in Loop: Header=BB6_22365 Depth=3
	v_and_b32_e32 v46, 0x7fffffff, v4
	v_mov_b32_e32 v47, v113
	v_and_b32_e32 v1, 0x80, v1
                                        ; implicit-def: $vgpr30
	s_mov_b32 s13, exec_lo
	s_delay_alu instid0(VALU_DEP_2)
	v_cmpx_gt_u64_e32 0x47600001, v[46:47]
	s_xor_b32 s74, exec_lo, s13
	s_cbranch_execz .LBB6_26404
; %bb.26395:                            ;   in Loop: Header=BB6_22365 Depth=3
	v_mov_b32_e32 v30, 0
	s_mov_b32 s75, exec_lo
	v_cmpx_ne_u32_e32 0, v4
	s_cbranch_execz .LBB6_26403
; %bb.26396:                            ;   in Loop: Header=BB6_22365 Depth=3
	v_bfe_u32 v30, v4, 23, 8
	v_or_b32_e32 v5, 0x800000, v2
	s_delay_alu instid0(VALU_DEP_2) | instskip(SKIP_2) | instid1(VALU_DEP_2)
	v_cmp_gt_u32_e64 s13, 0x72, v30
	v_sub_nc_u32_e32 v4, 0x71, v30
	v_cmp_eq_u32_e32 vcc_lo, 0, v30
	v_dual_cndmask_b32 v4, 0, v4, s13 :: v_dual_cndmask_b32 v2, v5, v2, vcc_lo
	s_delay_alu instid0(VALU_DEP_1) | instskip(NEXT) | instid1(VALU_DEP_1)
	v_cndmask_b32_e64 v48, v4, 0x70, vcc_lo
	v_dual_add_nc_u32 v4, 21, v48 :: v_dual_add_nc_u32 v51, 20, v48
	s_delay_alu instid0(VALU_DEP_1) | instskip(NEXT) | instid1(VALU_DEP_2)
	v_lshlrev_b64_e64 v[4:5], v4, -1
	v_lshlrev_b64_e64 v[46:47], v51, 1
	s_delay_alu instid0(VALU_DEP_2) | instskip(SKIP_1) | instid1(VALU_DEP_4)
	v_bfi_b32 v4, v4, 0, v2
	v_lshrrev_b64 v[2:3], v48, v[2:3]
	v_bfi_b32 v5, v5, 0, 0
	s_delay_alu instid0(VALU_DEP_1) | instskip(NEXT) | instid1(VALU_DEP_3)
	v_cmp_eq_u64_e64 s13, v[4:5], v[46:47]
	v_mov_b64_e32 v[4:5], v[2:3]
	s_and_saveexec_b32 s76, s13
; %bb.26397:                            ;   in Loop: Header=BB6_22365 Depth=3
	v_bfe_u32 v4, v2, 21, 1
	v_mov_b32_e32 v5, v113
	s_delay_alu instid0(VALU_DEP_1) | instskip(NEXT) | instid1(VALU_DEP_1)
	v_add_nc_u64_e32 v[4:5], v[2:3], v[4:5]
	v_add_nc_u64_e32 v[4:5], -1, v[4:5]
; %bb.26398:                            ;   in Loop: Header=BB6_22365 Depth=3
	s_or_b32 exec_lo, exec_lo, s76
	v_add_nc_u32_e32 v3, 0xffffff81, v30
	v_lshrrev_b32_e32 v5, 23, v2
	s_mov_b32 s13, exec_lo
	s_delay_alu instid0(VALU_DEP_2) | instskip(NEXT) | instid1(VALU_DEP_1)
	v_cndmask_b32_e64 v3, v3, 0xffffff82, vcc_lo
	v_add3_u32 v30, v48, v3, v5
	v_and_b32_e32 v3, 0x1fffff, v4
                                        ; implicit-def: $vgpr4
	s_delay_alu instid0(VALU_DEP_2) | instskip(NEXT) | instid1(VALU_DEP_2)
	v_add_nc_u32_e32 v5, 14, v30
	v_dual_mov_b32 v3, v113 :: v_dual_add_nc_u32 v2, v3, v2
	s_delay_alu instid0(VALU_DEP_2)
	v_cmpx_ne_u32_e32 0, v5
	s_xor_b32 s13, exec_lo, s13
; %bb.26399:                            ;   in Loop: Header=BB6_22365 Depth=3
	s_delay_alu instid0(VALU_DEP_2) | instskip(SKIP_1) | instid1(VALU_DEP_1)
	v_cmp_lt_u64_e32 vcc_lo, 0xffffff, v[2:3]
	v_add_nc_u32_e32 v4, 15, v30
	v_cndmask_b32_e32 v4, v5, v4, vcc_lo
	v_cndmask_b32_e64 v5, 0, 1, vcc_lo
	s_delay_alu instid0(VALU_DEP_1)
	v_lshrrev_b64 v[2:3], v5, v[2:3]
; %bb.26400:                            ;   in Loop: Header=BB6_22365 Depth=3
	s_and_not1_saveexec_b32 s13, s13
; %bb.26401:                            ;   in Loop: Header=BB6_22365 Depth=3
	s_delay_alu instid0(VALU_DEP_1)
	v_bfe_u32 v4, v2, 23, 1
; %bb.26402:                            ;   in Loop: Header=BB6_22365 Depth=3
	s_or_b32 exec_lo, exec_lo, s13
	s_delay_alu instid0(VALU_DEP_2) | instskip(NEXT) | instid1(VALU_DEP_2)
	v_lshrrev_b64 v[2:3], 21, v[2:3]
	v_cmp_gt_i32_e32 vcc_lo, 32, v4
	v_min_i32_e32 v5, 31, v4
	v_cmp_eq_u32_e64 s13, 0, v4
	s_delay_alu instid0(VALU_DEP_2) | instskip(SKIP_1) | instid1(VALU_DEP_2)
	v_dual_cndmask_b32 v3, 0, v3, vcc_lo :: v_dual_lshlrev_b32 v5, 2, v5
	v_cndmask_b32_e32 v2, 3, v2, vcc_lo
	v_and_b32_e32 v5, 0xfc, v5
	s_delay_alu instid0(VALU_DEP_2) | instskip(NEXT) | instid1(VALU_DEP_2)
	v_cmp_eq_u64_e32 vcc_lo, 0, v[2:3]
	v_and_or_b32 v2, v2, 3, v5
	s_and_b32 s13, s13, vcc_lo
	s_delay_alu instid0(VALU_DEP_1) | instid1(SALU_CYCLE_1)
	v_cndmask_b32_e64 v2, v2, 0, s13
	s_delay_alu instid0(VALU_DEP_1)
	v_or_b32_e32 v30, v2, v1
.LBB6_26403:                            ;   in Loop: Header=BB6_22365 Depth=3
	s_or_b32 exec_lo, exec_lo, s75
                                        ; implicit-def: $vgpr1
.LBB6_26404:                            ;   in Loop: Header=BB6_22365 Depth=3
	s_and_not1_saveexec_b32 s13, s74
; %bb.26405:                            ;   in Loop: Header=BB6_22365 Depth=3
	v_or_b32_e32 v30, 0x7b, v1
; %bb.26406:                            ;   in Loop: Header=BB6_22365 Depth=3
	s_or_b32 exec_lo, exec_lo, s13
                                        ; implicit-def: $vgpr4
                                        ; implicit-def: $vgpr2_vgpr3
                                        ; implicit-def: $vgpr1
.LBB6_26407:                            ;   in Loop: Header=BB6_22365 Depth=3
	s_and_not1_saveexec_b32 s13, s73
	s_cbranch_execz .LBB6_26413
; %bb.26408:                            ;   in Loop: Header=BB6_22365 Depth=3
	s_mov_b32 s73, exec_lo
                                        ; implicit-def: $vgpr30
	v_cmpx_ne_u64_e32 0, v[2:3]
	s_xor_b32 s73, exec_lo, s73
; %bb.26409:                            ;   in Loop: Header=BB6_22365 Depth=3
	v_or_b32_e32 v30, 0x7f, v1
                                        ; implicit-def: $vgpr4
; %bb.26410:                            ;   in Loop: Header=BB6_22365 Depth=3
	s_and_not1_saveexec_b32 s73, s73
; %bb.26411:                            ;   in Loop: Header=BB6_22365 Depth=3
	v_cmp_lt_i32_e32 vcc_lo, -1, v4
	v_mov_b32_e32 v1, 0x7c
	s_delay_alu instid0(VALU_DEP_1)
	v_cndmask_b32_e32 v30, 0xfc, v1, vcc_lo
; %bb.26412:                            ;   in Loop: Header=BB6_22365 Depth=3
	s_or_b32 exec_lo, exec_lo, s73
.LBB6_26413:                            ;   in Loop: Header=BB6_22365 Depth=3
	s_delay_alu instid0(SALU_CYCLE_1) | instskip(SKIP_3) | instid1(VALU_DEP_2)
	s_or_b32 exec_lo, exec_lo, s13
	v_lshrrev_b16 v2, 8, v37
	v_dual_mov_b32 v1, 0 :: v_dual_mov_b32 v4, 0
	s_mov_b32 s73, exec_lo
	v_cmpx_ne_u16_e32 0, v2
	s_cbranch_execz .LBB6_26423
; %bb.26414:                            ;   in Loop: Header=BB6_22365 Depth=3
	v_bfrev_b32_e32 v4, 1
	s_mov_b32 s74, exec_lo
	v_cmpx_ne_u16_e32 0x80, v2
	s_cbranch_execz .LBB6_26422
; %bb.26415:                            ;   in Loop: Header=BB6_22365 Depth=3
	v_and_b32_e32 v5, 0xffff, v2
	s_delay_alu instid0(VALU_DEP_1) | instskip(SKIP_1) | instid1(VALU_DEP_2)
	v_and_b32_e32 v4, 0x7c, v5
	v_and_b32_e32 v3, 3, v5
	v_cmp_ne_u32_e32 vcc_lo, 0x7c, v4
                                        ; implicit-def: $vgpr4
	s_and_saveexec_b32 s13, vcc_lo
	s_delay_alu instid0(SALU_CYCLE_1)
	s_xor_b32 s13, exec_lo, s13
	s_cbranch_execz .LBB6_26419
; %bb.26416:                            ;   in Loop: Header=BB6_22365 Depth=3
	v_bfe_u32 v4, v5, 2, 5
	s_mov_b32 s75, exec_lo
	s_delay_alu instid0(VALU_DEP_1)
	v_cmpx_eq_u32_e32 0, v4
	s_cbranch_execz .LBB6_26418
; %bb.26417:                            ;   in Loop: Header=BB6_22365 Depth=3
	v_clz_i32_u32_e32 v3, v3
	s_delay_alu instid0(VALU_DEP_1) | instskip(SKIP_1) | instid1(VALU_DEP_2)
	v_min_u32_e32 v4, 32, v3
	v_mov_b32_e32 v3, v113
	v_subrev_nc_u32_e32 v5, 29, v4
	v_sub_nc_u32_e32 v4, 30, v4
	s_delay_alu instid0(VALU_DEP_2) | instskip(NEXT) | instid1(VALU_DEP_1)
	v_lshlrev_b64_e32 v[2:3], v5, v[2:3]
	v_and_b32_e32 v3, 3, v2
.LBB6_26418:                            ;   in Loop: Header=BB6_22365 Depth=3
	s_or_b32 exec_lo, exec_lo, s75
	v_lshlrev_b32_e32 v2, 16, v37
                                        ; implicit-def: $vgpr37
	s_delay_alu instid0(VALU_DEP_1) | instskip(NEXT) | instid1(VALU_DEP_1)
	v_and_b32_e32 v2, 0x80000000, v2
	v_lshl_add_u32 v2, v4, 23, v2
	s_delay_alu instid0(VALU_DEP_1) | instskip(NEXT) | instid1(VALU_DEP_1)
	v_lshl_or_b32 v2, v3, 21, v2
                                        ; implicit-def: $vgpr3
	v_add_nc_u32_e32 v4, 0x38000000, v2
.LBB6_26419:                            ;   in Loop: Header=BB6_22365 Depth=3
	s_and_not1_saveexec_b32 s75, s13
; %bb.26420:                            ;   in Loop: Header=BB6_22365 Depth=3
	v_cmp_lt_i16_e64 s13, -1, v37
	v_mov_b32_e32 v2, 0x7f800000
	v_cmp_eq_u32_e32 vcc_lo, 0, v3
	s_delay_alu instid0(VALU_DEP_2) | instskip(NEXT) | instid1(VALU_DEP_1)
	v_cndmask_b32_e64 v2, 0xff800000, v2, s13
	v_cndmask_b32_e32 v4, 0x7f800001, v2, vcc_lo
; %bb.26421:                            ;   in Loop: Header=BB6_22365 Depth=3
	s_or_b32 exec_lo, exec_lo, s75
.LBB6_26422:                            ;   in Loop: Header=BB6_22365 Depth=3
	s_delay_alu instid0(SALU_CYCLE_1)
	s_or_b32 exec_lo, exec_lo, s74
.LBB6_26423:                            ;   in Loop: Header=BB6_22365 Depth=3
	s_delay_alu instid0(SALU_CYCLE_1) | instskip(SKIP_2) | instid1(VALU_DEP_1)
	s_or_b32 exec_lo, exec_lo, s73
	v_lshrrev_b16 v2, 8, v9
	s_mov_b32 s73, exec_lo
	v_cmpx_ne_u16_e32 0, v2
	s_cbranch_execz .LBB6_26433
; %bb.26424:                            ;   in Loop: Header=BB6_22365 Depth=3
	v_bfrev_b32_e32 v1, 1
	s_mov_b32 s74, exec_lo
	v_cmpx_ne_u16_e32 0x80, v2
	s_cbranch_execz .LBB6_26432
; %bb.26425:                            ;   in Loop: Header=BB6_22365 Depth=3
	v_and_b32_e32 v5, 0xffff, v2
	s_delay_alu instid0(VALU_DEP_1) | instskip(SKIP_1) | instid1(VALU_DEP_2)
	v_and_b32_e32 v1, 0x7c, v5
	v_and_b32_e32 v3, 3, v5
	v_cmp_ne_u32_e32 vcc_lo, 0x7c, v1
                                        ; implicit-def: $vgpr1
	s_and_saveexec_b32 s13, vcc_lo
	s_delay_alu instid0(SALU_CYCLE_1)
	s_xor_b32 s13, exec_lo, s13
	s_cbranch_execz .LBB6_26429
; %bb.26426:                            ;   in Loop: Header=BB6_22365 Depth=3
	v_bfe_u32 v1, v5, 2, 5
	s_mov_b32 s75, exec_lo
	s_delay_alu instid0(VALU_DEP_1)
	v_cmpx_eq_u32_e32 0, v1
	s_cbranch_execz .LBB6_26428
; %bb.26427:                            ;   in Loop: Header=BB6_22365 Depth=3
	v_clz_i32_u32_e32 v1, v3
	s_delay_alu instid0(VALU_DEP_1) | instskip(SKIP_1) | instid1(VALU_DEP_2)
	v_min_u32_e32 v1, 32, v1
	v_mov_b32_e32 v3, v113
	v_subrev_nc_u32_e32 v5, 29, v1
	v_sub_nc_u32_e32 v1, 30, v1
	s_delay_alu instid0(VALU_DEP_2) | instskip(NEXT) | instid1(VALU_DEP_1)
	v_lshlrev_b64_e32 v[2:3], v5, v[2:3]
	v_and_b32_e32 v3, 3, v2
.LBB6_26428:                            ;   in Loop: Header=BB6_22365 Depth=3
	s_or_b32 exec_lo, exec_lo, s75
	v_lshlrev_b32_e32 v2, 16, v9
	s_delay_alu instid0(VALU_DEP_1) | instskip(NEXT) | instid1(VALU_DEP_1)
	v_and_b32_e32 v2, 0x80000000, v2
	v_lshl_add_u32 v1, v1, 23, v2
	s_delay_alu instid0(VALU_DEP_1) | instskip(NEXT) | instid1(VALU_DEP_1)
	v_lshl_or_b32 v1, v3, 21, v1
                                        ; implicit-def: $vgpr3
	v_add_nc_u32_e32 v1, 0x38000000, v1
.LBB6_26429:                            ;   in Loop: Header=BB6_22365 Depth=3
	s_and_not1_saveexec_b32 s75, s13
; %bb.26430:                            ;   in Loop: Header=BB6_22365 Depth=3
	v_cmp_lt_i16_e64 s13, -1, v9
	v_mov_b32_e32 v1, 0x7f800000
	v_cmp_eq_u32_e32 vcc_lo, 0, v3
	s_delay_alu instid0(VALU_DEP_2) | instskip(NEXT) | instid1(VALU_DEP_1)
	v_cndmask_b32_e64 v1, 0xff800000, v1, s13
	v_cndmask_b32_e32 v1, 0x7f800001, v1, vcc_lo
; %bb.26431:                            ;   in Loop: Header=BB6_22365 Depth=3
	s_or_b32 exec_lo, exec_lo, s75
.LBB6_26432:                            ;   in Loop: Header=BB6_22365 Depth=3
	s_delay_alu instid0(SALU_CYCLE_1)
	s_or_b32 exec_lo, exec_lo, s74
.LBB6_26433:                            ;   in Loop: Header=BB6_22365 Depth=3
	s_delay_alu instid0(SALU_CYCLE_1) | instskip(NEXT) | instid1(VALU_DEP_1)
	s_or_b32 exec_lo, exec_lo, s73
	v_dual_add_f32 v4, v4, v1 :: v_dual_mov_b32 v47, v113
	v_mov_b32_e32 v3, v113
                                        ; implicit-def: $vgpr37
	s_mov_b32 s13, exec_lo
	s_delay_alu instid0(VALU_DEP_2) | instskip(SKIP_2) | instid1(VALU_DEP_3)
	v_and_b32_e32 v46, 0x7f800000, v4
	v_and_b32_e32 v2, 0x7fffff, v4
	v_lshrrev_b32_e32 v1, 24, v4
	v_cmpx_ne_u64_e32 0x7f800000, v[46:47]
	s_xor_b32 s73, exec_lo, s13
	s_cbranch_execz .LBB6_26447
; %bb.26434:                            ;   in Loop: Header=BB6_22365 Depth=3
	v_and_b32_e32 v46, 0x7fffffff, v4
	v_mov_b32_e32 v47, v113
	v_and_b32_e32 v1, 0x80, v1
                                        ; implicit-def: $vgpr37
	s_mov_b32 s13, exec_lo
	s_delay_alu instid0(VALU_DEP_2)
	v_cmpx_gt_u64_e32 0x47600001, v[46:47]
	s_xor_b32 s74, exec_lo, s13
	s_cbranch_execz .LBB6_26444
; %bb.26435:                            ;   in Loop: Header=BB6_22365 Depth=3
	v_mov_b32_e32 v37, 0
	s_mov_b32 s75, exec_lo
	v_cmpx_ne_u32_e32 0, v4
	s_cbranch_execz .LBB6_26443
; %bb.26436:                            ;   in Loop: Header=BB6_22365 Depth=3
	v_bfe_u32 v37, v4, 23, 8
	v_or_b32_e32 v5, 0x800000, v2
	s_delay_alu instid0(VALU_DEP_2) | instskip(SKIP_2) | instid1(VALU_DEP_2)
	v_cmp_gt_u32_e64 s13, 0x72, v37
	v_sub_nc_u32_e32 v4, 0x71, v37
	v_cmp_eq_u32_e32 vcc_lo, 0, v37
	v_dual_cndmask_b32 v4, 0, v4, s13 :: v_dual_cndmask_b32 v2, v5, v2, vcc_lo
	s_delay_alu instid0(VALU_DEP_1) | instskip(NEXT) | instid1(VALU_DEP_1)
	v_cndmask_b32_e64 v48, v4, 0x70, vcc_lo
	v_dual_add_nc_u32 v4, 21, v48 :: v_dual_add_nc_u32 v51, 20, v48
	s_delay_alu instid0(VALU_DEP_1) | instskip(NEXT) | instid1(VALU_DEP_2)
	v_lshlrev_b64_e64 v[4:5], v4, -1
	v_lshlrev_b64_e64 v[46:47], v51, 1
	s_delay_alu instid0(VALU_DEP_2) | instskip(SKIP_1) | instid1(VALU_DEP_4)
	v_bfi_b32 v4, v4, 0, v2
	v_lshrrev_b64 v[2:3], v48, v[2:3]
	v_bfi_b32 v5, v5, 0, 0
	s_delay_alu instid0(VALU_DEP_1) | instskip(NEXT) | instid1(VALU_DEP_3)
	v_cmp_eq_u64_e64 s13, v[4:5], v[46:47]
	v_mov_b64_e32 v[4:5], v[2:3]
	s_and_saveexec_b32 s76, s13
; %bb.26437:                            ;   in Loop: Header=BB6_22365 Depth=3
	v_bfe_u32 v4, v2, 21, 1
	v_mov_b32_e32 v5, v113
	s_delay_alu instid0(VALU_DEP_1) | instskip(NEXT) | instid1(VALU_DEP_1)
	v_add_nc_u64_e32 v[4:5], v[2:3], v[4:5]
	v_add_nc_u64_e32 v[4:5], -1, v[4:5]
; %bb.26438:                            ;   in Loop: Header=BB6_22365 Depth=3
	s_or_b32 exec_lo, exec_lo, s76
	v_add_nc_u32_e32 v3, 0xffffff81, v37
	v_lshrrev_b32_e32 v5, 23, v2
	s_mov_b32 s13, exec_lo
	s_delay_alu instid0(VALU_DEP_2) | instskip(NEXT) | instid1(VALU_DEP_1)
	v_cndmask_b32_e64 v3, v3, 0xffffff82, vcc_lo
	v_add3_u32 v37, v48, v3, v5
	v_and_b32_e32 v3, 0x1fffff, v4
                                        ; implicit-def: $vgpr4
	s_delay_alu instid0(VALU_DEP_1) | instskip(SKIP_1) | instid1(VALU_DEP_2)
	v_dual_add_nc_u32 v5, 14, v37 :: v_dual_add_nc_u32 v2, v3, v2
	v_mov_b32_e32 v3, v113
	v_cmpx_ne_u32_e32 0, v5
	s_xor_b32 s13, exec_lo, s13
; %bb.26439:                            ;   in Loop: Header=BB6_22365 Depth=3
	s_delay_alu instid0(VALU_DEP_2) | instskip(SKIP_1) | instid1(VALU_DEP_1)
	v_cmp_lt_u64_e32 vcc_lo, 0xffffff, v[2:3]
	v_add_nc_u32_e32 v4, 15, v37
	v_cndmask_b32_e32 v4, v5, v4, vcc_lo
	v_cndmask_b32_e64 v5, 0, 1, vcc_lo
	s_delay_alu instid0(VALU_DEP_1)
	v_lshrrev_b64 v[2:3], v5, v[2:3]
; %bb.26440:                            ;   in Loop: Header=BB6_22365 Depth=3
	s_and_not1_saveexec_b32 s13, s13
; %bb.26441:                            ;   in Loop: Header=BB6_22365 Depth=3
	s_delay_alu instid0(VALU_DEP_1)
	v_bfe_u32 v4, v2, 23, 1
; %bb.26442:                            ;   in Loop: Header=BB6_22365 Depth=3
	s_or_b32 exec_lo, exec_lo, s13
	s_delay_alu instid0(VALU_DEP_2) | instskip(NEXT) | instid1(VALU_DEP_2)
	v_lshrrev_b64 v[2:3], 21, v[2:3]
	v_cmp_gt_i32_e32 vcc_lo, 32, v4
	v_min_i32_e32 v5, 31, v4
	v_cmp_eq_u32_e64 s13, 0, v4
	s_delay_alu instid0(VALU_DEP_2) | instskip(SKIP_1) | instid1(VALU_DEP_2)
	v_dual_cndmask_b32 v3, 0, v3, vcc_lo :: v_dual_lshlrev_b32 v5, 2, v5
	v_cndmask_b32_e32 v2, 3, v2, vcc_lo
	v_and_b32_e32 v5, 0xfc, v5
	s_delay_alu instid0(VALU_DEP_2) | instskip(NEXT) | instid1(VALU_DEP_2)
	v_cmp_eq_u64_e32 vcc_lo, 0, v[2:3]
	v_and_or_b32 v2, v2, 3, v5
	s_and_b32 s13, s13, vcc_lo
	s_delay_alu instid0(VALU_DEP_1) | instid1(SALU_CYCLE_1)
	v_cndmask_b32_e64 v2, v2, 0, s13
	s_delay_alu instid0(VALU_DEP_1)
	v_or_b32_e32 v37, v2, v1
.LBB6_26443:                            ;   in Loop: Header=BB6_22365 Depth=3
	s_or_b32 exec_lo, exec_lo, s75
                                        ; implicit-def: $vgpr1
.LBB6_26444:                            ;   in Loop: Header=BB6_22365 Depth=3
	s_and_not1_saveexec_b32 s13, s74
; %bb.26445:                            ;   in Loop: Header=BB6_22365 Depth=3
	v_or_b32_e32 v37, 0x7b, v1
; %bb.26446:                            ;   in Loop: Header=BB6_22365 Depth=3
	s_or_b32 exec_lo, exec_lo, s13
                                        ; implicit-def: $vgpr4
                                        ; implicit-def: $vgpr2_vgpr3
                                        ; implicit-def: $vgpr1
.LBB6_26447:                            ;   in Loop: Header=BB6_22365 Depth=3
	s_and_not1_saveexec_b32 s13, s73
	s_cbranch_execz .LBB6_26453
; %bb.26448:                            ;   in Loop: Header=BB6_22365 Depth=3
	s_mov_b32 s73, exec_lo
                                        ; implicit-def: $vgpr37
	v_cmpx_ne_u64_e32 0, v[2:3]
	s_xor_b32 s73, exec_lo, s73
; %bb.26449:                            ;   in Loop: Header=BB6_22365 Depth=3
	v_or_b32_e32 v37, 0x7f, v1
                                        ; implicit-def: $vgpr4
; %bb.26450:                            ;   in Loop: Header=BB6_22365 Depth=3
	s_and_not1_saveexec_b32 s73, s73
; %bb.26451:                            ;   in Loop: Header=BB6_22365 Depth=3
	v_cmp_lt_i32_e32 vcc_lo, -1, v4
	v_mov_b32_e32 v1, 0x7c
	s_delay_alu instid0(VALU_DEP_1)
	v_cndmask_b32_e32 v37, 0xfc, v1, vcc_lo
; %bb.26452:                            ;   in Loop: Header=BB6_22365 Depth=3
	s_or_b32 exec_lo, exec_lo, s73
.LBB6_26453:                            ;   in Loop: Header=BB6_22365 Depth=3
	s_delay_alu instid0(SALU_CYCLE_1) | instskip(SKIP_3) | instid1(VALU_DEP_2)
	s_or_b32 exec_lo, exec_lo, s13
	v_dual_mov_b32 v1, 0 :: v_dual_lshrrev_b32 v2, 16, v0
	v_mov_b32_e32 v3, 0
	s_mov_b32 s73, exec_lo
	v_and_b32_e32 v4, 0xff, v2
	s_delay_alu instid0(VALU_DEP_1)
	v_cmpx_ne_u16_e32 0, v4
	s_cbranch_execz .LBB6_26463
; %bb.26454:                            ;   in Loop: Header=BB6_22365 Depth=3
	v_bfrev_b32_e32 v3, 1
	s_mov_b32 s74, exec_lo
	v_cmpx_ne_u16_e32 0x80, v4
	s_cbranch_execz .LBB6_26462
; %bb.26455:                            ;   in Loop: Header=BB6_22365 Depth=3
	v_and_b32_e32 v3, 0x7c0000, v0
	v_bfe_u32 v4, v0, 16, 2
	s_delay_alu instid0(VALU_DEP_2) | instskip(SKIP_1) | instid1(SALU_CYCLE_1)
	v_cmp_ne_u32_e32 vcc_lo, 0x7c0000, v3
                                        ; implicit-def: $vgpr3
	s_and_saveexec_b32 s13, vcc_lo
	s_xor_b32 s13, exec_lo, s13
	s_cbranch_execz .LBB6_26459
; %bb.26456:                            ;   in Loop: Header=BB6_22365 Depth=3
	v_bfe_u32 v3, v0, 18, 5
	s_mov_b32 s75, exec_lo
	s_delay_alu instid0(VALU_DEP_1)
	v_cmpx_eq_u32_e32 0, v3
; %bb.26457:                            ;   in Loop: Header=BB6_22365 Depth=3
	v_clz_i32_u32_e32 v3, v4
	s_delay_alu instid0(VALU_DEP_1) | instskip(NEXT) | instid1(VALU_DEP_1)
	v_min_u32_e32 v3, 32, v3
	v_subrev_nc_u32_e32 v4, 29, v3
	s_delay_alu instid0(VALU_DEP_1) | instskip(NEXT) | instid1(VALU_DEP_1)
	v_lshlrev_b64_e32 v[4:5], v4, v[2:3]
	v_dual_sub_nc_u32 v3, 30, v3 :: v_dual_bitop2_b32 v4, 3, v4 bitop3:0x40
; %bb.26458:                            ;   in Loop: Header=BB6_22365 Depth=3
	s_or_b32 exec_lo, exec_lo, s75
	v_lshlrev_b32_e32 v2, 24, v2
	s_delay_alu instid0(VALU_DEP_1) | instskip(NEXT) | instid1(VALU_DEP_1)
	v_and_b32_e32 v2, 0x80000000, v2
	v_lshl_add_u32 v2, v3, 23, v2
	s_delay_alu instid0(VALU_DEP_1) | instskip(NEXT) | instid1(VALU_DEP_1)
	v_lshl_or_b32 v2, v4, 21, v2
                                        ; implicit-def: $vgpr4
	v_add_nc_u32_e32 v3, 0x38000000, v2
                                        ; implicit-def: $vgpr2
.LBB6_26459:                            ;   in Loop: Header=BB6_22365 Depth=3
	s_and_not1_saveexec_b32 s75, s13
; %bb.26460:                            ;   in Loop: Header=BB6_22365 Depth=3
	v_bfe_i32 v2, v2, 0, 8
	v_cmp_eq_u32_e32 vcc_lo, 0, v4
	s_delay_alu instid0(VALU_DEP_2) | instskip(SKIP_1) | instid1(VALU_DEP_1)
	v_cmp_lt_i16_e64 s13, -1, v2
	v_mov_b32_e32 v2, 0x7f800000
	v_cndmask_b32_e64 v2, 0xff800000, v2, s13
	s_delay_alu instid0(VALU_DEP_1)
	v_cndmask_b32_e32 v3, 0x7f800001, v2, vcc_lo
; %bb.26461:                            ;   in Loop: Header=BB6_22365 Depth=3
	s_or_b32 exec_lo, exec_lo, s75
.LBB6_26462:                            ;   in Loop: Header=BB6_22365 Depth=3
	s_delay_alu instid0(SALU_CYCLE_1)
	s_or_b32 exec_lo, exec_lo, s74
.LBB6_26463:                            ;   in Loop: Header=BB6_22365 Depth=3
	s_delay_alu instid0(SALU_CYCLE_1) | instskip(SKIP_2) | instid1(VALU_DEP_1)
	s_or_b32 exec_lo, exec_lo, s73
	v_lshrrev_b32_e32 v2, 16, v9
	s_mov_b32 s73, exec_lo
	v_and_b32_e32 v4, 0xff, v2
	s_delay_alu instid0(VALU_DEP_1)
	v_cmpx_ne_u16_e32 0, v4
	s_cbranch_execz .LBB6_26473
; %bb.26464:                            ;   in Loop: Header=BB6_22365 Depth=3
	v_bfrev_b32_e32 v1, 1
	s_mov_b32 s74, exec_lo
	v_cmpx_ne_u16_e32 0x80, v4
	s_cbranch_execz .LBB6_26472
; %bb.26465:                            ;   in Loop: Header=BB6_22365 Depth=3
	v_and_b32_e32 v1, 0x7c0000, v9
	v_bfe_u32 v4, v9, 16, 2
	s_delay_alu instid0(VALU_DEP_2) | instskip(SKIP_1) | instid1(SALU_CYCLE_1)
	v_cmp_ne_u32_e32 vcc_lo, 0x7c0000, v1
                                        ; implicit-def: $vgpr1
	s_and_saveexec_b32 s13, vcc_lo
	s_xor_b32 s13, exec_lo, s13
	s_cbranch_execz .LBB6_26469
; %bb.26466:                            ;   in Loop: Header=BB6_22365 Depth=3
	v_bfe_u32 v1, v9, 18, 5
	s_mov_b32 s75, exec_lo
	s_delay_alu instid0(VALU_DEP_1)
	v_cmpx_eq_u32_e32 0, v1
; %bb.26467:                            ;   in Loop: Header=BB6_22365 Depth=3
	v_clz_i32_u32_e32 v1, v4
	s_delay_alu instid0(VALU_DEP_1) | instskip(NEXT) | instid1(VALU_DEP_1)
	v_min_u32_e32 v1, 32, v1
	v_subrev_nc_u32_e32 v4, 29, v1
	s_delay_alu instid0(VALU_DEP_1) | instskip(NEXT) | instid1(VALU_DEP_1)
	v_lshlrev_b64_e32 v[4:5], v4, v[2:3]
	v_dual_sub_nc_u32 v1, 30, v1 :: v_dual_bitop2_b32 v4, 3, v4 bitop3:0x40
; %bb.26468:                            ;   in Loop: Header=BB6_22365 Depth=3
	s_or_b32 exec_lo, exec_lo, s75
	v_lshlrev_b32_e32 v2, 24, v2
	s_delay_alu instid0(VALU_DEP_1) | instskip(NEXT) | instid1(VALU_DEP_1)
	v_and_b32_e32 v2, 0x80000000, v2
	v_lshl_add_u32 v1, v1, 23, v2
                                        ; implicit-def: $vgpr2
	s_delay_alu instid0(VALU_DEP_1) | instskip(NEXT) | instid1(VALU_DEP_1)
	v_lshl_or_b32 v1, v4, 21, v1
                                        ; implicit-def: $vgpr4
	v_add_nc_u32_e32 v1, 0x38000000, v1
.LBB6_26469:                            ;   in Loop: Header=BB6_22365 Depth=3
	s_and_not1_saveexec_b32 s75, s13
; %bb.26470:                            ;   in Loop: Header=BB6_22365 Depth=3
	v_bfe_i32 v1, v2, 0, 8
	v_cmp_eq_u32_e32 vcc_lo, 0, v4
	s_delay_alu instid0(VALU_DEP_2) | instskip(SKIP_1) | instid1(VALU_DEP_1)
	v_cmp_lt_i16_e64 s13, -1, v1
	v_mov_b32_e32 v1, 0x7f800000
	v_cndmask_b32_e64 v1, 0xff800000, v1, s13
	s_delay_alu instid0(VALU_DEP_1)
	v_cndmask_b32_e32 v1, 0x7f800001, v1, vcc_lo
; %bb.26471:                            ;   in Loop: Header=BB6_22365 Depth=3
	s_or_b32 exec_lo, exec_lo, s75
.LBB6_26472:                            ;   in Loop: Header=BB6_22365 Depth=3
	s_delay_alu instid0(SALU_CYCLE_1)
	s_or_b32 exec_lo, exec_lo, s74
.LBB6_26473:                            ;   in Loop: Header=BB6_22365 Depth=3
	s_delay_alu instid0(SALU_CYCLE_1) | instskip(NEXT) | instid1(VALU_DEP_1)
	s_or_b32 exec_lo, exec_lo, s73
	v_dual_add_f32 v4, v3, v1 :: v_dual_mov_b32 v47, v113
	v_mov_b32_e32 v3, v113
                                        ; implicit-def: $vgpr48
	s_mov_b32 s13, exec_lo
	s_delay_alu instid0(VALU_DEP_2) | instskip(SKIP_2) | instid1(VALU_DEP_3)
	v_and_b32_e32 v46, 0x7f800000, v4
	v_and_b32_e32 v2, 0x7fffff, v4
	v_lshrrev_b32_e32 v1, 24, v4
	v_cmpx_ne_u64_e32 0x7f800000, v[46:47]
	s_xor_b32 s73, exec_lo, s13
	s_cbranch_execz .LBB6_26487
; %bb.26474:                            ;   in Loop: Header=BB6_22365 Depth=3
	v_and_b32_e32 v46, 0x7fffffff, v4
	v_mov_b32_e32 v47, v113
	v_and_b32_e32 v1, 0x80, v1
                                        ; implicit-def: $vgpr48
	s_mov_b32 s13, exec_lo
	s_delay_alu instid0(VALU_DEP_2)
	v_cmpx_gt_u64_e32 0x47600001, v[46:47]
	s_xor_b32 s74, exec_lo, s13
	s_cbranch_execz .LBB6_26484
; %bb.26475:                            ;   in Loop: Header=BB6_22365 Depth=3
	v_mov_b32_e32 v48, 0
	s_mov_b32 s75, exec_lo
	v_cmpx_ne_u32_e32 0, v4
	s_cbranch_execz .LBB6_26483
; %bb.26476:                            ;   in Loop: Header=BB6_22365 Depth=3
	v_bfe_u32 v48, v4, 23, 8
	v_or_b32_e32 v5, 0x800000, v2
	s_delay_alu instid0(VALU_DEP_2) | instskip(SKIP_2) | instid1(VALU_DEP_2)
	v_cmp_gt_u32_e64 s13, 0x72, v48
	v_sub_nc_u32_e32 v4, 0x71, v48
	v_cmp_eq_u32_e32 vcc_lo, 0, v48
	v_dual_cndmask_b32 v4, 0, v4, s13 :: v_dual_cndmask_b32 v2, v5, v2, vcc_lo
	s_delay_alu instid0(VALU_DEP_1) | instskip(NEXT) | instid1(VALU_DEP_1)
	v_cndmask_b32_e64 v51, v4, 0x70, vcc_lo
	v_dual_add_nc_u32 v4, 21, v51 :: v_dual_add_nc_u32 v64, 20, v51
	s_delay_alu instid0(VALU_DEP_1) | instskip(NEXT) | instid1(VALU_DEP_2)
	v_lshlrev_b64_e64 v[4:5], v4, -1
	v_lshlrev_b64_e64 v[46:47], v64, 1
	s_delay_alu instid0(VALU_DEP_2) | instskip(SKIP_1) | instid1(VALU_DEP_4)
	v_bfi_b32 v4, v4, 0, v2
	v_lshrrev_b64 v[2:3], v51, v[2:3]
	v_bfi_b32 v5, v5, 0, 0
	s_delay_alu instid0(VALU_DEP_1) | instskip(NEXT) | instid1(VALU_DEP_3)
	v_cmp_eq_u64_e64 s13, v[4:5], v[46:47]
	v_mov_b64_e32 v[4:5], v[2:3]
	s_and_saveexec_b32 s76, s13
; %bb.26477:                            ;   in Loop: Header=BB6_22365 Depth=3
	v_bfe_u32 v4, v2, 21, 1
	v_mov_b32_e32 v5, v113
	s_delay_alu instid0(VALU_DEP_1) | instskip(NEXT) | instid1(VALU_DEP_1)
	v_add_nc_u64_e32 v[4:5], v[2:3], v[4:5]
	v_add_nc_u64_e32 v[4:5], -1, v[4:5]
; %bb.26478:                            ;   in Loop: Header=BB6_22365 Depth=3
	s_or_b32 exec_lo, exec_lo, s76
	v_add_nc_u32_e32 v3, 0xffffff81, v48
	v_lshrrev_b32_e32 v5, 23, v2
	s_mov_b32 s13, exec_lo
	s_delay_alu instid0(VALU_DEP_2) | instskip(NEXT) | instid1(VALU_DEP_1)
	v_cndmask_b32_e64 v3, v3, 0xffffff82, vcc_lo
	v_add3_u32 v48, v51, v3, v5
	v_and_b32_e32 v3, 0x1fffff, v4
                                        ; implicit-def: $vgpr4
	s_delay_alu instid0(VALU_DEP_1) | instskip(SKIP_1) | instid1(VALU_DEP_2)
	v_dual_add_nc_u32 v5, 14, v48 :: v_dual_add_nc_u32 v2, v3, v2
	v_mov_b32_e32 v3, v113
	v_cmpx_ne_u32_e32 0, v5
	s_xor_b32 s13, exec_lo, s13
; %bb.26479:                            ;   in Loop: Header=BB6_22365 Depth=3
	s_delay_alu instid0(VALU_DEP_2) | instskip(SKIP_1) | instid1(VALU_DEP_1)
	v_cmp_lt_u64_e32 vcc_lo, 0xffffff, v[2:3]
	v_add_nc_u32_e32 v4, 15, v48
	v_cndmask_b32_e32 v4, v5, v4, vcc_lo
	v_cndmask_b32_e64 v5, 0, 1, vcc_lo
	s_delay_alu instid0(VALU_DEP_1)
	v_lshrrev_b64 v[2:3], v5, v[2:3]
; %bb.26480:                            ;   in Loop: Header=BB6_22365 Depth=3
	s_and_not1_saveexec_b32 s13, s13
; %bb.26481:                            ;   in Loop: Header=BB6_22365 Depth=3
	s_delay_alu instid0(VALU_DEP_1)
	v_bfe_u32 v4, v2, 23, 1
; %bb.26482:                            ;   in Loop: Header=BB6_22365 Depth=3
	s_or_b32 exec_lo, exec_lo, s13
	s_delay_alu instid0(VALU_DEP_2) | instskip(NEXT) | instid1(VALU_DEP_2)
	v_lshrrev_b64 v[2:3], 21, v[2:3]
	v_cmp_gt_i32_e32 vcc_lo, 32, v4
	v_min_i32_e32 v5, 31, v4
	v_cmp_eq_u32_e64 s13, 0, v4
	s_delay_alu instid0(VALU_DEP_2) | instskip(SKIP_1) | instid1(VALU_DEP_2)
	v_dual_cndmask_b32 v3, 0, v3, vcc_lo :: v_dual_lshlrev_b32 v5, 2, v5
	v_cndmask_b32_e32 v2, 3, v2, vcc_lo
	v_and_b32_e32 v5, 0xfc, v5
	s_delay_alu instid0(VALU_DEP_2) | instskip(NEXT) | instid1(VALU_DEP_2)
	v_cmp_eq_u64_e32 vcc_lo, 0, v[2:3]
	v_and_or_b32 v2, v2, 3, v5
	s_and_b32 s13, s13, vcc_lo
	s_delay_alu instid0(VALU_DEP_1) | instid1(SALU_CYCLE_1)
	v_cndmask_b32_e64 v2, v2, 0, s13
	s_delay_alu instid0(VALU_DEP_1)
	v_or_b32_e32 v48, v2, v1
.LBB6_26483:                            ;   in Loop: Header=BB6_22365 Depth=3
	s_or_b32 exec_lo, exec_lo, s75
                                        ; implicit-def: $vgpr1
.LBB6_26484:                            ;   in Loop: Header=BB6_22365 Depth=3
	s_and_not1_saveexec_b32 s13, s74
; %bb.26485:                            ;   in Loop: Header=BB6_22365 Depth=3
	v_or_b32_e32 v48, 0x7b, v1
; %bb.26486:                            ;   in Loop: Header=BB6_22365 Depth=3
	s_or_b32 exec_lo, exec_lo, s13
                                        ; implicit-def: $vgpr4
                                        ; implicit-def: $vgpr2_vgpr3
                                        ; implicit-def: $vgpr1
.LBB6_26487:                            ;   in Loop: Header=BB6_22365 Depth=3
	s_and_not1_saveexec_b32 s13, s73
	s_cbranch_execz .LBB6_26493
; %bb.26488:                            ;   in Loop: Header=BB6_22365 Depth=3
	s_mov_b32 s73, exec_lo
                                        ; implicit-def: $vgpr48
	v_cmpx_ne_u64_e32 0, v[2:3]
	s_xor_b32 s73, exec_lo, s73
; %bb.26489:                            ;   in Loop: Header=BB6_22365 Depth=3
	v_or_b32_e32 v48, 0x7f, v1
                                        ; implicit-def: $vgpr4
; %bb.26490:                            ;   in Loop: Header=BB6_22365 Depth=3
	s_and_not1_saveexec_b32 s73, s73
; %bb.26491:                            ;   in Loop: Header=BB6_22365 Depth=3
	v_cmp_lt_i32_e32 vcc_lo, -1, v4
	v_mov_b32_e32 v1, 0x7c
	s_delay_alu instid0(VALU_DEP_1)
	v_cndmask_b32_e32 v48, 0xfc, v1, vcc_lo
; %bb.26492:                            ;   in Loop: Header=BB6_22365 Depth=3
	s_or_b32 exec_lo, exec_lo, s73
.LBB6_26493:                            ;   in Loop: Header=BB6_22365 Depth=3
	s_delay_alu instid0(SALU_CYCLE_1)
	s_or_b32 exec_lo, exec_lo, s13
	v_dual_mov_b32 v3, 0 :: v_dual_mov_b32 v4, 0
	s_mov_b32 s73, exec_lo
	v_cmpx_lt_u32_e32 0xffffff, v0
	s_cbranch_execz .LBB6_26503
; %bb.26494:                            ;   in Loop: Header=BB6_22365 Depth=3
	v_lshrrev_b32_e32 v2, 24, v0
	v_bfrev_b32_e32 v4, 1
	s_mov_b32 s74, exec_lo
	s_delay_alu instid0(VALU_DEP_2)
	v_cmpx_ne_u32_e32 0x80, v2
	s_cbranch_execz .LBB6_26502
; %bb.26495:                            ;   in Loop: Header=BB6_22365 Depth=3
	v_and_b32_e32 v1, 0x7c000000, v0
	v_bfe_u32 v5, v0, 24, 2
	s_mov_b32 s13, exec_lo
                                        ; implicit-def: $vgpr4
	s_delay_alu instid0(VALU_DEP_2)
	v_cmpx_ne_u32_e32 0x7c000000, v1
	s_xor_b32 s13, exec_lo, s13
	s_cbranch_execz .LBB6_26499
; %bb.26496:                            ;   in Loop: Header=BB6_22365 Depth=3
	v_bfe_u32 v1, v0, 26, 5
	s_mov_b32 s75, exec_lo
	s_delay_alu instid0(VALU_DEP_1)
	v_cmpx_eq_u32_e32 0, v1
; %bb.26497:                            ;   in Loop: Header=BB6_22365 Depth=3
	v_clz_i32_u32_e32 v1, v5
	s_delay_alu instid0(VALU_DEP_1) | instskip(NEXT) | instid1(VALU_DEP_1)
	v_min_u32_e32 v1, 32, v1
	v_subrev_nc_u32_e32 v4, 29, v1
	s_delay_alu instid0(VALU_DEP_1) | instskip(NEXT) | instid1(VALU_DEP_1)
	v_lshlrev_b64_e32 v[4:5], v4, v[2:3]
	v_dual_sub_nc_u32 v1, 30, v1 :: v_dual_bitop2_b32 v5, 3, v4 bitop3:0x40
; %bb.26498:                            ;   in Loop: Header=BB6_22365 Depth=3
	s_or_b32 exec_lo, exec_lo, s75
	v_and_b32_e32 v0, 0x80000000, v0
	s_delay_alu instid0(VALU_DEP_1) | instskip(NEXT) | instid1(VALU_DEP_1)
	v_lshl_add_u32 v0, v1, 23, v0
	v_lshl_or_b32 v0, v5, 21, v0
                                        ; implicit-def: $vgpr5
	s_delay_alu instid0(VALU_DEP_1)
	v_add_nc_u32_e32 v4, 0x38000000, v0
                                        ; implicit-def: $vgpr0_vgpr1
.LBB6_26499:                            ;   in Loop: Header=BB6_22365 Depth=3
	s_and_not1_saveexec_b32 s75, s13
; %bb.26500:                            ;   in Loop: Header=BB6_22365 Depth=3
	v_cmp_lt_i32_e64 s13, -1, v0
	v_mov_b32_e32 v0, 0x7f800000
	v_cmp_eq_u32_e32 vcc_lo, 0, v5
	s_delay_alu instid0(VALU_DEP_2) | instskip(NEXT) | instid1(VALU_DEP_1)
	v_cndmask_b32_e64 v0, 0xff800000, v0, s13
	v_cndmask_b32_e32 v4, 0x7f800001, v0, vcc_lo
; %bb.26501:                            ;   in Loop: Header=BB6_22365 Depth=3
	s_or_b32 exec_lo, exec_lo, s75
.LBB6_26502:                            ;   in Loop: Header=BB6_22365 Depth=3
	s_delay_alu instid0(SALU_CYCLE_1)
	s_or_b32 exec_lo, exec_lo, s74
.LBB6_26503:                            ;   in Loop: Header=BB6_22365 Depth=3
	s_delay_alu instid0(SALU_CYCLE_1) | instskip(NEXT) | instid1(SALU_CYCLE_1)
	s_or_b32 exec_lo, exec_lo, s73
	s_mov_b32 s73, exec_lo
	v_cmpx_lt_u64_e64 s[22:23], v[8:9]
	s_cbranch_execz .LBB6_26513
; %bb.26504:                            ;   in Loop: Header=BB6_22365 Depth=3
	v_lshrrev_b32_e32 v0, 24, v9
	v_bfrev_b32_e32 v3, 1
	s_mov_b32 s74, exec_lo
	s_delay_alu instid0(VALU_DEP_2)
	v_cmpx_ne_u32_e32 0x80, v0
	s_cbranch_execz .LBB6_26512
; %bb.26505:                            ;   in Loop: Header=BB6_22365 Depth=3
	v_and_b32_e32 v2, 0x7c000000, v9
	v_bfe_u32 v1, v9, 24, 2
	s_mov_b32 s13, exec_lo
                                        ; implicit-def: $vgpr3
	s_delay_alu instid0(VALU_DEP_2)
	v_cmpx_ne_u32_e32 0x7c000000, v2
	s_xor_b32 s13, exec_lo, s13
	s_cbranch_execz .LBB6_26509
; %bb.26506:                            ;   in Loop: Header=BB6_22365 Depth=3
	v_bfe_u32 v2, v9, 26, 5
	s_mov_b32 s75, exec_lo
	s_delay_alu instid0(VALU_DEP_1)
	v_cmpx_eq_u32_e32 0, v2
; %bb.26507:                            ;   in Loop: Header=BB6_22365 Depth=3
	v_clz_i32_u32_e32 v1, v1
	s_delay_alu instid0(VALU_DEP_1) | instskip(NEXT) | instid1(VALU_DEP_1)
	v_min_u32_e32 v2, 32, v1
	v_subrev_nc_u32_e32 v1, 29, v2
	s_delay_alu instid0(VALU_DEP_1) | instskip(NEXT) | instid1(VALU_DEP_1)
	v_lshlrev_b64_e32 v[0:1], v1, v[0:1]
	v_dual_sub_nc_u32 v2, 30, v2 :: v_dual_bitop2_b32 v1, 3, v0 bitop3:0x40
; %bb.26508:                            ;   in Loop: Header=BB6_22365 Depth=3
	s_or_b32 exec_lo, exec_lo, s75
	v_and_b32_e32 v0, 0x80000000, v9
	s_delay_alu instid0(VALU_DEP_1) | instskip(NEXT) | instid1(VALU_DEP_1)
	v_lshl_add_u32 v0, v2, 23, v0
	v_lshl_or_b32 v0, v1, 21, v0
                                        ; implicit-def: $vgpr1
	s_delay_alu instid0(VALU_DEP_1)
	v_add_nc_u32_e32 v3, 0x38000000, v0
.LBB6_26509:                            ;   in Loop: Header=BB6_22365 Depth=3
	s_and_not1_saveexec_b32 s75, s13
; %bb.26510:                            ;   in Loop: Header=BB6_22365 Depth=3
	v_cmp_lt_i64_e64 s13, -1, v[8:9]
	v_mov_b32_e32 v0, 0x7f800000
	v_cmp_eq_u32_e32 vcc_lo, 0, v1
	s_delay_alu instid0(VALU_DEP_2) | instskip(NEXT) | instid1(VALU_DEP_1)
	v_cndmask_b32_e64 v0, 0xff800000, v0, s13
	v_cndmask_b32_e32 v3, 0x7f800001, v0, vcc_lo
; %bb.26511:                            ;   in Loop: Header=BB6_22365 Depth=3
	s_or_b32 exec_lo, exec_lo, s75
.LBB6_26512:                            ;   in Loop: Header=BB6_22365 Depth=3
	s_delay_alu instid0(SALU_CYCLE_1)
	s_or_b32 exec_lo, exec_lo, s74
.LBB6_26513:                            ;   in Loop: Header=BB6_22365 Depth=3
	s_delay_alu instid0(SALU_CYCLE_1) | instskip(NEXT) | instid1(VALU_DEP_1)
	s_or_b32 exec_lo, exec_lo, s73
	v_dual_add_f32 v2, v4, v3 :: v_dual_mov_b32 v5, v113
	v_mov_b32_e32 v1, v113
                                        ; implicit-def: $vgpr8
	s_mov_b32 s13, exec_lo
	s_delay_alu instid0(VALU_DEP_2) | instskip(SKIP_2) | instid1(VALU_DEP_3)
	v_and_b32_e32 v4, 0x7f800000, v2
	v_and_b32_e32 v0, 0x7fffff, v2
	v_lshrrev_b32_e32 v3, 24, v2
	v_cmpx_ne_u64_e32 0x7f800000, v[4:5]
	s_xor_b32 s73, exec_lo, s13
	s_cbranch_execz .LBB6_26527
; %bb.26514:                            ;   in Loop: Header=BB6_22365 Depth=3
	v_and_b32_e32 v4, 0x7fffffff, v2
	v_mov_b32_e32 v5, v113
                                        ; implicit-def: $vgpr8
	s_delay_alu instid0(VALU_DEP_1) | instskip(SKIP_2) | instid1(SALU_CYCLE_1)
	v_cmp_gt_u64_e32 vcc_lo, 0x47600001, v[4:5]
	v_and_b32_e32 v4, 0x80, v3
	s_and_saveexec_b32 s13, vcc_lo
	s_xor_b32 s74, exec_lo, s13
	s_cbranch_execz .LBB6_26524
; %bb.26515:                            ;   in Loop: Header=BB6_22365 Depth=3
	v_mov_b32_e32 v8, 0
	s_mov_b32 s75, exec_lo
	v_cmpx_ne_u32_e32 0, v2
	s_cbranch_execz .LBB6_26523
; %bb.26516:                            ;   in Loop: Header=BB6_22365 Depth=3
	v_bfe_u32 v5, v2, 23, 8
	v_or_b32_e32 v3, 0x800000, v0
	s_delay_alu instid0(VALU_DEP_2) | instskip(SKIP_2) | instid1(VALU_DEP_2)
	v_cmp_gt_u32_e64 s13, 0x72, v5
	v_sub_nc_u32_e32 v2, 0x71, v5
	v_cmp_eq_u32_e32 vcc_lo, 0, v5
	v_dual_cndmask_b32 v2, 0, v2, s13 :: v_dual_cndmask_b32 v0, v3, v0, vcc_lo
	s_delay_alu instid0(VALU_DEP_1) | instskip(NEXT) | instid1(VALU_DEP_1)
	v_cndmask_b32_e64 v8, v2, 0x70, vcc_lo
	v_dual_add_nc_u32 v2, 21, v8 :: v_dual_add_nc_u32 v9, 20, v8
	s_delay_alu instid0(VALU_DEP_1) | instskip(NEXT) | instid1(VALU_DEP_2)
	v_lshlrev_b64_e64 v[2:3], v2, -1
	v_lshlrev_b64_e64 v[46:47], v9, 1
	s_delay_alu instid0(VALU_DEP_2) | instskip(SKIP_1) | instid1(VALU_DEP_4)
	v_bfi_b32 v2, v2, 0, v0
	v_lshrrev_b64 v[0:1], v8, v[0:1]
	v_bfi_b32 v3, v3, 0, 0
	s_delay_alu instid0(VALU_DEP_1) | instskip(NEXT) | instid1(VALU_DEP_3)
	v_cmp_eq_u64_e64 s13, v[2:3], v[46:47]
	v_mov_b64_e32 v[2:3], v[0:1]
	s_and_saveexec_b32 s76, s13
; %bb.26517:                            ;   in Loop: Header=BB6_22365 Depth=3
	v_bfe_u32 v2, v0, 21, 1
	v_mov_b32_e32 v3, v113
	s_delay_alu instid0(VALU_DEP_1) | instskip(NEXT) | instid1(VALU_DEP_1)
	v_add_nc_u64_e32 v[2:3], v[0:1], v[2:3]
	v_add_nc_u64_e32 v[2:3], -1, v[2:3]
; %bb.26518:                            ;   in Loop: Header=BB6_22365 Depth=3
	s_or_b32 exec_lo, exec_lo, s76
	v_add_nc_u32_e32 v1, 0xffffff81, v5
	v_lshrrev_b32_e32 v3, 23, v0
	s_mov_b32 s13, exec_lo
	s_delay_alu instid0(VALU_DEP_2) | instskip(NEXT) | instid1(VALU_DEP_1)
	v_cndmask_b32_e64 v1, v1, 0xffffff82, vcc_lo
	v_add3_u32 v5, v8, v1, v3
	v_and_b32_e32 v1, 0x1fffff, v2
                                        ; implicit-def: $vgpr2
	s_delay_alu instid0(VALU_DEP_1) | instskip(SKIP_1) | instid1(VALU_DEP_2)
	v_dual_add_nc_u32 v3, 14, v5 :: v_dual_add_nc_u32 v0, v1, v0
	v_mov_b32_e32 v1, v113
	v_cmpx_ne_u32_e32 0, v3
	s_xor_b32 s13, exec_lo, s13
; %bb.26519:                            ;   in Loop: Header=BB6_22365 Depth=3
	s_delay_alu instid0(VALU_DEP_2) | instskip(SKIP_1) | instid1(VALU_DEP_1)
	v_cmp_lt_u64_e32 vcc_lo, 0xffffff, v[0:1]
	v_add_nc_u32_e32 v2, 15, v5
	v_cndmask_b32_e32 v2, v3, v2, vcc_lo
	v_cndmask_b32_e64 v3, 0, 1, vcc_lo
	s_delay_alu instid0(VALU_DEP_1)
	v_lshrrev_b64 v[0:1], v3, v[0:1]
; %bb.26520:                            ;   in Loop: Header=BB6_22365 Depth=3
	s_and_not1_saveexec_b32 s13, s13
; %bb.26521:                            ;   in Loop: Header=BB6_22365 Depth=3
	s_delay_alu instid0(VALU_DEP_1)
	v_bfe_u32 v2, v0, 23, 1
; %bb.26522:                            ;   in Loop: Header=BB6_22365 Depth=3
	s_or_b32 exec_lo, exec_lo, s13
	s_delay_alu instid0(VALU_DEP_2) | instskip(NEXT) | instid1(VALU_DEP_2)
	v_lshrrev_b64 v[0:1], 21, v[0:1]
	v_cmp_gt_i32_e32 vcc_lo, 32, v2
	v_min_i32_e32 v3, 31, v2
	v_cmp_eq_u32_e64 s13, 0, v2
	s_delay_alu instid0(VALU_DEP_2) | instskip(SKIP_1) | instid1(VALU_DEP_2)
	v_dual_cndmask_b32 v1, 0, v1, vcc_lo :: v_dual_lshlrev_b32 v3, 2, v3
	v_cndmask_b32_e32 v0, 3, v0, vcc_lo
	v_and_b32_e32 v3, 0xfc, v3
	s_delay_alu instid0(VALU_DEP_2) | instskip(NEXT) | instid1(VALU_DEP_2)
	v_cmp_eq_u64_e32 vcc_lo, 0, v[0:1]
	v_and_or_b32 v0, v0, 3, v3
	s_and_b32 s13, s13, vcc_lo
	s_delay_alu instid0(VALU_DEP_1) | instid1(SALU_CYCLE_1)
	v_cndmask_b32_e64 v0, v0, 0, s13
	s_delay_alu instid0(VALU_DEP_1)
	v_or_b32_e32 v8, v0, v4
.LBB6_26523:                            ;   in Loop: Header=BB6_22365 Depth=3
	s_or_b32 exec_lo, exec_lo, s75
                                        ; implicit-def: $vgpr4
.LBB6_26524:                            ;   in Loop: Header=BB6_22365 Depth=3
	s_and_not1_saveexec_b32 s13, s74
; %bb.26525:                            ;   in Loop: Header=BB6_22365 Depth=3
	v_or_b32_e32 v8, 0x7b, v4
; %bb.26526:                            ;   in Loop: Header=BB6_22365 Depth=3
	s_or_b32 exec_lo, exec_lo, s13
                                        ; implicit-def: $vgpr2
                                        ; implicit-def: $vgpr0_vgpr1
                                        ; implicit-def: $vgpr3
.LBB6_26527:                            ;   in Loop: Header=BB6_22365 Depth=3
	s_and_not1_saveexec_b32 s13, s73
	s_cbranch_execz .LBB6_26533
; %bb.26528:                            ;   in Loop: Header=BB6_22365 Depth=3
	s_mov_b32 s73, exec_lo
                                        ; implicit-def: $vgpr8
	v_cmpx_ne_u64_e32 0, v[0:1]
	s_xor_b32 s73, exec_lo, s73
; %bb.26529:                            ;   in Loop: Header=BB6_22365 Depth=3
	v_or_b32_e32 v8, 0x7f, v3
                                        ; implicit-def: $vgpr2
; %bb.26530:                            ;   in Loop: Header=BB6_22365 Depth=3
	s_and_not1_saveexec_b32 s73, s73
; %bb.26531:                            ;   in Loop: Header=BB6_22365 Depth=3
	v_cmp_lt_i32_e32 vcc_lo, -1, v2
	v_mov_b32_e32 v0, 0x7c
	s_delay_alu instid0(VALU_DEP_1)
	v_cndmask_b32_e32 v8, 0xfc, v0, vcc_lo
; %bb.26532:                            ;   in Loop: Header=BB6_22365 Depth=3
	s_or_b32 exec_lo, exec_lo, s73
.LBB6_26533:                            ;   in Loop: Header=BB6_22365 Depth=3
	s_delay_alu instid0(SALU_CYCLE_1) | instskip(SKIP_4) | instid1(VALU_DEP_2)
	s_or_b32 exec_lo, exec_lo, s13
	v_lshl_or_b32 v32, v32, 8, v27
	v_dual_lshlrev_b32 v0, 16, v36 :: v_dual_lshlrev_b32 v2, 24, v38
	v_dual_mov_b32 v1, v113 :: v_dual_mov_b32 v3, 0
	s_mov_b32 s73, exec_lo
	v_or3_b32 v0, v0, v2, v32
	v_mov_b32_e32 v2, 0
	v_cmpx_ne_u32_e32 0, v27
	s_cbranch_execz .LBB6_26543
; %bb.26534:                            ;   in Loop: Header=BB6_22365 Depth=3
	v_bfrev_b32_e32 v3, 1
	s_mov_b32 s74, exec_lo
	v_cmpx_ne_u32_e32 0x80, v27
	s_cbranch_execz .LBB6_26542
; %bb.26535:                            ;   in Loop: Header=BB6_22365 Depth=3
	v_and_b32_e32 v3, 0x7c, v27
	v_and_b32_e32 v4, 3, v27
	s_delay_alu instid0(VALU_DEP_2) | instskip(SKIP_1) | instid1(SALU_CYCLE_1)
	v_cmp_ne_u32_e32 vcc_lo, 0x7c, v3
                                        ; implicit-def: $vgpr3
	s_and_saveexec_b32 s13, vcc_lo
	s_xor_b32 s13, exec_lo, s13
	s_cbranch_execz .LBB6_26539
; %bb.26536:                            ;   in Loop: Header=BB6_22365 Depth=3
	v_bfe_u32 v3, v27, 2, 5
	s_mov_b32 s75, exec_lo
	s_delay_alu instid0(VALU_DEP_1)
	v_cmpx_eq_u32_e32 0, v3
; %bb.26537:                            ;   in Loop: Header=BB6_22365 Depth=3
	v_clz_i32_u32_e32 v3, v4
	s_delay_alu instid0(VALU_DEP_1) | instskip(NEXT) | instid1(VALU_DEP_1)
	v_min_u32_e32 v3, 32, v3
	v_subrev_nc_u32_e32 v4, 29, v3
	s_delay_alu instid0(VALU_DEP_1) | instskip(NEXT) | instid1(VALU_DEP_1)
	v_lshlrev_b64_e32 v[4:5], v4, v[0:1]
	v_dual_sub_nc_u32 v3, 30, v3 :: v_dual_bitop2_b32 v4, 3, v4 bitop3:0x40
; %bb.26538:                            ;   in Loop: Header=BB6_22365 Depth=3
	s_or_b32 exec_lo, exec_lo, s75
	v_lshlrev_b32_e32 v1, 24, v27
                                        ; implicit-def: $vgpr27
	s_delay_alu instid0(VALU_DEP_1) | instskip(NEXT) | instid1(VALU_DEP_1)
	v_and_b32_e32 v1, 0x80000000, v1
	v_lshl_add_u32 v1, v3, 23, v1
	s_delay_alu instid0(VALU_DEP_1) | instskip(NEXT) | instid1(VALU_DEP_1)
	v_lshl_or_b32 v1, v4, 21, v1
                                        ; implicit-def: $vgpr4
	v_add_nc_u32_e32 v3, 0x38000000, v1
.LBB6_26539:                            ;   in Loop: Header=BB6_22365 Depth=3
	s_and_not1_saveexec_b32 s75, s13
; %bb.26540:                            ;   in Loop: Header=BB6_22365 Depth=3
	v_and_b32_e32 v1, 0x80, v27
	v_cmp_eq_u32_e32 vcc_lo, 0, v4
	s_delay_alu instid0(VALU_DEP_2) | instskip(SKIP_1) | instid1(VALU_DEP_1)
	v_cmp_eq_u32_e64 s13, 0, v1
	v_mov_b32_e32 v1, 0x7f800000
	v_cndmask_b32_e64 v1, 0xff800000, v1, s13
	s_delay_alu instid0(VALU_DEP_1)
	v_cndmask_b32_e32 v3, 0x7f800001, v1, vcc_lo
; %bb.26541:                            ;   in Loop: Header=BB6_22365 Depth=3
	s_or_b32 exec_lo, exec_lo, s75
.LBB6_26542:                            ;   in Loop: Header=BB6_22365 Depth=3
	s_delay_alu instid0(SALU_CYCLE_1)
	s_or_b32 exec_lo, exec_lo, s74
.LBB6_26543:                            ;   in Loop: Header=BB6_22365 Depth=3
	s_delay_alu instid0(SALU_CYCLE_1) | instskip(SKIP_2) | instid1(VALU_DEP_1)
	s_or_b32 exec_lo, exec_lo, s73
	v_and_b32_e32 v1, 0xff, v10
	s_mov_b32 s73, exec_lo
	v_cmpx_ne_u16_e32 0, v1
	s_cbranch_execz .LBB6_26553
; %bb.26544:                            ;   in Loop: Header=BB6_22365 Depth=3
	v_bfe_i32 v4, v10, 0, 8
	v_bfrev_b32_e32 v2, 1
	s_mov_b32 s74, exec_lo
	s_delay_alu instid0(VALU_DEP_2)
	v_cmpx_ne_u16_e32 0xff80, v4
	s_cbranch_execz .LBB6_26552
; %bb.26545:                            ;   in Loop: Header=BB6_22365 Depth=3
	v_and_b32_e32 v2, 0x7c, v10
	v_and_b32_e32 v1, 3, v10
	s_delay_alu instid0(VALU_DEP_2) | instskip(SKIP_1) | instid1(SALU_CYCLE_1)
	v_cmp_ne_u32_e32 vcc_lo, 0x7c, v2
                                        ; implicit-def: $vgpr2
	s_and_saveexec_b32 s13, vcc_lo
	s_xor_b32 s13, exec_lo, s13
	s_cbranch_execz .LBB6_26549
; %bb.26546:                            ;   in Loop: Header=BB6_22365 Depth=3
	v_bfe_u32 v2, v10, 2, 5
	s_mov_b32 s75, exec_lo
	s_delay_alu instid0(VALU_DEP_1)
	v_cmpx_eq_u32_e32 0, v2
; %bb.26547:                            ;   in Loop: Header=BB6_22365 Depth=3
	v_clz_i32_u32_e32 v1, v1
	s_delay_alu instid0(VALU_DEP_1) | instskip(NEXT) | instid1(VALU_DEP_1)
	v_min_u32_e32 v1, 32, v1
	v_subrev_nc_u32_e32 v2, 29, v1
	s_delay_alu instid0(VALU_DEP_1) | instskip(NEXT) | instid1(VALU_DEP_1)
	v_lshlrev_b64_e32 v[4:5], v2, v[10:11]
	v_dual_sub_nc_u32 v2, 30, v1 :: v_dual_bitop2_b32 v1, 3, v4 bitop3:0x40
; %bb.26548:                            ;   in Loop: Header=BB6_22365 Depth=3
	s_or_b32 exec_lo, exec_lo, s75
	v_lshlrev_b32_e32 v4, 24, v10
	s_delay_alu instid0(VALU_DEP_1) | instskip(NEXT) | instid1(VALU_DEP_1)
	v_and_b32_e32 v4, 0x80000000, v4
	v_lshl_add_u32 v2, v2, 23, v4
                                        ; implicit-def: $vgpr4
	s_delay_alu instid0(VALU_DEP_1) | instskip(NEXT) | instid1(VALU_DEP_1)
	v_lshl_or_b32 v1, v1, 21, v2
	v_add_nc_u32_e32 v2, 0x38000000, v1
                                        ; implicit-def: $vgpr1
.LBB6_26549:                            ;   in Loop: Header=BB6_22365 Depth=3
	s_and_not1_saveexec_b32 s75, s13
; %bb.26550:                            ;   in Loop: Header=BB6_22365 Depth=3
	v_cmp_eq_u32_e32 vcc_lo, 0, v1
	v_cmp_lt_i16_e64 s13, -1, v4
	v_mov_b32_e32 v1, 0x7f800000
	s_delay_alu instid0(VALU_DEP_1) | instskip(NEXT) | instid1(VALU_DEP_1)
	v_cndmask_b32_e64 v1, 0xff800000, v1, s13
	v_cndmask_b32_e32 v2, 0x7f800001, v1, vcc_lo
; %bb.26551:                            ;   in Loop: Header=BB6_22365 Depth=3
	s_or_b32 exec_lo, exec_lo, s75
.LBB6_26552:                            ;   in Loop: Header=BB6_22365 Depth=3
	s_delay_alu instid0(SALU_CYCLE_1)
	s_or_b32 exec_lo, exec_lo, s74
.LBB6_26553:                            ;   in Loop: Header=BB6_22365 Depth=3
	s_delay_alu instid0(SALU_CYCLE_1) | instskip(NEXT) | instid1(VALU_DEP_1)
	s_or_b32 exec_lo, exec_lo, s73
	v_dual_add_f32 v4, v3, v2 :: v_dual_mov_b32 v47, v113
	v_mov_b32_e32 v3, v113
                                        ; implicit-def: $vgpr9
	s_mov_b32 s13, exec_lo
	s_delay_alu instid0(VALU_DEP_2) | instskip(SKIP_2) | instid1(VALU_DEP_3)
	v_and_b32_e32 v46, 0x7f800000, v4
	v_and_b32_e32 v2, 0x7fffff, v4
	v_lshrrev_b32_e32 v1, 24, v4
	v_cmpx_ne_u64_e32 0x7f800000, v[46:47]
	s_xor_b32 s73, exec_lo, s13
	s_cbranch_execz .LBB6_26567
; %bb.26554:                            ;   in Loop: Header=BB6_22365 Depth=3
	v_and_b32_e32 v46, 0x7fffffff, v4
	v_mov_b32_e32 v47, v113
	v_and_b32_e32 v1, 0x80, v1
                                        ; implicit-def: $vgpr9
	s_mov_b32 s13, exec_lo
	s_delay_alu instid0(VALU_DEP_2)
	v_cmpx_gt_u64_e32 0x47600001, v[46:47]
	s_xor_b32 s74, exec_lo, s13
	s_cbranch_execz .LBB6_26564
; %bb.26555:                            ;   in Loop: Header=BB6_22365 Depth=3
	v_mov_b32_e32 v9, 0
	s_mov_b32 s75, exec_lo
	v_cmpx_ne_u32_e32 0, v4
	s_cbranch_execz .LBB6_26563
; %bb.26556:                            ;   in Loop: Header=BB6_22365 Depth=3
	v_bfe_u32 v9, v4, 23, 8
	v_or_b32_e32 v5, 0x800000, v2
	s_delay_alu instid0(VALU_DEP_2) | instskip(SKIP_2) | instid1(VALU_DEP_2)
	v_cmp_gt_u32_e64 s13, 0x72, v9
	v_sub_nc_u32_e32 v4, 0x71, v9
	v_cmp_eq_u32_e32 vcc_lo, 0, v9
	v_dual_cndmask_b32 v4, 0, v4, s13 :: v_dual_cndmask_b32 v2, v5, v2, vcc_lo
	s_delay_alu instid0(VALU_DEP_1) | instskip(NEXT) | instid1(VALU_DEP_1)
	v_cndmask_b32_e64 v27, v4, 0x70, vcc_lo
	v_dual_add_nc_u32 v4, 21, v27 :: v_dual_add_nc_u32 v36, 20, v27
	s_delay_alu instid0(VALU_DEP_1) | instskip(NEXT) | instid1(VALU_DEP_2)
	v_lshlrev_b64_e64 v[4:5], v4, -1
	v_lshlrev_b64_e64 v[46:47], v36, 1
	s_delay_alu instid0(VALU_DEP_2) | instskip(SKIP_1) | instid1(VALU_DEP_4)
	v_bfi_b32 v4, v4, 0, v2
	v_lshrrev_b64 v[2:3], v27, v[2:3]
	v_bfi_b32 v5, v5, 0, 0
	s_delay_alu instid0(VALU_DEP_1) | instskip(NEXT) | instid1(VALU_DEP_3)
	v_cmp_eq_u64_e64 s13, v[4:5], v[46:47]
	v_mov_b64_e32 v[4:5], v[2:3]
	s_and_saveexec_b32 s76, s13
; %bb.26557:                            ;   in Loop: Header=BB6_22365 Depth=3
	v_bfe_u32 v4, v2, 21, 1
	v_mov_b32_e32 v5, v113
	s_delay_alu instid0(VALU_DEP_1) | instskip(NEXT) | instid1(VALU_DEP_1)
	v_add_nc_u64_e32 v[4:5], v[2:3], v[4:5]
	v_add_nc_u64_e32 v[4:5], -1, v[4:5]
; %bb.26558:                            ;   in Loop: Header=BB6_22365 Depth=3
	s_or_b32 exec_lo, exec_lo, s76
	v_add_nc_u32_e32 v3, 0xffffff81, v9
	v_lshrrev_b32_e32 v5, 23, v2
	s_mov_b32 s13, exec_lo
	s_delay_alu instid0(VALU_DEP_2) | instskip(NEXT) | instid1(VALU_DEP_1)
	v_cndmask_b32_e64 v3, v3, 0xffffff82, vcc_lo
	v_add3_u32 v9, v27, v3, v5
	v_and_b32_e32 v3, 0x1fffff, v4
                                        ; implicit-def: $vgpr4
	s_delay_alu instid0(VALU_DEP_1) | instskip(SKIP_1) | instid1(VALU_DEP_2)
	v_dual_add_nc_u32 v5, 14, v9 :: v_dual_add_nc_u32 v2, v3, v2
	v_mov_b32_e32 v3, v113
	v_cmpx_ne_u32_e32 0, v5
	s_xor_b32 s13, exec_lo, s13
; %bb.26559:                            ;   in Loop: Header=BB6_22365 Depth=3
	s_delay_alu instid0(VALU_DEP_2) | instskip(SKIP_1) | instid1(VALU_DEP_1)
	v_cmp_lt_u64_e32 vcc_lo, 0xffffff, v[2:3]
	v_add_nc_u32_e32 v4, 15, v9
	v_cndmask_b32_e32 v4, v5, v4, vcc_lo
	v_cndmask_b32_e64 v5, 0, 1, vcc_lo
	s_delay_alu instid0(VALU_DEP_1)
	v_lshrrev_b64 v[2:3], v5, v[2:3]
; %bb.26560:                            ;   in Loop: Header=BB6_22365 Depth=3
	s_and_not1_saveexec_b32 s13, s13
; %bb.26561:                            ;   in Loop: Header=BB6_22365 Depth=3
	s_delay_alu instid0(VALU_DEP_1)
	v_bfe_u32 v4, v2, 23, 1
; %bb.26562:                            ;   in Loop: Header=BB6_22365 Depth=3
	s_or_b32 exec_lo, exec_lo, s13
	s_delay_alu instid0(VALU_DEP_2) | instskip(NEXT) | instid1(VALU_DEP_2)
	v_lshrrev_b64 v[2:3], 21, v[2:3]
	v_cmp_gt_i32_e32 vcc_lo, 32, v4
	v_min_i32_e32 v5, 31, v4
	v_cmp_eq_u32_e64 s13, 0, v4
	s_delay_alu instid0(VALU_DEP_2) | instskip(SKIP_1) | instid1(VALU_DEP_2)
	v_dual_cndmask_b32 v3, 0, v3, vcc_lo :: v_dual_lshlrev_b32 v5, 2, v5
	v_cndmask_b32_e32 v2, 3, v2, vcc_lo
	v_and_b32_e32 v5, 0xfc, v5
	s_delay_alu instid0(VALU_DEP_2) | instskip(NEXT) | instid1(VALU_DEP_2)
	v_cmp_eq_u64_e32 vcc_lo, 0, v[2:3]
	v_and_or_b32 v2, v2, 3, v5
	s_and_b32 s13, s13, vcc_lo
	s_delay_alu instid0(VALU_DEP_1) | instid1(SALU_CYCLE_1)
	v_cndmask_b32_e64 v2, v2, 0, s13
	s_delay_alu instid0(VALU_DEP_1)
	v_or_b32_e32 v9, v2, v1
.LBB6_26563:                            ;   in Loop: Header=BB6_22365 Depth=3
	s_or_b32 exec_lo, exec_lo, s75
                                        ; implicit-def: $vgpr1
.LBB6_26564:                            ;   in Loop: Header=BB6_22365 Depth=3
	s_and_not1_saveexec_b32 s13, s74
; %bb.26565:                            ;   in Loop: Header=BB6_22365 Depth=3
	v_or_b32_e32 v9, 0x7b, v1
; %bb.26566:                            ;   in Loop: Header=BB6_22365 Depth=3
	s_or_b32 exec_lo, exec_lo, s13
                                        ; implicit-def: $vgpr4
                                        ; implicit-def: $vgpr2_vgpr3
                                        ; implicit-def: $vgpr1
.LBB6_26567:                            ;   in Loop: Header=BB6_22365 Depth=3
	s_and_not1_saveexec_b32 s13, s73
	s_cbranch_execz .LBB6_26573
; %bb.26568:                            ;   in Loop: Header=BB6_22365 Depth=3
	s_mov_b32 s73, exec_lo
                                        ; implicit-def: $vgpr9
	v_cmpx_ne_u64_e32 0, v[2:3]
	s_xor_b32 s73, exec_lo, s73
; %bb.26569:                            ;   in Loop: Header=BB6_22365 Depth=3
	v_or_b32_e32 v9, 0x7f, v1
                                        ; implicit-def: $vgpr4
; %bb.26570:                            ;   in Loop: Header=BB6_22365 Depth=3
	s_and_not1_saveexec_b32 s73, s73
; %bb.26571:                            ;   in Loop: Header=BB6_22365 Depth=3
	v_cmp_lt_i32_e32 vcc_lo, -1, v4
	v_mov_b32_e32 v1, 0x7c
	s_delay_alu instid0(VALU_DEP_1)
	v_cndmask_b32_e32 v9, 0xfc, v1, vcc_lo
; %bb.26572:                            ;   in Loop: Header=BB6_22365 Depth=3
	s_or_b32 exec_lo, exec_lo, s73
.LBB6_26573:                            ;   in Loop: Header=BB6_22365 Depth=3
	s_delay_alu instid0(SALU_CYCLE_1) | instskip(SKIP_3) | instid1(VALU_DEP_2)
	s_or_b32 exec_lo, exec_lo, s13
	v_lshrrev_b16 v2, 8, v32
	v_dual_mov_b32 v1, 0 :: v_dual_mov_b32 v4, 0
	s_mov_b32 s73, exec_lo
	v_cmpx_ne_u16_e32 0, v2
	s_cbranch_execz .LBB6_26583
; %bb.26574:                            ;   in Loop: Header=BB6_22365 Depth=3
	v_bfrev_b32_e32 v4, 1
	s_mov_b32 s74, exec_lo
	v_cmpx_ne_u16_e32 0x80, v2
	s_cbranch_execz .LBB6_26582
; %bb.26575:                            ;   in Loop: Header=BB6_22365 Depth=3
	v_and_b32_e32 v5, 0xffff, v2
	s_delay_alu instid0(VALU_DEP_1) | instskip(SKIP_1) | instid1(VALU_DEP_2)
	v_and_b32_e32 v4, 0x7c, v5
	v_and_b32_e32 v3, 3, v5
	v_cmp_ne_u32_e32 vcc_lo, 0x7c, v4
                                        ; implicit-def: $vgpr4
	s_and_saveexec_b32 s13, vcc_lo
	s_delay_alu instid0(SALU_CYCLE_1)
	s_xor_b32 s13, exec_lo, s13
	s_cbranch_execz .LBB6_26579
; %bb.26576:                            ;   in Loop: Header=BB6_22365 Depth=3
	v_bfe_u32 v4, v5, 2, 5
	s_mov_b32 s75, exec_lo
	s_delay_alu instid0(VALU_DEP_1)
	v_cmpx_eq_u32_e32 0, v4
	s_cbranch_execz .LBB6_26578
; %bb.26577:                            ;   in Loop: Header=BB6_22365 Depth=3
	v_clz_i32_u32_e32 v3, v3
	s_delay_alu instid0(VALU_DEP_1) | instskip(SKIP_1) | instid1(VALU_DEP_2)
	v_min_u32_e32 v4, 32, v3
	v_mov_b32_e32 v3, v113
	v_subrev_nc_u32_e32 v5, 29, v4
	v_sub_nc_u32_e32 v4, 30, v4
	s_delay_alu instid0(VALU_DEP_2) | instskip(NEXT) | instid1(VALU_DEP_1)
	v_lshlrev_b64_e32 v[2:3], v5, v[2:3]
	v_and_b32_e32 v3, 3, v2
.LBB6_26578:                            ;   in Loop: Header=BB6_22365 Depth=3
	s_or_b32 exec_lo, exec_lo, s75
	v_lshlrev_b32_e32 v2, 16, v32
                                        ; implicit-def: $vgpr32
	s_delay_alu instid0(VALU_DEP_1) | instskip(NEXT) | instid1(VALU_DEP_1)
	v_and_b32_e32 v2, 0x80000000, v2
	v_lshl_add_u32 v2, v4, 23, v2
	s_delay_alu instid0(VALU_DEP_1) | instskip(NEXT) | instid1(VALU_DEP_1)
	v_lshl_or_b32 v2, v3, 21, v2
                                        ; implicit-def: $vgpr3
	v_add_nc_u32_e32 v4, 0x38000000, v2
.LBB6_26579:                            ;   in Loop: Header=BB6_22365 Depth=3
	s_and_not1_saveexec_b32 s75, s13
; %bb.26580:                            ;   in Loop: Header=BB6_22365 Depth=3
	v_cmp_lt_i16_e64 s13, -1, v32
	v_mov_b32_e32 v2, 0x7f800000
	v_cmp_eq_u32_e32 vcc_lo, 0, v3
	s_delay_alu instid0(VALU_DEP_2) | instskip(NEXT) | instid1(VALU_DEP_1)
	v_cndmask_b32_e64 v2, 0xff800000, v2, s13
	v_cndmask_b32_e32 v4, 0x7f800001, v2, vcc_lo
; %bb.26581:                            ;   in Loop: Header=BB6_22365 Depth=3
	s_or_b32 exec_lo, exec_lo, s75
.LBB6_26582:                            ;   in Loop: Header=BB6_22365 Depth=3
	s_delay_alu instid0(SALU_CYCLE_1)
	s_or_b32 exec_lo, exec_lo, s74
.LBB6_26583:                            ;   in Loop: Header=BB6_22365 Depth=3
	s_delay_alu instid0(SALU_CYCLE_1) | instskip(SKIP_2) | instid1(VALU_DEP_1)
	s_or_b32 exec_lo, exec_lo, s73
	v_lshrrev_b16 v2, 8, v10
	s_mov_b32 s73, exec_lo
	v_cmpx_ne_u16_e32 0, v2
	s_cbranch_execz .LBB6_26593
; %bb.26584:                            ;   in Loop: Header=BB6_22365 Depth=3
	v_bfrev_b32_e32 v1, 1
	s_mov_b32 s74, exec_lo
	v_cmpx_ne_u16_e32 0x80, v2
	s_cbranch_execz .LBB6_26592
; %bb.26585:                            ;   in Loop: Header=BB6_22365 Depth=3
	v_and_b32_e32 v5, 0xffff, v2
	s_delay_alu instid0(VALU_DEP_1) | instskip(SKIP_1) | instid1(VALU_DEP_2)
	v_and_b32_e32 v1, 0x7c, v5
	v_and_b32_e32 v3, 3, v5
	v_cmp_ne_u32_e32 vcc_lo, 0x7c, v1
                                        ; implicit-def: $vgpr1
	s_and_saveexec_b32 s13, vcc_lo
	s_delay_alu instid0(SALU_CYCLE_1)
	s_xor_b32 s13, exec_lo, s13
	s_cbranch_execz .LBB6_26589
; %bb.26586:                            ;   in Loop: Header=BB6_22365 Depth=3
	v_bfe_u32 v1, v5, 2, 5
	s_mov_b32 s75, exec_lo
	s_delay_alu instid0(VALU_DEP_1)
	v_cmpx_eq_u32_e32 0, v1
	s_cbranch_execz .LBB6_26588
; %bb.26587:                            ;   in Loop: Header=BB6_22365 Depth=3
	v_clz_i32_u32_e32 v1, v3
	s_delay_alu instid0(VALU_DEP_1) | instskip(SKIP_1) | instid1(VALU_DEP_2)
	v_min_u32_e32 v1, 32, v1
	v_mov_b32_e32 v3, v113
	v_subrev_nc_u32_e32 v5, 29, v1
	v_sub_nc_u32_e32 v1, 30, v1
	s_delay_alu instid0(VALU_DEP_2) | instskip(NEXT) | instid1(VALU_DEP_1)
	v_lshlrev_b64_e32 v[2:3], v5, v[2:3]
	v_and_b32_e32 v3, 3, v2
.LBB6_26588:                            ;   in Loop: Header=BB6_22365 Depth=3
	s_or_b32 exec_lo, exec_lo, s75
	v_lshlrev_b32_e32 v2, 16, v10
	s_delay_alu instid0(VALU_DEP_1) | instskip(NEXT) | instid1(VALU_DEP_1)
	v_and_b32_e32 v2, 0x80000000, v2
	v_lshl_add_u32 v1, v1, 23, v2
	s_delay_alu instid0(VALU_DEP_1) | instskip(NEXT) | instid1(VALU_DEP_1)
	v_lshl_or_b32 v1, v3, 21, v1
                                        ; implicit-def: $vgpr3
	v_add_nc_u32_e32 v1, 0x38000000, v1
.LBB6_26589:                            ;   in Loop: Header=BB6_22365 Depth=3
	s_and_not1_saveexec_b32 s75, s13
; %bb.26590:                            ;   in Loop: Header=BB6_22365 Depth=3
	v_cmp_lt_i16_e64 s13, -1, v10
	v_mov_b32_e32 v1, 0x7f800000
	v_cmp_eq_u32_e32 vcc_lo, 0, v3
	s_delay_alu instid0(VALU_DEP_2) | instskip(NEXT) | instid1(VALU_DEP_1)
	v_cndmask_b32_e64 v1, 0xff800000, v1, s13
	v_cndmask_b32_e32 v1, 0x7f800001, v1, vcc_lo
; %bb.26591:                            ;   in Loop: Header=BB6_22365 Depth=3
	s_or_b32 exec_lo, exec_lo, s75
.LBB6_26592:                            ;   in Loop: Header=BB6_22365 Depth=3
	s_delay_alu instid0(SALU_CYCLE_1)
	s_or_b32 exec_lo, exec_lo, s74
.LBB6_26593:                            ;   in Loop: Header=BB6_22365 Depth=3
	s_delay_alu instid0(SALU_CYCLE_1) | instskip(NEXT) | instid1(VALU_DEP_1)
	s_or_b32 exec_lo, exec_lo, s73
	v_dual_add_f32 v4, v4, v1 :: v_dual_mov_b32 v47, v113
	v_mov_b32_e32 v3, v113
                                        ; implicit-def: $vgpr27
	s_mov_b32 s13, exec_lo
	s_delay_alu instid0(VALU_DEP_2) | instskip(SKIP_2) | instid1(VALU_DEP_3)
	v_and_b32_e32 v46, 0x7f800000, v4
	v_and_b32_e32 v2, 0x7fffff, v4
	v_lshrrev_b32_e32 v1, 24, v4
	v_cmpx_ne_u64_e32 0x7f800000, v[46:47]
	s_xor_b32 s73, exec_lo, s13
	s_cbranch_execz .LBB6_26607
; %bb.26594:                            ;   in Loop: Header=BB6_22365 Depth=3
	v_and_b32_e32 v46, 0x7fffffff, v4
	v_mov_b32_e32 v47, v113
	v_and_b32_e32 v1, 0x80, v1
                                        ; implicit-def: $vgpr27
	s_mov_b32 s13, exec_lo
	s_delay_alu instid0(VALU_DEP_2)
	v_cmpx_gt_u64_e32 0x47600001, v[46:47]
	s_xor_b32 s74, exec_lo, s13
	s_cbranch_execz .LBB6_26604
; %bb.26595:                            ;   in Loop: Header=BB6_22365 Depth=3
	v_mov_b32_e32 v27, 0
	s_mov_b32 s75, exec_lo
	v_cmpx_ne_u32_e32 0, v4
	s_cbranch_execz .LBB6_26603
; %bb.26596:                            ;   in Loop: Header=BB6_22365 Depth=3
	v_bfe_u32 v27, v4, 23, 8
	v_or_b32_e32 v5, 0x800000, v2
	s_delay_alu instid0(VALU_DEP_2) | instskip(SKIP_2) | instid1(VALU_DEP_2)
	v_cmp_gt_u32_e64 s13, 0x72, v27
	v_sub_nc_u32_e32 v4, 0x71, v27
	v_cmp_eq_u32_e32 vcc_lo, 0, v27
	v_dual_cndmask_b32 v4, 0, v4, s13 :: v_dual_cndmask_b32 v2, v5, v2, vcc_lo
	s_delay_alu instid0(VALU_DEP_1) | instskip(NEXT) | instid1(VALU_DEP_1)
	v_cndmask_b32_e64 v32, v4, 0x70, vcc_lo
	v_dual_add_nc_u32 v4, 21, v32 :: v_dual_add_nc_u32 v36, 20, v32
	s_delay_alu instid0(VALU_DEP_1) | instskip(NEXT) | instid1(VALU_DEP_2)
	v_lshlrev_b64_e64 v[4:5], v4, -1
	v_lshlrev_b64_e64 v[46:47], v36, 1
	s_delay_alu instid0(VALU_DEP_2) | instskip(SKIP_1) | instid1(VALU_DEP_4)
	v_bfi_b32 v4, v4, 0, v2
	v_lshrrev_b64 v[2:3], v32, v[2:3]
	v_bfi_b32 v5, v5, 0, 0
	s_delay_alu instid0(VALU_DEP_1) | instskip(NEXT) | instid1(VALU_DEP_3)
	v_cmp_eq_u64_e64 s13, v[4:5], v[46:47]
	v_mov_b64_e32 v[4:5], v[2:3]
	s_and_saveexec_b32 s76, s13
; %bb.26597:                            ;   in Loop: Header=BB6_22365 Depth=3
	v_bfe_u32 v4, v2, 21, 1
	v_mov_b32_e32 v5, v113
	s_delay_alu instid0(VALU_DEP_1) | instskip(NEXT) | instid1(VALU_DEP_1)
	v_add_nc_u64_e32 v[4:5], v[2:3], v[4:5]
	v_add_nc_u64_e32 v[4:5], -1, v[4:5]
; %bb.26598:                            ;   in Loop: Header=BB6_22365 Depth=3
	s_or_b32 exec_lo, exec_lo, s76
	v_add_nc_u32_e32 v3, 0xffffff81, v27
	v_lshrrev_b32_e32 v5, 23, v2
	s_mov_b32 s13, exec_lo
	s_delay_alu instid0(VALU_DEP_2) | instskip(NEXT) | instid1(VALU_DEP_1)
	v_cndmask_b32_e64 v3, v3, 0xffffff82, vcc_lo
	v_add3_u32 v27, v32, v3, v5
	v_and_b32_e32 v3, 0x1fffff, v4
                                        ; implicit-def: $vgpr4
	s_delay_alu instid0(VALU_DEP_1) | instskip(SKIP_1) | instid1(VALU_DEP_2)
	v_dual_add_nc_u32 v5, 14, v27 :: v_dual_add_nc_u32 v2, v3, v2
	v_mov_b32_e32 v3, v113
	v_cmpx_ne_u32_e32 0, v5
	s_xor_b32 s13, exec_lo, s13
; %bb.26599:                            ;   in Loop: Header=BB6_22365 Depth=3
	s_delay_alu instid0(VALU_DEP_2) | instskip(SKIP_1) | instid1(VALU_DEP_1)
	v_cmp_lt_u64_e32 vcc_lo, 0xffffff, v[2:3]
	v_add_nc_u32_e32 v4, 15, v27
	v_cndmask_b32_e32 v4, v5, v4, vcc_lo
	v_cndmask_b32_e64 v5, 0, 1, vcc_lo
	s_delay_alu instid0(VALU_DEP_1)
	v_lshrrev_b64 v[2:3], v5, v[2:3]
; %bb.26600:                            ;   in Loop: Header=BB6_22365 Depth=3
	s_and_not1_saveexec_b32 s13, s13
; %bb.26601:                            ;   in Loop: Header=BB6_22365 Depth=3
	s_delay_alu instid0(VALU_DEP_1)
	v_bfe_u32 v4, v2, 23, 1
; %bb.26602:                            ;   in Loop: Header=BB6_22365 Depth=3
	s_or_b32 exec_lo, exec_lo, s13
	s_delay_alu instid0(VALU_DEP_2) | instskip(NEXT) | instid1(VALU_DEP_2)
	v_lshrrev_b64 v[2:3], 21, v[2:3]
	v_cmp_gt_i32_e32 vcc_lo, 32, v4
	v_min_i32_e32 v5, 31, v4
	v_cmp_eq_u32_e64 s13, 0, v4
	s_delay_alu instid0(VALU_DEP_2) | instskip(SKIP_1) | instid1(VALU_DEP_2)
	v_dual_cndmask_b32 v3, 0, v3, vcc_lo :: v_dual_lshlrev_b32 v5, 2, v5
	v_cndmask_b32_e32 v2, 3, v2, vcc_lo
	v_and_b32_e32 v5, 0xfc, v5
	s_delay_alu instid0(VALU_DEP_2) | instskip(NEXT) | instid1(VALU_DEP_2)
	v_cmp_eq_u64_e32 vcc_lo, 0, v[2:3]
	v_and_or_b32 v2, v2, 3, v5
	s_and_b32 s13, s13, vcc_lo
	s_delay_alu instid0(VALU_DEP_1) | instid1(SALU_CYCLE_1)
	v_cndmask_b32_e64 v2, v2, 0, s13
	s_delay_alu instid0(VALU_DEP_1)
	v_or_b32_e32 v27, v2, v1
.LBB6_26603:                            ;   in Loop: Header=BB6_22365 Depth=3
	s_or_b32 exec_lo, exec_lo, s75
                                        ; implicit-def: $vgpr1
.LBB6_26604:                            ;   in Loop: Header=BB6_22365 Depth=3
	s_and_not1_saveexec_b32 s13, s74
; %bb.26605:                            ;   in Loop: Header=BB6_22365 Depth=3
	v_or_b32_e32 v27, 0x7b, v1
; %bb.26606:                            ;   in Loop: Header=BB6_22365 Depth=3
	s_or_b32 exec_lo, exec_lo, s13
                                        ; implicit-def: $vgpr4
                                        ; implicit-def: $vgpr2_vgpr3
                                        ; implicit-def: $vgpr1
.LBB6_26607:                            ;   in Loop: Header=BB6_22365 Depth=3
	s_and_not1_saveexec_b32 s13, s73
	s_cbranch_execz .LBB6_26613
; %bb.26608:                            ;   in Loop: Header=BB6_22365 Depth=3
	s_mov_b32 s73, exec_lo
                                        ; implicit-def: $vgpr27
	v_cmpx_ne_u64_e32 0, v[2:3]
	s_xor_b32 s73, exec_lo, s73
; %bb.26609:                            ;   in Loop: Header=BB6_22365 Depth=3
	v_or_b32_e32 v27, 0x7f, v1
                                        ; implicit-def: $vgpr4
; %bb.26610:                            ;   in Loop: Header=BB6_22365 Depth=3
	s_and_not1_saveexec_b32 s73, s73
; %bb.26611:                            ;   in Loop: Header=BB6_22365 Depth=3
	v_cmp_lt_i32_e32 vcc_lo, -1, v4
	v_mov_b32_e32 v1, 0x7c
	s_delay_alu instid0(VALU_DEP_1)
	v_cndmask_b32_e32 v27, 0xfc, v1, vcc_lo
; %bb.26612:                            ;   in Loop: Header=BB6_22365 Depth=3
	s_or_b32 exec_lo, exec_lo, s73
.LBB6_26613:                            ;   in Loop: Header=BB6_22365 Depth=3
	s_delay_alu instid0(SALU_CYCLE_1) | instskip(SKIP_3) | instid1(VALU_DEP_2)
	s_or_b32 exec_lo, exec_lo, s13
	v_dual_mov_b32 v1, 0 :: v_dual_lshrrev_b32 v2, 16, v0
	v_mov_b32_e32 v3, 0
	s_mov_b32 s73, exec_lo
	v_and_b32_e32 v4, 0xff, v2
	s_delay_alu instid0(VALU_DEP_1)
	v_cmpx_ne_u16_e32 0, v4
	s_cbranch_execz .LBB6_26623
; %bb.26614:                            ;   in Loop: Header=BB6_22365 Depth=3
	v_bfrev_b32_e32 v3, 1
	s_mov_b32 s74, exec_lo
	v_cmpx_ne_u16_e32 0x80, v4
	s_cbranch_execz .LBB6_26622
; %bb.26615:                            ;   in Loop: Header=BB6_22365 Depth=3
	v_and_b32_e32 v3, 0x7c0000, v0
	v_bfe_u32 v4, v0, 16, 2
	s_delay_alu instid0(VALU_DEP_2) | instskip(SKIP_1) | instid1(SALU_CYCLE_1)
	v_cmp_ne_u32_e32 vcc_lo, 0x7c0000, v3
                                        ; implicit-def: $vgpr3
	s_and_saveexec_b32 s13, vcc_lo
	s_xor_b32 s13, exec_lo, s13
	s_cbranch_execz .LBB6_26619
; %bb.26616:                            ;   in Loop: Header=BB6_22365 Depth=3
	v_bfe_u32 v3, v0, 18, 5
	s_mov_b32 s75, exec_lo
	s_delay_alu instid0(VALU_DEP_1)
	v_cmpx_eq_u32_e32 0, v3
; %bb.26617:                            ;   in Loop: Header=BB6_22365 Depth=3
	v_clz_i32_u32_e32 v3, v4
	s_delay_alu instid0(VALU_DEP_1) | instskip(NEXT) | instid1(VALU_DEP_1)
	v_min_u32_e32 v3, 32, v3
	v_subrev_nc_u32_e32 v4, 29, v3
	s_delay_alu instid0(VALU_DEP_1) | instskip(NEXT) | instid1(VALU_DEP_1)
	v_lshlrev_b64_e32 v[4:5], v4, v[2:3]
	v_dual_sub_nc_u32 v3, 30, v3 :: v_dual_bitop2_b32 v4, 3, v4 bitop3:0x40
; %bb.26618:                            ;   in Loop: Header=BB6_22365 Depth=3
	s_or_b32 exec_lo, exec_lo, s75
	v_lshlrev_b32_e32 v2, 24, v2
	s_delay_alu instid0(VALU_DEP_1) | instskip(NEXT) | instid1(VALU_DEP_1)
	v_and_b32_e32 v2, 0x80000000, v2
	v_lshl_add_u32 v2, v3, 23, v2
	s_delay_alu instid0(VALU_DEP_1) | instskip(NEXT) | instid1(VALU_DEP_1)
	v_lshl_or_b32 v2, v4, 21, v2
                                        ; implicit-def: $vgpr4
	v_add_nc_u32_e32 v3, 0x38000000, v2
                                        ; implicit-def: $vgpr2
.LBB6_26619:                            ;   in Loop: Header=BB6_22365 Depth=3
	s_and_not1_saveexec_b32 s75, s13
; %bb.26620:                            ;   in Loop: Header=BB6_22365 Depth=3
	v_bfe_i32 v2, v2, 0, 8
	v_cmp_eq_u32_e32 vcc_lo, 0, v4
	s_delay_alu instid0(VALU_DEP_2) | instskip(SKIP_1) | instid1(VALU_DEP_1)
	v_cmp_lt_i16_e64 s13, -1, v2
	v_mov_b32_e32 v2, 0x7f800000
	v_cndmask_b32_e64 v2, 0xff800000, v2, s13
	s_delay_alu instid0(VALU_DEP_1)
	v_cndmask_b32_e32 v3, 0x7f800001, v2, vcc_lo
; %bb.26621:                            ;   in Loop: Header=BB6_22365 Depth=3
	s_or_b32 exec_lo, exec_lo, s75
.LBB6_26622:                            ;   in Loop: Header=BB6_22365 Depth=3
	s_delay_alu instid0(SALU_CYCLE_1)
	s_or_b32 exec_lo, exec_lo, s74
.LBB6_26623:                            ;   in Loop: Header=BB6_22365 Depth=3
	s_delay_alu instid0(SALU_CYCLE_1) | instskip(SKIP_2) | instid1(VALU_DEP_1)
	s_or_b32 exec_lo, exec_lo, s73
	v_lshrrev_b32_e32 v2, 16, v10
	s_mov_b32 s73, exec_lo
	v_and_b32_e32 v4, 0xff, v2
	s_delay_alu instid0(VALU_DEP_1)
	v_cmpx_ne_u16_e32 0, v4
	s_cbranch_execz .LBB6_26633
; %bb.26624:                            ;   in Loop: Header=BB6_22365 Depth=3
	v_bfrev_b32_e32 v1, 1
	s_mov_b32 s74, exec_lo
	v_cmpx_ne_u16_e32 0x80, v4
	s_cbranch_execz .LBB6_26632
; %bb.26625:                            ;   in Loop: Header=BB6_22365 Depth=3
	v_and_b32_e32 v1, 0x7c0000, v10
	v_bfe_u32 v4, v10, 16, 2
	s_delay_alu instid0(VALU_DEP_2) | instskip(SKIP_1) | instid1(SALU_CYCLE_1)
	v_cmp_ne_u32_e32 vcc_lo, 0x7c0000, v1
                                        ; implicit-def: $vgpr1
	s_and_saveexec_b32 s13, vcc_lo
	s_xor_b32 s13, exec_lo, s13
	s_cbranch_execz .LBB6_26629
; %bb.26626:                            ;   in Loop: Header=BB6_22365 Depth=3
	v_bfe_u32 v1, v10, 18, 5
	s_mov_b32 s75, exec_lo
	s_delay_alu instid0(VALU_DEP_1)
	v_cmpx_eq_u32_e32 0, v1
; %bb.26627:                            ;   in Loop: Header=BB6_22365 Depth=3
	v_clz_i32_u32_e32 v1, v4
	s_delay_alu instid0(VALU_DEP_1) | instskip(NEXT) | instid1(VALU_DEP_1)
	v_min_u32_e32 v1, 32, v1
	v_subrev_nc_u32_e32 v4, 29, v1
	s_delay_alu instid0(VALU_DEP_1) | instskip(NEXT) | instid1(VALU_DEP_1)
	v_lshlrev_b64_e32 v[4:5], v4, v[2:3]
	v_dual_sub_nc_u32 v1, 30, v1 :: v_dual_bitop2_b32 v4, 3, v4 bitop3:0x40
; %bb.26628:                            ;   in Loop: Header=BB6_22365 Depth=3
	s_or_b32 exec_lo, exec_lo, s75
	v_lshlrev_b32_e32 v2, 24, v2
	s_delay_alu instid0(VALU_DEP_1) | instskip(NEXT) | instid1(VALU_DEP_1)
	v_and_b32_e32 v2, 0x80000000, v2
	v_lshl_add_u32 v1, v1, 23, v2
                                        ; implicit-def: $vgpr2
	s_delay_alu instid0(VALU_DEP_1) | instskip(NEXT) | instid1(VALU_DEP_1)
	v_lshl_or_b32 v1, v4, 21, v1
                                        ; implicit-def: $vgpr4
	v_add_nc_u32_e32 v1, 0x38000000, v1
.LBB6_26629:                            ;   in Loop: Header=BB6_22365 Depth=3
	s_and_not1_saveexec_b32 s75, s13
; %bb.26630:                            ;   in Loop: Header=BB6_22365 Depth=3
	v_bfe_i32 v1, v2, 0, 8
	v_cmp_eq_u32_e32 vcc_lo, 0, v4
	s_delay_alu instid0(VALU_DEP_2) | instskip(SKIP_1) | instid1(VALU_DEP_1)
	v_cmp_lt_i16_e64 s13, -1, v1
	v_mov_b32_e32 v1, 0x7f800000
	v_cndmask_b32_e64 v1, 0xff800000, v1, s13
	s_delay_alu instid0(VALU_DEP_1)
	v_cndmask_b32_e32 v1, 0x7f800001, v1, vcc_lo
; %bb.26631:                            ;   in Loop: Header=BB6_22365 Depth=3
	s_or_b32 exec_lo, exec_lo, s75
.LBB6_26632:                            ;   in Loop: Header=BB6_22365 Depth=3
	s_delay_alu instid0(SALU_CYCLE_1)
	s_or_b32 exec_lo, exec_lo, s74
.LBB6_26633:                            ;   in Loop: Header=BB6_22365 Depth=3
	s_delay_alu instid0(SALU_CYCLE_1) | instskip(NEXT) | instid1(VALU_DEP_1)
	s_or_b32 exec_lo, exec_lo, s73
	v_dual_add_f32 v4, v3, v1 :: v_dual_mov_b32 v47, v113
	v_mov_b32_e32 v3, v113
                                        ; implicit-def: $vgpr32
	s_mov_b32 s13, exec_lo
	s_delay_alu instid0(VALU_DEP_2) | instskip(SKIP_2) | instid1(VALU_DEP_3)
	v_and_b32_e32 v46, 0x7f800000, v4
	v_and_b32_e32 v2, 0x7fffff, v4
	v_lshrrev_b32_e32 v1, 24, v4
	v_cmpx_ne_u64_e32 0x7f800000, v[46:47]
	s_xor_b32 s73, exec_lo, s13
	s_cbranch_execz .LBB6_26647
; %bb.26634:                            ;   in Loop: Header=BB6_22365 Depth=3
	v_and_b32_e32 v46, 0x7fffffff, v4
	v_mov_b32_e32 v47, v113
	v_and_b32_e32 v1, 0x80, v1
                                        ; implicit-def: $vgpr32
	s_mov_b32 s13, exec_lo
	s_delay_alu instid0(VALU_DEP_2)
	v_cmpx_gt_u64_e32 0x47600001, v[46:47]
	s_xor_b32 s74, exec_lo, s13
	s_cbranch_execz .LBB6_26644
; %bb.26635:                            ;   in Loop: Header=BB6_22365 Depth=3
	v_mov_b32_e32 v32, 0
	s_mov_b32 s75, exec_lo
	v_cmpx_ne_u32_e32 0, v4
	s_cbranch_execz .LBB6_26643
; %bb.26636:                            ;   in Loop: Header=BB6_22365 Depth=3
	v_bfe_u32 v32, v4, 23, 8
	v_or_b32_e32 v5, 0x800000, v2
	s_delay_alu instid0(VALU_DEP_2) | instskip(SKIP_2) | instid1(VALU_DEP_2)
	v_cmp_gt_u32_e64 s13, 0x72, v32
	v_sub_nc_u32_e32 v4, 0x71, v32
	v_cmp_eq_u32_e32 vcc_lo, 0, v32
	v_dual_cndmask_b32 v4, 0, v4, s13 :: v_dual_cndmask_b32 v2, v5, v2, vcc_lo
	s_delay_alu instid0(VALU_DEP_1) | instskip(NEXT) | instid1(VALU_DEP_1)
	v_cndmask_b32_e64 v36, v4, 0x70, vcc_lo
	v_dual_add_nc_u32 v4, 21, v36 :: v_dual_add_nc_u32 v38, 20, v36
	s_delay_alu instid0(VALU_DEP_1) | instskip(NEXT) | instid1(VALU_DEP_2)
	v_lshlrev_b64_e64 v[4:5], v4, -1
	v_lshlrev_b64_e64 v[46:47], v38, 1
	s_delay_alu instid0(VALU_DEP_2) | instskip(SKIP_1) | instid1(VALU_DEP_4)
	v_bfi_b32 v4, v4, 0, v2
	v_lshrrev_b64 v[2:3], v36, v[2:3]
	v_bfi_b32 v5, v5, 0, 0
	s_delay_alu instid0(VALU_DEP_1) | instskip(NEXT) | instid1(VALU_DEP_3)
	v_cmp_eq_u64_e64 s13, v[4:5], v[46:47]
	v_mov_b64_e32 v[4:5], v[2:3]
	s_and_saveexec_b32 s76, s13
; %bb.26637:                            ;   in Loop: Header=BB6_22365 Depth=3
	v_bfe_u32 v4, v2, 21, 1
	v_mov_b32_e32 v5, v113
	s_delay_alu instid0(VALU_DEP_1) | instskip(NEXT) | instid1(VALU_DEP_1)
	v_add_nc_u64_e32 v[4:5], v[2:3], v[4:5]
	v_add_nc_u64_e32 v[4:5], -1, v[4:5]
; %bb.26638:                            ;   in Loop: Header=BB6_22365 Depth=3
	s_or_b32 exec_lo, exec_lo, s76
	v_add_nc_u32_e32 v3, 0xffffff81, v32
	v_lshrrev_b32_e32 v5, 23, v2
	s_mov_b32 s13, exec_lo
	s_delay_alu instid0(VALU_DEP_2) | instskip(NEXT) | instid1(VALU_DEP_1)
	v_cndmask_b32_e64 v3, v3, 0xffffff82, vcc_lo
	v_add3_u32 v32, v36, v3, v5
	v_and_b32_e32 v3, 0x1fffff, v4
                                        ; implicit-def: $vgpr4
	s_delay_alu instid0(VALU_DEP_1) | instskip(SKIP_1) | instid1(VALU_DEP_2)
	v_dual_add_nc_u32 v5, 14, v32 :: v_dual_add_nc_u32 v2, v3, v2
	v_mov_b32_e32 v3, v113
	v_cmpx_ne_u32_e32 0, v5
	s_xor_b32 s13, exec_lo, s13
; %bb.26639:                            ;   in Loop: Header=BB6_22365 Depth=3
	s_delay_alu instid0(VALU_DEP_2) | instskip(SKIP_1) | instid1(VALU_DEP_1)
	v_cmp_lt_u64_e32 vcc_lo, 0xffffff, v[2:3]
	v_add_nc_u32_e32 v4, 15, v32
	v_cndmask_b32_e32 v4, v5, v4, vcc_lo
	v_cndmask_b32_e64 v5, 0, 1, vcc_lo
	s_delay_alu instid0(VALU_DEP_1)
	v_lshrrev_b64 v[2:3], v5, v[2:3]
; %bb.26640:                            ;   in Loop: Header=BB6_22365 Depth=3
	s_and_not1_saveexec_b32 s13, s13
; %bb.26641:                            ;   in Loop: Header=BB6_22365 Depth=3
	s_delay_alu instid0(VALU_DEP_1)
	v_bfe_u32 v4, v2, 23, 1
; %bb.26642:                            ;   in Loop: Header=BB6_22365 Depth=3
	s_or_b32 exec_lo, exec_lo, s13
	s_delay_alu instid0(VALU_DEP_2) | instskip(NEXT) | instid1(VALU_DEP_2)
	v_lshrrev_b64 v[2:3], 21, v[2:3]
	v_cmp_gt_i32_e32 vcc_lo, 32, v4
	v_min_i32_e32 v5, 31, v4
	v_cmp_eq_u32_e64 s13, 0, v4
	s_delay_alu instid0(VALU_DEP_2) | instskip(SKIP_1) | instid1(VALU_DEP_2)
	v_dual_cndmask_b32 v3, 0, v3, vcc_lo :: v_dual_lshlrev_b32 v5, 2, v5
	v_cndmask_b32_e32 v2, 3, v2, vcc_lo
	v_and_b32_e32 v5, 0xfc, v5
	s_delay_alu instid0(VALU_DEP_2) | instskip(NEXT) | instid1(VALU_DEP_2)
	v_cmp_eq_u64_e32 vcc_lo, 0, v[2:3]
	v_and_or_b32 v2, v2, 3, v5
	s_and_b32 s13, s13, vcc_lo
	s_delay_alu instid0(VALU_DEP_1) | instid1(SALU_CYCLE_1)
	v_cndmask_b32_e64 v2, v2, 0, s13
	s_delay_alu instid0(VALU_DEP_1)
	v_or_b32_e32 v32, v2, v1
.LBB6_26643:                            ;   in Loop: Header=BB6_22365 Depth=3
	s_or_b32 exec_lo, exec_lo, s75
                                        ; implicit-def: $vgpr1
.LBB6_26644:                            ;   in Loop: Header=BB6_22365 Depth=3
	s_and_not1_saveexec_b32 s13, s74
; %bb.26645:                            ;   in Loop: Header=BB6_22365 Depth=3
	v_or_b32_e32 v32, 0x7b, v1
; %bb.26646:                            ;   in Loop: Header=BB6_22365 Depth=3
	s_or_b32 exec_lo, exec_lo, s13
                                        ; implicit-def: $vgpr4
                                        ; implicit-def: $vgpr2_vgpr3
                                        ; implicit-def: $vgpr1
.LBB6_26647:                            ;   in Loop: Header=BB6_22365 Depth=3
	s_and_not1_saveexec_b32 s13, s73
	s_cbranch_execz .LBB6_26653
; %bb.26648:                            ;   in Loop: Header=BB6_22365 Depth=3
	s_mov_b32 s73, exec_lo
                                        ; implicit-def: $vgpr32
	v_cmpx_ne_u64_e32 0, v[2:3]
	s_xor_b32 s73, exec_lo, s73
; %bb.26649:                            ;   in Loop: Header=BB6_22365 Depth=3
	v_or_b32_e32 v32, 0x7f, v1
                                        ; implicit-def: $vgpr4
; %bb.26650:                            ;   in Loop: Header=BB6_22365 Depth=3
	s_and_not1_saveexec_b32 s73, s73
; %bb.26651:                            ;   in Loop: Header=BB6_22365 Depth=3
	v_cmp_lt_i32_e32 vcc_lo, -1, v4
	v_mov_b32_e32 v1, 0x7c
	s_delay_alu instid0(VALU_DEP_1)
	v_cndmask_b32_e32 v32, 0xfc, v1, vcc_lo
; %bb.26652:                            ;   in Loop: Header=BB6_22365 Depth=3
	s_or_b32 exec_lo, exec_lo, s73
.LBB6_26653:                            ;   in Loop: Header=BB6_22365 Depth=3
	s_delay_alu instid0(SALU_CYCLE_1)
	s_or_b32 exec_lo, exec_lo, s13
	v_dual_mov_b32 v3, 0 :: v_dual_mov_b32 v4, 0
	s_mov_b32 s73, exec_lo
	v_cmpx_lt_u32_e32 0xffffff, v0
	s_cbranch_execz .LBB6_26663
; %bb.26654:                            ;   in Loop: Header=BB6_22365 Depth=3
	v_lshrrev_b32_e32 v2, 24, v0
	v_bfrev_b32_e32 v4, 1
	s_mov_b32 s74, exec_lo
	s_delay_alu instid0(VALU_DEP_2)
	v_cmpx_ne_u32_e32 0x80, v2
	s_cbranch_execz .LBB6_26662
; %bb.26655:                            ;   in Loop: Header=BB6_22365 Depth=3
	v_and_b32_e32 v1, 0x7c000000, v0
	v_bfe_u32 v5, v0, 24, 2
	s_mov_b32 s13, exec_lo
                                        ; implicit-def: $vgpr4
	s_delay_alu instid0(VALU_DEP_2)
	v_cmpx_ne_u32_e32 0x7c000000, v1
	s_xor_b32 s13, exec_lo, s13
	s_cbranch_execz .LBB6_26659
; %bb.26656:                            ;   in Loop: Header=BB6_22365 Depth=3
	v_bfe_u32 v1, v0, 26, 5
	s_mov_b32 s75, exec_lo
	s_delay_alu instid0(VALU_DEP_1)
	v_cmpx_eq_u32_e32 0, v1
; %bb.26657:                            ;   in Loop: Header=BB6_22365 Depth=3
	v_clz_i32_u32_e32 v1, v5
	s_delay_alu instid0(VALU_DEP_1) | instskip(NEXT) | instid1(VALU_DEP_1)
	v_min_u32_e32 v1, 32, v1
	v_subrev_nc_u32_e32 v4, 29, v1
	s_delay_alu instid0(VALU_DEP_1) | instskip(NEXT) | instid1(VALU_DEP_1)
	v_lshlrev_b64_e32 v[4:5], v4, v[2:3]
	v_dual_sub_nc_u32 v1, 30, v1 :: v_dual_bitop2_b32 v5, 3, v4 bitop3:0x40
; %bb.26658:                            ;   in Loop: Header=BB6_22365 Depth=3
	s_or_b32 exec_lo, exec_lo, s75
	v_and_b32_e32 v0, 0x80000000, v0
	s_delay_alu instid0(VALU_DEP_1) | instskip(NEXT) | instid1(VALU_DEP_1)
	v_lshl_add_u32 v0, v1, 23, v0
	v_lshl_or_b32 v0, v5, 21, v0
                                        ; implicit-def: $vgpr5
	s_delay_alu instid0(VALU_DEP_1)
	v_add_nc_u32_e32 v4, 0x38000000, v0
                                        ; implicit-def: $vgpr0_vgpr1
.LBB6_26659:                            ;   in Loop: Header=BB6_22365 Depth=3
	s_and_not1_saveexec_b32 s75, s13
; %bb.26660:                            ;   in Loop: Header=BB6_22365 Depth=3
	v_cmp_lt_i32_e64 s13, -1, v0
	v_mov_b32_e32 v0, 0x7f800000
	v_cmp_eq_u32_e32 vcc_lo, 0, v5
	s_delay_alu instid0(VALU_DEP_2) | instskip(NEXT) | instid1(VALU_DEP_1)
	v_cndmask_b32_e64 v0, 0xff800000, v0, s13
	v_cndmask_b32_e32 v4, 0x7f800001, v0, vcc_lo
; %bb.26661:                            ;   in Loop: Header=BB6_22365 Depth=3
	s_or_b32 exec_lo, exec_lo, s75
.LBB6_26662:                            ;   in Loop: Header=BB6_22365 Depth=3
	s_delay_alu instid0(SALU_CYCLE_1)
	s_or_b32 exec_lo, exec_lo, s74
.LBB6_26663:                            ;   in Loop: Header=BB6_22365 Depth=3
	s_delay_alu instid0(SALU_CYCLE_1) | instskip(NEXT) | instid1(SALU_CYCLE_1)
	s_or_b32 exec_lo, exec_lo, s73
	s_mov_b32 s73, exec_lo
	v_cmpx_lt_u32_e32 0xffffff, v10
	s_cbranch_execz .LBB6_26673
; %bb.26664:                            ;   in Loop: Header=BB6_22365 Depth=3
	v_lshrrev_b32_e32 v0, 24, v10
	v_bfrev_b32_e32 v3, 1
	s_mov_b32 s74, exec_lo
	s_delay_alu instid0(VALU_DEP_2)
	v_cmpx_ne_u32_e32 0x80, v0
	s_cbranch_execz .LBB6_26672
; %bb.26665:                            ;   in Loop: Header=BB6_22365 Depth=3
	v_and_b32_e32 v2, 0x7c000000, v10
	v_bfe_u32 v1, v10, 24, 2
	s_mov_b32 s13, exec_lo
                                        ; implicit-def: $vgpr3
	s_delay_alu instid0(VALU_DEP_2)
	v_cmpx_ne_u32_e32 0x7c000000, v2
	s_xor_b32 s13, exec_lo, s13
	s_cbranch_execz .LBB6_26669
; %bb.26666:                            ;   in Loop: Header=BB6_22365 Depth=3
	v_bfe_u32 v2, v10, 26, 5
	s_mov_b32 s75, exec_lo
	s_delay_alu instid0(VALU_DEP_1)
	v_cmpx_eq_u32_e32 0, v2
; %bb.26667:                            ;   in Loop: Header=BB6_22365 Depth=3
	v_clz_i32_u32_e32 v1, v1
	s_delay_alu instid0(VALU_DEP_1) | instskip(NEXT) | instid1(VALU_DEP_1)
	v_min_u32_e32 v2, 32, v1
	v_subrev_nc_u32_e32 v1, 29, v2
	s_delay_alu instid0(VALU_DEP_1) | instskip(NEXT) | instid1(VALU_DEP_1)
	v_lshlrev_b64_e32 v[0:1], v1, v[0:1]
	v_dual_sub_nc_u32 v2, 30, v2 :: v_dual_bitop2_b32 v1, 3, v0 bitop3:0x40
; %bb.26668:                            ;   in Loop: Header=BB6_22365 Depth=3
	s_or_b32 exec_lo, exec_lo, s75
	v_and_b32_e32 v0, 0x80000000, v10
	s_delay_alu instid0(VALU_DEP_1) | instskip(NEXT) | instid1(VALU_DEP_1)
	v_lshl_add_u32 v0, v2, 23, v0
	v_lshl_or_b32 v0, v1, 21, v0
                                        ; implicit-def: $vgpr1
	s_delay_alu instid0(VALU_DEP_1)
	v_add_nc_u32_e32 v3, 0x38000000, v0
.LBB6_26669:                            ;   in Loop: Header=BB6_22365 Depth=3
	s_and_not1_saveexec_b32 s75, s13
; %bb.26670:                            ;   in Loop: Header=BB6_22365 Depth=3
	v_cmp_lt_i32_e64 s13, -1, v10
	v_mov_b32_e32 v0, 0x7f800000
	v_cmp_eq_u32_e32 vcc_lo, 0, v1
	s_delay_alu instid0(VALU_DEP_2) | instskip(NEXT) | instid1(VALU_DEP_1)
	v_cndmask_b32_e64 v0, 0xff800000, v0, s13
	v_cndmask_b32_e32 v3, 0x7f800001, v0, vcc_lo
; %bb.26671:                            ;   in Loop: Header=BB6_22365 Depth=3
	s_or_b32 exec_lo, exec_lo, s75
.LBB6_26672:                            ;   in Loop: Header=BB6_22365 Depth=3
	s_delay_alu instid0(SALU_CYCLE_1)
	s_or_b32 exec_lo, exec_lo, s74
.LBB6_26673:                            ;   in Loop: Header=BB6_22365 Depth=3
	s_delay_alu instid0(SALU_CYCLE_1) | instskip(NEXT) | instid1(VALU_DEP_1)
	s_or_b32 exec_lo, exec_lo, s73
	v_dual_add_f32 v2, v4, v3 :: v_dual_mov_b32 v5, v113
	v_mov_b32_e32 v1, v113
                                        ; implicit-def: $vgpr36
	s_mov_b32 s13, exec_lo
	s_delay_alu instid0(VALU_DEP_2) | instskip(SKIP_2) | instid1(VALU_DEP_3)
	v_and_b32_e32 v4, 0x7f800000, v2
	v_and_b32_e32 v0, 0x7fffff, v2
	v_lshrrev_b32_e32 v3, 24, v2
	v_cmpx_ne_u64_e32 0x7f800000, v[4:5]
	s_xor_b32 s73, exec_lo, s13
	s_cbranch_execz .LBB6_26687
; %bb.26674:                            ;   in Loop: Header=BB6_22365 Depth=3
	v_and_b32_e32 v4, 0x7fffffff, v2
	v_mov_b32_e32 v5, v113
                                        ; implicit-def: $vgpr36
	s_delay_alu instid0(VALU_DEP_1) | instskip(SKIP_2) | instid1(SALU_CYCLE_1)
	v_cmp_gt_u64_e32 vcc_lo, 0x47600001, v[4:5]
	v_and_b32_e32 v4, 0x80, v3
	s_and_saveexec_b32 s13, vcc_lo
	s_xor_b32 s74, exec_lo, s13
	s_cbranch_execz .LBB6_26684
; %bb.26675:                            ;   in Loop: Header=BB6_22365 Depth=3
	v_mov_b32_e32 v36, 0
	s_mov_b32 s75, exec_lo
	v_cmpx_ne_u32_e32 0, v2
	s_cbranch_execz .LBB6_26683
; %bb.26676:                            ;   in Loop: Header=BB6_22365 Depth=3
	v_bfe_u32 v5, v2, 23, 8
	v_or_b32_e32 v3, 0x800000, v0
	s_delay_alu instid0(VALU_DEP_2) | instskip(SKIP_2) | instid1(VALU_DEP_2)
	v_cmp_gt_u32_e64 s13, 0x72, v5
	v_sub_nc_u32_e32 v2, 0x71, v5
	v_cmp_eq_u32_e32 vcc_lo, 0, v5
	v_dual_cndmask_b32 v2, 0, v2, s13 :: v_dual_cndmask_b32 v0, v3, v0, vcc_lo
	s_delay_alu instid0(VALU_DEP_1) | instskip(NEXT) | instid1(VALU_DEP_1)
	v_cndmask_b32_e64 v36, v2, 0x70, vcc_lo
	v_dual_add_nc_u32 v2, 21, v36 :: v_dual_add_nc_u32 v38, 20, v36
	s_delay_alu instid0(VALU_DEP_1) | instskip(NEXT) | instid1(VALU_DEP_2)
	v_lshlrev_b64_e64 v[2:3], v2, -1
	v_lshlrev_b64_e64 v[46:47], v38, 1
	s_delay_alu instid0(VALU_DEP_2) | instskip(SKIP_1) | instid1(VALU_DEP_4)
	v_bfi_b32 v2, v2, 0, v0
	v_lshrrev_b64 v[0:1], v36, v[0:1]
	v_bfi_b32 v3, v3, 0, 0
	s_delay_alu instid0(VALU_DEP_1) | instskip(NEXT) | instid1(VALU_DEP_3)
	v_cmp_eq_u64_e64 s13, v[2:3], v[46:47]
	v_mov_b64_e32 v[2:3], v[0:1]
	s_and_saveexec_b32 s76, s13
; %bb.26677:                            ;   in Loop: Header=BB6_22365 Depth=3
	v_bfe_u32 v2, v0, 21, 1
	v_mov_b32_e32 v3, v113
	s_delay_alu instid0(VALU_DEP_1) | instskip(NEXT) | instid1(VALU_DEP_1)
	v_add_nc_u64_e32 v[2:3], v[0:1], v[2:3]
	v_add_nc_u64_e32 v[2:3], -1, v[2:3]
; %bb.26678:                            ;   in Loop: Header=BB6_22365 Depth=3
	s_or_b32 exec_lo, exec_lo, s76
	v_add_nc_u32_e32 v1, 0xffffff81, v5
	v_lshrrev_b32_e32 v3, 23, v0
	s_mov_b32 s13, exec_lo
	s_delay_alu instid0(VALU_DEP_2) | instskip(NEXT) | instid1(VALU_DEP_1)
	v_cndmask_b32_e64 v1, v1, 0xffffff82, vcc_lo
	v_add3_u32 v5, v36, v1, v3
	v_and_b32_e32 v1, 0x1fffff, v2
                                        ; implicit-def: $vgpr2
	s_delay_alu instid0(VALU_DEP_1) | instskip(SKIP_1) | instid1(VALU_DEP_2)
	v_dual_add_nc_u32 v3, 14, v5 :: v_dual_add_nc_u32 v0, v1, v0
	v_mov_b32_e32 v1, v113
	v_cmpx_ne_u32_e32 0, v3
	s_xor_b32 s13, exec_lo, s13
; %bb.26679:                            ;   in Loop: Header=BB6_22365 Depth=3
	s_delay_alu instid0(VALU_DEP_2) | instskip(SKIP_1) | instid1(VALU_DEP_1)
	v_cmp_lt_u64_e32 vcc_lo, 0xffffff, v[0:1]
	v_add_nc_u32_e32 v2, 15, v5
	v_cndmask_b32_e32 v2, v3, v2, vcc_lo
	v_cndmask_b32_e64 v3, 0, 1, vcc_lo
	s_delay_alu instid0(VALU_DEP_1)
	v_lshrrev_b64 v[0:1], v3, v[0:1]
; %bb.26680:                            ;   in Loop: Header=BB6_22365 Depth=3
	s_and_not1_saveexec_b32 s13, s13
; %bb.26681:                            ;   in Loop: Header=BB6_22365 Depth=3
	s_delay_alu instid0(VALU_DEP_1)
	v_bfe_u32 v2, v0, 23, 1
; %bb.26682:                            ;   in Loop: Header=BB6_22365 Depth=3
	s_or_b32 exec_lo, exec_lo, s13
	s_delay_alu instid0(VALU_DEP_2) | instskip(NEXT) | instid1(VALU_DEP_2)
	v_lshrrev_b64 v[0:1], 21, v[0:1]
	v_cmp_gt_i32_e32 vcc_lo, 32, v2
	v_min_i32_e32 v3, 31, v2
	v_cmp_eq_u32_e64 s13, 0, v2
	s_delay_alu instid0(VALU_DEP_2) | instskip(SKIP_1) | instid1(VALU_DEP_2)
	v_dual_cndmask_b32 v1, 0, v1, vcc_lo :: v_dual_lshlrev_b32 v3, 2, v3
	v_cndmask_b32_e32 v0, 3, v0, vcc_lo
	v_and_b32_e32 v3, 0xfc, v3
	s_delay_alu instid0(VALU_DEP_2) | instskip(NEXT) | instid1(VALU_DEP_2)
	v_cmp_eq_u64_e32 vcc_lo, 0, v[0:1]
	v_and_or_b32 v0, v0, 3, v3
	s_and_b32 s13, s13, vcc_lo
	s_delay_alu instid0(VALU_DEP_1) | instid1(SALU_CYCLE_1)
	v_cndmask_b32_e64 v0, v0, 0, s13
	s_delay_alu instid0(VALU_DEP_1)
	v_or_b32_e32 v36, v0, v4
.LBB6_26683:                            ;   in Loop: Header=BB6_22365 Depth=3
	s_or_b32 exec_lo, exec_lo, s75
                                        ; implicit-def: $vgpr4
.LBB6_26684:                            ;   in Loop: Header=BB6_22365 Depth=3
	s_and_not1_saveexec_b32 s13, s74
; %bb.26685:                            ;   in Loop: Header=BB6_22365 Depth=3
	v_or_b32_e32 v36, 0x7b, v4
; %bb.26686:                            ;   in Loop: Header=BB6_22365 Depth=3
	s_or_b32 exec_lo, exec_lo, s13
                                        ; implicit-def: $vgpr2
                                        ; implicit-def: $vgpr0_vgpr1
                                        ; implicit-def: $vgpr3
.LBB6_26687:                            ;   in Loop: Header=BB6_22365 Depth=3
	s_and_not1_saveexec_b32 s13, s73
	s_cbranch_execz .LBB6_26693
; %bb.26688:                            ;   in Loop: Header=BB6_22365 Depth=3
	s_mov_b32 s73, exec_lo
                                        ; implicit-def: $vgpr36
	v_cmpx_ne_u64_e32 0, v[0:1]
	s_xor_b32 s73, exec_lo, s73
; %bb.26689:                            ;   in Loop: Header=BB6_22365 Depth=3
	v_or_b32_e32 v36, 0x7f, v3
                                        ; implicit-def: $vgpr2
; %bb.26690:                            ;   in Loop: Header=BB6_22365 Depth=3
	s_and_not1_saveexec_b32 s73, s73
; %bb.26691:                            ;   in Loop: Header=BB6_22365 Depth=3
	v_cmp_lt_i32_e32 vcc_lo, -1, v2
	v_mov_b32_e32 v0, 0x7c
	s_delay_alu instid0(VALU_DEP_1)
	v_cndmask_b32_e32 v36, 0xfc, v0, vcc_lo
; %bb.26692:                            ;   in Loop: Header=BB6_22365 Depth=3
	s_or_b32 exec_lo, exec_lo, s73
.LBB6_26693:                            ;   in Loop: Header=BB6_22365 Depth=3
	s_delay_alu instid0(SALU_CYCLE_1) | instskip(SKIP_4) | instid1(VALU_DEP_2)
	s_or_b32 exec_lo, exec_lo, s13
	v_dual_lshlrev_b32 v0, 24, v34 :: v_dual_lshlrev_b32 v2, 16, v31
	v_lshl_or_b32 v28, v28, 8, v25
	v_dual_mov_b32 v1, v113 :: v_dual_mov_b32 v3, 0
	s_mov_b32 s73, exec_lo
	v_or3_b32 v0, v2, v0, v28
	v_mov_b32_e32 v2, 0
	v_cmpx_ne_u32_e32 0, v25
	s_cbranch_execz .LBB6_26703
; %bb.26694:                            ;   in Loop: Header=BB6_22365 Depth=3
	v_bfrev_b32_e32 v2, 1
	s_mov_b32 s74, exec_lo
	v_cmpx_ne_u32_e32 0x80, v25
	s_cbranch_execz .LBB6_26702
; %bb.26695:                            ;   in Loop: Header=BB6_22365 Depth=3
	v_and_b32_e32 v2, 0x7c, v25
	v_and_b32_e32 v4, 3, v25
	s_delay_alu instid0(VALU_DEP_2) | instskip(SKIP_1) | instid1(SALU_CYCLE_1)
	v_cmp_ne_u32_e32 vcc_lo, 0x7c, v2
                                        ; implicit-def: $vgpr2
	s_and_saveexec_b32 s13, vcc_lo
	s_xor_b32 s13, exec_lo, s13
	s_cbranch_execz .LBB6_26699
; %bb.26696:                            ;   in Loop: Header=BB6_22365 Depth=3
	v_bfe_u32 v2, v25, 2, 5
	s_mov_b32 s75, exec_lo
	s_delay_alu instid0(VALU_DEP_1)
	v_cmpx_eq_u32_e32 0, v2
; %bb.26697:                            ;   in Loop: Header=BB6_22365 Depth=3
	v_clz_i32_u32_e32 v2, v4
	s_delay_alu instid0(VALU_DEP_1) | instskip(NEXT) | instid1(VALU_DEP_1)
	v_min_u32_e32 v2, 32, v2
	v_subrev_nc_u32_e32 v4, 29, v2
	s_delay_alu instid0(VALU_DEP_1) | instskip(NEXT) | instid1(VALU_DEP_1)
	v_lshlrev_b64_e32 v[4:5], v4, v[0:1]
	v_dual_sub_nc_u32 v2, 30, v2 :: v_dual_bitop2_b32 v4, 3, v4 bitop3:0x40
; %bb.26698:                            ;   in Loop: Header=BB6_22365 Depth=3
	s_or_b32 exec_lo, exec_lo, s75
	v_lshlrev_b32_e32 v1, 24, v25
                                        ; implicit-def: $vgpr25
	s_delay_alu instid0(VALU_DEP_1) | instskip(NEXT) | instid1(VALU_DEP_1)
	v_and_b32_e32 v1, 0x80000000, v1
	v_lshl_add_u32 v1, v2, 23, v1
	s_delay_alu instid0(VALU_DEP_1) | instskip(NEXT) | instid1(VALU_DEP_1)
	v_lshl_or_b32 v1, v4, 21, v1
                                        ; implicit-def: $vgpr4
	v_add_nc_u32_e32 v2, 0x38000000, v1
.LBB6_26699:                            ;   in Loop: Header=BB6_22365 Depth=3
	s_and_not1_saveexec_b32 s75, s13
; %bb.26700:                            ;   in Loop: Header=BB6_22365 Depth=3
	v_and_b32_e32 v1, 0x80, v25
	v_cmp_eq_u32_e32 vcc_lo, 0, v4
	s_delay_alu instid0(VALU_DEP_2) | instskip(SKIP_1) | instid1(VALU_DEP_1)
	v_cmp_eq_u32_e64 s13, 0, v1
	v_mov_b32_e32 v1, 0x7f800000
	v_cndmask_b32_e64 v1, 0xff800000, v1, s13
	s_delay_alu instid0(VALU_DEP_1)
	v_cndmask_b32_e32 v2, 0x7f800001, v1, vcc_lo
; %bb.26701:                            ;   in Loop: Header=BB6_22365 Depth=3
	s_or_b32 exec_lo, exec_lo, s75
.LBB6_26702:                            ;   in Loop: Header=BB6_22365 Depth=3
	s_delay_alu instid0(SALU_CYCLE_1)
	s_or_b32 exec_lo, exec_lo, s74
.LBB6_26703:                            ;   in Loop: Header=BB6_22365 Depth=3
	s_delay_alu instid0(SALU_CYCLE_1) | instskip(SKIP_2) | instid1(VALU_DEP_1)
	s_or_b32 exec_lo, exec_lo, s73
	v_and_b32_e32 v1, 0xff, v11
	s_mov_b32 s73, exec_lo
	v_cmpx_ne_u16_e32 0, v1
	s_cbranch_execz .LBB6_26713
; %bb.26704:                            ;   in Loop: Header=BB6_22365 Depth=3
	v_bfrev_b32_e32 v3, 1
	s_mov_b32 s74, exec_lo
	v_cmpx_ne_u16_e32 0x80, v1
	s_cbranch_execz .LBB6_26712
; %bb.26705:                            ;   in Loop: Header=BB6_22365 Depth=3
	v_and_b32_e32 v3, 0x7c, v11
	v_and_b32_e32 v1, 3, v11
	s_delay_alu instid0(VALU_DEP_2) | instskip(SKIP_1) | instid1(SALU_CYCLE_1)
	v_cmp_ne_u32_e32 vcc_lo, 0x7c, v3
                                        ; implicit-def: $vgpr3
	s_and_saveexec_b32 s13, vcc_lo
	s_xor_b32 s13, exec_lo, s13
	s_cbranch_execz .LBB6_26709
; %bb.26706:                            ;   in Loop: Header=BB6_22365 Depth=3
	v_bfe_u32 v3, v11, 2, 5
	s_mov_b32 s75, exec_lo
	s_delay_alu instid0(VALU_DEP_1)
	v_cmpx_eq_u32_e32 0, v3
; %bb.26707:                            ;   in Loop: Header=BB6_22365 Depth=3
	v_clz_i32_u32_e32 v1, v1
	v_dual_mov_b32 v4, v11 :: v_dual_mov_b32 v5, v113
	s_delay_alu instid0(VALU_DEP_2) | instskip(NEXT) | instid1(VALU_DEP_1)
	v_min_u32_e32 v1, 32, v1
	v_subrev_nc_u32_e32 v3, 29, v1
	s_delay_alu instid0(VALU_DEP_1) | instskip(NEXT) | instid1(VALU_DEP_1)
	v_lshlrev_b64_e32 v[4:5], v3, v[4:5]
	v_dual_sub_nc_u32 v3, 30, v1 :: v_dual_bitop2_b32 v1, 3, v4 bitop3:0x40
; %bb.26708:                            ;   in Loop: Header=BB6_22365 Depth=3
	s_or_b32 exec_lo, exec_lo, s75
	v_lshlrev_b32_e32 v4, 24, v11
	s_delay_alu instid0(VALU_DEP_1) | instskip(NEXT) | instid1(VALU_DEP_1)
	v_and_b32_e32 v4, 0x80000000, v4
	v_lshl_add_u32 v3, v3, 23, v4
	s_delay_alu instid0(VALU_DEP_1) | instskip(NEXT) | instid1(VALU_DEP_1)
	v_lshl_or_b32 v1, v1, 21, v3
	v_add_nc_u32_e32 v3, 0x38000000, v1
                                        ; implicit-def: $vgpr1
.LBB6_26709:                            ;   in Loop: Header=BB6_22365 Depth=3
	s_and_not1_saveexec_b32 s75, s13
; %bb.26710:                            ;   in Loop: Header=BB6_22365 Depth=3
	v_bfe_i32 v3, v11, 0, 8
	v_cmp_eq_u32_e32 vcc_lo, 0, v1
	v_mov_b32_e32 v1, 0x7f800000
	s_delay_alu instid0(VALU_DEP_3) | instskip(NEXT) | instid1(VALU_DEP_1)
	v_cmp_lt_i16_e64 s13, -1, v3
	v_cndmask_b32_e64 v1, 0xff800000, v1, s13
	s_delay_alu instid0(VALU_DEP_1)
	v_cndmask_b32_e32 v3, 0x7f800001, v1, vcc_lo
; %bb.26711:                            ;   in Loop: Header=BB6_22365 Depth=3
	s_or_b32 exec_lo, exec_lo, s75
.LBB6_26712:                            ;   in Loop: Header=BB6_22365 Depth=3
	s_delay_alu instid0(SALU_CYCLE_1)
	s_or_b32 exec_lo, exec_lo, s74
.LBB6_26713:                            ;   in Loop: Header=BB6_22365 Depth=3
	s_delay_alu instid0(SALU_CYCLE_1) | instskip(NEXT) | instid1(VALU_DEP_1)
	s_or_b32 exec_lo, exec_lo, s73
	v_dual_add_f32 v4, v2, v3 :: v_dual_mov_b32 v47, v113
	v_mov_b32_e32 v3, v113
                                        ; implicit-def: $vgpr25
	s_mov_b32 s13, exec_lo
	s_delay_alu instid0(VALU_DEP_2) | instskip(SKIP_2) | instid1(VALU_DEP_3)
	v_and_b32_e32 v46, 0x7f800000, v4
	v_and_b32_e32 v2, 0x7fffff, v4
	v_lshrrev_b32_e32 v1, 24, v4
	v_cmpx_ne_u64_e32 0x7f800000, v[46:47]
	s_xor_b32 s73, exec_lo, s13
	s_cbranch_execz .LBB6_26727
; %bb.26714:                            ;   in Loop: Header=BB6_22365 Depth=3
	v_and_b32_e32 v46, 0x7fffffff, v4
	v_mov_b32_e32 v47, v113
	v_and_b32_e32 v1, 0x80, v1
                                        ; implicit-def: $vgpr25
	s_mov_b32 s13, exec_lo
	s_delay_alu instid0(VALU_DEP_2)
	v_cmpx_gt_u64_e32 0x47600001, v[46:47]
	s_xor_b32 s74, exec_lo, s13
	s_cbranch_execz .LBB6_26724
; %bb.26715:                            ;   in Loop: Header=BB6_22365 Depth=3
	v_mov_b32_e32 v25, 0
	s_mov_b32 s75, exec_lo
	v_cmpx_ne_u32_e32 0, v4
	s_cbranch_execz .LBB6_26723
; %bb.26716:                            ;   in Loop: Header=BB6_22365 Depth=3
	v_bfe_u32 v25, v4, 23, 8
	v_or_b32_e32 v5, 0x800000, v2
	s_delay_alu instid0(VALU_DEP_2) | instskip(SKIP_2) | instid1(VALU_DEP_2)
	v_cmp_gt_u32_e64 s13, 0x72, v25
	v_sub_nc_u32_e32 v4, 0x71, v25
	v_cmp_eq_u32_e32 vcc_lo, 0, v25
	v_dual_cndmask_b32 v4, 0, v4, s13 :: v_dual_cndmask_b32 v2, v5, v2, vcc_lo
	s_delay_alu instid0(VALU_DEP_1) | instskip(NEXT) | instid1(VALU_DEP_1)
	v_cndmask_b32_e64 v31, v4, 0x70, vcc_lo
	v_dual_add_nc_u32 v4, 21, v31 :: v_dual_add_nc_u32 v34, 20, v31
	s_delay_alu instid0(VALU_DEP_1) | instskip(NEXT) | instid1(VALU_DEP_2)
	v_lshlrev_b64_e64 v[4:5], v4, -1
	v_lshlrev_b64_e64 v[46:47], v34, 1
	s_delay_alu instid0(VALU_DEP_2) | instskip(SKIP_1) | instid1(VALU_DEP_4)
	v_bfi_b32 v4, v4, 0, v2
	v_lshrrev_b64 v[2:3], v31, v[2:3]
	v_bfi_b32 v5, v5, 0, 0
	s_delay_alu instid0(VALU_DEP_1) | instskip(NEXT) | instid1(VALU_DEP_3)
	v_cmp_eq_u64_e64 s13, v[4:5], v[46:47]
	v_mov_b64_e32 v[4:5], v[2:3]
	s_and_saveexec_b32 s76, s13
; %bb.26717:                            ;   in Loop: Header=BB6_22365 Depth=3
	v_bfe_u32 v4, v2, 21, 1
	v_mov_b32_e32 v5, v113
	s_delay_alu instid0(VALU_DEP_1) | instskip(NEXT) | instid1(VALU_DEP_1)
	v_add_nc_u64_e32 v[4:5], v[2:3], v[4:5]
	v_add_nc_u64_e32 v[4:5], -1, v[4:5]
; %bb.26718:                            ;   in Loop: Header=BB6_22365 Depth=3
	s_or_b32 exec_lo, exec_lo, s76
	v_add_nc_u32_e32 v3, 0xffffff81, v25
	v_lshrrev_b32_e32 v5, 23, v2
	s_mov_b32 s13, exec_lo
	s_delay_alu instid0(VALU_DEP_2) | instskip(NEXT) | instid1(VALU_DEP_1)
	v_cndmask_b32_e64 v3, v3, 0xffffff82, vcc_lo
	v_add3_u32 v25, v31, v3, v5
	v_and_b32_e32 v3, 0x1fffff, v4
                                        ; implicit-def: $vgpr4
	s_delay_alu instid0(VALU_DEP_1) | instskip(SKIP_1) | instid1(VALU_DEP_2)
	v_dual_add_nc_u32 v5, 14, v25 :: v_dual_add_nc_u32 v2, v3, v2
	v_mov_b32_e32 v3, v113
	v_cmpx_ne_u32_e32 0, v5
	s_xor_b32 s13, exec_lo, s13
; %bb.26719:                            ;   in Loop: Header=BB6_22365 Depth=3
	s_delay_alu instid0(VALU_DEP_2) | instskip(SKIP_1) | instid1(VALU_DEP_1)
	v_cmp_lt_u64_e32 vcc_lo, 0xffffff, v[2:3]
	v_add_nc_u32_e32 v4, 15, v25
	v_cndmask_b32_e32 v4, v5, v4, vcc_lo
	v_cndmask_b32_e64 v5, 0, 1, vcc_lo
	s_delay_alu instid0(VALU_DEP_1)
	v_lshrrev_b64 v[2:3], v5, v[2:3]
; %bb.26720:                            ;   in Loop: Header=BB6_22365 Depth=3
	s_and_not1_saveexec_b32 s13, s13
; %bb.26721:                            ;   in Loop: Header=BB6_22365 Depth=3
	s_delay_alu instid0(VALU_DEP_1)
	v_bfe_u32 v4, v2, 23, 1
; %bb.26722:                            ;   in Loop: Header=BB6_22365 Depth=3
	s_or_b32 exec_lo, exec_lo, s13
	s_delay_alu instid0(VALU_DEP_2) | instskip(NEXT) | instid1(VALU_DEP_2)
	v_lshrrev_b64 v[2:3], 21, v[2:3]
	v_cmp_gt_i32_e32 vcc_lo, 32, v4
	v_min_i32_e32 v5, 31, v4
	v_cmp_eq_u32_e64 s13, 0, v4
	s_delay_alu instid0(VALU_DEP_2) | instskip(SKIP_1) | instid1(VALU_DEP_2)
	v_dual_cndmask_b32 v3, 0, v3, vcc_lo :: v_dual_lshlrev_b32 v5, 2, v5
	v_cndmask_b32_e32 v2, 3, v2, vcc_lo
	v_and_b32_e32 v5, 0xfc, v5
	s_delay_alu instid0(VALU_DEP_2) | instskip(NEXT) | instid1(VALU_DEP_2)
	v_cmp_eq_u64_e32 vcc_lo, 0, v[2:3]
	v_and_or_b32 v2, v2, 3, v5
	s_and_b32 s13, s13, vcc_lo
	s_delay_alu instid0(VALU_DEP_1) | instid1(SALU_CYCLE_1)
	v_cndmask_b32_e64 v2, v2, 0, s13
	s_delay_alu instid0(VALU_DEP_1)
	v_or_b32_e32 v25, v2, v1
.LBB6_26723:                            ;   in Loop: Header=BB6_22365 Depth=3
	s_or_b32 exec_lo, exec_lo, s75
                                        ; implicit-def: $vgpr1
.LBB6_26724:                            ;   in Loop: Header=BB6_22365 Depth=3
	s_and_not1_saveexec_b32 s13, s74
; %bb.26725:                            ;   in Loop: Header=BB6_22365 Depth=3
	v_or_b32_e32 v25, 0x7b, v1
; %bb.26726:                            ;   in Loop: Header=BB6_22365 Depth=3
	s_or_b32 exec_lo, exec_lo, s13
                                        ; implicit-def: $vgpr4
                                        ; implicit-def: $vgpr2_vgpr3
                                        ; implicit-def: $vgpr1
.LBB6_26727:                            ;   in Loop: Header=BB6_22365 Depth=3
	s_and_not1_saveexec_b32 s13, s73
	s_cbranch_execz .LBB6_26733
; %bb.26728:                            ;   in Loop: Header=BB6_22365 Depth=3
	s_mov_b32 s73, exec_lo
                                        ; implicit-def: $vgpr25
	v_cmpx_ne_u64_e32 0, v[2:3]
	s_xor_b32 s73, exec_lo, s73
; %bb.26729:                            ;   in Loop: Header=BB6_22365 Depth=3
	v_or_b32_e32 v25, 0x7f, v1
                                        ; implicit-def: $vgpr4
; %bb.26730:                            ;   in Loop: Header=BB6_22365 Depth=3
	s_and_not1_saveexec_b32 s73, s73
; %bb.26731:                            ;   in Loop: Header=BB6_22365 Depth=3
	v_cmp_lt_i32_e32 vcc_lo, -1, v4
	v_mov_b32_e32 v1, 0x7c
	s_delay_alu instid0(VALU_DEP_1)
	v_cndmask_b32_e32 v25, 0xfc, v1, vcc_lo
; %bb.26732:                            ;   in Loop: Header=BB6_22365 Depth=3
	s_or_b32 exec_lo, exec_lo, s73
.LBB6_26733:                            ;   in Loop: Header=BB6_22365 Depth=3
	s_delay_alu instid0(SALU_CYCLE_1) | instskip(SKIP_3) | instid1(VALU_DEP_2)
	s_or_b32 exec_lo, exec_lo, s13
	v_lshrrev_b16 v2, 8, v28
	v_dual_mov_b32 v1, 0 :: v_dual_mov_b32 v4, 0
	s_mov_b32 s73, exec_lo
	v_cmpx_ne_u16_e32 0, v2
	s_cbranch_execz .LBB6_26743
; %bb.26734:                            ;   in Loop: Header=BB6_22365 Depth=3
	v_bfrev_b32_e32 v4, 1
	s_mov_b32 s74, exec_lo
	v_cmpx_ne_u16_e32 0x80, v2
	s_cbranch_execz .LBB6_26742
; %bb.26735:                            ;   in Loop: Header=BB6_22365 Depth=3
	v_and_b32_e32 v5, 0xffff, v2
	s_delay_alu instid0(VALU_DEP_1) | instskip(SKIP_1) | instid1(VALU_DEP_2)
	v_and_b32_e32 v4, 0x7c, v5
	v_and_b32_e32 v3, 3, v5
	v_cmp_ne_u32_e32 vcc_lo, 0x7c, v4
                                        ; implicit-def: $vgpr4
	s_and_saveexec_b32 s13, vcc_lo
	s_delay_alu instid0(SALU_CYCLE_1)
	s_xor_b32 s13, exec_lo, s13
	s_cbranch_execz .LBB6_26739
; %bb.26736:                            ;   in Loop: Header=BB6_22365 Depth=3
	v_bfe_u32 v4, v5, 2, 5
	s_mov_b32 s75, exec_lo
	s_delay_alu instid0(VALU_DEP_1)
	v_cmpx_eq_u32_e32 0, v4
	s_cbranch_execz .LBB6_26738
; %bb.26737:                            ;   in Loop: Header=BB6_22365 Depth=3
	v_clz_i32_u32_e32 v3, v3
	s_delay_alu instid0(VALU_DEP_1) | instskip(SKIP_1) | instid1(VALU_DEP_2)
	v_min_u32_e32 v4, 32, v3
	v_mov_b32_e32 v3, v113
	v_subrev_nc_u32_e32 v5, 29, v4
	v_sub_nc_u32_e32 v4, 30, v4
	s_delay_alu instid0(VALU_DEP_2) | instskip(NEXT) | instid1(VALU_DEP_1)
	v_lshlrev_b64_e32 v[2:3], v5, v[2:3]
	v_and_b32_e32 v3, 3, v2
.LBB6_26738:                            ;   in Loop: Header=BB6_22365 Depth=3
	s_or_b32 exec_lo, exec_lo, s75
	v_lshlrev_b32_e32 v2, 16, v28
                                        ; implicit-def: $vgpr28
	s_delay_alu instid0(VALU_DEP_1) | instskip(NEXT) | instid1(VALU_DEP_1)
	v_and_b32_e32 v2, 0x80000000, v2
	v_lshl_add_u32 v2, v4, 23, v2
	s_delay_alu instid0(VALU_DEP_1) | instskip(NEXT) | instid1(VALU_DEP_1)
	v_lshl_or_b32 v2, v3, 21, v2
                                        ; implicit-def: $vgpr3
	v_add_nc_u32_e32 v4, 0x38000000, v2
.LBB6_26739:                            ;   in Loop: Header=BB6_22365 Depth=3
	s_and_not1_saveexec_b32 s75, s13
; %bb.26740:                            ;   in Loop: Header=BB6_22365 Depth=3
	v_cmp_lt_i16_e64 s13, -1, v28
	v_mov_b32_e32 v2, 0x7f800000
	v_cmp_eq_u32_e32 vcc_lo, 0, v3
	s_delay_alu instid0(VALU_DEP_2) | instskip(NEXT) | instid1(VALU_DEP_1)
	v_cndmask_b32_e64 v2, 0xff800000, v2, s13
	v_cndmask_b32_e32 v4, 0x7f800001, v2, vcc_lo
; %bb.26741:                            ;   in Loop: Header=BB6_22365 Depth=3
	s_or_b32 exec_lo, exec_lo, s75
.LBB6_26742:                            ;   in Loop: Header=BB6_22365 Depth=3
	s_delay_alu instid0(SALU_CYCLE_1)
	s_or_b32 exec_lo, exec_lo, s74
.LBB6_26743:                            ;   in Loop: Header=BB6_22365 Depth=3
	s_delay_alu instid0(SALU_CYCLE_1) | instskip(SKIP_2) | instid1(VALU_DEP_1)
	s_or_b32 exec_lo, exec_lo, s73
	v_lshrrev_b16 v2, 8, v11
	s_mov_b32 s73, exec_lo
	v_cmpx_ne_u16_e32 0, v2
	s_cbranch_execz .LBB6_26753
; %bb.26744:                            ;   in Loop: Header=BB6_22365 Depth=3
	v_bfrev_b32_e32 v1, 1
	s_mov_b32 s74, exec_lo
	v_cmpx_ne_u16_e32 0x80, v2
	s_cbranch_execz .LBB6_26752
; %bb.26745:                            ;   in Loop: Header=BB6_22365 Depth=3
	v_and_b32_e32 v5, 0xffff, v2
	s_delay_alu instid0(VALU_DEP_1) | instskip(SKIP_1) | instid1(VALU_DEP_2)
	v_and_b32_e32 v1, 0x7c, v5
	v_and_b32_e32 v3, 3, v5
	v_cmp_ne_u32_e32 vcc_lo, 0x7c, v1
                                        ; implicit-def: $vgpr1
	s_and_saveexec_b32 s13, vcc_lo
	s_delay_alu instid0(SALU_CYCLE_1)
	s_xor_b32 s13, exec_lo, s13
	s_cbranch_execz .LBB6_26749
; %bb.26746:                            ;   in Loop: Header=BB6_22365 Depth=3
	v_bfe_u32 v1, v5, 2, 5
	s_mov_b32 s75, exec_lo
	s_delay_alu instid0(VALU_DEP_1)
	v_cmpx_eq_u32_e32 0, v1
	s_cbranch_execz .LBB6_26748
; %bb.26747:                            ;   in Loop: Header=BB6_22365 Depth=3
	v_clz_i32_u32_e32 v1, v3
	s_delay_alu instid0(VALU_DEP_1) | instskip(SKIP_1) | instid1(VALU_DEP_2)
	v_min_u32_e32 v1, 32, v1
	v_mov_b32_e32 v3, v113
	v_subrev_nc_u32_e32 v5, 29, v1
	v_sub_nc_u32_e32 v1, 30, v1
	s_delay_alu instid0(VALU_DEP_2) | instskip(NEXT) | instid1(VALU_DEP_1)
	v_lshlrev_b64_e32 v[2:3], v5, v[2:3]
	v_and_b32_e32 v3, 3, v2
.LBB6_26748:                            ;   in Loop: Header=BB6_22365 Depth=3
	s_or_b32 exec_lo, exec_lo, s75
	v_lshlrev_b32_e32 v2, 16, v11
	s_delay_alu instid0(VALU_DEP_1) | instskip(NEXT) | instid1(VALU_DEP_1)
	v_and_b32_e32 v2, 0x80000000, v2
	v_lshl_add_u32 v1, v1, 23, v2
	s_delay_alu instid0(VALU_DEP_1) | instskip(NEXT) | instid1(VALU_DEP_1)
	v_lshl_or_b32 v1, v3, 21, v1
                                        ; implicit-def: $vgpr3
	v_add_nc_u32_e32 v1, 0x38000000, v1
.LBB6_26749:                            ;   in Loop: Header=BB6_22365 Depth=3
	s_and_not1_saveexec_b32 s75, s13
; %bb.26750:                            ;   in Loop: Header=BB6_22365 Depth=3
	v_cmp_lt_i16_e64 s13, -1, v11
	v_mov_b32_e32 v1, 0x7f800000
	v_cmp_eq_u32_e32 vcc_lo, 0, v3
	s_delay_alu instid0(VALU_DEP_2) | instskip(NEXT) | instid1(VALU_DEP_1)
	v_cndmask_b32_e64 v1, 0xff800000, v1, s13
	v_cndmask_b32_e32 v1, 0x7f800001, v1, vcc_lo
; %bb.26751:                            ;   in Loop: Header=BB6_22365 Depth=3
	s_or_b32 exec_lo, exec_lo, s75
.LBB6_26752:                            ;   in Loop: Header=BB6_22365 Depth=3
	s_delay_alu instid0(SALU_CYCLE_1)
	s_or_b32 exec_lo, exec_lo, s74
.LBB6_26753:                            ;   in Loop: Header=BB6_22365 Depth=3
	s_delay_alu instid0(SALU_CYCLE_1) | instskip(NEXT) | instid1(VALU_DEP_1)
	s_or_b32 exec_lo, exec_lo, s73
	v_dual_add_f32 v4, v4, v1 :: v_dual_mov_b32 v47, v113
	v_mov_b32_e32 v3, v113
                                        ; implicit-def: $vgpr28
	s_mov_b32 s13, exec_lo
	s_delay_alu instid0(VALU_DEP_2) | instskip(SKIP_2) | instid1(VALU_DEP_3)
	v_and_b32_e32 v46, 0x7f800000, v4
	v_and_b32_e32 v2, 0x7fffff, v4
	v_lshrrev_b32_e32 v1, 24, v4
	v_cmpx_ne_u64_e32 0x7f800000, v[46:47]
	s_xor_b32 s73, exec_lo, s13
	s_cbranch_execz .LBB6_26767
; %bb.26754:                            ;   in Loop: Header=BB6_22365 Depth=3
	v_and_b32_e32 v46, 0x7fffffff, v4
	v_mov_b32_e32 v47, v113
	v_and_b32_e32 v1, 0x80, v1
                                        ; implicit-def: $vgpr28
	s_mov_b32 s13, exec_lo
	s_delay_alu instid0(VALU_DEP_2)
	v_cmpx_gt_u64_e32 0x47600001, v[46:47]
	s_xor_b32 s74, exec_lo, s13
	s_cbranch_execz .LBB6_26764
; %bb.26755:                            ;   in Loop: Header=BB6_22365 Depth=3
	v_mov_b32_e32 v28, 0
	s_mov_b32 s75, exec_lo
	v_cmpx_ne_u32_e32 0, v4
	s_cbranch_execz .LBB6_26763
; %bb.26756:                            ;   in Loop: Header=BB6_22365 Depth=3
	v_bfe_u32 v28, v4, 23, 8
	v_or_b32_e32 v5, 0x800000, v2
	s_delay_alu instid0(VALU_DEP_2) | instskip(SKIP_2) | instid1(VALU_DEP_2)
	v_cmp_gt_u32_e64 s13, 0x72, v28
	v_sub_nc_u32_e32 v4, 0x71, v28
	v_cmp_eq_u32_e32 vcc_lo, 0, v28
	v_dual_cndmask_b32 v4, 0, v4, s13 :: v_dual_cndmask_b32 v2, v5, v2, vcc_lo
	s_delay_alu instid0(VALU_DEP_1) | instskip(NEXT) | instid1(VALU_DEP_1)
	v_cndmask_b32_e64 v31, v4, 0x70, vcc_lo
	v_dual_add_nc_u32 v4, 21, v31 :: v_dual_add_nc_u32 v34, 20, v31
	s_delay_alu instid0(VALU_DEP_1) | instskip(NEXT) | instid1(VALU_DEP_2)
	v_lshlrev_b64_e64 v[4:5], v4, -1
	v_lshlrev_b64_e64 v[46:47], v34, 1
	s_delay_alu instid0(VALU_DEP_2) | instskip(SKIP_1) | instid1(VALU_DEP_4)
	v_bfi_b32 v4, v4, 0, v2
	v_lshrrev_b64 v[2:3], v31, v[2:3]
	v_bfi_b32 v5, v5, 0, 0
	s_delay_alu instid0(VALU_DEP_1) | instskip(NEXT) | instid1(VALU_DEP_3)
	v_cmp_eq_u64_e64 s13, v[4:5], v[46:47]
	v_mov_b64_e32 v[4:5], v[2:3]
	s_and_saveexec_b32 s76, s13
; %bb.26757:                            ;   in Loop: Header=BB6_22365 Depth=3
	v_bfe_u32 v4, v2, 21, 1
	v_mov_b32_e32 v5, v113
	s_delay_alu instid0(VALU_DEP_1) | instskip(NEXT) | instid1(VALU_DEP_1)
	v_add_nc_u64_e32 v[4:5], v[2:3], v[4:5]
	v_add_nc_u64_e32 v[4:5], -1, v[4:5]
; %bb.26758:                            ;   in Loop: Header=BB6_22365 Depth=3
	s_or_b32 exec_lo, exec_lo, s76
	v_add_nc_u32_e32 v3, 0xffffff81, v28
	v_lshrrev_b32_e32 v5, 23, v2
	s_mov_b32 s13, exec_lo
	s_delay_alu instid0(VALU_DEP_2) | instskip(NEXT) | instid1(VALU_DEP_1)
	v_cndmask_b32_e64 v3, v3, 0xffffff82, vcc_lo
	v_add3_u32 v28, v31, v3, v5
	v_and_b32_e32 v3, 0x1fffff, v4
                                        ; implicit-def: $vgpr4
	s_delay_alu instid0(VALU_DEP_1) | instskip(SKIP_1) | instid1(VALU_DEP_2)
	v_dual_add_nc_u32 v5, 14, v28 :: v_dual_add_nc_u32 v2, v3, v2
	v_mov_b32_e32 v3, v113
	v_cmpx_ne_u32_e32 0, v5
	s_xor_b32 s13, exec_lo, s13
; %bb.26759:                            ;   in Loop: Header=BB6_22365 Depth=3
	s_delay_alu instid0(VALU_DEP_2) | instskip(SKIP_1) | instid1(VALU_DEP_1)
	v_cmp_lt_u64_e32 vcc_lo, 0xffffff, v[2:3]
	v_add_nc_u32_e32 v4, 15, v28
	v_cndmask_b32_e32 v4, v5, v4, vcc_lo
	v_cndmask_b32_e64 v5, 0, 1, vcc_lo
	s_delay_alu instid0(VALU_DEP_1)
	v_lshrrev_b64 v[2:3], v5, v[2:3]
; %bb.26760:                            ;   in Loop: Header=BB6_22365 Depth=3
	s_and_not1_saveexec_b32 s13, s13
; %bb.26761:                            ;   in Loop: Header=BB6_22365 Depth=3
	s_delay_alu instid0(VALU_DEP_1)
	v_bfe_u32 v4, v2, 23, 1
; %bb.26762:                            ;   in Loop: Header=BB6_22365 Depth=3
	s_or_b32 exec_lo, exec_lo, s13
	s_delay_alu instid0(VALU_DEP_2) | instskip(NEXT) | instid1(VALU_DEP_2)
	v_lshrrev_b64 v[2:3], 21, v[2:3]
	v_cmp_gt_i32_e32 vcc_lo, 32, v4
	v_min_i32_e32 v5, 31, v4
	v_cmp_eq_u32_e64 s13, 0, v4
	s_delay_alu instid0(VALU_DEP_2) | instskip(SKIP_1) | instid1(VALU_DEP_2)
	v_dual_cndmask_b32 v3, 0, v3, vcc_lo :: v_dual_lshlrev_b32 v5, 2, v5
	v_cndmask_b32_e32 v2, 3, v2, vcc_lo
	v_and_b32_e32 v5, 0xfc, v5
	s_delay_alu instid0(VALU_DEP_2) | instskip(NEXT) | instid1(VALU_DEP_2)
	v_cmp_eq_u64_e32 vcc_lo, 0, v[2:3]
	v_and_or_b32 v2, v2, 3, v5
	s_and_b32 s13, s13, vcc_lo
	s_delay_alu instid0(VALU_DEP_1) | instid1(SALU_CYCLE_1)
	v_cndmask_b32_e64 v2, v2, 0, s13
	s_delay_alu instid0(VALU_DEP_1)
	v_or_b32_e32 v28, v2, v1
.LBB6_26763:                            ;   in Loop: Header=BB6_22365 Depth=3
	s_or_b32 exec_lo, exec_lo, s75
                                        ; implicit-def: $vgpr1
.LBB6_26764:                            ;   in Loop: Header=BB6_22365 Depth=3
	s_and_not1_saveexec_b32 s13, s74
; %bb.26765:                            ;   in Loop: Header=BB6_22365 Depth=3
	v_or_b32_e32 v28, 0x7b, v1
; %bb.26766:                            ;   in Loop: Header=BB6_22365 Depth=3
	s_or_b32 exec_lo, exec_lo, s13
                                        ; implicit-def: $vgpr4
                                        ; implicit-def: $vgpr2_vgpr3
                                        ; implicit-def: $vgpr1
.LBB6_26767:                            ;   in Loop: Header=BB6_22365 Depth=3
	s_and_not1_saveexec_b32 s13, s73
	s_cbranch_execz .LBB6_26773
; %bb.26768:                            ;   in Loop: Header=BB6_22365 Depth=3
	s_mov_b32 s73, exec_lo
                                        ; implicit-def: $vgpr28
	v_cmpx_ne_u64_e32 0, v[2:3]
	s_xor_b32 s73, exec_lo, s73
; %bb.26769:                            ;   in Loop: Header=BB6_22365 Depth=3
	v_or_b32_e32 v28, 0x7f, v1
                                        ; implicit-def: $vgpr4
; %bb.26770:                            ;   in Loop: Header=BB6_22365 Depth=3
	s_and_not1_saveexec_b32 s73, s73
; %bb.26771:                            ;   in Loop: Header=BB6_22365 Depth=3
	v_cmp_lt_i32_e32 vcc_lo, -1, v4
	v_mov_b32_e32 v1, 0x7c
	s_delay_alu instid0(VALU_DEP_1)
	v_cndmask_b32_e32 v28, 0xfc, v1, vcc_lo
; %bb.26772:                            ;   in Loop: Header=BB6_22365 Depth=3
	s_or_b32 exec_lo, exec_lo, s73
.LBB6_26773:                            ;   in Loop: Header=BB6_22365 Depth=3
	s_delay_alu instid0(SALU_CYCLE_1) | instskip(SKIP_3) | instid1(VALU_DEP_2)
	s_or_b32 exec_lo, exec_lo, s13
	v_dual_mov_b32 v1, 0 :: v_dual_lshrrev_b32 v2, 16, v0
	v_mov_b32_e32 v3, 0
	s_mov_b32 s73, exec_lo
	v_and_b32_e32 v4, 0xff, v2
	s_delay_alu instid0(VALU_DEP_1)
	v_cmpx_ne_u16_e32 0, v4
	s_cbranch_execz .LBB6_26783
; %bb.26774:                            ;   in Loop: Header=BB6_22365 Depth=3
	v_bfrev_b32_e32 v3, 1
	s_mov_b32 s74, exec_lo
	v_cmpx_ne_u16_e32 0x80, v4
	s_cbranch_execz .LBB6_26782
; %bb.26775:                            ;   in Loop: Header=BB6_22365 Depth=3
	v_and_b32_e32 v3, 0x7c0000, v0
	v_bfe_u32 v4, v0, 16, 2
	s_delay_alu instid0(VALU_DEP_2) | instskip(SKIP_1) | instid1(SALU_CYCLE_1)
	v_cmp_ne_u32_e32 vcc_lo, 0x7c0000, v3
                                        ; implicit-def: $vgpr3
	s_and_saveexec_b32 s13, vcc_lo
	s_xor_b32 s13, exec_lo, s13
	s_cbranch_execz .LBB6_26779
; %bb.26776:                            ;   in Loop: Header=BB6_22365 Depth=3
	v_bfe_u32 v3, v0, 18, 5
	s_mov_b32 s75, exec_lo
	s_delay_alu instid0(VALU_DEP_1)
	v_cmpx_eq_u32_e32 0, v3
; %bb.26777:                            ;   in Loop: Header=BB6_22365 Depth=3
	v_clz_i32_u32_e32 v3, v4
	s_delay_alu instid0(VALU_DEP_1) | instskip(NEXT) | instid1(VALU_DEP_1)
	v_min_u32_e32 v3, 32, v3
	v_subrev_nc_u32_e32 v4, 29, v3
	s_delay_alu instid0(VALU_DEP_1) | instskip(NEXT) | instid1(VALU_DEP_1)
	v_lshlrev_b64_e32 v[4:5], v4, v[2:3]
	v_dual_sub_nc_u32 v3, 30, v3 :: v_dual_bitop2_b32 v4, 3, v4 bitop3:0x40
; %bb.26778:                            ;   in Loop: Header=BB6_22365 Depth=3
	s_or_b32 exec_lo, exec_lo, s75
	v_lshlrev_b32_e32 v2, 24, v2
	s_delay_alu instid0(VALU_DEP_1) | instskip(NEXT) | instid1(VALU_DEP_1)
	v_and_b32_e32 v2, 0x80000000, v2
	v_lshl_add_u32 v2, v3, 23, v2
	s_delay_alu instid0(VALU_DEP_1) | instskip(NEXT) | instid1(VALU_DEP_1)
	v_lshl_or_b32 v2, v4, 21, v2
                                        ; implicit-def: $vgpr4
	v_add_nc_u32_e32 v3, 0x38000000, v2
                                        ; implicit-def: $vgpr2
.LBB6_26779:                            ;   in Loop: Header=BB6_22365 Depth=3
	s_and_not1_saveexec_b32 s75, s13
; %bb.26780:                            ;   in Loop: Header=BB6_22365 Depth=3
	v_bfe_i32 v2, v2, 0, 8
	v_cmp_eq_u32_e32 vcc_lo, 0, v4
	s_delay_alu instid0(VALU_DEP_2) | instskip(SKIP_1) | instid1(VALU_DEP_1)
	v_cmp_lt_i16_e64 s13, -1, v2
	v_mov_b32_e32 v2, 0x7f800000
	v_cndmask_b32_e64 v2, 0xff800000, v2, s13
	s_delay_alu instid0(VALU_DEP_1)
	v_cndmask_b32_e32 v3, 0x7f800001, v2, vcc_lo
; %bb.26781:                            ;   in Loop: Header=BB6_22365 Depth=3
	s_or_b32 exec_lo, exec_lo, s75
.LBB6_26782:                            ;   in Loop: Header=BB6_22365 Depth=3
	s_delay_alu instid0(SALU_CYCLE_1)
	s_or_b32 exec_lo, exec_lo, s74
.LBB6_26783:                            ;   in Loop: Header=BB6_22365 Depth=3
	s_delay_alu instid0(SALU_CYCLE_1) | instskip(SKIP_2) | instid1(VALU_DEP_1)
	s_or_b32 exec_lo, exec_lo, s73
	v_lshrrev_b32_e32 v2, 16, v11
	s_mov_b32 s73, exec_lo
	v_and_b32_e32 v4, 0xff, v2
	s_delay_alu instid0(VALU_DEP_1)
	v_cmpx_ne_u16_e32 0, v4
	s_cbranch_execz .LBB6_26793
; %bb.26784:                            ;   in Loop: Header=BB6_22365 Depth=3
	v_bfrev_b32_e32 v1, 1
	s_mov_b32 s74, exec_lo
	v_cmpx_ne_u16_e32 0x80, v4
	s_cbranch_execz .LBB6_26792
; %bb.26785:                            ;   in Loop: Header=BB6_22365 Depth=3
	v_and_b32_e32 v1, 0x7c0000, v11
	v_bfe_u32 v4, v11, 16, 2
	s_delay_alu instid0(VALU_DEP_2) | instskip(SKIP_1) | instid1(SALU_CYCLE_1)
	v_cmp_ne_u32_e32 vcc_lo, 0x7c0000, v1
                                        ; implicit-def: $vgpr1
	s_and_saveexec_b32 s13, vcc_lo
	s_xor_b32 s13, exec_lo, s13
	s_cbranch_execz .LBB6_26789
; %bb.26786:                            ;   in Loop: Header=BB6_22365 Depth=3
	v_bfe_u32 v1, v11, 18, 5
	s_mov_b32 s75, exec_lo
	s_delay_alu instid0(VALU_DEP_1)
	v_cmpx_eq_u32_e32 0, v1
; %bb.26787:                            ;   in Loop: Header=BB6_22365 Depth=3
	v_clz_i32_u32_e32 v1, v4
	s_delay_alu instid0(VALU_DEP_1) | instskip(NEXT) | instid1(VALU_DEP_1)
	v_min_u32_e32 v1, 32, v1
	v_subrev_nc_u32_e32 v4, 29, v1
	s_delay_alu instid0(VALU_DEP_1) | instskip(NEXT) | instid1(VALU_DEP_1)
	v_lshlrev_b64_e32 v[4:5], v4, v[2:3]
	v_dual_sub_nc_u32 v1, 30, v1 :: v_dual_bitop2_b32 v4, 3, v4 bitop3:0x40
; %bb.26788:                            ;   in Loop: Header=BB6_22365 Depth=3
	s_or_b32 exec_lo, exec_lo, s75
	v_lshlrev_b32_e32 v2, 24, v2
	s_delay_alu instid0(VALU_DEP_1) | instskip(NEXT) | instid1(VALU_DEP_1)
	v_and_b32_e32 v2, 0x80000000, v2
	v_lshl_add_u32 v1, v1, 23, v2
                                        ; implicit-def: $vgpr2
	s_delay_alu instid0(VALU_DEP_1) | instskip(NEXT) | instid1(VALU_DEP_1)
	v_lshl_or_b32 v1, v4, 21, v1
                                        ; implicit-def: $vgpr4
	v_add_nc_u32_e32 v1, 0x38000000, v1
.LBB6_26789:                            ;   in Loop: Header=BB6_22365 Depth=3
	s_and_not1_saveexec_b32 s75, s13
; %bb.26790:                            ;   in Loop: Header=BB6_22365 Depth=3
	v_bfe_i32 v1, v2, 0, 8
	v_cmp_eq_u32_e32 vcc_lo, 0, v4
	s_delay_alu instid0(VALU_DEP_2) | instskip(SKIP_1) | instid1(VALU_DEP_1)
	v_cmp_lt_i16_e64 s13, -1, v1
	v_mov_b32_e32 v1, 0x7f800000
	v_cndmask_b32_e64 v1, 0xff800000, v1, s13
	s_delay_alu instid0(VALU_DEP_1)
	v_cndmask_b32_e32 v1, 0x7f800001, v1, vcc_lo
; %bb.26791:                            ;   in Loop: Header=BB6_22365 Depth=3
	s_or_b32 exec_lo, exec_lo, s75
.LBB6_26792:                            ;   in Loop: Header=BB6_22365 Depth=3
	s_delay_alu instid0(SALU_CYCLE_1)
	s_or_b32 exec_lo, exec_lo, s74
.LBB6_26793:                            ;   in Loop: Header=BB6_22365 Depth=3
	s_delay_alu instid0(SALU_CYCLE_1) | instskip(NEXT) | instid1(VALU_DEP_1)
	s_or_b32 exec_lo, exec_lo, s73
	v_dual_add_f32 v5, v3, v1 :: v_dual_mov_b32 v47, v113
	v_mov_b32_e32 v3, v113
                                        ; implicit-def: $vgpr4
	s_mov_b32 s13, exec_lo
	s_delay_alu instid0(VALU_DEP_2) | instskip(SKIP_2) | instid1(VALU_DEP_3)
	v_and_b32_e32 v46, 0x7f800000, v5
	v_and_b32_e32 v2, 0x7fffff, v5
	v_lshrrev_b32_e32 v1, 24, v5
	v_cmpx_ne_u64_e32 0x7f800000, v[46:47]
	s_xor_b32 s73, exec_lo, s13
	s_cbranch_execz .LBB6_26807
; %bb.26794:                            ;   in Loop: Header=BB6_22365 Depth=3
	v_and_b32_e32 v46, 0x7fffffff, v5
	v_mov_b32_e32 v47, v113
	v_and_b32_e32 v1, 0x80, v1
                                        ; implicit-def: $vgpr4
	s_mov_b32 s13, exec_lo
	s_delay_alu instid0(VALU_DEP_2)
	v_cmpx_gt_u64_e32 0x47600001, v[46:47]
	s_xor_b32 s74, exec_lo, s13
	s_cbranch_execz .LBB6_26804
; %bb.26795:                            ;   in Loop: Header=BB6_22365 Depth=3
	v_mov_b32_e32 v4, 0
	s_mov_b32 s75, exec_lo
	v_cmpx_ne_u32_e32 0, v5
	s_cbranch_execz .LBB6_26803
; %bb.26796:                            ;   in Loop: Header=BB6_22365 Depth=3
	v_bfe_u32 v31, v5, 23, 8
	v_or_b32_e32 v5, 0x800000, v2
	s_delay_alu instid0(VALU_DEP_2) | instskip(SKIP_2) | instid1(VALU_DEP_2)
	v_cmp_gt_u32_e64 s13, 0x72, v31
	v_sub_nc_u32_e32 v4, 0x71, v31
	v_cmp_eq_u32_e32 vcc_lo, 0, v31
	v_dual_cndmask_b32 v4, 0, v4, s13 :: v_dual_cndmask_b32 v2, v5, v2, vcc_lo
	s_delay_alu instid0(VALU_DEP_1) | instskip(NEXT) | instid1(VALU_DEP_1)
	v_cndmask_b32_e64 v34, v4, 0x70, vcc_lo
	v_dual_add_nc_u32 v4, 21, v34 :: v_dual_add_nc_u32 v38, 20, v34
	s_delay_alu instid0(VALU_DEP_1) | instskip(NEXT) | instid1(VALU_DEP_2)
	v_lshlrev_b64_e64 v[4:5], v4, -1
	v_lshlrev_b64_e64 v[46:47], v38, 1
	s_delay_alu instid0(VALU_DEP_2) | instskip(SKIP_1) | instid1(VALU_DEP_4)
	v_bfi_b32 v4, v4, 0, v2
	v_lshrrev_b64 v[2:3], v34, v[2:3]
	v_bfi_b32 v5, v5, 0, 0
	s_delay_alu instid0(VALU_DEP_1) | instskip(NEXT) | instid1(VALU_DEP_3)
	v_cmp_eq_u64_e64 s13, v[4:5], v[46:47]
	v_mov_b64_e32 v[4:5], v[2:3]
	s_and_saveexec_b32 s76, s13
; %bb.26797:                            ;   in Loop: Header=BB6_22365 Depth=3
	v_bfe_u32 v4, v2, 21, 1
	v_mov_b32_e32 v5, v113
	s_delay_alu instid0(VALU_DEP_1) | instskip(NEXT) | instid1(VALU_DEP_1)
	v_add_nc_u64_e32 v[4:5], v[2:3], v[4:5]
	v_add_nc_u64_e32 v[4:5], -1, v[4:5]
; %bb.26798:                            ;   in Loop: Header=BB6_22365 Depth=3
	s_or_b32 exec_lo, exec_lo, s76
	v_add_nc_u32_e32 v3, 0xffffff81, v31
	v_lshrrev_b32_e32 v5, 23, v2
	s_mov_b32 s13, exec_lo
	s_delay_alu instid0(VALU_DEP_2) | instskip(NEXT) | instid1(VALU_DEP_1)
	v_cndmask_b32_e64 v3, v3, 0xffffff82, vcc_lo
	v_add3_u32 v31, v34, v3, v5
	v_and_b32_e32 v3, 0x1fffff, v4
                                        ; implicit-def: $vgpr4
	s_delay_alu instid0(VALU_DEP_1) | instskip(SKIP_1) | instid1(VALU_DEP_2)
	v_dual_add_nc_u32 v5, 14, v31 :: v_dual_add_nc_u32 v2, v3, v2
	v_mov_b32_e32 v3, v113
	v_cmpx_ne_u32_e32 0, v5
	s_xor_b32 s13, exec_lo, s13
; %bb.26799:                            ;   in Loop: Header=BB6_22365 Depth=3
	s_delay_alu instid0(VALU_DEP_2) | instskip(SKIP_1) | instid1(VALU_DEP_1)
	v_cmp_lt_u64_e32 vcc_lo, 0xffffff, v[2:3]
	v_add_nc_u32_e32 v4, 15, v31
	v_cndmask_b32_e32 v4, v5, v4, vcc_lo
	v_cndmask_b32_e64 v5, 0, 1, vcc_lo
	s_delay_alu instid0(VALU_DEP_1)
	v_lshrrev_b64 v[2:3], v5, v[2:3]
; %bb.26800:                            ;   in Loop: Header=BB6_22365 Depth=3
	s_and_not1_saveexec_b32 s13, s13
; %bb.26801:                            ;   in Loop: Header=BB6_22365 Depth=3
	s_delay_alu instid0(VALU_DEP_1)
	v_bfe_u32 v4, v2, 23, 1
; %bb.26802:                            ;   in Loop: Header=BB6_22365 Depth=3
	s_or_b32 exec_lo, exec_lo, s13
	s_delay_alu instid0(VALU_DEP_2) | instskip(NEXT) | instid1(VALU_DEP_2)
	v_lshrrev_b64 v[2:3], 21, v[2:3]
	v_cmp_gt_i32_e32 vcc_lo, 32, v4
	v_min_i32_e32 v5, 31, v4
	v_cmp_eq_u32_e64 s13, 0, v4
	s_delay_alu instid0(VALU_DEP_2) | instskip(SKIP_1) | instid1(VALU_DEP_2)
	v_dual_cndmask_b32 v3, 0, v3, vcc_lo :: v_dual_lshlrev_b32 v5, 2, v5
	v_cndmask_b32_e32 v2, 3, v2, vcc_lo
	v_and_b32_e32 v5, 0xfc, v5
	s_delay_alu instid0(VALU_DEP_2) | instskip(NEXT) | instid1(VALU_DEP_2)
	v_cmp_eq_u64_e32 vcc_lo, 0, v[2:3]
	v_and_or_b32 v2, v2, 3, v5
	s_and_b32 s13, s13, vcc_lo
	s_delay_alu instid0(VALU_DEP_1) | instid1(SALU_CYCLE_1)
	v_cndmask_b32_e64 v2, v2, 0, s13
	s_delay_alu instid0(VALU_DEP_1)
	v_or_b32_e32 v4, v2, v1
.LBB6_26803:                            ;   in Loop: Header=BB6_22365 Depth=3
	s_or_b32 exec_lo, exec_lo, s75
                                        ; implicit-def: $vgpr1
.LBB6_26804:                            ;   in Loop: Header=BB6_22365 Depth=3
	s_and_not1_saveexec_b32 s13, s74
; %bb.26805:                            ;   in Loop: Header=BB6_22365 Depth=3
	v_or_b32_e32 v4, 0x7b, v1
; %bb.26806:                            ;   in Loop: Header=BB6_22365 Depth=3
	s_or_b32 exec_lo, exec_lo, s13
                                        ; implicit-def: $vgpr5
                                        ; implicit-def: $vgpr2_vgpr3
                                        ; implicit-def: $vgpr1
.LBB6_26807:                            ;   in Loop: Header=BB6_22365 Depth=3
	s_and_not1_saveexec_b32 s13, s73
	s_cbranch_execz .LBB6_26813
; %bb.26808:                            ;   in Loop: Header=BB6_22365 Depth=3
	s_mov_b32 s73, exec_lo
                                        ; implicit-def: $vgpr4
	v_cmpx_ne_u64_e32 0, v[2:3]
	s_xor_b32 s73, exec_lo, s73
; %bb.26809:                            ;   in Loop: Header=BB6_22365 Depth=3
	v_or_b32_e32 v4, 0x7f, v1
                                        ; implicit-def: $vgpr5
; %bb.26810:                            ;   in Loop: Header=BB6_22365 Depth=3
	s_and_not1_saveexec_b32 s73, s73
; %bb.26811:                            ;   in Loop: Header=BB6_22365 Depth=3
	v_cmp_lt_i32_e32 vcc_lo, -1, v5
	v_mov_b32_e32 v1, 0x7c
	s_delay_alu instid0(VALU_DEP_1)
	v_cndmask_b32_e32 v4, 0xfc, v1, vcc_lo
; %bb.26812:                            ;   in Loop: Header=BB6_22365 Depth=3
	s_or_b32 exec_lo, exec_lo, s73
.LBB6_26813:                            ;   in Loop: Header=BB6_22365 Depth=3
	s_delay_alu instid0(SALU_CYCLE_1)
	s_or_b32 exec_lo, exec_lo, s13
	v_dual_mov_b32 v3, 0 :: v_dual_mov_b32 v5, 0
	s_mov_b32 s73, exec_lo
	v_cmpx_lt_u32_e32 0xffffff, v0
	s_cbranch_execz .LBB6_26823
; %bb.26814:                            ;   in Loop: Header=BB6_22365 Depth=3
	v_lshrrev_b32_e32 v2, 24, v0
	v_bfrev_b32_e32 v5, 1
	s_mov_b32 s74, exec_lo
	s_delay_alu instid0(VALU_DEP_2)
	v_cmpx_ne_u32_e32 0x80, v2
	s_cbranch_execz .LBB6_26822
; %bb.26815:                            ;   in Loop: Header=BB6_22365 Depth=3
	v_and_b32_e32 v1, 0x7c000000, v0
	v_bfe_u32 v31, v0, 24, 2
	s_mov_b32 s13, exec_lo
                                        ; implicit-def: $vgpr5
	s_delay_alu instid0(VALU_DEP_2)
	v_cmpx_ne_u32_e32 0x7c000000, v1
	s_xor_b32 s13, exec_lo, s13
	s_cbranch_execz .LBB6_26819
; %bb.26816:                            ;   in Loop: Header=BB6_22365 Depth=3
	v_bfe_u32 v1, v0, 26, 5
	s_mov_b32 s75, exec_lo
	s_delay_alu instid0(VALU_DEP_1)
	v_cmpx_eq_u32_e32 0, v1
; %bb.26817:                            ;   in Loop: Header=BB6_22365 Depth=3
	v_clz_i32_u32_e32 v1, v31
	s_delay_alu instid0(VALU_DEP_1) | instskip(NEXT) | instid1(VALU_DEP_1)
	v_min_u32_e32 v1, 32, v1
	v_subrev_nc_u32_e32 v5, 29, v1
	s_delay_alu instid0(VALU_DEP_1) | instskip(NEXT) | instid1(VALU_DEP_1)
	v_lshlrev_b64_e32 v[46:47], v5, v[2:3]
	v_dual_sub_nc_u32 v1, 30, v1 :: v_dual_bitop2_b32 v31, 3, v46 bitop3:0x40
; %bb.26818:                            ;   in Loop: Header=BB6_22365 Depth=3
	s_or_b32 exec_lo, exec_lo, s75
	v_and_b32_e32 v0, 0x80000000, v0
	s_delay_alu instid0(VALU_DEP_1) | instskip(NEXT) | instid1(VALU_DEP_1)
	v_lshl_add_u32 v0, v1, 23, v0
	v_lshl_or_b32 v0, v31, 21, v0
                                        ; implicit-def: $vgpr31
	s_delay_alu instid0(VALU_DEP_1)
	v_add_nc_u32_e32 v5, 0x38000000, v0
                                        ; implicit-def: $vgpr0_vgpr1
.LBB6_26819:                            ;   in Loop: Header=BB6_22365 Depth=3
	s_and_not1_saveexec_b32 s75, s13
; %bb.26820:                            ;   in Loop: Header=BB6_22365 Depth=3
	v_cmp_lt_i32_e64 s13, -1, v0
	v_mov_b32_e32 v0, 0x7f800000
	v_cmp_eq_u32_e32 vcc_lo, 0, v31
	s_delay_alu instid0(VALU_DEP_2) | instskip(NEXT) | instid1(VALU_DEP_1)
	v_cndmask_b32_e64 v0, 0xff800000, v0, s13
	v_cndmask_b32_e32 v5, 0x7f800001, v0, vcc_lo
; %bb.26821:                            ;   in Loop: Header=BB6_22365 Depth=3
	s_or_b32 exec_lo, exec_lo, s75
.LBB6_26822:                            ;   in Loop: Header=BB6_22365 Depth=3
	s_delay_alu instid0(SALU_CYCLE_1)
	s_or_b32 exec_lo, exec_lo, s74
.LBB6_26823:                            ;   in Loop: Header=BB6_22365 Depth=3
	s_delay_alu instid0(SALU_CYCLE_1) | instskip(NEXT) | instid1(SALU_CYCLE_1)
	s_or_b32 exec_lo, exec_lo, s73
	s_mov_b32 s73, exec_lo
	v_cmpx_lt_u64_e64 s[22:23], v[10:11]
	s_cbranch_execz .LBB6_26833
; %bb.26824:                            ;   in Loop: Header=BB6_22365 Depth=3
	v_lshrrev_b32_e32 v0, 24, v11
	v_bfrev_b32_e32 v3, 1
	s_mov_b32 s74, exec_lo
	s_delay_alu instid0(VALU_DEP_2)
	v_cmpx_ne_u32_e32 0x80, v0
	s_cbranch_execz .LBB6_26832
; %bb.26825:                            ;   in Loop: Header=BB6_22365 Depth=3
	v_and_b32_e32 v2, 0x7c000000, v11
	v_bfe_u32 v1, v11, 24, 2
	s_mov_b32 s13, exec_lo
                                        ; implicit-def: $vgpr3
	s_delay_alu instid0(VALU_DEP_2)
	v_cmpx_ne_u32_e32 0x7c000000, v2
	s_xor_b32 s13, exec_lo, s13
	s_cbranch_execz .LBB6_26829
; %bb.26826:                            ;   in Loop: Header=BB6_22365 Depth=3
	v_bfe_u32 v2, v11, 26, 5
	s_mov_b32 s75, exec_lo
	s_delay_alu instid0(VALU_DEP_1)
	v_cmpx_eq_u32_e32 0, v2
; %bb.26827:                            ;   in Loop: Header=BB6_22365 Depth=3
	v_clz_i32_u32_e32 v1, v1
	s_delay_alu instid0(VALU_DEP_1) | instskip(NEXT) | instid1(VALU_DEP_1)
	v_min_u32_e32 v2, 32, v1
	v_subrev_nc_u32_e32 v1, 29, v2
	s_delay_alu instid0(VALU_DEP_1) | instskip(NEXT) | instid1(VALU_DEP_1)
	v_lshlrev_b64_e32 v[0:1], v1, v[0:1]
	v_dual_sub_nc_u32 v2, 30, v2 :: v_dual_bitop2_b32 v1, 3, v0 bitop3:0x40
; %bb.26828:                            ;   in Loop: Header=BB6_22365 Depth=3
	s_or_b32 exec_lo, exec_lo, s75
	v_and_b32_e32 v0, 0x80000000, v11
                                        ; implicit-def: $vgpr10_vgpr11
	s_delay_alu instid0(VALU_DEP_1) | instskip(NEXT) | instid1(VALU_DEP_1)
	v_lshl_add_u32 v0, v2, 23, v0
	v_lshl_or_b32 v0, v1, 21, v0
                                        ; implicit-def: $vgpr1
	s_delay_alu instid0(VALU_DEP_1)
	v_add_nc_u32_e32 v3, 0x38000000, v0
.LBB6_26829:                            ;   in Loop: Header=BB6_22365 Depth=3
	s_and_not1_saveexec_b32 s75, s13
; %bb.26830:                            ;   in Loop: Header=BB6_22365 Depth=3
	v_cmp_lt_i64_e64 s13, -1, v[10:11]
	v_mov_b32_e32 v0, 0x7f800000
	v_cmp_eq_u32_e32 vcc_lo, 0, v1
	s_delay_alu instid0(VALU_DEP_2) | instskip(NEXT) | instid1(VALU_DEP_1)
	v_cndmask_b32_e64 v0, 0xff800000, v0, s13
	v_cndmask_b32_e32 v3, 0x7f800001, v0, vcc_lo
; %bb.26831:                            ;   in Loop: Header=BB6_22365 Depth=3
	s_or_b32 exec_lo, exec_lo, s75
.LBB6_26832:                            ;   in Loop: Header=BB6_22365 Depth=3
	s_delay_alu instid0(SALU_CYCLE_1)
	s_or_b32 exec_lo, exec_lo, s74
.LBB6_26833:                            ;   in Loop: Header=BB6_22365 Depth=3
	s_delay_alu instid0(SALU_CYCLE_1) | instskip(NEXT) | instid1(VALU_DEP_1)
	s_or_b32 exec_lo, exec_lo, s73
	v_add_f32_e32 v3, v5, v3
	v_dual_mov_b32 v11, v113 :: v_dual_mov_b32 v1, v113
                                        ; implicit-def: $vgpr2
	s_mov_b32 s13, exec_lo
	s_delay_alu instid0(VALU_DEP_2) | instskip(SKIP_2) | instid1(VALU_DEP_3)
	v_and_b32_e32 v10, 0x7f800000, v3
	v_and_b32_e32 v0, 0x7fffff, v3
	v_lshrrev_b32_e32 v5, 24, v3
	v_cmpx_ne_u64_e32 0x7f800000, v[10:11]
	s_xor_b32 s73, exec_lo, s13
	s_cbranch_execz .LBB6_26847
; %bb.26834:                            ;   in Loop: Header=BB6_22365 Depth=3
	v_and_b32_e32 v10, 0x7fffffff, v3
	v_mov_b32_e32 v11, v113
	v_and_b32_e32 v5, 0x80, v5
                                        ; implicit-def: $vgpr2
	s_mov_b32 s13, exec_lo
	s_delay_alu instid0(VALU_DEP_2)
	v_cmpx_gt_u64_e32 0x47600001, v[10:11]
	s_xor_b32 s74, exec_lo, s13
	s_cbranch_execz .LBB6_26844
; %bb.26835:                            ;   in Loop: Header=BB6_22365 Depth=3
	v_mov_b32_e32 v2, 0
	s_mov_b32 s75, exec_lo
	v_cmpx_ne_u32_e32 0, v3
	s_cbranch_execz .LBB6_26843
; %bb.26836:                            ;   in Loop: Header=BB6_22365 Depth=3
	v_bfe_u32 v10, v3, 23, 8
	v_or_b32_e32 v3, 0x800000, v0
	s_delay_alu instid0(VALU_DEP_2) | instskip(SKIP_2) | instid1(VALU_DEP_2)
	v_cmp_gt_u32_e64 s13, 0x72, v10
	v_sub_nc_u32_e32 v2, 0x71, v10
	v_cmp_eq_u32_e32 vcc_lo, 0, v10
	v_dual_cndmask_b32 v2, 0, v2, s13 :: v_dual_cndmask_b32 v0, v3, v0, vcc_lo
	s_delay_alu instid0(VALU_DEP_1) | instskip(NEXT) | instid1(VALU_DEP_1)
	v_cndmask_b32_e64 v11, v2, 0x70, vcc_lo
	v_dual_add_nc_u32 v2, 21, v11 :: v_dual_add_nc_u32 v31, 20, v11
	s_delay_alu instid0(VALU_DEP_1) | instskip(NEXT) | instid1(VALU_DEP_2)
	v_lshlrev_b64_e64 v[2:3], v2, -1
	v_lshlrev_b64_e64 v[46:47], v31, 1
	s_delay_alu instid0(VALU_DEP_2) | instskip(SKIP_1) | instid1(VALU_DEP_4)
	v_bfi_b32 v2, v2, 0, v0
	v_lshrrev_b64 v[0:1], v11, v[0:1]
	v_bfi_b32 v3, v3, 0, 0
	s_delay_alu instid0(VALU_DEP_1) | instskip(NEXT) | instid1(VALU_DEP_3)
	v_cmp_eq_u64_e64 s13, v[2:3], v[46:47]
	v_mov_b64_e32 v[2:3], v[0:1]
	s_and_saveexec_b32 s76, s13
; %bb.26837:                            ;   in Loop: Header=BB6_22365 Depth=3
	v_bfe_u32 v2, v0, 21, 1
	v_mov_b32_e32 v3, v113
	s_delay_alu instid0(VALU_DEP_1) | instskip(NEXT) | instid1(VALU_DEP_1)
	v_add_nc_u64_e32 v[2:3], v[0:1], v[2:3]
	v_add_nc_u64_e32 v[2:3], -1, v[2:3]
; %bb.26838:                            ;   in Loop: Header=BB6_22365 Depth=3
	s_or_b32 exec_lo, exec_lo, s76
	v_add_nc_u32_e32 v1, 0xffffff81, v10
	v_lshrrev_b32_e32 v3, 23, v0
	s_mov_b32 s13, exec_lo
	s_delay_alu instid0(VALU_DEP_2) | instskip(NEXT) | instid1(VALU_DEP_1)
	v_cndmask_b32_e64 v1, v1, 0xffffff82, vcc_lo
	v_add3_u32 v10, v11, v1, v3
	v_and_b32_e32 v1, 0x1fffff, v2
                                        ; implicit-def: $vgpr2
	s_delay_alu instid0(VALU_DEP_1) | instskip(SKIP_1) | instid1(VALU_DEP_2)
	v_dual_add_nc_u32 v3, 14, v10 :: v_dual_add_nc_u32 v0, v1, v0
	v_mov_b32_e32 v1, v113
	v_cmpx_ne_u32_e32 0, v3
	s_xor_b32 s13, exec_lo, s13
; %bb.26839:                            ;   in Loop: Header=BB6_22365 Depth=3
	s_delay_alu instid0(VALU_DEP_2) | instskip(SKIP_1) | instid1(VALU_DEP_1)
	v_cmp_lt_u64_e32 vcc_lo, 0xffffff, v[0:1]
	v_add_nc_u32_e32 v2, 15, v10
	v_cndmask_b32_e32 v2, v3, v2, vcc_lo
	v_cndmask_b32_e64 v3, 0, 1, vcc_lo
	s_delay_alu instid0(VALU_DEP_1)
	v_lshrrev_b64 v[0:1], v3, v[0:1]
; %bb.26840:                            ;   in Loop: Header=BB6_22365 Depth=3
	s_and_not1_saveexec_b32 s13, s13
; %bb.26841:                            ;   in Loop: Header=BB6_22365 Depth=3
	s_delay_alu instid0(VALU_DEP_1)
	v_bfe_u32 v2, v0, 23, 1
; %bb.26842:                            ;   in Loop: Header=BB6_22365 Depth=3
	s_or_b32 exec_lo, exec_lo, s13
	s_delay_alu instid0(VALU_DEP_2) | instskip(NEXT) | instid1(VALU_DEP_2)
	v_lshrrev_b64 v[0:1], 21, v[0:1]
	v_cmp_gt_i32_e32 vcc_lo, 32, v2
	v_min_i32_e32 v3, 31, v2
	v_cmp_eq_u32_e64 s13, 0, v2
	s_delay_alu instid0(VALU_DEP_2) | instskip(SKIP_1) | instid1(VALU_DEP_2)
	v_dual_cndmask_b32 v1, 0, v1, vcc_lo :: v_dual_lshlrev_b32 v3, 2, v3
	v_cndmask_b32_e32 v0, 3, v0, vcc_lo
	v_and_b32_e32 v3, 0xfc, v3
	s_delay_alu instid0(VALU_DEP_2) | instskip(NEXT) | instid1(VALU_DEP_2)
	v_cmp_eq_u64_e32 vcc_lo, 0, v[0:1]
	v_and_or_b32 v0, v0, 3, v3
	s_and_b32 s13, s13, vcc_lo
	s_delay_alu instid0(VALU_DEP_1) | instid1(SALU_CYCLE_1)
	v_cndmask_b32_e64 v0, v0, 0, s13
	s_delay_alu instid0(VALU_DEP_1)
	v_or_b32_e32 v2, v0, v5
.LBB6_26843:                            ;   in Loop: Header=BB6_22365 Depth=3
	s_or_b32 exec_lo, exec_lo, s75
                                        ; implicit-def: $vgpr5
.LBB6_26844:                            ;   in Loop: Header=BB6_22365 Depth=3
	s_and_not1_saveexec_b32 s13, s74
; %bb.26845:                            ;   in Loop: Header=BB6_22365 Depth=3
	v_or_b32_e32 v2, 0x7b, v5
; %bb.26846:                            ;   in Loop: Header=BB6_22365 Depth=3
	s_or_b32 exec_lo, exec_lo, s13
                                        ; implicit-def: $vgpr3
                                        ; implicit-def: $vgpr0_vgpr1
                                        ; implicit-def: $vgpr5
.LBB6_26847:                            ;   in Loop: Header=BB6_22365 Depth=3
	s_and_not1_saveexec_b32 s13, s73
	s_cbranch_execz .LBB6_22364
; %bb.26848:                            ;   in Loop: Header=BB6_22365 Depth=3
	s_mov_b32 s73, exec_lo
                                        ; implicit-def: $vgpr2
	v_cmpx_ne_u64_e32 0, v[0:1]
	s_xor_b32 s73, exec_lo, s73
; %bb.26849:                            ;   in Loop: Header=BB6_22365 Depth=3
	v_or_b32_e32 v2, 0x7f, v5
                                        ; implicit-def: $vgpr3
; %bb.26850:                            ;   in Loop: Header=BB6_22365 Depth=3
	s_and_not1_saveexec_b32 s73, s73
	s_cbranch_execz .LBB6_22363
; %bb.26851:                            ;   in Loop: Header=BB6_22365 Depth=3
	v_cmp_lt_i32_e32 vcc_lo, -1, v3
	v_mov_b32_e32 v0, 0x7c
	s_delay_alu instid0(VALU_DEP_1)
	v_cndmask_b32_e32 v2, 0xfc, v0, vcc_lo
	s_branch .LBB6_22363
.LBB6_26852:                            ;   in Loop: Header=BB6_14108 Depth=2
	s_or_b32 exec_lo, exec_lo, s15
	scratch_load_b32 v61, off, s33 offset:452 ; 4-byte Folded Reload
	v_mov_b64_e32 v[50:51], v[74:75]
.LBB6_26853:                            ;   in Loop: Header=BB6_14108 Depth=2
	s_wait_xcnt 0x0
	s_or_b32 exec_lo, exec_lo, s14
	scratch_load_b32 v0, off, s33 offset:432 ; 4-byte Folded Reload
	v_dual_lshlrev_b32 v18, 11, v7 :: v_dual_mov_b32 v8, 0
	s_mov_b32 s13, 0
	s_mov_b32 s15, exec_lo
                                        ; implicit-def: $vgpr126
                                        ; implicit-def: $vgpr4
	s_wait_loadcnt 0x0
	s_wait_xcnt 0x0
	v_cmpx_ne_u32_e64 v0, v18
	s_cbranch_execz .LBB6_27923
; %bb.26854:                            ;   in Loop: Header=BB6_14108 Depth=2
	s_clause 0x1
	scratch_load_b32 v1, off, s33 offset:504
	scratch_load_b32 v2, off, s33 offset:432
	v_lshlrev_b32_e32 v0, 5, v6
	s_mov_b32 s42, exec_lo
	s_wait_loadcnt 0x0
	s_delay_alu instid0(VALU_DEP_1) | instskip(NEXT) | instid1(VALU_DEP_1)
	v_dual_sub_nc_u32 v0, v1, v0 :: v_dual_sub_nc_u32 v2, v2, v18
	v_dual_ashrrev_i32 v1, 31, v0 :: v_dual_ashrrev_i32 v3, 31, v2
	s_delay_alu instid0(VALU_DEP_1) | instskip(NEXT) | instid1(VALU_DEP_1)
	v_dual_lshrrev_b32 v1, 27, v1 :: v_dual_lshrrev_b32 v3, 23, v3
	v_add_nc_u32_e32 v1, v0, v1
	s_delay_alu instid0(VALU_DEP_1) | instskip(NEXT) | instid1(VALU_DEP_1)
	v_and_b32_e32 v4, 0xffffffe0, v1
	v_dual_add_nc_u32 v3, v2, v3 :: v_dual_sub_nc_u32 v19, v0, v4
	s_delay_alu instid0(VALU_DEP_1) | instskip(SKIP_1) | instid1(VALU_DEP_2)
	v_and_b32_e32 v20, 0xfffffe00, v3
	v_dual_ashrrev_i32 v1, 5, v1 :: v_dual_ashrrev_i32 v3, 9, v3
	v_dual_lshlrev_b32 v0, 4, v19 :: v_dual_sub_nc_u32 v21, v2, v20
	s_delay_alu instid0(VALU_DEP_1) | instskip(NEXT) | instid1(VALU_DEP_2)
	v_lshl_add_u32 v0, v1, 9, v0
	v_cmp_lt_i32_e64 s13, 15, v21
	s_delay_alu instid0(VALU_DEP_1) | instskip(NEXT) | instid1(VALU_DEP_1)
	v_add_co_ci_u32_e64 v3, null, 0, v3, s13
	v_dual_sub_nc_u32 v23, v2, v0 :: v_dual_sub_nc_u32 v22, v3, v1
	s_wait_xcnt 0x0
	s_delay_alu instid0(VALU_DEP_1)
	v_cmpx_lt_i32_e32 15, v23
	s_cbranch_execz .LBB6_27922
; %bb.26855:                            ;   in Loop: Header=BB6_14108 Depth=2
	s_trap 2
	scratch_load_b64 v[6:7], off, s33 offset:436 ; 8-byte Folded Reload
	ds_load_b64 v[2:3], v0
	v_add_nc_u32_e32 v0, v0, v18
	s_delay_alu instid0(VALU_DEP_1) | instskip(NEXT) | instid1(VALU_DEP_1)
	v_ashrrev_i32_e32 v1, 31, v0
	v_add_nc_u64_e32 v[4:5], v[0:1], v[50:51]
	s_wait_dscnt 0x0
	v_readfirstlane_b32 s74, v2
	v_readfirstlane_b32 s75, v3
	v_add_nc_u64_e32 v[14:15], v[2:3], v[0:1]
	s_and_b32 s43, s74, 3
	s_bfe_i32 s14, s74, 0x80000
	s_clz_i32_u32 s77, s43
	s_bfe_u32 s73, s74, 0x50002
	s_min_u32 s77, s77, 32
	s_and_b32 s76, s74, 0x7c
	s_sub_co_i32 s88, s77, 29
	s_lshl_b32 s78, s74, 24
	s_sext_i32_i8 s79, s74
	s_lshl_b64 s[74:75], s[74:75], s88
	s_and_b32 s78, s78, 0x80000000
	s_sub_co_i32 s75, 30, s77
	s_and_b32 s74, s74, 3
	s_cmp_gt_i32 s79, -1
	s_cselect_b32 s77, s47, 0xff800000
	s_cmp_eq_u32 s43, 0
	s_cselect_b32 s77, s77, 0x7f800001
	s_cmp_eq_u32 s73, 0
	s_cselect_b32 s73, s75, s73
	s_cselect_b32 s43, s74, s43
	s_lshl_b32 s73, s73, 23
	s_lshl_b32 s43, s43, 21
	s_add_co_i32 s73, s73, s78
	s_delay_alu instid0(SALU_CYCLE_1) | instskip(NEXT) | instid1(SALU_CYCLE_1)
	s_or_b32 s43, s73, s43
	s_add_co_i32 s73, s43, 0x38000000
	s_cmp_eq_u32 s76, 0x7c
	s_mov_b32 s43, 0
	s_cselect_b32 s73, s77, s73
	s_and_b32 s74, s14, 0xff
	s_wait_loadcnt 0x0
	v_add_nc_u64_e32 v[12:13], v[0:1], v[6:7]
	s_branch .LBB6_26858
.LBB6_26856:                            ;   in Loop: Header=BB6_26858 Depth=3
	s_or_b32 exec_lo, exec_lo, s75
.LBB6_26857:                            ;   in Loop: Header=BB6_26858 Depth=3
	s_delay_alu instid0(SALU_CYCLE_1)
	s_or_b32 exec_lo, exec_lo, s14
	v_lshl_or_b32 v0, v17, 8, v16
	v_dual_lshlrev_b32 v1, 16, v35 :: v_dual_lshlrev_b32 v3, 24, v37
	v_lshl_or_b32 v7, v26, 8, v24
	v_dual_lshlrev_b32 v10, 16, v29 :: v_dual_lshlrev_b32 v11, 24, v32
	v_lshlrev_b32_e32 v25, 24, v2
	v_lshlrev_b32_e32 v6, 16, v6
	v_lshl_or_b32 v8, v9, 8, v8
	v_lshl_or_b32 v16, v31, 8, v27
	v_dual_lshlrev_b32 v17, 16, v34 :: v_dual_lshlrev_b32 v24, 24, v36
	v_or3_b32 v1, v0, v1, v3
	v_or3_b32 v0, v7, v10, v11
	;; [unrolled: 1-line block ×3, first 2 shown]
	scratch_load_b64 v[6:7], off, s33 offset:336 ; 8-byte Folded Reload
	v_or3_b32 v2, v16, v17, v24
	global_store_b128 v[12:13], v[0:3], off th:TH_STORE_NT
	scratch_load_b64 v[0:1], off, s33 offset:272 ; 8-byte Folded Reload
	s_wait_loadcnt 0x1
	v_sub_nc_u32_e32 v23, v23, v6
	v_add_nc_u64_e32 v[4:5], v[4:5], v[6:7]
	v_add_nc_u64_e32 v[14:15], v[14:15], v[6:7]
	;; [unrolled: 1-line block ×3, first 2 shown]
	s_delay_alu instid0(VALU_DEP_4)
	v_cmp_gt_i32_e32 vcc_lo, 16, v23
	s_wait_loadcnt 0x0
	v_sub_nc_u32_e32 v22, v22, v0
	s_or_b32 s43, vcc_lo, s43
	s_wait_xcnt 0x0
	s_and_not1_b32 exec_lo, exec_lo, s43
	s_cbranch_execz .LBB6_27921
.LBB6_26858:                            ;   Parent Loop BB6_47 Depth=1
                                        ;     Parent Loop BB6_14108 Depth=2
                                        ; =>    This Inner Loop Header: Depth=3
	s_cmp_lt_i32 s74, 0x80
	s_cbranch_scc1 .LBB6_26862
; %bb.26859:                            ;   in Loop: Header=BB6_26858 Depth=3
	s_and_b32 s14, 0xffff, s74
	s_delay_alu instid0(SALU_CYCLE_1)
	s_cmp_eq_u32 s14, 0x80
	s_mov_b32 s14, -1
	s_cbranch_scc0 .LBB6_26861
; %bb.26860:                            ;   in Loop: Header=BB6_26858 Depth=3
	s_mov_b32 s14, 0
.LBB6_26861:                            ;   in Loop: Header=BB6_26858 Depth=3
	s_brev_b32 s75, 1
	s_branch .LBB6_26864
.LBB6_26862:                            ;   in Loop: Header=BB6_26858 Depth=3
	s_mov_b32 s14, 0
	s_brev_b32 s75, 1
	s_cbranch_execz .LBB6_26864
; %bb.26863:                            ;   in Loop: Header=BB6_26858 Depth=3
	s_and_b32 s14, 0xffff, s74
	s_mov_b32 s75, 0
	s_cmp_lg_u32 s14, 0
	s_cselect_b32 s14, -1, 0
.LBB6_26864:                            ;   in Loop: Header=BB6_26858 Depth=3
	s_delay_alu instid0(SALU_CYCLE_1)
	s_and_not1_b32 vcc_lo, exec_lo, s14
	s_cbranch_vccnz .LBB6_26866
; %bb.26865:                            ;   in Loop: Header=BB6_26858 Depth=3
	s_mov_b32 s75, s73
.LBB6_26866:                            ;   in Loop: Header=BB6_26858 Depth=3
	global_load_b128 v[8:11], v[4:5], off th:TH_LOAD_NT
	s_wait_loadcnt 0x0
	v_and_b32_e32 v0, 0xff, v8
	s_delay_alu instid0(VALU_DEP_1)
	v_cmp_ne_u16_e32 vcc_lo, 0, v0
	v_mov_b32_e32 v0, 0
	s_wait_xcnt 0x0
	s_and_saveexec_b32 s14, vcc_lo
	s_cbranch_execz .LBB6_26876
; %bb.26867:                            ;   in Loop: Header=BB6_26858 Depth=3
	v_bfe_i32 v2, v8, 0, 8
	v_bfrev_b32_e32 v0, 1
	s_mov_b32 s76, exec_lo
	s_delay_alu instid0(VALU_DEP_2)
	v_cmpx_ne_u16_e32 0xff80, v2
	s_cbranch_execz .LBB6_26875
; %bb.26868:                            ;   in Loop: Header=BB6_26858 Depth=3
	v_and_b32_e32 v0, 0x7c, v8
	v_and_b32_e32 v1, 3, v8
	s_delay_alu instid0(VALU_DEP_2) | instskip(SKIP_1) | instid1(SALU_CYCLE_1)
	v_cmp_ne_u32_e32 vcc_lo, 0x7c, v0
                                        ; implicit-def: $vgpr0
	s_and_saveexec_b32 s77, vcc_lo
	s_xor_b32 s77, exec_lo, s77
	s_cbranch_execz .LBB6_26872
; %bb.26869:                            ;   in Loop: Header=BB6_26858 Depth=3
	v_bfe_u32 v0, v8, 2, 5
	s_mov_b32 s78, exec_lo
	s_delay_alu instid0(VALU_DEP_1)
	v_cmpx_eq_u32_e32 0, v0
; %bb.26870:                            ;   in Loop: Header=BB6_26858 Depth=3
	v_clz_i32_u32_e32 v0, v1
	s_delay_alu instid0(VALU_DEP_1) | instskip(NEXT) | instid1(VALU_DEP_1)
	v_min_u32_e32 v0, 32, v0
	v_subrev_nc_u32_e32 v1, 29, v0
	s_delay_alu instid0(VALU_DEP_1) | instskip(NEXT) | instid1(VALU_DEP_1)
	v_lshlrev_b64_e32 v[2:3], v1, v[8:9]
	v_dual_sub_nc_u32 v0, 30, v0 :: v_dual_bitop2_b32 v1, 3, v2 bitop3:0x40
; %bb.26871:                            ;   in Loop: Header=BB6_26858 Depth=3
	s_or_b32 exec_lo, exec_lo, s78
	v_lshlrev_b32_e32 v2, 24, v8
	s_delay_alu instid0(VALU_DEP_1) | instskip(NEXT) | instid1(VALU_DEP_1)
	v_and_b32_e32 v2, 0x80000000, v2
	v_lshl_add_u32 v0, v0, 23, v2
                                        ; implicit-def: $vgpr2
	s_delay_alu instid0(VALU_DEP_1) | instskip(NEXT) | instid1(VALU_DEP_1)
	v_lshl_or_b32 v0, v1, 21, v0
                                        ; implicit-def: $vgpr1
	v_add_nc_u32_e32 v0, 0x38000000, v0
.LBB6_26872:                            ;   in Loop: Header=BB6_26858 Depth=3
	s_and_not1_saveexec_b32 s77, s77
; %bb.26873:                            ;   in Loop: Header=BB6_26858 Depth=3
	v_cmp_lt_i16_e32 vcc_lo, -1, v2
	v_mov_b32_e32 v0, 0x7f800000
	s_delay_alu instid0(VALU_DEP_1) | instskip(SKIP_1) | instid1(VALU_DEP_2)
	v_cndmask_b32_e32 v0, 0xff800000, v0, vcc_lo
	v_cmp_eq_u32_e32 vcc_lo, 0, v1
	v_cndmask_b32_e32 v0, 0x7f800001, v0, vcc_lo
; %bb.26874:                            ;   in Loop: Header=BB6_26858 Depth=3
	s_or_b32 exec_lo, exec_lo, s77
.LBB6_26875:                            ;   in Loop: Header=BB6_26858 Depth=3
	s_delay_alu instid0(SALU_CYCLE_1)
	s_or_b32 exec_lo, exec_lo, s76
.LBB6_26876:                            ;   in Loop: Header=BB6_26858 Depth=3
	s_delay_alu instid0(SALU_CYCLE_1) | instskip(NEXT) | instid1(VALU_DEP_1)
	s_or_b32 exec_lo, exec_lo, s14
	v_dual_mul_f32 v2, s75, v0 :: v_dual_mov_b32 v7, v113
	v_mov_b32_e32 v1, v113
                                        ; implicit-def: $vgpr17
	s_mov_b32 s14, exec_lo
	s_delay_alu instid0(VALU_DEP_2) | instskip(SKIP_2) | instid1(VALU_DEP_3)
	v_and_b32_e32 v6, 0x7f800000, v2
	v_and_b32_e32 v0, 0x7fffff, v2
	v_lshrrev_b32_e32 v3, 24, v2
	v_cmpx_ne_u64_e32 0x7f800000, v[6:7]
	s_xor_b32 s76, exec_lo, s14
	s_cbranch_execz .LBB6_26890
; %bb.26877:                            ;   in Loop: Header=BB6_26858 Depth=3
	v_and_b32_e32 v6, 0x7fffffff, v2
	v_mov_b32_e32 v7, v113
                                        ; implicit-def: $vgpr17
	s_delay_alu instid0(VALU_DEP_1) | instskip(SKIP_2) | instid1(SALU_CYCLE_1)
	v_cmp_gt_u64_e32 vcc_lo, 0x47600001, v[6:7]
	v_and_b32_e32 v6, 0x80, v3
	s_and_saveexec_b32 s14, vcc_lo
	s_xor_b32 s77, exec_lo, s14
	s_cbranch_execz .LBB6_26887
; %bb.26878:                            ;   in Loop: Header=BB6_26858 Depth=3
	v_mov_b32_e32 v17, 0
	s_mov_b32 s78, exec_lo
	v_cmpx_ne_u32_e32 0, v2
	s_cbranch_execz .LBB6_26886
; %bb.26879:                            ;   in Loop: Header=BB6_26858 Depth=3
	v_bfe_u32 v7, v2, 23, 8
	v_or_b32_e32 v17, 0x800000, v0
	s_delay_alu instid0(VALU_DEP_2) | instskip(SKIP_1) | instid1(VALU_DEP_2)
	v_sub_nc_u32_e32 v2, 0x71, v7
	v_cmp_gt_u32_e32 vcc_lo, 0x72, v7
	v_cndmask_b32_e32 v2, 0, v2, vcc_lo
	v_cmp_eq_u32_e32 vcc_lo, 0, v7
	s_delay_alu instid0(VALU_DEP_2) | instskip(SKIP_1) | instid1(VALU_DEP_2)
	v_cndmask_b32_e64 v16, v2, 0x70, vcc_lo
	v_cndmask_b32_e32 v0, v17, v0, vcc_lo
	v_dual_add_nc_u32 v2, 21, v16 :: v_dual_add_nc_u32 v24, 20, v16
	s_delay_alu instid0(VALU_DEP_1) | instskip(NEXT) | instid1(VALU_DEP_2)
	v_lshlrev_b64_e64 v[2:3], v2, -1
	v_lshlrev_b64_e64 v[24:25], v24, 1
	s_delay_alu instid0(VALU_DEP_2) | instskip(SKIP_1) | instid1(VALU_DEP_4)
	v_bfi_b32 v2, v2, 0, v0
	v_lshrrev_b64 v[0:1], v16, v[0:1]
	v_bfi_b32 v3, v3, 0, 0
	s_delay_alu instid0(VALU_DEP_1) | instskip(NEXT) | instid1(VALU_DEP_3)
	v_cmp_eq_u64_e64 s14, v[2:3], v[24:25]
	v_mov_b64_e32 v[2:3], v[0:1]
	s_and_saveexec_b32 s79, s14
; %bb.26880:                            ;   in Loop: Header=BB6_26858 Depth=3
	v_bfe_u32 v2, v0, 21, 1
	v_mov_b32_e32 v3, v113
	s_delay_alu instid0(VALU_DEP_1) | instskip(NEXT) | instid1(VALU_DEP_1)
	v_add_nc_u64_e32 v[2:3], v[0:1], v[2:3]
	v_add_nc_u64_e32 v[2:3], -1, v[2:3]
; %bb.26881:                            ;   in Loop: Header=BB6_26858 Depth=3
	s_or_b32 exec_lo, exec_lo, s79
	v_add_nc_u32_e32 v1, 0xffffff81, v7
	v_lshrrev_b32_e32 v3, 23, v0
	s_mov_b32 s14, exec_lo
	s_delay_alu instid0(VALU_DEP_2) | instskip(NEXT) | instid1(VALU_DEP_1)
	v_cndmask_b32_e64 v1, v1, 0xffffff82, vcc_lo
	v_add3_u32 v3, v16, v1, v3
	v_and_b32_e32 v1, 0x1fffff, v2
                                        ; implicit-def: $vgpr2
	s_delay_alu instid0(VALU_DEP_1) | instskip(SKIP_1) | instid1(VALU_DEP_2)
	v_dual_add_nc_u32 v7, 14, v3 :: v_dual_add_nc_u32 v0, v1, v0
	v_mov_b32_e32 v1, v113
	v_cmpx_ne_u32_e32 0, v7
	s_xor_b32 s14, exec_lo, s14
; %bb.26882:                            ;   in Loop: Header=BB6_26858 Depth=3
	s_delay_alu instid0(VALU_DEP_2) | instskip(SKIP_2) | instid1(VALU_DEP_2)
	v_cmp_lt_u64_e32 vcc_lo, 0xffffff, v[0:1]
	v_add_nc_u32_e32 v2, 15, v3
	v_cndmask_b32_e64 v3, 0, 1, vcc_lo
	v_cndmask_b32_e32 v2, v7, v2, vcc_lo
	s_delay_alu instid0(VALU_DEP_2)
	v_lshrrev_b64 v[0:1], v3, v[0:1]
; %bb.26883:                            ;   in Loop: Header=BB6_26858 Depth=3
	s_and_not1_saveexec_b32 s14, s14
; %bb.26884:                            ;   in Loop: Header=BB6_26858 Depth=3
	s_delay_alu instid0(VALU_DEP_1)
	v_bfe_u32 v2, v0, 23, 1
; %bb.26885:                            ;   in Loop: Header=BB6_26858 Depth=3
	s_or_b32 exec_lo, exec_lo, s14
	s_delay_alu instid0(VALU_DEP_2) | instskip(NEXT) | instid1(VALU_DEP_2)
	v_lshrrev_b64 v[0:1], 21, v[0:1]
	v_cmp_gt_i32_e32 vcc_lo, 32, v2
	v_min_i32_e32 v3, 31, v2
	v_cmp_eq_u32_e64 s14, 0, v2
	s_delay_alu instid0(VALU_DEP_2) | instskip(SKIP_1) | instid1(VALU_DEP_2)
	v_dual_cndmask_b32 v1, 0, v1, vcc_lo :: v_dual_lshlrev_b32 v3, 2, v3
	v_cndmask_b32_e32 v0, 3, v0, vcc_lo
	v_and_b32_e32 v3, 0xfc, v3
	s_delay_alu instid0(VALU_DEP_2) | instskip(NEXT) | instid1(VALU_DEP_2)
	v_cmp_eq_u64_e32 vcc_lo, 0, v[0:1]
	v_and_or_b32 v0, v0, 3, v3
	s_and_b32 s14, s14, vcc_lo
	s_delay_alu instid0(VALU_DEP_1) | instid1(SALU_CYCLE_1)
	v_cndmask_b32_e64 v0, v0, 0, s14
	s_delay_alu instid0(VALU_DEP_1)
	v_or_b32_e32 v17, v0, v6
.LBB6_26886:                            ;   in Loop: Header=BB6_26858 Depth=3
	s_or_b32 exec_lo, exec_lo, s78
                                        ; implicit-def: $vgpr6
.LBB6_26887:                            ;   in Loop: Header=BB6_26858 Depth=3
	s_and_not1_saveexec_b32 s14, s77
; %bb.26888:                            ;   in Loop: Header=BB6_26858 Depth=3
	v_or_b32_e32 v17, 0x7b, v6
; %bb.26889:                            ;   in Loop: Header=BB6_26858 Depth=3
	s_or_b32 exec_lo, exec_lo, s14
                                        ; implicit-def: $vgpr2
                                        ; implicit-def: $vgpr0_vgpr1
                                        ; implicit-def: $vgpr3
.LBB6_26890:                            ;   in Loop: Header=BB6_26858 Depth=3
	s_and_not1_saveexec_b32 s14, s76
	s_cbranch_execz .LBB6_26896
; %bb.26891:                            ;   in Loop: Header=BB6_26858 Depth=3
	s_mov_b32 s76, exec_lo
                                        ; implicit-def: $vgpr17
	v_cmpx_ne_u64_e32 0, v[0:1]
	s_xor_b32 s76, exec_lo, s76
; %bb.26892:                            ;   in Loop: Header=BB6_26858 Depth=3
	v_or_b32_e32 v17, 0x7f, v3
                                        ; implicit-def: $vgpr2
; %bb.26893:                            ;   in Loop: Header=BB6_26858 Depth=3
	s_and_not1_saveexec_b32 s76, s76
; %bb.26894:                            ;   in Loop: Header=BB6_26858 Depth=3
	v_cmp_lt_i32_e32 vcc_lo, -1, v2
	v_mov_b32_e32 v0, 0x7c
	s_delay_alu instid0(VALU_DEP_1)
	v_cndmask_b32_e32 v17, 0xfc, v0, vcc_lo
; %bb.26895:                            ;   in Loop: Header=BB6_26858 Depth=3
	s_or_b32 exec_lo, exec_lo, s76
.LBB6_26896:                            ;   in Loop: Header=BB6_26858 Depth=3
	s_delay_alu instid0(SALU_CYCLE_1) | instskip(SKIP_3) | instid1(VALU_DEP_2)
	s_or_b32 exec_lo, exec_lo, s14
	v_lshrrev_b16 v0, 8, v8
	v_mov_b32_e32 v2, 0
	s_mov_b32 s14, exec_lo
	v_cmpx_ne_u16_e32 0, v0
	s_cbranch_execz .LBB6_26906
; %bb.26897:                            ;   in Loop: Header=BB6_26858 Depth=3
	v_bfrev_b32_e32 v2, 1
	s_mov_b32 s76, exec_lo
	v_cmpx_ne_u16_e32 0x80, v0
	s_cbranch_execz .LBB6_26905
; %bb.26898:                            ;   in Loop: Header=BB6_26858 Depth=3
	v_and_b32_e32 v3, 0xffff, v0
	s_delay_alu instid0(VALU_DEP_1) | instskip(SKIP_1) | instid1(VALU_DEP_2)
	v_and_b32_e32 v2, 0x7c, v3
	v_and_b32_e32 v1, 3, v3
	v_cmp_ne_u32_e32 vcc_lo, 0x7c, v2
                                        ; implicit-def: $vgpr2
	s_and_saveexec_b32 s77, vcc_lo
	s_delay_alu instid0(SALU_CYCLE_1)
	s_xor_b32 s77, exec_lo, s77
	s_cbranch_execz .LBB6_26902
; %bb.26899:                            ;   in Loop: Header=BB6_26858 Depth=3
	v_bfe_u32 v2, v3, 2, 5
	s_mov_b32 s78, exec_lo
	s_delay_alu instid0(VALU_DEP_1)
	v_cmpx_eq_u32_e32 0, v2
	s_cbranch_execz .LBB6_26901
; %bb.26900:                            ;   in Loop: Header=BB6_26858 Depth=3
	v_clz_i32_u32_e32 v1, v1
	s_delay_alu instid0(VALU_DEP_1) | instskip(SKIP_1) | instid1(VALU_DEP_2)
	v_min_u32_e32 v2, 32, v1
	v_mov_b32_e32 v1, v113
	v_subrev_nc_u32_e32 v3, 29, v2
	v_sub_nc_u32_e32 v2, 30, v2
	s_delay_alu instid0(VALU_DEP_2) | instskip(NEXT) | instid1(VALU_DEP_1)
	v_lshlrev_b64_e32 v[0:1], v3, v[0:1]
	v_and_b32_e32 v1, 3, v0
.LBB6_26901:                            ;   in Loop: Header=BB6_26858 Depth=3
	s_or_b32 exec_lo, exec_lo, s78
	v_lshlrev_b32_e32 v0, 16, v8
	s_delay_alu instid0(VALU_DEP_1) | instskip(NEXT) | instid1(VALU_DEP_1)
	v_and_b32_e32 v0, 0x80000000, v0
	v_lshl_add_u32 v0, v2, 23, v0
	s_delay_alu instid0(VALU_DEP_1) | instskip(NEXT) | instid1(VALU_DEP_1)
	v_lshl_or_b32 v0, v1, 21, v0
                                        ; implicit-def: $vgpr1
	v_add_nc_u32_e32 v2, 0x38000000, v0
.LBB6_26902:                            ;   in Loop: Header=BB6_26858 Depth=3
	s_and_not1_saveexec_b32 s77, s77
; %bb.26903:                            ;   in Loop: Header=BB6_26858 Depth=3
	v_cmp_lt_i16_e32 vcc_lo, -1, v8
	v_mov_b32_e32 v0, 0x7f800000
	s_delay_alu instid0(VALU_DEP_1) | instskip(SKIP_1) | instid1(VALU_DEP_2)
	v_cndmask_b32_e32 v0, 0xff800000, v0, vcc_lo
	v_cmp_eq_u32_e32 vcc_lo, 0, v1
	v_cndmask_b32_e32 v2, 0x7f800001, v0, vcc_lo
; %bb.26904:                            ;   in Loop: Header=BB6_26858 Depth=3
	s_or_b32 exec_lo, exec_lo, s77
.LBB6_26905:                            ;   in Loop: Header=BB6_26858 Depth=3
	s_delay_alu instid0(SALU_CYCLE_1)
	s_or_b32 exec_lo, exec_lo, s76
.LBB6_26906:                            ;   in Loop: Header=BB6_26858 Depth=3
	s_delay_alu instid0(SALU_CYCLE_1) | instskip(NEXT) | instid1(VALU_DEP_1)
	s_or_b32 exec_lo, exec_lo, s14
	v_dual_mul_f32 v2, s75, v2 :: v_dual_mov_b32 v7, v113
	v_mov_b32_e32 v1, v113
                                        ; implicit-def: $vgpr24
	s_mov_b32 s14, exec_lo
	s_delay_alu instid0(VALU_DEP_2) | instskip(SKIP_2) | instid1(VALU_DEP_3)
	v_and_b32_e32 v6, 0x7f800000, v2
	v_and_b32_e32 v0, 0x7fffff, v2
	v_lshrrev_b32_e32 v3, 24, v2
	v_cmpx_ne_u64_e32 0x7f800000, v[6:7]
	s_xor_b32 s76, exec_lo, s14
	s_cbranch_execz .LBB6_26920
; %bb.26907:                            ;   in Loop: Header=BB6_26858 Depth=3
	v_and_b32_e32 v6, 0x7fffffff, v2
	v_mov_b32_e32 v7, v113
                                        ; implicit-def: $vgpr24
	s_delay_alu instid0(VALU_DEP_1) | instskip(SKIP_2) | instid1(SALU_CYCLE_1)
	v_cmp_gt_u64_e32 vcc_lo, 0x47600001, v[6:7]
	v_and_b32_e32 v6, 0x80, v3
	s_and_saveexec_b32 s14, vcc_lo
	s_xor_b32 s77, exec_lo, s14
	s_cbranch_execz .LBB6_26917
; %bb.26908:                            ;   in Loop: Header=BB6_26858 Depth=3
	v_mov_b32_e32 v24, 0
	s_mov_b32 s78, exec_lo
	v_cmpx_ne_u32_e32 0, v2
	s_cbranch_execz .LBB6_26916
; %bb.26909:                            ;   in Loop: Header=BB6_26858 Depth=3
	v_bfe_u32 v7, v2, 23, 8
	v_or_b32_e32 v24, 0x800000, v0
	s_delay_alu instid0(VALU_DEP_2) | instskip(SKIP_1) | instid1(VALU_DEP_2)
	v_sub_nc_u32_e32 v2, 0x71, v7
	v_cmp_gt_u32_e32 vcc_lo, 0x72, v7
	v_cndmask_b32_e32 v2, 0, v2, vcc_lo
	v_cmp_eq_u32_e32 vcc_lo, 0, v7
	s_delay_alu instid0(VALU_DEP_2) | instskip(SKIP_1) | instid1(VALU_DEP_2)
	v_cndmask_b32_e64 v16, v2, 0x70, vcc_lo
	v_cndmask_b32_e32 v0, v24, v0, vcc_lo
	v_dual_add_nc_u32 v2, 21, v16 :: v_dual_add_nc_u32 v25, 20, v16
	s_delay_alu instid0(VALU_DEP_1) | instskip(NEXT) | instid1(VALU_DEP_2)
	v_lshlrev_b64_e64 v[2:3], v2, -1
	v_lshlrev_b64_e64 v[24:25], v25, 1
	s_delay_alu instid0(VALU_DEP_2) | instskip(SKIP_1) | instid1(VALU_DEP_4)
	v_bfi_b32 v2, v2, 0, v0
	v_lshrrev_b64 v[0:1], v16, v[0:1]
	v_bfi_b32 v3, v3, 0, 0
	s_delay_alu instid0(VALU_DEP_1) | instskip(NEXT) | instid1(VALU_DEP_3)
	v_cmp_eq_u64_e64 s14, v[2:3], v[24:25]
	v_mov_b64_e32 v[2:3], v[0:1]
	s_and_saveexec_b32 s79, s14
; %bb.26910:                            ;   in Loop: Header=BB6_26858 Depth=3
	v_bfe_u32 v2, v0, 21, 1
	v_mov_b32_e32 v3, v113
	s_delay_alu instid0(VALU_DEP_1) | instskip(NEXT) | instid1(VALU_DEP_1)
	v_add_nc_u64_e32 v[2:3], v[0:1], v[2:3]
	v_add_nc_u64_e32 v[2:3], -1, v[2:3]
; %bb.26911:                            ;   in Loop: Header=BB6_26858 Depth=3
	s_or_b32 exec_lo, exec_lo, s79
	v_add_nc_u32_e32 v1, 0xffffff81, v7
	v_lshrrev_b32_e32 v3, 23, v0
	s_mov_b32 s14, exec_lo
	s_delay_alu instid0(VALU_DEP_2) | instskip(NEXT) | instid1(VALU_DEP_1)
	v_cndmask_b32_e64 v1, v1, 0xffffff82, vcc_lo
	v_add3_u32 v3, v16, v1, v3
	v_and_b32_e32 v1, 0x1fffff, v2
                                        ; implicit-def: $vgpr2
	s_delay_alu instid0(VALU_DEP_1) | instskip(SKIP_1) | instid1(VALU_DEP_2)
	v_dual_add_nc_u32 v7, 14, v3 :: v_dual_add_nc_u32 v0, v1, v0
	v_mov_b32_e32 v1, v113
	v_cmpx_ne_u32_e32 0, v7
	s_xor_b32 s14, exec_lo, s14
; %bb.26912:                            ;   in Loop: Header=BB6_26858 Depth=3
	s_delay_alu instid0(VALU_DEP_2) | instskip(SKIP_2) | instid1(VALU_DEP_2)
	v_cmp_lt_u64_e32 vcc_lo, 0xffffff, v[0:1]
	v_add_nc_u32_e32 v2, 15, v3
	v_cndmask_b32_e64 v3, 0, 1, vcc_lo
	v_cndmask_b32_e32 v2, v7, v2, vcc_lo
	s_delay_alu instid0(VALU_DEP_2)
	v_lshrrev_b64 v[0:1], v3, v[0:1]
; %bb.26913:                            ;   in Loop: Header=BB6_26858 Depth=3
	s_and_not1_saveexec_b32 s14, s14
; %bb.26914:                            ;   in Loop: Header=BB6_26858 Depth=3
	s_delay_alu instid0(VALU_DEP_1)
	v_bfe_u32 v2, v0, 23, 1
; %bb.26915:                            ;   in Loop: Header=BB6_26858 Depth=3
	s_or_b32 exec_lo, exec_lo, s14
	s_delay_alu instid0(VALU_DEP_2) | instskip(NEXT) | instid1(VALU_DEP_2)
	v_lshrrev_b64 v[0:1], 21, v[0:1]
	v_cmp_gt_i32_e32 vcc_lo, 32, v2
	v_min_i32_e32 v3, 31, v2
	v_cmp_eq_u32_e64 s14, 0, v2
	s_delay_alu instid0(VALU_DEP_2) | instskip(SKIP_1) | instid1(VALU_DEP_2)
	v_dual_cndmask_b32 v1, 0, v1, vcc_lo :: v_dual_lshlrev_b32 v3, 2, v3
	v_cndmask_b32_e32 v0, 3, v0, vcc_lo
	v_and_b32_e32 v3, 0xfc, v3
	s_delay_alu instid0(VALU_DEP_2) | instskip(NEXT) | instid1(VALU_DEP_2)
	v_cmp_eq_u64_e32 vcc_lo, 0, v[0:1]
	v_and_or_b32 v0, v0, 3, v3
	s_and_b32 s14, s14, vcc_lo
	s_delay_alu instid0(VALU_DEP_1) | instid1(SALU_CYCLE_1)
	v_cndmask_b32_e64 v0, v0, 0, s14
	s_delay_alu instid0(VALU_DEP_1)
	v_or_b32_e32 v24, v0, v6
.LBB6_26916:                            ;   in Loop: Header=BB6_26858 Depth=3
	s_or_b32 exec_lo, exec_lo, s78
                                        ; implicit-def: $vgpr6
.LBB6_26917:                            ;   in Loop: Header=BB6_26858 Depth=3
	s_and_not1_saveexec_b32 s14, s77
; %bb.26918:                            ;   in Loop: Header=BB6_26858 Depth=3
	v_or_b32_e32 v24, 0x7b, v6
; %bb.26919:                            ;   in Loop: Header=BB6_26858 Depth=3
	s_or_b32 exec_lo, exec_lo, s14
                                        ; implicit-def: $vgpr2
                                        ; implicit-def: $vgpr0_vgpr1
                                        ; implicit-def: $vgpr3
.LBB6_26920:                            ;   in Loop: Header=BB6_26858 Depth=3
	s_and_not1_saveexec_b32 s14, s76
	s_cbranch_execz .LBB6_26926
; %bb.26921:                            ;   in Loop: Header=BB6_26858 Depth=3
	s_mov_b32 s76, exec_lo
                                        ; implicit-def: $vgpr24
	v_cmpx_ne_u64_e32 0, v[0:1]
	s_xor_b32 s76, exec_lo, s76
; %bb.26922:                            ;   in Loop: Header=BB6_26858 Depth=3
	v_or_b32_e32 v24, 0x7f, v3
                                        ; implicit-def: $vgpr2
; %bb.26923:                            ;   in Loop: Header=BB6_26858 Depth=3
	s_and_not1_saveexec_b32 s76, s76
; %bb.26924:                            ;   in Loop: Header=BB6_26858 Depth=3
	v_cmp_lt_i32_e32 vcc_lo, -1, v2
	v_mov_b32_e32 v0, 0x7c
	s_delay_alu instid0(VALU_DEP_1)
	v_cndmask_b32_e32 v24, 0xfc, v0, vcc_lo
; %bb.26925:                            ;   in Loop: Header=BB6_26858 Depth=3
	s_or_b32 exec_lo, exec_lo, s76
.LBB6_26926:                            ;   in Loop: Header=BB6_26858 Depth=3
	s_delay_alu instid0(SALU_CYCLE_1) | instskip(SKIP_2) | instid1(VALU_DEP_1)
	s_or_b32 exec_lo, exec_lo, s14
	v_dual_mov_b32 v1, 0 :: v_dual_lshrrev_b32 v0, 16, v8
	s_mov_b32 s14, exec_lo
	v_and_b32_e32 v2, 0xff, v0
	s_delay_alu instid0(VALU_DEP_1)
	v_cmpx_ne_u16_e32 0, v2
	s_cbranch_execz .LBB6_26936
; %bb.26927:                            ;   in Loop: Header=BB6_26858 Depth=3
	v_bfrev_b32_e32 v1, 1
	s_mov_b32 s76, exec_lo
	v_cmpx_ne_u16_e32 0x80, v2
	s_cbranch_execz .LBB6_26935
; %bb.26928:                            ;   in Loop: Header=BB6_26858 Depth=3
	v_and_b32_e32 v1, 0x7c0000, v8
	v_bfe_u32 v2, v8, 16, 2
	s_delay_alu instid0(VALU_DEP_2) | instskip(SKIP_1) | instid1(SALU_CYCLE_1)
	v_cmp_ne_u32_e32 vcc_lo, 0x7c0000, v1
                                        ; implicit-def: $vgpr1
	s_and_saveexec_b32 s77, vcc_lo
	s_xor_b32 s77, exec_lo, s77
	s_cbranch_execz .LBB6_26932
; %bb.26929:                            ;   in Loop: Header=BB6_26858 Depth=3
	v_bfe_u32 v1, v8, 18, 5
	s_mov_b32 s78, exec_lo
	s_delay_alu instid0(VALU_DEP_1)
	v_cmpx_eq_u32_e32 0, v1
; %bb.26930:                            ;   in Loop: Header=BB6_26858 Depth=3
	v_clz_i32_u32_e32 v1, v2
	s_delay_alu instid0(VALU_DEP_1) | instskip(NEXT) | instid1(VALU_DEP_1)
	v_min_u32_e32 v1, 32, v1
	v_subrev_nc_u32_e32 v2, 29, v1
	s_delay_alu instid0(VALU_DEP_1) | instskip(NEXT) | instid1(VALU_DEP_1)
	v_lshlrev_b64_e32 v[2:3], v2, v[0:1]
	v_dual_sub_nc_u32 v1, 30, v1 :: v_dual_bitop2_b32 v2, 3, v2 bitop3:0x40
; %bb.26931:                            ;   in Loop: Header=BB6_26858 Depth=3
	s_or_b32 exec_lo, exec_lo, s78
	v_lshlrev_b32_e32 v0, 24, v0
	s_delay_alu instid0(VALU_DEP_1) | instskip(NEXT) | instid1(VALU_DEP_1)
	v_and_b32_e32 v0, 0x80000000, v0
	v_lshl_add_u32 v0, v1, 23, v0
	s_delay_alu instid0(VALU_DEP_1) | instskip(NEXT) | instid1(VALU_DEP_1)
	v_lshl_or_b32 v0, v2, 21, v0
                                        ; implicit-def: $vgpr2
	v_add_nc_u32_e32 v1, 0x38000000, v0
                                        ; implicit-def: $vgpr0
.LBB6_26932:                            ;   in Loop: Header=BB6_26858 Depth=3
	s_and_not1_saveexec_b32 s77, s77
; %bb.26933:                            ;   in Loop: Header=BB6_26858 Depth=3
	v_bfe_i32 v0, v0, 0, 8
	s_delay_alu instid0(VALU_DEP_1) | instskip(SKIP_1) | instid1(VALU_DEP_1)
	v_cmp_lt_i16_e32 vcc_lo, -1, v0
	v_mov_b32_e32 v0, 0x7f800000
	v_cndmask_b32_e32 v0, 0xff800000, v0, vcc_lo
	v_cmp_eq_u32_e32 vcc_lo, 0, v2
	s_delay_alu instid0(VALU_DEP_2)
	v_cndmask_b32_e32 v1, 0x7f800001, v0, vcc_lo
; %bb.26934:                            ;   in Loop: Header=BB6_26858 Depth=3
	s_or_b32 exec_lo, exec_lo, s77
.LBB6_26935:                            ;   in Loop: Header=BB6_26858 Depth=3
	s_delay_alu instid0(SALU_CYCLE_1)
	s_or_b32 exec_lo, exec_lo, s76
.LBB6_26936:                            ;   in Loop: Header=BB6_26858 Depth=3
	s_delay_alu instid0(SALU_CYCLE_1) | instskip(NEXT) | instid1(VALU_DEP_1)
	s_or_b32 exec_lo, exec_lo, s14
	v_dual_mul_f32 v2, s75, v1 :: v_dual_mov_b32 v7, v113
	v_mov_b32_e32 v1, v113
                                        ; implicit-def: $vgpr26
	s_mov_b32 s14, exec_lo
	s_delay_alu instid0(VALU_DEP_2) | instskip(SKIP_2) | instid1(VALU_DEP_3)
	v_and_b32_e32 v6, 0x7f800000, v2
	v_and_b32_e32 v0, 0x7fffff, v2
	v_lshrrev_b32_e32 v3, 24, v2
	v_cmpx_ne_u64_e32 0x7f800000, v[6:7]
	s_xor_b32 s76, exec_lo, s14
	s_cbranch_execz .LBB6_26950
; %bb.26937:                            ;   in Loop: Header=BB6_26858 Depth=3
	v_and_b32_e32 v6, 0x7fffffff, v2
	v_mov_b32_e32 v7, v113
                                        ; implicit-def: $vgpr26
	s_delay_alu instid0(VALU_DEP_1) | instskip(SKIP_2) | instid1(SALU_CYCLE_1)
	v_cmp_gt_u64_e32 vcc_lo, 0x47600001, v[6:7]
	v_and_b32_e32 v6, 0x80, v3
	s_and_saveexec_b32 s14, vcc_lo
	s_xor_b32 s77, exec_lo, s14
	s_cbranch_execz .LBB6_26947
; %bb.26938:                            ;   in Loop: Header=BB6_26858 Depth=3
	v_mov_b32_e32 v26, 0
	s_mov_b32 s78, exec_lo
	v_cmpx_ne_u32_e32 0, v2
	s_cbranch_execz .LBB6_26946
; %bb.26939:                            ;   in Loop: Header=BB6_26858 Depth=3
	v_bfe_u32 v7, v2, 23, 8
	v_or_b32_e32 v25, 0x800000, v0
	s_delay_alu instid0(VALU_DEP_2) | instskip(SKIP_1) | instid1(VALU_DEP_2)
	v_sub_nc_u32_e32 v2, 0x71, v7
	v_cmp_gt_u32_e32 vcc_lo, 0x72, v7
	v_cndmask_b32_e32 v2, 0, v2, vcc_lo
	v_cmp_eq_u32_e32 vcc_lo, 0, v7
	s_delay_alu instid0(VALU_DEP_2) | instskip(SKIP_1) | instid1(VALU_DEP_2)
	v_cndmask_b32_e64 v16, v2, 0x70, vcc_lo
	v_cndmask_b32_e32 v0, v25, v0, vcc_lo
	v_dual_add_nc_u32 v2, 21, v16 :: v_dual_add_nc_u32 v26, 20, v16
	s_delay_alu instid0(VALU_DEP_1) | instskip(NEXT) | instid1(VALU_DEP_2)
	v_lshlrev_b64_e64 v[2:3], v2, -1
	v_lshlrev_b64_e64 v[26:27], v26, 1
	s_delay_alu instid0(VALU_DEP_2) | instskip(SKIP_1) | instid1(VALU_DEP_4)
	v_bfi_b32 v2, v2, 0, v0
	v_lshrrev_b64 v[0:1], v16, v[0:1]
	v_bfi_b32 v3, v3, 0, 0
	s_delay_alu instid0(VALU_DEP_1) | instskip(NEXT) | instid1(VALU_DEP_3)
	v_cmp_eq_u64_e64 s14, v[2:3], v[26:27]
	v_mov_b64_e32 v[2:3], v[0:1]
	s_and_saveexec_b32 s79, s14
; %bb.26940:                            ;   in Loop: Header=BB6_26858 Depth=3
	v_bfe_u32 v2, v0, 21, 1
	v_mov_b32_e32 v3, v113
	s_delay_alu instid0(VALU_DEP_1) | instskip(NEXT) | instid1(VALU_DEP_1)
	v_add_nc_u64_e32 v[2:3], v[0:1], v[2:3]
	v_add_nc_u64_e32 v[2:3], -1, v[2:3]
; %bb.26941:                            ;   in Loop: Header=BB6_26858 Depth=3
	s_or_b32 exec_lo, exec_lo, s79
	v_add_nc_u32_e32 v1, 0xffffff81, v7
	v_lshrrev_b32_e32 v3, 23, v0
	s_mov_b32 s14, exec_lo
	s_delay_alu instid0(VALU_DEP_2) | instskip(NEXT) | instid1(VALU_DEP_1)
	v_cndmask_b32_e64 v1, v1, 0xffffff82, vcc_lo
	v_add3_u32 v3, v16, v1, v3
	v_and_b32_e32 v1, 0x1fffff, v2
                                        ; implicit-def: $vgpr2
	s_delay_alu instid0(VALU_DEP_1) | instskip(SKIP_1) | instid1(VALU_DEP_2)
	v_dual_add_nc_u32 v7, 14, v3 :: v_dual_add_nc_u32 v0, v1, v0
	v_mov_b32_e32 v1, v113
	v_cmpx_ne_u32_e32 0, v7
	s_xor_b32 s14, exec_lo, s14
; %bb.26942:                            ;   in Loop: Header=BB6_26858 Depth=3
	s_delay_alu instid0(VALU_DEP_2) | instskip(SKIP_2) | instid1(VALU_DEP_2)
	v_cmp_lt_u64_e32 vcc_lo, 0xffffff, v[0:1]
	v_add_nc_u32_e32 v2, 15, v3
	v_cndmask_b32_e64 v3, 0, 1, vcc_lo
	v_cndmask_b32_e32 v2, v7, v2, vcc_lo
	s_delay_alu instid0(VALU_DEP_2)
	v_lshrrev_b64 v[0:1], v3, v[0:1]
; %bb.26943:                            ;   in Loop: Header=BB6_26858 Depth=3
	s_and_not1_saveexec_b32 s14, s14
; %bb.26944:                            ;   in Loop: Header=BB6_26858 Depth=3
	s_delay_alu instid0(VALU_DEP_1)
	v_bfe_u32 v2, v0, 23, 1
; %bb.26945:                            ;   in Loop: Header=BB6_26858 Depth=3
	s_or_b32 exec_lo, exec_lo, s14
	s_delay_alu instid0(VALU_DEP_2) | instskip(NEXT) | instid1(VALU_DEP_2)
	v_lshrrev_b64 v[0:1], 21, v[0:1]
	v_cmp_gt_i32_e32 vcc_lo, 32, v2
	v_min_i32_e32 v3, 31, v2
	v_cmp_eq_u32_e64 s14, 0, v2
	s_delay_alu instid0(VALU_DEP_2) | instskip(SKIP_1) | instid1(VALU_DEP_2)
	v_dual_cndmask_b32 v1, 0, v1, vcc_lo :: v_dual_lshlrev_b32 v3, 2, v3
	v_cndmask_b32_e32 v0, 3, v0, vcc_lo
	v_and_b32_e32 v3, 0xfc, v3
	s_delay_alu instid0(VALU_DEP_2) | instskip(NEXT) | instid1(VALU_DEP_2)
	v_cmp_eq_u64_e32 vcc_lo, 0, v[0:1]
	v_and_or_b32 v0, v0, 3, v3
	s_and_b32 s14, s14, vcc_lo
	s_delay_alu instid0(VALU_DEP_1) | instid1(SALU_CYCLE_1)
	v_cndmask_b32_e64 v0, v0, 0, s14
	s_delay_alu instid0(VALU_DEP_1)
	v_or_b32_e32 v26, v0, v6
.LBB6_26946:                            ;   in Loop: Header=BB6_26858 Depth=3
	s_or_b32 exec_lo, exec_lo, s78
                                        ; implicit-def: $vgpr6
.LBB6_26947:                            ;   in Loop: Header=BB6_26858 Depth=3
	s_and_not1_saveexec_b32 s14, s77
; %bb.26948:                            ;   in Loop: Header=BB6_26858 Depth=3
	v_or_b32_e32 v26, 0x7b, v6
; %bb.26949:                            ;   in Loop: Header=BB6_26858 Depth=3
	s_or_b32 exec_lo, exec_lo, s14
                                        ; implicit-def: $vgpr2
                                        ; implicit-def: $vgpr0_vgpr1
                                        ; implicit-def: $vgpr3
.LBB6_26950:                            ;   in Loop: Header=BB6_26858 Depth=3
	s_and_not1_saveexec_b32 s14, s76
	s_cbranch_execz .LBB6_26956
; %bb.26951:                            ;   in Loop: Header=BB6_26858 Depth=3
	s_mov_b32 s76, exec_lo
                                        ; implicit-def: $vgpr26
	v_cmpx_ne_u64_e32 0, v[0:1]
	s_xor_b32 s76, exec_lo, s76
; %bb.26952:                            ;   in Loop: Header=BB6_26858 Depth=3
	v_or_b32_e32 v26, 0x7f, v3
                                        ; implicit-def: $vgpr2
; %bb.26953:                            ;   in Loop: Header=BB6_26858 Depth=3
	s_and_not1_saveexec_b32 s76, s76
; %bb.26954:                            ;   in Loop: Header=BB6_26858 Depth=3
	v_cmp_lt_i32_e32 vcc_lo, -1, v2
	v_mov_b32_e32 v0, 0x7c
	s_delay_alu instid0(VALU_DEP_1)
	v_cndmask_b32_e32 v26, 0xfc, v0, vcc_lo
; %bb.26955:                            ;   in Loop: Header=BB6_26858 Depth=3
	s_or_b32 exec_lo, exec_lo, s76
.LBB6_26956:                            ;   in Loop: Header=BB6_26858 Depth=3
	s_delay_alu instid0(SALU_CYCLE_1)
	s_or_b32 exec_lo, exec_lo, s14
	v_mov_b32_e32 v1, 0
	s_mov_b32 s14, exec_lo
	v_cmpx_lt_u32_e32 0xffffff, v8
	s_cbranch_execz .LBB6_26966
; %bb.26957:                            ;   in Loop: Header=BB6_26858 Depth=3
	v_lshrrev_b32_e32 v0, 24, v8
	v_bfrev_b32_e32 v1, 1
	s_mov_b32 s76, exec_lo
	s_delay_alu instid0(VALU_DEP_2)
	v_cmpx_ne_u32_e32 0x80, v0
	s_cbranch_execz .LBB6_26965
; %bb.26958:                            ;   in Loop: Header=BB6_26858 Depth=3
	v_and_b32_e32 v1, 0x7c000000, v8
	v_bfe_u32 v2, v8, 24, 2
	s_delay_alu instid0(VALU_DEP_2) | instskip(SKIP_1) | instid1(SALU_CYCLE_1)
	v_cmp_ne_u32_e32 vcc_lo, 0x7c000000, v1
                                        ; implicit-def: $vgpr1
	s_and_saveexec_b32 s77, vcc_lo
	s_xor_b32 s77, exec_lo, s77
	s_cbranch_execz .LBB6_26962
; %bb.26959:                            ;   in Loop: Header=BB6_26858 Depth=3
	v_bfe_u32 v1, v8, 26, 5
	s_mov_b32 s78, exec_lo
	s_delay_alu instid0(VALU_DEP_1)
	v_cmpx_eq_u32_e32 0, v1
; %bb.26960:                            ;   in Loop: Header=BB6_26858 Depth=3
	v_clz_i32_u32_e32 v1, v2
	s_delay_alu instid0(VALU_DEP_1) | instskip(NEXT) | instid1(VALU_DEP_1)
	v_min_u32_e32 v2, 32, v1
	v_subrev_nc_u32_e32 v1, 29, v2
	s_delay_alu instid0(VALU_DEP_1) | instskip(NEXT) | instid1(VALU_DEP_1)
	v_lshlrev_b64_e32 v[0:1], v1, v[0:1]
	v_dual_sub_nc_u32 v1, 30, v2 :: v_dual_bitop2_b32 v2, 3, v0 bitop3:0x40
; %bb.26961:                            ;   in Loop: Header=BB6_26858 Depth=3
	s_or_b32 exec_lo, exec_lo, s78
	v_and_b32_e32 v0, 0x80000000, v8
	s_delay_alu instid0(VALU_DEP_1) | instskip(NEXT) | instid1(VALU_DEP_1)
	v_lshl_add_u32 v0, v1, 23, v0
	v_lshl_or_b32 v0, v2, 21, v0
                                        ; implicit-def: $vgpr2
	s_delay_alu instid0(VALU_DEP_1)
	v_add_nc_u32_e32 v1, 0x38000000, v0
.LBB6_26962:                            ;   in Loop: Header=BB6_26858 Depth=3
	s_and_not1_saveexec_b32 s77, s77
; %bb.26963:                            ;   in Loop: Header=BB6_26858 Depth=3
	v_cmp_lt_i32_e32 vcc_lo, -1, v8
	v_mov_b32_e32 v0, 0x7f800000
	s_delay_alu instid0(VALU_DEP_1) | instskip(SKIP_1) | instid1(VALU_DEP_2)
	v_cndmask_b32_e32 v0, 0xff800000, v0, vcc_lo
	v_cmp_eq_u32_e32 vcc_lo, 0, v2
	v_cndmask_b32_e32 v1, 0x7f800001, v0, vcc_lo
; %bb.26964:                            ;   in Loop: Header=BB6_26858 Depth=3
	s_or_b32 exec_lo, exec_lo, s77
.LBB6_26965:                            ;   in Loop: Header=BB6_26858 Depth=3
	s_delay_alu instid0(SALU_CYCLE_1)
	s_or_b32 exec_lo, exec_lo, s76
.LBB6_26966:                            ;   in Loop: Header=BB6_26858 Depth=3
	s_delay_alu instid0(SALU_CYCLE_1) | instskip(NEXT) | instid1(VALU_DEP_1)
	s_or_b32 exec_lo, exec_lo, s14
	v_dual_mul_f32 v2, s75, v1 :: v_dual_mov_b32 v7, v113
	v_mov_b32_e32 v1, v113
                                        ; implicit-def: $vgpr29
	s_mov_b32 s14, exec_lo
	s_delay_alu instid0(VALU_DEP_2) | instskip(SKIP_2) | instid1(VALU_DEP_3)
	v_and_b32_e32 v6, 0x7f800000, v2
	v_and_b32_e32 v0, 0x7fffff, v2
	v_lshrrev_b32_e32 v3, 24, v2
	v_cmpx_ne_u64_e32 0x7f800000, v[6:7]
	s_xor_b32 s76, exec_lo, s14
	s_cbranch_execz .LBB6_26980
; %bb.26967:                            ;   in Loop: Header=BB6_26858 Depth=3
	v_and_b32_e32 v6, 0x7fffffff, v2
	v_mov_b32_e32 v7, v113
                                        ; implicit-def: $vgpr29
	s_delay_alu instid0(VALU_DEP_1) | instskip(SKIP_2) | instid1(SALU_CYCLE_1)
	v_cmp_gt_u64_e32 vcc_lo, 0x47600001, v[6:7]
	v_and_b32_e32 v6, 0x80, v3
	s_and_saveexec_b32 s14, vcc_lo
	s_xor_b32 s77, exec_lo, s14
	s_cbranch_execz .LBB6_26977
; %bb.26968:                            ;   in Loop: Header=BB6_26858 Depth=3
	v_mov_b32_e32 v29, 0
	s_mov_b32 s78, exec_lo
	v_cmpx_ne_u32_e32 0, v2
	s_cbranch_execz .LBB6_26976
; %bb.26969:                            ;   in Loop: Header=BB6_26858 Depth=3
	v_bfe_u32 v7, v2, 23, 8
	v_or_b32_e32 v25, 0x800000, v0
	s_delay_alu instid0(VALU_DEP_2) | instskip(SKIP_1) | instid1(VALU_DEP_2)
	v_sub_nc_u32_e32 v2, 0x71, v7
	v_cmp_gt_u32_e32 vcc_lo, 0x72, v7
	v_cndmask_b32_e32 v2, 0, v2, vcc_lo
	v_cmp_eq_u32_e32 vcc_lo, 0, v7
	s_delay_alu instid0(VALU_DEP_2) | instskip(SKIP_1) | instid1(VALU_DEP_2)
	v_cndmask_b32_e64 v16, v2, 0x70, vcc_lo
	v_cndmask_b32_e32 v0, v25, v0, vcc_lo
	v_dual_add_nc_u32 v2, 21, v16 :: v_dual_add_nc_u32 v27, 20, v16
	s_delay_alu instid0(VALU_DEP_1) | instskip(NEXT) | instid1(VALU_DEP_2)
	v_lshlrev_b64_e64 v[2:3], v2, -1
	v_lshlrev_b64_e64 v[28:29], v27, 1
	s_delay_alu instid0(VALU_DEP_2) | instskip(SKIP_1) | instid1(VALU_DEP_4)
	v_bfi_b32 v2, v2, 0, v0
	v_lshrrev_b64 v[0:1], v16, v[0:1]
	v_bfi_b32 v3, v3, 0, 0
	s_delay_alu instid0(VALU_DEP_1) | instskip(NEXT) | instid1(VALU_DEP_3)
	v_cmp_eq_u64_e64 s14, v[2:3], v[28:29]
	v_mov_b64_e32 v[2:3], v[0:1]
	s_and_saveexec_b32 s79, s14
; %bb.26970:                            ;   in Loop: Header=BB6_26858 Depth=3
	v_bfe_u32 v2, v0, 21, 1
	v_mov_b32_e32 v3, v113
	s_delay_alu instid0(VALU_DEP_1) | instskip(NEXT) | instid1(VALU_DEP_1)
	v_add_nc_u64_e32 v[2:3], v[0:1], v[2:3]
	v_add_nc_u64_e32 v[2:3], -1, v[2:3]
; %bb.26971:                            ;   in Loop: Header=BB6_26858 Depth=3
	s_or_b32 exec_lo, exec_lo, s79
	v_add_nc_u32_e32 v1, 0xffffff81, v7
	v_lshrrev_b32_e32 v3, 23, v0
	s_mov_b32 s14, exec_lo
	s_delay_alu instid0(VALU_DEP_2) | instskip(NEXT) | instid1(VALU_DEP_1)
	v_cndmask_b32_e64 v1, v1, 0xffffff82, vcc_lo
	v_add3_u32 v3, v16, v1, v3
	v_and_b32_e32 v1, 0x1fffff, v2
                                        ; implicit-def: $vgpr2
	s_delay_alu instid0(VALU_DEP_1) | instskip(SKIP_1) | instid1(VALU_DEP_2)
	v_dual_add_nc_u32 v7, 14, v3 :: v_dual_add_nc_u32 v0, v1, v0
	v_mov_b32_e32 v1, v113
	v_cmpx_ne_u32_e32 0, v7
	s_xor_b32 s14, exec_lo, s14
; %bb.26972:                            ;   in Loop: Header=BB6_26858 Depth=3
	s_delay_alu instid0(VALU_DEP_2) | instskip(SKIP_2) | instid1(VALU_DEP_2)
	v_cmp_lt_u64_e32 vcc_lo, 0xffffff, v[0:1]
	v_add_nc_u32_e32 v2, 15, v3
	v_cndmask_b32_e64 v3, 0, 1, vcc_lo
	v_cndmask_b32_e32 v2, v7, v2, vcc_lo
	s_delay_alu instid0(VALU_DEP_2)
	v_lshrrev_b64 v[0:1], v3, v[0:1]
; %bb.26973:                            ;   in Loop: Header=BB6_26858 Depth=3
	s_and_not1_saveexec_b32 s14, s14
; %bb.26974:                            ;   in Loop: Header=BB6_26858 Depth=3
	s_delay_alu instid0(VALU_DEP_1)
	v_bfe_u32 v2, v0, 23, 1
; %bb.26975:                            ;   in Loop: Header=BB6_26858 Depth=3
	s_or_b32 exec_lo, exec_lo, s14
	s_delay_alu instid0(VALU_DEP_2) | instskip(NEXT) | instid1(VALU_DEP_2)
	v_lshrrev_b64 v[0:1], 21, v[0:1]
	v_cmp_gt_i32_e32 vcc_lo, 32, v2
	v_min_i32_e32 v3, 31, v2
	v_cmp_eq_u32_e64 s14, 0, v2
	s_delay_alu instid0(VALU_DEP_2) | instskip(SKIP_1) | instid1(VALU_DEP_2)
	v_dual_cndmask_b32 v1, 0, v1, vcc_lo :: v_dual_lshlrev_b32 v3, 2, v3
	v_cndmask_b32_e32 v0, 3, v0, vcc_lo
	v_and_b32_e32 v3, 0xfc, v3
	s_delay_alu instid0(VALU_DEP_2) | instskip(NEXT) | instid1(VALU_DEP_2)
	v_cmp_eq_u64_e32 vcc_lo, 0, v[0:1]
	v_and_or_b32 v0, v0, 3, v3
	s_and_b32 s14, s14, vcc_lo
	s_delay_alu instid0(VALU_DEP_1) | instid1(SALU_CYCLE_1)
	v_cndmask_b32_e64 v0, v0, 0, s14
	s_delay_alu instid0(VALU_DEP_1)
	v_or_b32_e32 v29, v0, v6
.LBB6_26976:                            ;   in Loop: Header=BB6_26858 Depth=3
	s_or_b32 exec_lo, exec_lo, s78
                                        ; implicit-def: $vgpr6
.LBB6_26977:                            ;   in Loop: Header=BB6_26858 Depth=3
	s_and_not1_saveexec_b32 s14, s77
; %bb.26978:                            ;   in Loop: Header=BB6_26858 Depth=3
	v_or_b32_e32 v29, 0x7b, v6
; %bb.26979:                            ;   in Loop: Header=BB6_26858 Depth=3
	s_or_b32 exec_lo, exec_lo, s14
                                        ; implicit-def: $vgpr2
                                        ; implicit-def: $vgpr0_vgpr1
                                        ; implicit-def: $vgpr3
.LBB6_26980:                            ;   in Loop: Header=BB6_26858 Depth=3
	s_and_not1_saveexec_b32 s14, s76
	s_cbranch_execz .LBB6_26986
; %bb.26981:                            ;   in Loop: Header=BB6_26858 Depth=3
	s_mov_b32 s76, exec_lo
                                        ; implicit-def: $vgpr29
	v_cmpx_ne_u64_e32 0, v[0:1]
	s_xor_b32 s76, exec_lo, s76
; %bb.26982:                            ;   in Loop: Header=BB6_26858 Depth=3
	v_or_b32_e32 v29, 0x7f, v3
                                        ; implicit-def: $vgpr2
; %bb.26983:                            ;   in Loop: Header=BB6_26858 Depth=3
	s_and_not1_saveexec_b32 s76, s76
; %bb.26984:                            ;   in Loop: Header=BB6_26858 Depth=3
	v_cmp_lt_i32_e32 vcc_lo, -1, v2
	v_mov_b32_e32 v0, 0x7c
	s_delay_alu instid0(VALU_DEP_1)
	v_cndmask_b32_e32 v29, 0xfc, v0, vcc_lo
; %bb.26985:                            ;   in Loop: Header=BB6_26858 Depth=3
	s_or_b32 exec_lo, exec_lo, s76
.LBB6_26986:                            ;   in Loop: Header=BB6_26858 Depth=3
	s_delay_alu instid0(SALU_CYCLE_1) | instskip(SKIP_4) | instid1(VALU_DEP_3)
	s_or_b32 exec_lo, exec_lo, s14
	v_and_b32_e32 v3, 0xff, v9
	v_dual_mov_b32 v0, v9 :: v_dual_mov_b32 v1, v113
	v_mov_b32_e32 v2, 0
	s_mov_b32 s14, exec_lo
	v_cmpx_ne_u16_e32 0, v3
	s_cbranch_execz .LBB6_26996
; %bb.26987:                            ;   in Loop: Header=BB6_26858 Depth=3
	v_bfrev_b32_e32 v2, 1
	s_mov_b32 s76, exec_lo
	v_cmpx_ne_u16_e32 0x80, v3
	s_cbranch_execz .LBB6_26995
; %bb.26988:                            ;   in Loop: Header=BB6_26858 Depth=3
	v_and_b32_e32 v2, 0x7c, v9
	v_and_b32_e32 v3, 3, v9
	s_delay_alu instid0(VALU_DEP_2) | instskip(SKIP_1) | instid1(SALU_CYCLE_1)
	v_cmp_ne_u32_e32 vcc_lo, 0x7c, v2
                                        ; implicit-def: $vgpr2
	s_and_saveexec_b32 s77, vcc_lo
	s_xor_b32 s77, exec_lo, s77
	s_cbranch_execz .LBB6_26992
; %bb.26989:                            ;   in Loop: Header=BB6_26858 Depth=3
	v_bfe_u32 v2, v9, 2, 5
	s_mov_b32 s78, exec_lo
	s_delay_alu instid0(VALU_DEP_1)
	v_cmpx_eq_u32_e32 0, v2
; %bb.26990:                            ;   in Loop: Header=BB6_26858 Depth=3
	v_clz_i32_u32_e32 v2, v3
	s_delay_alu instid0(VALU_DEP_1) | instskip(NEXT) | instid1(VALU_DEP_1)
	v_min_u32_e32 v2, 32, v2
	v_subrev_nc_u32_e32 v3, 29, v2
	v_sub_nc_u32_e32 v2, 30, v2
	s_delay_alu instid0(VALU_DEP_2) | instskip(NEXT) | instid1(VALU_DEP_1)
	v_lshlrev_b64_e32 v[6:7], v3, v[0:1]
	v_and_b32_e32 v3, 3, v6
; %bb.26991:                            ;   in Loop: Header=BB6_26858 Depth=3
	s_or_b32 exec_lo, exec_lo, s78
	v_lshlrev_b32_e32 v1, 24, v9
	s_delay_alu instid0(VALU_DEP_1) | instskip(NEXT) | instid1(VALU_DEP_1)
	v_and_b32_e32 v1, 0x80000000, v1
	v_lshl_add_u32 v1, v2, 23, v1
	s_delay_alu instid0(VALU_DEP_1) | instskip(NEXT) | instid1(VALU_DEP_1)
	v_lshl_or_b32 v1, v3, 21, v1
                                        ; implicit-def: $vgpr3
	v_add_nc_u32_e32 v2, 0x38000000, v1
.LBB6_26992:                            ;   in Loop: Header=BB6_26858 Depth=3
	s_and_not1_saveexec_b32 s77, s77
; %bb.26993:                            ;   in Loop: Header=BB6_26858 Depth=3
	v_bfe_i32 v1, v9, 0, 8
	s_delay_alu instid0(VALU_DEP_1) | instskip(SKIP_1) | instid1(VALU_DEP_1)
	v_cmp_lt_i16_e32 vcc_lo, -1, v1
	v_mov_b32_e32 v1, 0x7f800000
	v_cndmask_b32_e32 v1, 0xff800000, v1, vcc_lo
	v_cmp_eq_u32_e32 vcc_lo, 0, v3
	s_delay_alu instid0(VALU_DEP_2)
	v_cndmask_b32_e32 v2, 0x7f800001, v1, vcc_lo
; %bb.26994:                            ;   in Loop: Header=BB6_26858 Depth=3
	s_or_b32 exec_lo, exec_lo, s77
.LBB6_26995:                            ;   in Loop: Header=BB6_26858 Depth=3
	s_delay_alu instid0(SALU_CYCLE_1)
	s_or_b32 exec_lo, exec_lo, s76
.LBB6_26996:                            ;   in Loop: Header=BB6_26858 Depth=3
	s_delay_alu instid0(SALU_CYCLE_1) | instskip(NEXT) | instid1(VALU_DEP_1)
	s_or_b32 exec_lo, exec_lo, s14
	v_dual_mul_f32 v6, s75, v2 :: v_dual_mov_b32 v31, v113
	v_mov_b32_e32 v3, v113
                                        ; implicit-def: $vgpr16
	s_mov_b32 s14, exec_lo
	s_delay_alu instid0(VALU_DEP_2) | instskip(SKIP_2) | instid1(VALU_DEP_3)
	v_and_b32_e32 v30, 0x7f800000, v6
	v_and_b32_e32 v2, 0x7fffff, v6
	v_lshrrev_b32_e32 v1, 24, v6
	v_cmpx_ne_u64_e32 0x7f800000, v[30:31]
	s_xor_b32 s76, exec_lo, s14
	s_cbranch_execz .LBB6_27010
; %bb.26997:                            ;   in Loop: Header=BB6_26858 Depth=3
	v_and_b32_e32 v30, 0x7fffffff, v6
	v_mov_b32_e32 v31, v113
	v_and_b32_e32 v1, 0x80, v1
                                        ; implicit-def: $vgpr16
	s_mov_b32 s14, exec_lo
	s_delay_alu instid0(VALU_DEP_2)
	v_cmpx_gt_u64_e32 0x47600001, v[30:31]
	s_xor_b32 s77, exec_lo, s14
	s_cbranch_execz .LBB6_27007
; %bb.26998:                            ;   in Loop: Header=BB6_26858 Depth=3
	v_mov_b32_e32 v16, 0
	s_mov_b32 s78, exec_lo
	v_cmpx_ne_u32_e32 0, v6
	s_cbranch_execz .LBB6_27006
; %bb.26999:                            ;   in Loop: Header=BB6_26858 Depth=3
	v_bfe_u32 v16, v6, 23, 8
	v_or_b32_e32 v27, 0x800000, v2
	s_delay_alu instid0(VALU_DEP_2) | instskip(SKIP_1) | instid1(VALU_DEP_2)
	v_sub_nc_u32_e32 v6, 0x71, v16
	v_cmp_gt_u32_e32 vcc_lo, 0x72, v16
	v_cndmask_b32_e32 v6, 0, v6, vcc_lo
	v_cmp_eq_u32_e32 vcc_lo, 0, v16
	s_delay_alu instid0(VALU_DEP_2) | instskip(NEXT) | instid1(VALU_DEP_1)
	v_cndmask_b32_e64 v25, v6, 0x70, vcc_lo
	v_dual_cndmask_b32 v2, v27, v2, vcc_lo :: v_dual_add_nc_u32 v6, 21, v25
	v_add_nc_u32_e32 v28, 20, v25
	s_delay_alu instid0(VALU_DEP_2) | instskip(NEXT) | instid1(VALU_DEP_2)
	v_lshlrev_b64_e64 v[6:7], v6, -1
	v_lshlrev_b64_e64 v[30:31], v28, 1
	s_delay_alu instid0(VALU_DEP_2) | instskip(SKIP_1) | instid1(VALU_DEP_4)
	v_bfi_b32 v6, v6, 0, v2
	v_lshrrev_b64 v[2:3], v25, v[2:3]
	v_bfi_b32 v7, v7, 0, 0
	s_delay_alu instid0(VALU_DEP_1) | instskip(NEXT) | instid1(VALU_DEP_3)
	v_cmp_eq_u64_e64 s14, v[6:7], v[30:31]
	v_mov_b64_e32 v[6:7], v[2:3]
	s_and_saveexec_b32 s79, s14
; %bb.27000:                            ;   in Loop: Header=BB6_26858 Depth=3
	v_bfe_u32 v6, v2, 21, 1
	v_mov_b32_e32 v7, v113
	s_delay_alu instid0(VALU_DEP_1) | instskip(NEXT) | instid1(VALU_DEP_1)
	v_add_nc_u64_e32 v[6:7], v[2:3], v[6:7]
	v_add_nc_u64_e32 v[6:7], -1, v[6:7]
; %bb.27001:                            ;   in Loop: Header=BB6_26858 Depth=3
	s_or_b32 exec_lo, exec_lo, s79
	v_add_nc_u32_e32 v3, 0xffffff81, v16
	v_lshrrev_b32_e32 v7, 23, v2
	s_mov_b32 s14, exec_lo
	s_delay_alu instid0(VALU_DEP_2) | instskip(NEXT) | instid1(VALU_DEP_1)
	v_cndmask_b32_e64 v3, v3, 0xffffff82, vcc_lo
	v_add3_u32 v7, v25, v3, v7
	v_and_b32_e32 v3, 0x1fffff, v6
                                        ; implicit-def: $vgpr6
	s_delay_alu instid0(VALU_DEP_1) | instskip(SKIP_1) | instid1(VALU_DEP_2)
	v_dual_add_nc_u32 v16, 14, v7 :: v_dual_add_nc_u32 v2, v3, v2
	v_mov_b32_e32 v3, v113
	v_cmpx_ne_u32_e32 0, v16
	s_xor_b32 s14, exec_lo, s14
; %bb.27002:                            ;   in Loop: Header=BB6_26858 Depth=3
	s_delay_alu instid0(VALU_DEP_2) | instskip(SKIP_2) | instid1(VALU_DEP_2)
	v_cmp_lt_u64_e32 vcc_lo, 0xffffff, v[2:3]
	v_add_nc_u32_e32 v6, 15, v7
	v_cndmask_b32_e64 v7, 0, 1, vcc_lo
	v_cndmask_b32_e32 v6, v16, v6, vcc_lo
	s_delay_alu instid0(VALU_DEP_2)
	v_lshrrev_b64 v[2:3], v7, v[2:3]
; %bb.27003:                            ;   in Loop: Header=BB6_26858 Depth=3
	s_and_not1_saveexec_b32 s14, s14
; %bb.27004:                            ;   in Loop: Header=BB6_26858 Depth=3
	s_delay_alu instid0(VALU_DEP_1)
	v_bfe_u32 v6, v2, 23, 1
; %bb.27005:                            ;   in Loop: Header=BB6_26858 Depth=3
	s_or_b32 exec_lo, exec_lo, s14
	s_delay_alu instid0(VALU_DEP_2) | instskip(NEXT) | instid1(VALU_DEP_2)
	v_lshrrev_b64 v[2:3], 21, v[2:3]
	v_cmp_gt_i32_e32 vcc_lo, 32, v6
	v_min_i32_e32 v7, 31, v6
	v_cmp_eq_u32_e64 s14, 0, v6
	s_delay_alu instid0(VALU_DEP_4) | instskip(NEXT) | instid1(VALU_DEP_3)
	v_cndmask_b32_e32 v3, 0, v3, vcc_lo
	v_dual_cndmask_b32 v2, 3, v2 :: v_dual_lshlrev_b32 v7, 2, v7
	s_delay_alu instid0(VALU_DEP_1) | instskip(NEXT) | instid1(VALU_DEP_2)
	v_and_b32_e32 v7, 0xfc, v7
	v_cmp_eq_u64_e32 vcc_lo, 0, v[2:3]
	s_delay_alu instid0(VALU_DEP_2)
	v_and_or_b32 v2, v2, 3, v7
	s_and_b32 s14, s14, vcc_lo
	s_delay_alu instid0(VALU_DEP_1) | instid1(SALU_CYCLE_1)
	v_cndmask_b32_e64 v2, v2, 0, s14
	s_delay_alu instid0(VALU_DEP_1)
	v_or_b32_e32 v16, v2, v1
.LBB6_27006:                            ;   in Loop: Header=BB6_26858 Depth=3
	s_or_b32 exec_lo, exec_lo, s78
                                        ; implicit-def: $vgpr1
.LBB6_27007:                            ;   in Loop: Header=BB6_26858 Depth=3
	s_and_not1_saveexec_b32 s14, s77
; %bb.27008:                            ;   in Loop: Header=BB6_26858 Depth=3
	v_or_b32_e32 v16, 0x7b, v1
; %bb.27009:                            ;   in Loop: Header=BB6_26858 Depth=3
	s_or_b32 exec_lo, exec_lo, s14
                                        ; implicit-def: $vgpr6
                                        ; implicit-def: $vgpr2_vgpr3
                                        ; implicit-def: $vgpr1
.LBB6_27010:                            ;   in Loop: Header=BB6_26858 Depth=3
	s_and_not1_saveexec_b32 s14, s76
	s_cbranch_execz .LBB6_27016
; %bb.27011:                            ;   in Loop: Header=BB6_26858 Depth=3
	s_mov_b32 s76, exec_lo
                                        ; implicit-def: $vgpr16
	v_cmpx_ne_u64_e32 0, v[2:3]
	s_xor_b32 s76, exec_lo, s76
; %bb.27012:                            ;   in Loop: Header=BB6_26858 Depth=3
	v_or_b32_e32 v16, 0x7f, v1
                                        ; implicit-def: $vgpr6
; %bb.27013:                            ;   in Loop: Header=BB6_26858 Depth=3
	s_and_not1_saveexec_b32 s76, s76
; %bb.27014:                            ;   in Loop: Header=BB6_26858 Depth=3
	v_cmp_lt_i32_e32 vcc_lo, -1, v6
	v_mov_b32_e32 v1, 0x7c
	s_delay_alu instid0(VALU_DEP_1)
	v_cndmask_b32_e32 v16, 0xfc, v1, vcc_lo
; %bb.27015:                            ;   in Loop: Header=BB6_26858 Depth=3
	s_or_b32 exec_lo, exec_lo, s76
.LBB6_27016:                            ;   in Loop: Header=BB6_26858 Depth=3
	s_delay_alu instid0(SALU_CYCLE_1) | instskip(SKIP_3) | instid1(VALU_DEP_2)
	s_or_b32 exec_lo, exec_lo, s14
	v_lshrrev_b16 v2, 8, v0
	v_mov_b32_e32 v6, 0
	s_mov_b32 s14, exec_lo
	v_cmpx_ne_u16_e32 0, v2
	s_cbranch_execz .LBB6_27026
; %bb.27017:                            ;   in Loop: Header=BB6_26858 Depth=3
	v_bfrev_b32_e32 v6, 1
	s_mov_b32 s76, exec_lo
	v_cmpx_ne_u16_e32 0x80, v2
	s_cbranch_execz .LBB6_27025
; %bb.27018:                            ;   in Loop: Header=BB6_26858 Depth=3
	v_and_b32_e32 v1, 0xffff, v2
	s_delay_alu instid0(VALU_DEP_1) | instskip(SKIP_1) | instid1(VALU_DEP_2)
	v_and_b32_e32 v6, 0x7c, v1
	v_and_b32_e32 v3, 3, v1
	v_cmp_ne_u32_e32 vcc_lo, 0x7c, v6
                                        ; implicit-def: $vgpr6
	s_and_saveexec_b32 s77, vcc_lo
	s_delay_alu instid0(SALU_CYCLE_1)
	s_xor_b32 s77, exec_lo, s77
	s_cbranch_execz .LBB6_27022
; %bb.27019:                            ;   in Loop: Header=BB6_26858 Depth=3
	v_bfe_u32 v1, v1, 2, 5
	s_mov_b32 s78, exec_lo
	s_delay_alu instid0(VALU_DEP_1)
	v_cmpx_eq_u32_e32 0, v1
	s_cbranch_execz .LBB6_27021
; %bb.27020:                            ;   in Loop: Header=BB6_26858 Depth=3
	v_clz_i32_u32_e32 v1, v3
	s_delay_alu instid0(VALU_DEP_1) | instskip(SKIP_1) | instid1(VALU_DEP_2)
	v_min_u32_e32 v1, 32, v1
	v_mov_b32_e32 v3, v113
	v_subrev_nc_u32_e32 v6, 29, v1
	v_sub_nc_u32_e32 v1, 30, v1
	s_delay_alu instid0(VALU_DEP_2) | instskip(NEXT) | instid1(VALU_DEP_1)
	v_lshlrev_b64_e32 v[2:3], v6, v[2:3]
	v_and_b32_e32 v3, 3, v2
.LBB6_27021:                            ;   in Loop: Header=BB6_26858 Depth=3
	s_or_b32 exec_lo, exec_lo, s78
	v_lshlrev_b32_e32 v0, 16, v0
	s_delay_alu instid0(VALU_DEP_1) | instskip(NEXT) | instid1(VALU_DEP_1)
	v_and_b32_e32 v0, 0x80000000, v0
	v_lshl_add_u32 v0, v1, 23, v0
	s_delay_alu instid0(VALU_DEP_1) | instskip(NEXT) | instid1(VALU_DEP_1)
	v_lshl_or_b32 v0, v3, 21, v0
                                        ; implicit-def: $vgpr3
	v_add_nc_u32_e32 v6, 0x38000000, v0
                                        ; implicit-def: $vgpr0_vgpr1
.LBB6_27022:                            ;   in Loop: Header=BB6_26858 Depth=3
	s_and_not1_saveexec_b32 s77, s77
; %bb.27023:                            ;   in Loop: Header=BB6_26858 Depth=3
	v_cmp_lt_i16_e32 vcc_lo, -1, v0
	v_mov_b32_e32 v0, 0x7f800000
	s_delay_alu instid0(VALU_DEP_1) | instskip(SKIP_1) | instid1(VALU_DEP_2)
	v_cndmask_b32_e32 v0, 0xff800000, v0, vcc_lo
	v_cmp_eq_u32_e32 vcc_lo, 0, v3
	v_cndmask_b32_e32 v6, 0x7f800001, v0, vcc_lo
; %bb.27024:                            ;   in Loop: Header=BB6_26858 Depth=3
	s_or_b32 exec_lo, exec_lo, s77
.LBB6_27025:                            ;   in Loop: Header=BB6_26858 Depth=3
	s_delay_alu instid0(SALU_CYCLE_1)
	s_or_b32 exec_lo, exec_lo, s76
.LBB6_27026:                            ;   in Loop: Header=BB6_26858 Depth=3
	s_delay_alu instid0(SALU_CYCLE_1) | instskip(NEXT) | instid1(VALU_DEP_1)
	s_or_b32 exec_lo, exec_lo, s14
	v_dual_mul_f32 v2, s75, v6 :: v_dual_mov_b32 v7, v113
	v_mov_b32_e32 v1, v113
                                        ; implicit-def: $vgpr35
	s_mov_b32 s14, exec_lo
	s_delay_alu instid0(VALU_DEP_2) | instskip(SKIP_2) | instid1(VALU_DEP_3)
	v_and_b32_e32 v6, 0x7f800000, v2
	v_and_b32_e32 v0, 0x7fffff, v2
	v_lshrrev_b32_e32 v3, 24, v2
	v_cmpx_ne_u64_e32 0x7f800000, v[6:7]
	s_xor_b32 s76, exec_lo, s14
	s_cbranch_execz .LBB6_27040
; %bb.27027:                            ;   in Loop: Header=BB6_26858 Depth=3
	v_and_b32_e32 v6, 0x7fffffff, v2
	v_mov_b32_e32 v7, v113
                                        ; implicit-def: $vgpr35
	s_delay_alu instid0(VALU_DEP_1) | instskip(SKIP_2) | instid1(SALU_CYCLE_1)
	v_cmp_gt_u64_e32 vcc_lo, 0x47600001, v[6:7]
	v_and_b32_e32 v6, 0x80, v3
	s_and_saveexec_b32 s14, vcc_lo
	s_xor_b32 s77, exec_lo, s14
	s_cbranch_execz .LBB6_27037
; %bb.27028:                            ;   in Loop: Header=BB6_26858 Depth=3
	v_mov_b32_e32 v35, 0
	s_mov_b32 s78, exec_lo
	v_cmpx_ne_u32_e32 0, v2
	s_cbranch_execz .LBB6_27036
; %bb.27029:                            ;   in Loop: Header=BB6_26858 Depth=3
	v_bfe_u32 v7, v2, 23, 8
	v_or_b32_e32 v27, 0x800000, v0
	s_delay_alu instid0(VALU_DEP_2) | instskip(SKIP_1) | instid1(VALU_DEP_2)
	v_sub_nc_u32_e32 v2, 0x71, v7
	v_cmp_gt_u32_e32 vcc_lo, 0x72, v7
	v_cndmask_b32_e32 v2, 0, v2, vcc_lo
	v_cmp_eq_u32_e32 vcc_lo, 0, v7
	s_delay_alu instid0(VALU_DEP_2) | instskip(NEXT) | instid1(VALU_DEP_1)
	v_cndmask_b32_e64 v25, v2, 0x70, vcc_lo
	v_dual_cndmask_b32 v0, v27, v0, vcc_lo :: v_dual_add_nc_u32 v2, 21, v25
	v_add_nc_u32_e32 v28, 20, v25
	s_delay_alu instid0(VALU_DEP_2) | instskip(NEXT) | instid1(VALU_DEP_2)
	v_lshlrev_b64_e64 v[2:3], v2, -1
	v_lshlrev_b64_e64 v[30:31], v28, 1
	s_delay_alu instid0(VALU_DEP_2) | instskip(SKIP_1) | instid1(VALU_DEP_4)
	v_bfi_b32 v2, v2, 0, v0
	v_lshrrev_b64 v[0:1], v25, v[0:1]
	v_bfi_b32 v3, v3, 0, 0
	s_delay_alu instid0(VALU_DEP_1) | instskip(NEXT) | instid1(VALU_DEP_3)
	v_cmp_eq_u64_e64 s14, v[2:3], v[30:31]
	v_mov_b64_e32 v[2:3], v[0:1]
	s_and_saveexec_b32 s79, s14
; %bb.27030:                            ;   in Loop: Header=BB6_26858 Depth=3
	v_bfe_u32 v2, v0, 21, 1
	v_mov_b32_e32 v3, v113
	s_delay_alu instid0(VALU_DEP_1) | instskip(NEXT) | instid1(VALU_DEP_1)
	v_add_nc_u64_e32 v[2:3], v[0:1], v[2:3]
	v_add_nc_u64_e32 v[2:3], -1, v[2:3]
; %bb.27031:                            ;   in Loop: Header=BB6_26858 Depth=3
	s_or_b32 exec_lo, exec_lo, s79
	v_add_nc_u32_e32 v1, 0xffffff81, v7
	v_lshrrev_b32_e32 v3, 23, v0
	s_mov_b32 s14, exec_lo
	s_delay_alu instid0(VALU_DEP_2) | instskip(NEXT) | instid1(VALU_DEP_1)
	v_cndmask_b32_e64 v1, v1, 0xffffff82, vcc_lo
	v_add3_u32 v3, v25, v1, v3
	v_and_b32_e32 v1, 0x1fffff, v2
                                        ; implicit-def: $vgpr2
	s_delay_alu instid0(VALU_DEP_1) | instskip(SKIP_1) | instid1(VALU_DEP_2)
	v_dual_add_nc_u32 v7, 14, v3 :: v_dual_add_nc_u32 v0, v1, v0
	v_mov_b32_e32 v1, v113
	v_cmpx_ne_u32_e32 0, v7
	s_xor_b32 s14, exec_lo, s14
; %bb.27032:                            ;   in Loop: Header=BB6_26858 Depth=3
	s_delay_alu instid0(VALU_DEP_2) | instskip(SKIP_2) | instid1(VALU_DEP_2)
	v_cmp_lt_u64_e32 vcc_lo, 0xffffff, v[0:1]
	v_add_nc_u32_e32 v2, 15, v3
	v_cndmask_b32_e64 v3, 0, 1, vcc_lo
	v_cndmask_b32_e32 v2, v7, v2, vcc_lo
	s_delay_alu instid0(VALU_DEP_2)
	v_lshrrev_b64 v[0:1], v3, v[0:1]
; %bb.27033:                            ;   in Loop: Header=BB6_26858 Depth=3
	s_and_not1_saveexec_b32 s14, s14
; %bb.27034:                            ;   in Loop: Header=BB6_26858 Depth=3
	s_delay_alu instid0(VALU_DEP_1)
	v_bfe_u32 v2, v0, 23, 1
; %bb.27035:                            ;   in Loop: Header=BB6_26858 Depth=3
	s_or_b32 exec_lo, exec_lo, s14
	s_delay_alu instid0(VALU_DEP_2) | instskip(NEXT) | instid1(VALU_DEP_2)
	v_lshrrev_b64 v[0:1], 21, v[0:1]
	v_cmp_gt_i32_e32 vcc_lo, 32, v2
	v_min_i32_e32 v3, 31, v2
	v_cmp_eq_u32_e64 s14, 0, v2
	s_delay_alu instid0(VALU_DEP_2) | instskip(SKIP_1) | instid1(VALU_DEP_2)
	v_dual_cndmask_b32 v1, 0, v1, vcc_lo :: v_dual_lshlrev_b32 v3, 2, v3
	v_cndmask_b32_e32 v0, 3, v0, vcc_lo
	v_and_b32_e32 v3, 0xfc, v3
	s_delay_alu instid0(VALU_DEP_2) | instskip(NEXT) | instid1(VALU_DEP_2)
	v_cmp_eq_u64_e32 vcc_lo, 0, v[0:1]
	v_and_or_b32 v0, v0, 3, v3
	s_and_b32 s14, s14, vcc_lo
	s_delay_alu instid0(VALU_DEP_1) | instid1(SALU_CYCLE_1)
	v_cndmask_b32_e64 v0, v0, 0, s14
	s_delay_alu instid0(VALU_DEP_1)
	v_or_b32_e32 v35, v0, v6
.LBB6_27036:                            ;   in Loop: Header=BB6_26858 Depth=3
	s_or_b32 exec_lo, exec_lo, s78
                                        ; implicit-def: $vgpr6
.LBB6_27037:                            ;   in Loop: Header=BB6_26858 Depth=3
	s_and_not1_saveexec_b32 s14, s77
; %bb.27038:                            ;   in Loop: Header=BB6_26858 Depth=3
	v_or_b32_e32 v35, 0x7b, v6
; %bb.27039:                            ;   in Loop: Header=BB6_26858 Depth=3
	s_or_b32 exec_lo, exec_lo, s14
                                        ; implicit-def: $vgpr2
                                        ; implicit-def: $vgpr0_vgpr1
                                        ; implicit-def: $vgpr3
.LBB6_27040:                            ;   in Loop: Header=BB6_26858 Depth=3
	s_and_not1_saveexec_b32 s14, s76
	s_cbranch_execz .LBB6_27046
; %bb.27041:                            ;   in Loop: Header=BB6_26858 Depth=3
	s_mov_b32 s76, exec_lo
                                        ; implicit-def: $vgpr35
	v_cmpx_ne_u64_e32 0, v[0:1]
	s_xor_b32 s76, exec_lo, s76
; %bb.27042:                            ;   in Loop: Header=BB6_26858 Depth=3
	v_or_b32_e32 v35, 0x7f, v3
                                        ; implicit-def: $vgpr2
; %bb.27043:                            ;   in Loop: Header=BB6_26858 Depth=3
	s_and_not1_saveexec_b32 s76, s76
; %bb.27044:                            ;   in Loop: Header=BB6_26858 Depth=3
	v_cmp_lt_i32_e32 vcc_lo, -1, v2
	v_mov_b32_e32 v0, 0x7c
	s_delay_alu instid0(VALU_DEP_1)
	v_cndmask_b32_e32 v35, 0xfc, v0, vcc_lo
; %bb.27045:                            ;   in Loop: Header=BB6_26858 Depth=3
	s_or_b32 exec_lo, exec_lo, s76
.LBB6_27046:                            ;   in Loop: Header=BB6_26858 Depth=3
	s_delay_alu instid0(SALU_CYCLE_1) | instskip(SKIP_2) | instid1(VALU_DEP_1)
	s_or_b32 exec_lo, exec_lo, s14
	v_dual_mov_b32 v1, 0 :: v_dual_lshrrev_b32 v0, 16, v9
	s_mov_b32 s14, exec_lo
	v_and_b32_e32 v2, 0xff, v0
	s_delay_alu instid0(VALU_DEP_1)
	v_cmpx_ne_u16_e32 0, v2
	s_cbranch_execz .LBB6_27056
; %bb.27047:                            ;   in Loop: Header=BB6_26858 Depth=3
	v_bfrev_b32_e32 v1, 1
	s_mov_b32 s76, exec_lo
	v_cmpx_ne_u16_e32 0x80, v2
	s_cbranch_execz .LBB6_27055
; %bb.27048:                            ;   in Loop: Header=BB6_26858 Depth=3
	v_and_b32_e32 v1, 0x7c0000, v9
	v_bfe_u32 v2, v9, 16, 2
	s_delay_alu instid0(VALU_DEP_2) | instskip(SKIP_1) | instid1(SALU_CYCLE_1)
	v_cmp_ne_u32_e32 vcc_lo, 0x7c0000, v1
                                        ; implicit-def: $vgpr1
	s_and_saveexec_b32 s77, vcc_lo
	s_xor_b32 s77, exec_lo, s77
	s_cbranch_execz .LBB6_27052
; %bb.27049:                            ;   in Loop: Header=BB6_26858 Depth=3
	v_bfe_u32 v1, v9, 18, 5
	s_mov_b32 s78, exec_lo
	s_delay_alu instid0(VALU_DEP_1)
	v_cmpx_eq_u32_e32 0, v1
; %bb.27050:                            ;   in Loop: Header=BB6_26858 Depth=3
	v_clz_i32_u32_e32 v1, v2
	s_delay_alu instid0(VALU_DEP_1) | instskip(NEXT) | instid1(VALU_DEP_1)
	v_min_u32_e32 v1, 32, v1
	v_subrev_nc_u32_e32 v2, 29, v1
	s_delay_alu instid0(VALU_DEP_1) | instskip(NEXT) | instid1(VALU_DEP_1)
	v_lshlrev_b64_e32 v[2:3], v2, v[0:1]
	v_dual_sub_nc_u32 v1, 30, v1 :: v_dual_bitop2_b32 v2, 3, v2 bitop3:0x40
; %bb.27051:                            ;   in Loop: Header=BB6_26858 Depth=3
	s_or_b32 exec_lo, exec_lo, s78
	v_lshlrev_b32_e32 v0, 24, v0
	s_delay_alu instid0(VALU_DEP_1) | instskip(NEXT) | instid1(VALU_DEP_1)
	v_and_b32_e32 v0, 0x80000000, v0
	v_lshl_add_u32 v0, v1, 23, v0
	s_delay_alu instid0(VALU_DEP_1) | instskip(NEXT) | instid1(VALU_DEP_1)
	v_lshl_or_b32 v0, v2, 21, v0
                                        ; implicit-def: $vgpr2
	v_add_nc_u32_e32 v1, 0x38000000, v0
                                        ; implicit-def: $vgpr0
.LBB6_27052:                            ;   in Loop: Header=BB6_26858 Depth=3
	s_and_not1_saveexec_b32 s77, s77
; %bb.27053:                            ;   in Loop: Header=BB6_26858 Depth=3
	v_bfe_i32 v0, v0, 0, 8
	s_delay_alu instid0(VALU_DEP_1) | instskip(SKIP_1) | instid1(VALU_DEP_1)
	v_cmp_lt_i16_e32 vcc_lo, -1, v0
	v_mov_b32_e32 v0, 0x7f800000
	v_cndmask_b32_e32 v0, 0xff800000, v0, vcc_lo
	v_cmp_eq_u32_e32 vcc_lo, 0, v2
	s_delay_alu instid0(VALU_DEP_2)
	v_cndmask_b32_e32 v1, 0x7f800001, v0, vcc_lo
; %bb.27054:                            ;   in Loop: Header=BB6_26858 Depth=3
	s_or_b32 exec_lo, exec_lo, s77
.LBB6_27055:                            ;   in Loop: Header=BB6_26858 Depth=3
	s_delay_alu instid0(SALU_CYCLE_1)
	s_or_b32 exec_lo, exec_lo, s76
.LBB6_27056:                            ;   in Loop: Header=BB6_26858 Depth=3
	s_delay_alu instid0(SALU_CYCLE_1) | instskip(NEXT) | instid1(VALU_DEP_1)
	s_or_b32 exec_lo, exec_lo, s14
	v_dual_mul_f32 v2, s75, v1 :: v_dual_mov_b32 v7, v113
	v_mov_b32_e32 v1, v113
                                        ; implicit-def: $vgpr37
	s_mov_b32 s14, exec_lo
	s_delay_alu instid0(VALU_DEP_2) | instskip(SKIP_2) | instid1(VALU_DEP_3)
	v_and_b32_e32 v6, 0x7f800000, v2
	v_and_b32_e32 v0, 0x7fffff, v2
	v_lshrrev_b32_e32 v3, 24, v2
	v_cmpx_ne_u64_e32 0x7f800000, v[6:7]
	s_xor_b32 s76, exec_lo, s14
	s_cbranch_execz .LBB6_27070
; %bb.27057:                            ;   in Loop: Header=BB6_26858 Depth=3
	v_and_b32_e32 v6, 0x7fffffff, v2
	v_mov_b32_e32 v7, v113
                                        ; implicit-def: $vgpr37
	s_delay_alu instid0(VALU_DEP_1) | instskip(SKIP_2) | instid1(SALU_CYCLE_1)
	v_cmp_gt_u64_e32 vcc_lo, 0x47600001, v[6:7]
	v_and_b32_e32 v6, 0x80, v3
	s_and_saveexec_b32 s14, vcc_lo
	s_xor_b32 s77, exec_lo, s14
	s_cbranch_execz .LBB6_27067
; %bb.27058:                            ;   in Loop: Header=BB6_26858 Depth=3
	v_mov_b32_e32 v37, 0
	s_mov_b32 s78, exec_lo
	v_cmpx_ne_u32_e32 0, v2
	s_cbranch_execz .LBB6_27066
; %bb.27059:                            ;   in Loop: Header=BB6_26858 Depth=3
	v_bfe_u32 v7, v2, 23, 8
	v_or_b32_e32 v27, 0x800000, v0
	s_delay_alu instid0(VALU_DEP_2) | instskip(SKIP_1) | instid1(VALU_DEP_2)
	v_sub_nc_u32_e32 v2, 0x71, v7
	v_cmp_gt_u32_e32 vcc_lo, 0x72, v7
	v_cndmask_b32_e32 v2, 0, v2, vcc_lo
	v_cmp_eq_u32_e32 vcc_lo, 0, v7
	s_delay_alu instid0(VALU_DEP_2) | instskip(NEXT) | instid1(VALU_DEP_1)
	v_cndmask_b32_e64 v25, v2, 0x70, vcc_lo
	v_dual_cndmask_b32 v0, v27, v0, vcc_lo :: v_dual_add_nc_u32 v2, 21, v25
	v_add_nc_u32_e32 v28, 20, v25
	s_delay_alu instid0(VALU_DEP_2) | instskip(NEXT) | instid1(VALU_DEP_2)
	v_lshlrev_b64_e64 v[2:3], v2, -1
	v_lshlrev_b64_e64 v[30:31], v28, 1
	s_delay_alu instid0(VALU_DEP_2) | instskip(SKIP_1) | instid1(VALU_DEP_4)
	v_bfi_b32 v2, v2, 0, v0
	v_lshrrev_b64 v[0:1], v25, v[0:1]
	v_bfi_b32 v3, v3, 0, 0
	s_delay_alu instid0(VALU_DEP_1) | instskip(NEXT) | instid1(VALU_DEP_3)
	v_cmp_eq_u64_e64 s14, v[2:3], v[30:31]
	v_mov_b64_e32 v[2:3], v[0:1]
	s_and_saveexec_b32 s79, s14
; %bb.27060:                            ;   in Loop: Header=BB6_26858 Depth=3
	v_bfe_u32 v2, v0, 21, 1
	v_mov_b32_e32 v3, v113
	s_delay_alu instid0(VALU_DEP_1) | instskip(NEXT) | instid1(VALU_DEP_1)
	v_add_nc_u64_e32 v[2:3], v[0:1], v[2:3]
	v_add_nc_u64_e32 v[2:3], -1, v[2:3]
; %bb.27061:                            ;   in Loop: Header=BB6_26858 Depth=3
	s_or_b32 exec_lo, exec_lo, s79
	v_add_nc_u32_e32 v1, 0xffffff81, v7
	v_lshrrev_b32_e32 v3, 23, v0
	s_mov_b32 s14, exec_lo
	s_delay_alu instid0(VALU_DEP_2) | instskip(NEXT) | instid1(VALU_DEP_1)
	v_cndmask_b32_e64 v1, v1, 0xffffff82, vcc_lo
	v_add3_u32 v3, v25, v1, v3
	v_and_b32_e32 v1, 0x1fffff, v2
                                        ; implicit-def: $vgpr2
	s_delay_alu instid0(VALU_DEP_1) | instskip(SKIP_1) | instid1(VALU_DEP_2)
	v_dual_add_nc_u32 v7, 14, v3 :: v_dual_add_nc_u32 v0, v1, v0
	v_mov_b32_e32 v1, v113
	v_cmpx_ne_u32_e32 0, v7
	s_xor_b32 s14, exec_lo, s14
; %bb.27062:                            ;   in Loop: Header=BB6_26858 Depth=3
	s_delay_alu instid0(VALU_DEP_2) | instskip(SKIP_2) | instid1(VALU_DEP_2)
	v_cmp_lt_u64_e32 vcc_lo, 0xffffff, v[0:1]
	v_add_nc_u32_e32 v2, 15, v3
	v_cndmask_b32_e64 v3, 0, 1, vcc_lo
	v_cndmask_b32_e32 v2, v7, v2, vcc_lo
	s_delay_alu instid0(VALU_DEP_2)
	v_lshrrev_b64 v[0:1], v3, v[0:1]
; %bb.27063:                            ;   in Loop: Header=BB6_26858 Depth=3
	s_and_not1_saveexec_b32 s14, s14
; %bb.27064:                            ;   in Loop: Header=BB6_26858 Depth=3
	s_delay_alu instid0(VALU_DEP_1)
	v_bfe_u32 v2, v0, 23, 1
; %bb.27065:                            ;   in Loop: Header=BB6_26858 Depth=3
	s_or_b32 exec_lo, exec_lo, s14
	s_delay_alu instid0(VALU_DEP_2) | instskip(NEXT) | instid1(VALU_DEP_2)
	v_lshrrev_b64 v[0:1], 21, v[0:1]
	v_cmp_gt_i32_e32 vcc_lo, 32, v2
	v_min_i32_e32 v3, 31, v2
	v_cmp_eq_u32_e64 s14, 0, v2
	s_delay_alu instid0(VALU_DEP_2) | instskip(SKIP_1) | instid1(VALU_DEP_2)
	v_dual_cndmask_b32 v1, 0, v1, vcc_lo :: v_dual_lshlrev_b32 v3, 2, v3
	v_cndmask_b32_e32 v0, 3, v0, vcc_lo
	v_and_b32_e32 v3, 0xfc, v3
	s_delay_alu instid0(VALU_DEP_2) | instskip(NEXT) | instid1(VALU_DEP_2)
	v_cmp_eq_u64_e32 vcc_lo, 0, v[0:1]
	v_and_or_b32 v0, v0, 3, v3
	s_and_b32 s14, s14, vcc_lo
	s_delay_alu instid0(VALU_DEP_1) | instid1(SALU_CYCLE_1)
	v_cndmask_b32_e64 v0, v0, 0, s14
	s_delay_alu instid0(VALU_DEP_1)
	v_or_b32_e32 v37, v0, v6
.LBB6_27066:                            ;   in Loop: Header=BB6_26858 Depth=3
	s_or_b32 exec_lo, exec_lo, s78
                                        ; implicit-def: $vgpr6
.LBB6_27067:                            ;   in Loop: Header=BB6_26858 Depth=3
	s_and_not1_saveexec_b32 s14, s77
; %bb.27068:                            ;   in Loop: Header=BB6_26858 Depth=3
	v_or_b32_e32 v37, 0x7b, v6
; %bb.27069:                            ;   in Loop: Header=BB6_26858 Depth=3
	s_or_b32 exec_lo, exec_lo, s14
                                        ; implicit-def: $vgpr2
                                        ; implicit-def: $vgpr0_vgpr1
                                        ; implicit-def: $vgpr3
.LBB6_27070:                            ;   in Loop: Header=BB6_26858 Depth=3
	s_and_not1_saveexec_b32 s14, s76
	s_cbranch_execz .LBB6_27076
; %bb.27071:                            ;   in Loop: Header=BB6_26858 Depth=3
	s_mov_b32 s76, exec_lo
                                        ; implicit-def: $vgpr37
	v_cmpx_ne_u64_e32 0, v[0:1]
	s_xor_b32 s76, exec_lo, s76
; %bb.27072:                            ;   in Loop: Header=BB6_26858 Depth=3
	v_or_b32_e32 v37, 0x7f, v3
                                        ; implicit-def: $vgpr2
; %bb.27073:                            ;   in Loop: Header=BB6_26858 Depth=3
	s_and_not1_saveexec_b32 s76, s76
; %bb.27074:                            ;   in Loop: Header=BB6_26858 Depth=3
	v_cmp_lt_i32_e32 vcc_lo, -1, v2
	v_mov_b32_e32 v0, 0x7c
	s_delay_alu instid0(VALU_DEP_1)
	v_cndmask_b32_e32 v37, 0xfc, v0, vcc_lo
; %bb.27075:                            ;   in Loop: Header=BB6_26858 Depth=3
	s_or_b32 exec_lo, exec_lo, s76
.LBB6_27076:                            ;   in Loop: Header=BB6_26858 Depth=3
	s_delay_alu instid0(SALU_CYCLE_1)
	s_or_b32 exec_lo, exec_lo, s14
	v_mov_b32_e32 v1, 0
	s_mov_b32 s14, exec_lo
	v_cmpx_lt_u64_e64 s[22:23], v[8:9]
	s_cbranch_execz .LBB6_27086
; %bb.27077:                            ;   in Loop: Header=BB6_26858 Depth=3
	v_lshrrev_b32_e32 v0, 24, v9
	v_bfrev_b32_e32 v1, 1
	s_mov_b32 s76, exec_lo
	s_delay_alu instid0(VALU_DEP_2)
	v_cmpx_ne_u32_e32 0x80, v0
	s_cbranch_execz .LBB6_27085
; %bb.27078:                            ;   in Loop: Header=BB6_26858 Depth=3
	v_and_b32_e32 v1, 0x7c000000, v9
	v_bfe_u32 v2, v9, 24, 2
	s_delay_alu instid0(VALU_DEP_2) | instskip(SKIP_1) | instid1(SALU_CYCLE_1)
	v_cmp_ne_u32_e32 vcc_lo, 0x7c000000, v1
                                        ; implicit-def: $vgpr1
	s_and_saveexec_b32 s77, vcc_lo
	s_xor_b32 s77, exec_lo, s77
	s_cbranch_execz .LBB6_27082
; %bb.27079:                            ;   in Loop: Header=BB6_26858 Depth=3
	v_bfe_u32 v1, v9, 26, 5
	s_mov_b32 s78, exec_lo
	s_delay_alu instid0(VALU_DEP_1)
	v_cmpx_eq_u32_e32 0, v1
; %bb.27080:                            ;   in Loop: Header=BB6_26858 Depth=3
	v_clz_i32_u32_e32 v1, v2
	s_delay_alu instid0(VALU_DEP_1) | instskip(NEXT) | instid1(VALU_DEP_1)
	v_min_u32_e32 v2, 32, v1
	v_subrev_nc_u32_e32 v1, 29, v2
	s_delay_alu instid0(VALU_DEP_1) | instskip(NEXT) | instid1(VALU_DEP_1)
	v_lshlrev_b64_e32 v[0:1], v1, v[0:1]
	v_dual_sub_nc_u32 v1, 30, v2 :: v_dual_bitop2_b32 v2, 3, v0 bitop3:0x40
; %bb.27081:                            ;   in Loop: Header=BB6_26858 Depth=3
	s_or_b32 exec_lo, exec_lo, s78
	v_and_b32_e32 v0, 0x80000000, v9
	s_delay_alu instid0(VALU_DEP_1) | instskip(NEXT) | instid1(VALU_DEP_1)
	v_lshl_add_u32 v0, v1, 23, v0
	v_lshl_or_b32 v0, v2, 21, v0
                                        ; implicit-def: $vgpr2
	s_delay_alu instid0(VALU_DEP_1)
	v_add_nc_u32_e32 v1, 0x38000000, v0
.LBB6_27082:                            ;   in Loop: Header=BB6_26858 Depth=3
	s_and_not1_saveexec_b32 s77, s77
; %bb.27083:                            ;   in Loop: Header=BB6_26858 Depth=3
	v_cmp_lt_i64_e32 vcc_lo, -1, v[8:9]
	v_mov_b32_e32 v0, 0x7f800000
	s_delay_alu instid0(VALU_DEP_1) | instskip(SKIP_1) | instid1(VALU_DEP_2)
	v_cndmask_b32_e32 v0, 0xff800000, v0, vcc_lo
	v_cmp_eq_u32_e32 vcc_lo, 0, v2
	v_cndmask_b32_e32 v1, 0x7f800001, v0, vcc_lo
; %bb.27084:                            ;   in Loop: Header=BB6_26858 Depth=3
	s_or_b32 exec_lo, exec_lo, s77
.LBB6_27085:                            ;   in Loop: Header=BB6_26858 Depth=3
	s_delay_alu instid0(SALU_CYCLE_1)
	s_or_b32 exec_lo, exec_lo, s76
.LBB6_27086:                            ;   in Loop: Header=BB6_26858 Depth=3
	s_delay_alu instid0(SALU_CYCLE_1) | instskip(NEXT) | instid1(VALU_DEP_1)
	s_or_b32 exec_lo, exec_lo, s14
	v_dual_mul_f32 v2, s75, v1 :: v_dual_mov_b32 v7, v113
	v_mov_b32_e32 v1, v113
                                        ; implicit-def: $vgpr38
	s_mov_b32 s14, exec_lo
	s_delay_alu instid0(VALU_DEP_2) | instskip(SKIP_2) | instid1(VALU_DEP_3)
	v_and_b32_e32 v6, 0x7f800000, v2
	v_and_b32_e32 v0, 0x7fffff, v2
	v_lshrrev_b32_e32 v3, 24, v2
	v_cmpx_ne_u64_e32 0x7f800000, v[6:7]
	s_xor_b32 s76, exec_lo, s14
	s_cbranch_execz .LBB6_27100
; %bb.27087:                            ;   in Loop: Header=BB6_26858 Depth=3
	v_and_b32_e32 v6, 0x7fffffff, v2
	v_mov_b32_e32 v7, v113
                                        ; implicit-def: $vgpr38
	s_delay_alu instid0(VALU_DEP_1) | instskip(SKIP_2) | instid1(SALU_CYCLE_1)
	v_cmp_gt_u64_e32 vcc_lo, 0x47600001, v[6:7]
	v_and_b32_e32 v6, 0x80, v3
	s_and_saveexec_b32 s14, vcc_lo
	s_xor_b32 s77, exec_lo, s14
	s_cbranch_execz .LBB6_27097
; %bb.27088:                            ;   in Loop: Header=BB6_26858 Depth=3
	v_mov_b32_e32 v38, 0
	s_mov_b32 s78, exec_lo
	v_cmpx_ne_u32_e32 0, v2
	s_cbranch_execz .LBB6_27096
; %bb.27089:                            ;   in Loop: Header=BB6_26858 Depth=3
	v_bfe_u32 v7, v2, 23, 8
	v_or_b32_e32 v9, 0x800000, v0
	s_delay_alu instid0(VALU_DEP_2) | instskip(SKIP_1) | instid1(VALU_DEP_2)
	v_sub_nc_u32_e32 v2, 0x71, v7
	v_cmp_gt_u32_e32 vcc_lo, 0x72, v7
	v_cndmask_b32_e32 v2, 0, v2, vcc_lo
	v_cmp_eq_u32_e32 vcc_lo, 0, v7
	s_delay_alu instid0(VALU_DEP_2) | instskip(SKIP_1) | instid1(VALU_DEP_2)
	v_cndmask_b32_e64 v8, v2, 0x70, vcc_lo
	v_cndmask_b32_e32 v0, v9, v0, vcc_lo
	v_dual_add_nc_u32 v2, 21, v8 :: v_dual_add_nc_u32 v25, 20, v8
	s_delay_alu instid0(VALU_DEP_1) | instskip(NEXT) | instid1(VALU_DEP_2)
	v_lshlrev_b64_e64 v[2:3], v2, -1
	v_lshlrev_b64_e64 v[30:31], v25, 1
	s_delay_alu instid0(VALU_DEP_2) | instskip(SKIP_1) | instid1(VALU_DEP_4)
	v_bfi_b32 v2, v2, 0, v0
	v_lshrrev_b64 v[0:1], v8, v[0:1]
	v_bfi_b32 v3, v3, 0, 0
	s_delay_alu instid0(VALU_DEP_1) | instskip(NEXT) | instid1(VALU_DEP_3)
	v_cmp_eq_u64_e64 s14, v[2:3], v[30:31]
	v_mov_b64_e32 v[2:3], v[0:1]
	s_and_saveexec_b32 s79, s14
; %bb.27090:                            ;   in Loop: Header=BB6_26858 Depth=3
	v_bfe_u32 v2, v0, 21, 1
	v_mov_b32_e32 v3, v113
	s_delay_alu instid0(VALU_DEP_1) | instskip(NEXT) | instid1(VALU_DEP_1)
	v_add_nc_u64_e32 v[2:3], v[0:1], v[2:3]
	v_add_nc_u64_e32 v[2:3], -1, v[2:3]
; %bb.27091:                            ;   in Loop: Header=BB6_26858 Depth=3
	s_or_b32 exec_lo, exec_lo, s79
	v_add_nc_u32_e32 v1, 0xffffff81, v7
	v_lshrrev_b32_e32 v3, 23, v0
	s_mov_b32 s14, exec_lo
	s_delay_alu instid0(VALU_DEP_2) | instskip(NEXT) | instid1(VALU_DEP_1)
	v_cndmask_b32_e64 v1, v1, 0xffffff82, vcc_lo
	v_add3_u32 v3, v8, v1, v3
	v_and_b32_e32 v1, 0x1fffff, v2
                                        ; implicit-def: $vgpr2
	s_delay_alu instid0(VALU_DEP_1) | instskip(SKIP_1) | instid1(VALU_DEP_2)
	v_dual_add_nc_u32 v7, 14, v3 :: v_dual_add_nc_u32 v0, v1, v0
	v_mov_b32_e32 v1, v113
	v_cmpx_ne_u32_e32 0, v7
	s_xor_b32 s14, exec_lo, s14
; %bb.27092:                            ;   in Loop: Header=BB6_26858 Depth=3
	s_delay_alu instid0(VALU_DEP_2) | instskip(SKIP_2) | instid1(VALU_DEP_2)
	v_cmp_lt_u64_e32 vcc_lo, 0xffffff, v[0:1]
	v_add_nc_u32_e32 v2, 15, v3
	v_cndmask_b32_e64 v3, 0, 1, vcc_lo
	v_cndmask_b32_e32 v2, v7, v2, vcc_lo
	s_delay_alu instid0(VALU_DEP_2)
	v_lshrrev_b64 v[0:1], v3, v[0:1]
; %bb.27093:                            ;   in Loop: Header=BB6_26858 Depth=3
	s_and_not1_saveexec_b32 s14, s14
; %bb.27094:                            ;   in Loop: Header=BB6_26858 Depth=3
	s_delay_alu instid0(VALU_DEP_1)
	v_bfe_u32 v2, v0, 23, 1
; %bb.27095:                            ;   in Loop: Header=BB6_26858 Depth=3
	s_or_b32 exec_lo, exec_lo, s14
	s_delay_alu instid0(VALU_DEP_2) | instskip(NEXT) | instid1(VALU_DEP_2)
	v_lshrrev_b64 v[0:1], 21, v[0:1]
	v_cmp_gt_i32_e32 vcc_lo, 32, v2
	v_min_i32_e32 v3, 31, v2
	v_cmp_eq_u32_e64 s14, 0, v2
	s_delay_alu instid0(VALU_DEP_2) | instskip(SKIP_1) | instid1(VALU_DEP_2)
	v_dual_cndmask_b32 v1, 0, v1, vcc_lo :: v_dual_lshlrev_b32 v3, 2, v3
	v_cndmask_b32_e32 v0, 3, v0, vcc_lo
	v_and_b32_e32 v3, 0xfc, v3
	s_delay_alu instid0(VALU_DEP_2) | instskip(NEXT) | instid1(VALU_DEP_2)
	v_cmp_eq_u64_e32 vcc_lo, 0, v[0:1]
	v_and_or_b32 v0, v0, 3, v3
	s_and_b32 s14, s14, vcc_lo
	s_delay_alu instid0(VALU_DEP_1) | instid1(SALU_CYCLE_1)
	v_cndmask_b32_e64 v0, v0, 0, s14
	s_delay_alu instid0(VALU_DEP_1)
	v_or_b32_e32 v38, v0, v6
.LBB6_27096:                            ;   in Loop: Header=BB6_26858 Depth=3
	s_or_b32 exec_lo, exec_lo, s78
                                        ; implicit-def: $vgpr6
.LBB6_27097:                            ;   in Loop: Header=BB6_26858 Depth=3
	s_and_not1_saveexec_b32 s14, s77
; %bb.27098:                            ;   in Loop: Header=BB6_26858 Depth=3
	v_or_b32_e32 v38, 0x7b, v6
; %bb.27099:                            ;   in Loop: Header=BB6_26858 Depth=3
	s_or_b32 exec_lo, exec_lo, s14
                                        ; implicit-def: $vgpr2
                                        ; implicit-def: $vgpr0_vgpr1
                                        ; implicit-def: $vgpr3
.LBB6_27100:                            ;   in Loop: Header=BB6_26858 Depth=3
	s_and_not1_saveexec_b32 s14, s76
	s_cbranch_execz .LBB6_27106
; %bb.27101:                            ;   in Loop: Header=BB6_26858 Depth=3
	s_mov_b32 s76, exec_lo
                                        ; implicit-def: $vgpr38
	v_cmpx_ne_u64_e32 0, v[0:1]
	s_xor_b32 s76, exec_lo, s76
; %bb.27102:                            ;   in Loop: Header=BB6_26858 Depth=3
	v_or_b32_e32 v38, 0x7f, v3
                                        ; implicit-def: $vgpr2
; %bb.27103:                            ;   in Loop: Header=BB6_26858 Depth=3
	s_and_not1_saveexec_b32 s76, s76
; %bb.27104:                            ;   in Loop: Header=BB6_26858 Depth=3
	v_cmp_lt_i32_e32 vcc_lo, -1, v2
	v_mov_b32_e32 v0, 0x7c
	s_delay_alu instid0(VALU_DEP_1)
	v_cndmask_b32_e32 v38, 0xfc, v0, vcc_lo
; %bb.27105:                            ;   in Loop: Header=BB6_26858 Depth=3
	s_or_b32 exec_lo, exec_lo, s76
.LBB6_27106:                            ;   in Loop: Header=BB6_26858 Depth=3
	s_delay_alu instid0(SALU_CYCLE_1) | instskip(SKIP_1) | instid1(VALU_DEP_1)
	s_or_b32 exec_lo, exec_lo, s14
	v_and_b32_e32 v0, 0xff, v10
	v_cmp_ne_u16_e32 vcc_lo, 0, v0
	v_mov_b32_e32 v0, 0
	s_and_saveexec_b32 s14, vcc_lo
	s_cbranch_execz .LBB6_27116
; %bb.27107:                            ;   in Loop: Header=BB6_26858 Depth=3
	v_bfe_i32 v2, v10, 0, 8
	v_bfrev_b32_e32 v0, 1
	s_mov_b32 s76, exec_lo
	s_delay_alu instid0(VALU_DEP_2)
	v_cmpx_ne_u16_e32 0xff80, v2
	s_cbranch_execz .LBB6_27115
; %bb.27108:                            ;   in Loop: Header=BB6_26858 Depth=3
	v_and_b32_e32 v0, 0x7c, v10
	v_and_b32_e32 v1, 3, v10
	s_delay_alu instid0(VALU_DEP_2) | instskip(SKIP_1) | instid1(SALU_CYCLE_1)
	v_cmp_ne_u32_e32 vcc_lo, 0x7c, v0
                                        ; implicit-def: $vgpr0
	s_and_saveexec_b32 s77, vcc_lo
	s_xor_b32 s77, exec_lo, s77
	s_cbranch_execz .LBB6_27112
; %bb.27109:                            ;   in Loop: Header=BB6_26858 Depth=3
	v_bfe_u32 v0, v10, 2, 5
	s_mov_b32 s78, exec_lo
	s_delay_alu instid0(VALU_DEP_1)
	v_cmpx_eq_u32_e32 0, v0
; %bb.27110:                            ;   in Loop: Header=BB6_26858 Depth=3
	v_clz_i32_u32_e32 v0, v1
	s_delay_alu instid0(VALU_DEP_1) | instskip(NEXT) | instid1(VALU_DEP_1)
	v_min_u32_e32 v0, 32, v0
	v_subrev_nc_u32_e32 v1, 29, v0
	s_delay_alu instid0(VALU_DEP_1) | instskip(NEXT) | instid1(VALU_DEP_1)
	v_lshlrev_b64_e32 v[2:3], v1, v[10:11]
	v_dual_sub_nc_u32 v0, 30, v0 :: v_dual_bitop2_b32 v1, 3, v2 bitop3:0x40
; %bb.27111:                            ;   in Loop: Header=BB6_26858 Depth=3
	s_or_b32 exec_lo, exec_lo, s78
	v_lshlrev_b32_e32 v2, 24, v10
	s_delay_alu instid0(VALU_DEP_1) | instskip(NEXT) | instid1(VALU_DEP_1)
	v_and_b32_e32 v2, 0x80000000, v2
	v_lshl_add_u32 v0, v0, 23, v2
                                        ; implicit-def: $vgpr2
	s_delay_alu instid0(VALU_DEP_1) | instskip(NEXT) | instid1(VALU_DEP_1)
	v_lshl_or_b32 v0, v1, 21, v0
                                        ; implicit-def: $vgpr1
	v_add_nc_u32_e32 v0, 0x38000000, v0
.LBB6_27112:                            ;   in Loop: Header=BB6_26858 Depth=3
	s_and_not1_saveexec_b32 s77, s77
; %bb.27113:                            ;   in Loop: Header=BB6_26858 Depth=3
	v_cmp_lt_i16_e32 vcc_lo, -1, v2
	v_mov_b32_e32 v0, 0x7f800000
	s_delay_alu instid0(VALU_DEP_1) | instskip(SKIP_1) | instid1(VALU_DEP_2)
	v_cndmask_b32_e32 v0, 0xff800000, v0, vcc_lo
	v_cmp_eq_u32_e32 vcc_lo, 0, v1
	v_cndmask_b32_e32 v0, 0x7f800001, v0, vcc_lo
; %bb.27114:                            ;   in Loop: Header=BB6_26858 Depth=3
	s_or_b32 exec_lo, exec_lo, s77
.LBB6_27115:                            ;   in Loop: Header=BB6_26858 Depth=3
	s_delay_alu instid0(SALU_CYCLE_1)
	s_or_b32 exec_lo, exec_lo, s76
.LBB6_27116:                            ;   in Loop: Header=BB6_26858 Depth=3
	s_delay_alu instid0(SALU_CYCLE_1) | instskip(NEXT) | instid1(VALU_DEP_1)
	s_or_b32 exec_lo, exec_lo, s14
	v_dual_mul_f32 v2, s75, v0 :: v_dual_mov_b32 v7, v113
	v_mov_b32_e32 v1, v113
                                        ; implicit-def: $vgpr27
	s_mov_b32 s14, exec_lo
	s_delay_alu instid0(VALU_DEP_2) | instskip(SKIP_2) | instid1(VALU_DEP_3)
	v_and_b32_e32 v6, 0x7f800000, v2
	v_and_b32_e32 v0, 0x7fffff, v2
	v_lshrrev_b32_e32 v3, 24, v2
	v_cmpx_ne_u64_e32 0x7f800000, v[6:7]
	s_xor_b32 s76, exec_lo, s14
	s_cbranch_execz .LBB6_27130
; %bb.27117:                            ;   in Loop: Header=BB6_26858 Depth=3
	v_and_b32_e32 v6, 0x7fffffff, v2
	v_mov_b32_e32 v7, v113
                                        ; implicit-def: $vgpr27
	s_delay_alu instid0(VALU_DEP_1) | instskip(SKIP_2) | instid1(SALU_CYCLE_1)
	v_cmp_gt_u64_e32 vcc_lo, 0x47600001, v[6:7]
	v_and_b32_e32 v6, 0x80, v3
	s_and_saveexec_b32 s14, vcc_lo
	s_xor_b32 s77, exec_lo, s14
	s_cbranch_execz .LBB6_27127
; %bb.27118:                            ;   in Loop: Header=BB6_26858 Depth=3
	v_mov_b32_e32 v27, 0
	s_mov_b32 s78, exec_lo
	v_cmpx_ne_u32_e32 0, v2
	s_cbranch_execz .LBB6_27126
; %bb.27119:                            ;   in Loop: Header=BB6_26858 Depth=3
	v_bfe_u32 v7, v2, 23, 8
	v_or_b32_e32 v9, 0x800000, v0
	s_delay_alu instid0(VALU_DEP_2) | instskip(SKIP_1) | instid1(VALU_DEP_2)
	v_sub_nc_u32_e32 v2, 0x71, v7
	v_cmp_gt_u32_e32 vcc_lo, 0x72, v7
	v_cndmask_b32_e32 v2, 0, v2, vcc_lo
	v_cmp_eq_u32_e32 vcc_lo, 0, v7
	s_delay_alu instid0(VALU_DEP_2) | instskip(SKIP_1) | instid1(VALU_DEP_2)
	v_cndmask_b32_e64 v8, v2, 0x70, vcc_lo
	v_cndmask_b32_e32 v0, v9, v0, vcc_lo
	v_dual_add_nc_u32 v2, 21, v8 :: v_dual_add_nc_u32 v25, 20, v8
	s_delay_alu instid0(VALU_DEP_1) | instskip(NEXT) | instid1(VALU_DEP_2)
	v_lshlrev_b64_e64 v[2:3], v2, -1
	v_lshlrev_b64_e64 v[30:31], v25, 1
	s_delay_alu instid0(VALU_DEP_2) | instskip(SKIP_1) | instid1(VALU_DEP_4)
	v_bfi_b32 v2, v2, 0, v0
	v_lshrrev_b64 v[0:1], v8, v[0:1]
	v_bfi_b32 v3, v3, 0, 0
	s_delay_alu instid0(VALU_DEP_1) | instskip(NEXT) | instid1(VALU_DEP_3)
	v_cmp_eq_u64_e64 s14, v[2:3], v[30:31]
	v_mov_b64_e32 v[2:3], v[0:1]
	s_and_saveexec_b32 s79, s14
; %bb.27120:                            ;   in Loop: Header=BB6_26858 Depth=3
	v_bfe_u32 v2, v0, 21, 1
	v_mov_b32_e32 v3, v113
	s_delay_alu instid0(VALU_DEP_1) | instskip(NEXT) | instid1(VALU_DEP_1)
	v_add_nc_u64_e32 v[2:3], v[0:1], v[2:3]
	v_add_nc_u64_e32 v[2:3], -1, v[2:3]
; %bb.27121:                            ;   in Loop: Header=BB6_26858 Depth=3
	s_or_b32 exec_lo, exec_lo, s79
	v_add_nc_u32_e32 v1, 0xffffff81, v7
	v_lshrrev_b32_e32 v3, 23, v0
	s_mov_b32 s14, exec_lo
	s_delay_alu instid0(VALU_DEP_2) | instskip(NEXT) | instid1(VALU_DEP_1)
	v_cndmask_b32_e64 v1, v1, 0xffffff82, vcc_lo
	v_add3_u32 v3, v8, v1, v3
	v_and_b32_e32 v1, 0x1fffff, v2
                                        ; implicit-def: $vgpr2
	s_delay_alu instid0(VALU_DEP_1) | instskip(SKIP_1) | instid1(VALU_DEP_2)
	v_dual_add_nc_u32 v7, 14, v3 :: v_dual_add_nc_u32 v0, v1, v0
	v_mov_b32_e32 v1, v113
	v_cmpx_ne_u32_e32 0, v7
	s_xor_b32 s14, exec_lo, s14
; %bb.27122:                            ;   in Loop: Header=BB6_26858 Depth=3
	s_delay_alu instid0(VALU_DEP_2) | instskip(SKIP_2) | instid1(VALU_DEP_2)
	v_cmp_lt_u64_e32 vcc_lo, 0xffffff, v[0:1]
	v_add_nc_u32_e32 v2, 15, v3
	v_cndmask_b32_e64 v3, 0, 1, vcc_lo
	v_cndmask_b32_e32 v2, v7, v2, vcc_lo
	s_delay_alu instid0(VALU_DEP_2)
	v_lshrrev_b64 v[0:1], v3, v[0:1]
; %bb.27123:                            ;   in Loop: Header=BB6_26858 Depth=3
	s_and_not1_saveexec_b32 s14, s14
; %bb.27124:                            ;   in Loop: Header=BB6_26858 Depth=3
	s_delay_alu instid0(VALU_DEP_1)
	v_bfe_u32 v2, v0, 23, 1
; %bb.27125:                            ;   in Loop: Header=BB6_26858 Depth=3
	s_or_b32 exec_lo, exec_lo, s14
	s_delay_alu instid0(VALU_DEP_2) | instskip(NEXT) | instid1(VALU_DEP_2)
	v_lshrrev_b64 v[0:1], 21, v[0:1]
	v_cmp_gt_i32_e32 vcc_lo, 32, v2
	v_min_i32_e32 v3, 31, v2
	v_cmp_eq_u32_e64 s14, 0, v2
	s_delay_alu instid0(VALU_DEP_2) | instskip(SKIP_1) | instid1(VALU_DEP_2)
	v_dual_cndmask_b32 v1, 0, v1, vcc_lo :: v_dual_lshlrev_b32 v3, 2, v3
	v_cndmask_b32_e32 v0, 3, v0, vcc_lo
	v_and_b32_e32 v3, 0xfc, v3
	s_delay_alu instid0(VALU_DEP_2) | instskip(NEXT) | instid1(VALU_DEP_2)
	v_cmp_eq_u64_e32 vcc_lo, 0, v[0:1]
	v_and_or_b32 v0, v0, 3, v3
	s_and_b32 s14, s14, vcc_lo
	s_delay_alu instid0(VALU_DEP_1) | instid1(SALU_CYCLE_1)
	v_cndmask_b32_e64 v0, v0, 0, s14
	s_delay_alu instid0(VALU_DEP_1)
	v_or_b32_e32 v27, v0, v6
.LBB6_27126:                            ;   in Loop: Header=BB6_26858 Depth=3
	s_or_b32 exec_lo, exec_lo, s78
                                        ; implicit-def: $vgpr6
.LBB6_27127:                            ;   in Loop: Header=BB6_26858 Depth=3
	s_and_not1_saveexec_b32 s14, s77
; %bb.27128:                            ;   in Loop: Header=BB6_26858 Depth=3
	v_or_b32_e32 v27, 0x7b, v6
; %bb.27129:                            ;   in Loop: Header=BB6_26858 Depth=3
	s_or_b32 exec_lo, exec_lo, s14
                                        ; implicit-def: $vgpr2
                                        ; implicit-def: $vgpr0_vgpr1
                                        ; implicit-def: $vgpr3
.LBB6_27130:                            ;   in Loop: Header=BB6_26858 Depth=3
	s_and_not1_saveexec_b32 s14, s76
	s_cbranch_execz .LBB6_27136
; %bb.27131:                            ;   in Loop: Header=BB6_26858 Depth=3
	s_mov_b32 s76, exec_lo
                                        ; implicit-def: $vgpr27
	v_cmpx_ne_u64_e32 0, v[0:1]
	s_xor_b32 s76, exec_lo, s76
; %bb.27132:                            ;   in Loop: Header=BB6_26858 Depth=3
	v_or_b32_e32 v27, 0x7f, v3
                                        ; implicit-def: $vgpr2
; %bb.27133:                            ;   in Loop: Header=BB6_26858 Depth=3
	s_and_not1_saveexec_b32 s76, s76
; %bb.27134:                            ;   in Loop: Header=BB6_26858 Depth=3
	v_cmp_lt_i32_e32 vcc_lo, -1, v2
	v_mov_b32_e32 v0, 0x7c
	s_delay_alu instid0(VALU_DEP_1)
	v_cndmask_b32_e32 v27, 0xfc, v0, vcc_lo
; %bb.27135:                            ;   in Loop: Header=BB6_26858 Depth=3
	s_or_b32 exec_lo, exec_lo, s76
.LBB6_27136:                            ;   in Loop: Header=BB6_26858 Depth=3
	s_delay_alu instid0(SALU_CYCLE_1) | instskip(SKIP_3) | instid1(VALU_DEP_2)
	s_or_b32 exec_lo, exec_lo, s14
	v_lshrrev_b16 v0, 8, v10
	v_mov_b32_e32 v2, 0
	s_mov_b32 s14, exec_lo
	v_cmpx_ne_u16_e32 0, v0
	s_cbranch_execz .LBB6_27146
; %bb.27137:                            ;   in Loop: Header=BB6_26858 Depth=3
	v_bfrev_b32_e32 v2, 1
	s_mov_b32 s76, exec_lo
	v_cmpx_ne_u16_e32 0x80, v0
	s_cbranch_execz .LBB6_27145
; %bb.27138:                            ;   in Loop: Header=BB6_26858 Depth=3
	v_and_b32_e32 v3, 0xffff, v0
	s_delay_alu instid0(VALU_DEP_1) | instskip(SKIP_1) | instid1(VALU_DEP_2)
	v_and_b32_e32 v2, 0x7c, v3
	v_and_b32_e32 v1, 3, v3
	v_cmp_ne_u32_e32 vcc_lo, 0x7c, v2
                                        ; implicit-def: $vgpr2
	s_and_saveexec_b32 s77, vcc_lo
	s_delay_alu instid0(SALU_CYCLE_1)
	s_xor_b32 s77, exec_lo, s77
	s_cbranch_execz .LBB6_27142
; %bb.27139:                            ;   in Loop: Header=BB6_26858 Depth=3
	v_bfe_u32 v2, v3, 2, 5
	s_mov_b32 s78, exec_lo
	s_delay_alu instid0(VALU_DEP_1)
	v_cmpx_eq_u32_e32 0, v2
	s_cbranch_execz .LBB6_27141
; %bb.27140:                            ;   in Loop: Header=BB6_26858 Depth=3
	v_clz_i32_u32_e32 v1, v1
	s_delay_alu instid0(VALU_DEP_1) | instskip(SKIP_1) | instid1(VALU_DEP_2)
	v_min_u32_e32 v2, 32, v1
	v_mov_b32_e32 v1, v113
	v_subrev_nc_u32_e32 v3, 29, v2
	v_sub_nc_u32_e32 v2, 30, v2
	s_delay_alu instid0(VALU_DEP_2) | instskip(NEXT) | instid1(VALU_DEP_1)
	v_lshlrev_b64_e32 v[0:1], v3, v[0:1]
	v_and_b32_e32 v1, 3, v0
.LBB6_27141:                            ;   in Loop: Header=BB6_26858 Depth=3
	s_or_b32 exec_lo, exec_lo, s78
	v_lshlrev_b32_e32 v0, 16, v10
	s_delay_alu instid0(VALU_DEP_1) | instskip(NEXT) | instid1(VALU_DEP_1)
	v_and_b32_e32 v0, 0x80000000, v0
	v_lshl_add_u32 v0, v2, 23, v0
	s_delay_alu instid0(VALU_DEP_1) | instskip(NEXT) | instid1(VALU_DEP_1)
	v_lshl_or_b32 v0, v1, 21, v0
                                        ; implicit-def: $vgpr1
	v_add_nc_u32_e32 v2, 0x38000000, v0
.LBB6_27142:                            ;   in Loop: Header=BB6_26858 Depth=3
	s_and_not1_saveexec_b32 s77, s77
; %bb.27143:                            ;   in Loop: Header=BB6_26858 Depth=3
	v_cmp_lt_i16_e32 vcc_lo, -1, v10
	v_mov_b32_e32 v0, 0x7f800000
	s_delay_alu instid0(VALU_DEP_1) | instskip(SKIP_1) | instid1(VALU_DEP_2)
	v_cndmask_b32_e32 v0, 0xff800000, v0, vcc_lo
	v_cmp_eq_u32_e32 vcc_lo, 0, v1
	v_cndmask_b32_e32 v2, 0x7f800001, v0, vcc_lo
; %bb.27144:                            ;   in Loop: Header=BB6_26858 Depth=3
	s_or_b32 exec_lo, exec_lo, s77
.LBB6_27145:                            ;   in Loop: Header=BB6_26858 Depth=3
	s_delay_alu instid0(SALU_CYCLE_1)
	s_or_b32 exec_lo, exec_lo, s76
.LBB6_27146:                            ;   in Loop: Header=BB6_26858 Depth=3
	s_delay_alu instid0(SALU_CYCLE_1) | instskip(NEXT) | instid1(VALU_DEP_1)
	s_or_b32 exec_lo, exec_lo, s14
	v_dual_mul_f32 v2, s75, v2 :: v_dual_mov_b32 v7, v113
	v_mov_b32_e32 v1, v113
                                        ; implicit-def: $vgpr31
	s_mov_b32 s14, exec_lo
	s_delay_alu instid0(VALU_DEP_2) | instskip(SKIP_2) | instid1(VALU_DEP_3)
	v_and_b32_e32 v6, 0x7f800000, v2
	v_and_b32_e32 v0, 0x7fffff, v2
	v_lshrrev_b32_e32 v3, 24, v2
	v_cmpx_ne_u64_e32 0x7f800000, v[6:7]
	s_xor_b32 s76, exec_lo, s14
	s_cbranch_execz .LBB6_27160
; %bb.27147:                            ;   in Loop: Header=BB6_26858 Depth=3
	v_and_b32_e32 v6, 0x7fffffff, v2
	v_mov_b32_e32 v7, v113
                                        ; implicit-def: $vgpr31
	s_delay_alu instid0(VALU_DEP_1) | instskip(SKIP_2) | instid1(SALU_CYCLE_1)
	v_cmp_gt_u64_e32 vcc_lo, 0x47600001, v[6:7]
	v_and_b32_e32 v6, 0x80, v3
	s_and_saveexec_b32 s14, vcc_lo
	s_xor_b32 s77, exec_lo, s14
	s_cbranch_execz .LBB6_27157
; %bb.27148:                            ;   in Loop: Header=BB6_26858 Depth=3
	v_mov_b32_e32 v31, 0
	s_mov_b32 s78, exec_lo
	v_cmpx_ne_u32_e32 0, v2
	s_cbranch_execz .LBB6_27156
; %bb.27149:                            ;   in Loop: Header=BB6_26858 Depth=3
	v_bfe_u32 v7, v2, 23, 8
	v_or_b32_e32 v9, 0x800000, v0
	s_delay_alu instid0(VALU_DEP_2) | instskip(SKIP_1) | instid1(VALU_DEP_2)
	v_sub_nc_u32_e32 v2, 0x71, v7
	v_cmp_gt_u32_e32 vcc_lo, 0x72, v7
	v_cndmask_b32_e32 v2, 0, v2, vcc_lo
	v_cmp_eq_u32_e32 vcc_lo, 0, v7
	s_delay_alu instid0(VALU_DEP_2) | instskip(SKIP_1) | instid1(VALU_DEP_2)
	v_cndmask_b32_e64 v8, v2, 0x70, vcc_lo
	v_cndmask_b32_e32 v0, v9, v0, vcc_lo
	v_dual_add_nc_u32 v2, 21, v8 :: v_dual_add_nc_u32 v25, 20, v8
	s_delay_alu instid0(VALU_DEP_1) | instskip(NEXT) | instid1(VALU_DEP_2)
	v_lshlrev_b64_e64 v[2:3], v2, -1
	v_lshlrev_b64_e64 v[30:31], v25, 1
	s_delay_alu instid0(VALU_DEP_2) | instskip(SKIP_1) | instid1(VALU_DEP_4)
	v_bfi_b32 v2, v2, 0, v0
	v_lshrrev_b64 v[0:1], v8, v[0:1]
	v_bfi_b32 v3, v3, 0, 0
	s_delay_alu instid0(VALU_DEP_1) | instskip(NEXT) | instid1(VALU_DEP_3)
	v_cmp_eq_u64_e64 s14, v[2:3], v[30:31]
	v_mov_b64_e32 v[2:3], v[0:1]
	s_and_saveexec_b32 s79, s14
; %bb.27150:                            ;   in Loop: Header=BB6_26858 Depth=3
	v_bfe_u32 v2, v0, 21, 1
	v_mov_b32_e32 v3, v113
	s_delay_alu instid0(VALU_DEP_1) | instskip(NEXT) | instid1(VALU_DEP_1)
	v_add_nc_u64_e32 v[2:3], v[0:1], v[2:3]
	v_add_nc_u64_e32 v[2:3], -1, v[2:3]
; %bb.27151:                            ;   in Loop: Header=BB6_26858 Depth=3
	s_or_b32 exec_lo, exec_lo, s79
	v_add_nc_u32_e32 v1, 0xffffff81, v7
	v_lshrrev_b32_e32 v3, 23, v0
	s_mov_b32 s14, exec_lo
	s_delay_alu instid0(VALU_DEP_2) | instskip(NEXT) | instid1(VALU_DEP_1)
	v_cndmask_b32_e64 v1, v1, 0xffffff82, vcc_lo
	v_add3_u32 v3, v8, v1, v3
	v_and_b32_e32 v1, 0x1fffff, v2
                                        ; implicit-def: $vgpr2
	s_delay_alu instid0(VALU_DEP_1) | instskip(SKIP_1) | instid1(VALU_DEP_2)
	v_dual_add_nc_u32 v7, 14, v3 :: v_dual_add_nc_u32 v0, v1, v0
	v_mov_b32_e32 v1, v113
	v_cmpx_ne_u32_e32 0, v7
	s_xor_b32 s14, exec_lo, s14
; %bb.27152:                            ;   in Loop: Header=BB6_26858 Depth=3
	s_delay_alu instid0(VALU_DEP_2) | instskip(SKIP_2) | instid1(VALU_DEP_2)
	v_cmp_lt_u64_e32 vcc_lo, 0xffffff, v[0:1]
	v_add_nc_u32_e32 v2, 15, v3
	v_cndmask_b32_e64 v3, 0, 1, vcc_lo
	v_cndmask_b32_e32 v2, v7, v2, vcc_lo
	s_delay_alu instid0(VALU_DEP_2)
	v_lshrrev_b64 v[0:1], v3, v[0:1]
; %bb.27153:                            ;   in Loop: Header=BB6_26858 Depth=3
	s_and_not1_saveexec_b32 s14, s14
; %bb.27154:                            ;   in Loop: Header=BB6_26858 Depth=3
	s_delay_alu instid0(VALU_DEP_1)
	v_bfe_u32 v2, v0, 23, 1
; %bb.27155:                            ;   in Loop: Header=BB6_26858 Depth=3
	s_or_b32 exec_lo, exec_lo, s14
	s_delay_alu instid0(VALU_DEP_2) | instskip(NEXT) | instid1(VALU_DEP_2)
	v_lshrrev_b64 v[0:1], 21, v[0:1]
	v_cmp_gt_i32_e32 vcc_lo, 32, v2
	v_min_i32_e32 v3, 31, v2
	v_cmp_eq_u32_e64 s14, 0, v2
	s_delay_alu instid0(VALU_DEP_2) | instskip(SKIP_1) | instid1(VALU_DEP_2)
	v_dual_cndmask_b32 v1, 0, v1, vcc_lo :: v_dual_lshlrev_b32 v3, 2, v3
	v_cndmask_b32_e32 v0, 3, v0, vcc_lo
	v_and_b32_e32 v3, 0xfc, v3
	s_delay_alu instid0(VALU_DEP_2) | instskip(NEXT) | instid1(VALU_DEP_2)
	v_cmp_eq_u64_e32 vcc_lo, 0, v[0:1]
	v_and_or_b32 v0, v0, 3, v3
	s_and_b32 s14, s14, vcc_lo
	s_delay_alu instid0(VALU_DEP_1) | instid1(SALU_CYCLE_1)
	v_cndmask_b32_e64 v0, v0, 0, s14
	s_delay_alu instid0(VALU_DEP_1)
	v_or_b32_e32 v31, v0, v6
.LBB6_27156:                            ;   in Loop: Header=BB6_26858 Depth=3
	s_or_b32 exec_lo, exec_lo, s78
                                        ; implicit-def: $vgpr6
.LBB6_27157:                            ;   in Loop: Header=BB6_26858 Depth=3
	s_and_not1_saveexec_b32 s14, s77
; %bb.27158:                            ;   in Loop: Header=BB6_26858 Depth=3
	v_or_b32_e32 v31, 0x7b, v6
; %bb.27159:                            ;   in Loop: Header=BB6_26858 Depth=3
	s_or_b32 exec_lo, exec_lo, s14
                                        ; implicit-def: $vgpr2
                                        ; implicit-def: $vgpr0_vgpr1
                                        ; implicit-def: $vgpr3
.LBB6_27160:                            ;   in Loop: Header=BB6_26858 Depth=3
	s_and_not1_saveexec_b32 s14, s76
	s_cbranch_execz .LBB6_27166
; %bb.27161:                            ;   in Loop: Header=BB6_26858 Depth=3
	s_mov_b32 s76, exec_lo
                                        ; implicit-def: $vgpr31
	v_cmpx_ne_u64_e32 0, v[0:1]
	s_xor_b32 s76, exec_lo, s76
; %bb.27162:                            ;   in Loop: Header=BB6_26858 Depth=3
	v_or_b32_e32 v31, 0x7f, v3
                                        ; implicit-def: $vgpr2
; %bb.27163:                            ;   in Loop: Header=BB6_26858 Depth=3
	s_and_not1_saveexec_b32 s76, s76
; %bb.27164:                            ;   in Loop: Header=BB6_26858 Depth=3
	v_cmp_lt_i32_e32 vcc_lo, -1, v2
	v_mov_b32_e32 v0, 0x7c
	s_delay_alu instid0(VALU_DEP_1)
	v_cndmask_b32_e32 v31, 0xfc, v0, vcc_lo
; %bb.27165:                            ;   in Loop: Header=BB6_26858 Depth=3
	s_or_b32 exec_lo, exec_lo, s76
.LBB6_27166:                            ;   in Loop: Header=BB6_26858 Depth=3
	s_delay_alu instid0(SALU_CYCLE_1) | instskip(SKIP_2) | instid1(VALU_DEP_1)
	s_or_b32 exec_lo, exec_lo, s14
	v_dual_mov_b32 v1, 0 :: v_dual_lshrrev_b32 v0, 16, v10
	s_mov_b32 s14, exec_lo
	v_and_b32_e32 v2, 0xff, v0
	s_delay_alu instid0(VALU_DEP_1)
	v_cmpx_ne_u16_e32 0, v2
	s_cbranch_execz .LBB6_27176
; %bb.27167:                            ;   in Loop: Header=BB6_26858 Depth=3
	v_bfrev_b32_e32 v1, 1
	s_mov_b32 s76, exec_lo
	v_cmpx_ne_u16_e32 0x80, v2
	s_cbranch_execz .LBB6_27175
; %bb.27168:                            ;   in Loop: Header=BB6_26858 Depth=3
	v_and_b32_e32 v1, 0x7c0000, v10
	v_bfe_u32 v2, v10, 16, 2
	s_delay_alu instid0(VALU_DEP_2) | instskip(SKIP_1) | instid1(SALU_CYCLE_1)
	v_cmp_ne_u32_e32 vcc_lo, 0x7c0000, v1
                                        ; implicit-def: $vgpr1
	s_and_saveexec_b32 s77, vcc_lo
	s_xor_b32 s77, exec_lo, s77
	s_cbranch_execz .LBB6_27172
; %bb.27169:                            ;   in Loop: Header=BB6_26858 Depth=3
	v_bfe_u32 v1, v10, 18, 5
	s_mov_b32 s78, exec_lo
	s_delay_alu instid0(VALU_DEP_1)
	v_cmpx_eq_u32_e32 0, v1
; %bb.27170:                            ;   in Loop: Header=BB6_26858 Depth=3
	v_clz_i32_u32_e32 v1, v2
	s_delay_alu instid0(VALU_DEP_1) | instskip(NEXT) | instid1(VALU_DEP_1)
	v_min_u32_e32 v1, 32, v1
	v_subrev_nc_u32_e32 v2, 29, v1
	s_delay_alu instid0(VALU_DEP_1) | instskip(NEXT) | instid1(VALU_DEP_1)
	v_lshlrev_b64_e32 v[2:3], v2, v[0:1]
	v_dual_sub_nc_u32 v1, 30, v1 :: v_dual_bitop2_b32 v2, 3, v2 bitop3:0x40
; %bb.27171:                            ;   in Loop: Header=BB6_26858 Depth=3
	s_or_b32 exec_lo, exec_lo, s78
	v_lshlrev_b32_e32 v0, 24, v0
	s_delay_alu instid0(VALU_DEP_1) | instskip(NEXT) | instid1(VALU_DEP_1)
	v_and_b32_e32 v0, 0x80000000, v0
	v_lshl_add_u32 v0, v1, 23, v0
	s_delay_alu instid0(VALU_DEP_1) | instskip(NEXT) | instid1(VALU_DEP_1)
	v_lshl_or_b32 v0, v2, 21, v0
                                        ; implicit-def: $vgpr2
	v_add_nc_u32_e32 v1, 0x38000000, v0
                                        ; implicit-def: $vgpr0
.LBB6_27172:                            ;   in Loop: Header=BB6_26858 Depth=3
	s_and_not1_saveexec_b32 s77, s77
; %bb.27173:                            ;   in Loop: Header=BB6_26858 Depth=3
	v_bfe_i32 v0, v0, 0, 8
	s_delay_alu instid0(VALU_DEP_1) | instskip(SKIP_1) | instid1(VALU_DEP_1)
	v_cmp_lt_i16_e32 vcc_lo, -1, v0
	v_mov_b32_e32 v0, 0x7f800000
	v_cndmask_b32_e32 v0, 0xff800000, v0, vcc_lo
	v_cmp_eq_u32_e32 vcc_lo, 0, v2
	s_delay_alu instid0(VALU_DEP_2)
	v_cndmask_b32_e32 v1, 0x7f800001, v0, vcc_lo
; %bb.27174:                            ;   in Loop: Header=BB6_26858 Depth=3
	s_or_b32 exec_lo, exec_lo, s77
.LBB6_27175:                            ;   in Loop: Header=BB6_26858 Depth=3
	s_delay_alu instid0(SALU_CYCLE_1)
	s_or_b32 exec_lo, exec_lo, s76
.LBB6_27176:                            ;   in Loop: Header=BB6_26858 Depth=3
	s_delay_alu instid0(SALU_CYCLE_1) | instskip(NEXT) | instid1(VALU_DEP_1)
	s_or_b32 exec_lo, exec_lo, s14
	v_dual_mul_f32 v2, s75, v1 :: v_dual_mov_b32 v7, v113
	v_mov_b32_e32 v1, v113
                                        ; implicit-def: $vgpr34
	s_mov_b32 s14, exec_lo
	s_delay_alu instid0(VALU_DEP_2) | instskip(SKIP_2) | instid1(VALU_DEP_3)
	v_and_b32_e32 v6, 0x7f800000, v2
	v_and_b32_e32 v0, 0x7fffff, v2
	v_lshrrev_b32_e32 v3, 24, v2
	v_cmpx_ne_u64_e32 0x7f800000, v[6:7]
	s_xor_b32 s76, exec_lo, s14
	s_cbranch_execz .LBB6_27190
; %bb.27177:                            ;   in Loop: Header=BB6_26858 Depth=3
	v_and_b32_e32 v6, 0x7fffffff, v2
	v_mov_b32_e32 v7, v113
                                        ; implicit-def: $vgpr34
	s_delay_alu instid0(VALU_DEP_1) | instskip(SKIP_2) | instid1(SALU_CYCLE_1)
	v_cmp_gt_u64_e32 vcc_lo, 0x47600001, v[6:7]
	v_and_b32_e32 v6, 0x80, v3
	s_and_saveexec_b32 s14, vcc_lo
	s_xor_b32 s77, exec_lo, s14
	s_cbranch_execz .LBB6_27187
; %bb.27178:                            ;   in Loop: Header=BB6_26858 Depth=3
	v_mov_b32_e32 v34, 0
	s_mov_b32 s78, exec_lo
	v_cmpx_ne_u32_e32 0, v2
	s_cbranch_execz .LBB6_27186
; %bb.27179:                            ;   in Loop: Header=BB6_26858 Depth=3
	v_bfe_u32 v7, v2, 23, 8
	v_or_b32_e32 v9, 0x800000, v0
	s_delay_alu instid0(VALU_DEP_2) | instskip(SKIP_1) | instid1(VALU_DEP_2)
	v_sub_nc_u32_e32 v2, 0x71, v7
	v_cmp_gt_u32_e32 vcc_lo, 0x72, v7
	v_cndmask_b32_e32 v2, 0, v2, vcc_lo
	v_cmp_eq_u32_e32 vcc_lo, 0, v7
	s_delay_alu instid0(VALU_DEP_2) | instskip(SKIP_1) | instid1(VALU_DEP_2)
	v_cndmask_b32_e64 v8, v2, 0x70, vcc_lo
	v_cndmask_b32_e32 v0, v9, v0, vcc_lo
	v_dual_add_nc_u32 v2, 21, v8 :: v_dual_add_nc_u32 v25, 20, v8
	s_delay_alu instid0(VALU_DEP_1) | instskip(NEXT) | instid1(VALU_DEP_2)
	v_lshlrev_b64_e64 v[2:3], v2, -1
	v_lshlrev_b64_e64 v[32:33], v25, 1
	s_delay_alu instid0(VALU_DEP_2) | instskip(SKIP_1) | instid1(VALU_DEP_4)
	v_bfi_b32 v2, v2, 0, v0
	v_lshrrev_b64 v[0:1], v8, v[0:1]
	v_bfi_b32 v3, v3, 0, 0
	s_delay_alu instid0(VALU_DEP_1) | instskip(NEXT) | instid1(VALU_DEP_3)
	v_cmp_eq_u64_e64 s14, v[2:3], v[32:33]
	v_mov_b64_e32 v[2:3], v[0:1]
	s_and_saveexec_b32 s79, s14
; %bb.27180:                            ;   in Loop: Header=BB6_26858 Depth=3
	v_bfe_u32 v2, v0, 21, 1
	v_mov_b32_e32 v3, v113
	s_delay_alu instid0(VALU_DEP_1) | instskip(NEXT) | instid1(VALU_DEP_1)
	v_add_nc_u64_e32 v[2:3], v[0:1], v[2:3]
	v_add_nc_u64_e32 v[2:3], -1, v[2:3]
; %bb.27181:                            ;   in Loop: Header=BB6_26858 Depth=3
	s_or_b32 exec_lo, exec_lo, s79
	v_add_nc_u32_e32 v1, 0xffffff81, v7
	v_lshrrev_b32_e32 v3, 23, v0
	s_mov_b32 s14, exec_lo
	s_delay_alu instid0(VALU_DEP_2) | instskip(NEXT) | instid1(VALU_DEP_1)
	v_cndmask_b32_e64 v1, v1, 0xffffff82, vcc_lo
	v_add3_u32 v3, v8, v1, v3
	v_and_b32_e32 v1, 0x1fffff, v2
                                        ; implicit-def: $vgpr2
	s_delay_alu instid0(VALU_DEP_1) | instskip(SKIP_1) | instid1(VALU_DEP_2)
	v_dual_add_nc_u32 v7, 14, v3 :: v_dual_add_nc_u32 v0, v1, v0
	v_mov_b32_e32 v1, v113
	v_cmpx_ne_u32_e32 0, v7
	s_xor_b32 s14, exec_lo, s14
; %bb.27182:                            ;   in Loop: Header=BB6_26858 Depth=3
	s_delay_alu instid0(VALU_DEP_2) | instskip(SKIP_2) | instid1(VALU_DEP_2)
	v_cmp_lt_u64_e32 vcc_lo, 0xffffff, v[0:1]
	v_add_nc_u32_e32 v2, 15, v3
	v_cndmask_b32_e64 v3, 0, 1, vcc_lo
	v_cndmask_b32_e32 v2, v7, v2, vcc_lo
	s_delay_alu instid0(VALU_DEP_2)
	v_lshrrev_b64 v[0:1], v3, v[0:1]
; %bb.27183:                            ;   in Loop: Header=BB6_26858 Depth=3
	s_and_not1_saveexec_b32 s14, s14
; %bb.27184:                            ;   in Loop: Header=BB6_26858 Depth=3
	s_delay_alu instid0(VALU_DEP_1)
	v_bfe_u32 v2, v0, 23, 1
; %bb.27185:                            ;   in Loop: Header=BB6_26858 Depth=3
	s_or_b32 exec_lo, exec_lo, s14
	s_delay_alu instid0(VALU_DEP_2) | instskip(NEXT) | instid1(VALU_DEP_2)
	v_lshrrev_b64 v[0:1], 21, v[0:1]
	v_cmp_gt_i32_e32 vcc_lo, 32, v2
	v_min_i32_e32 v3, 31, v2
	v_cmp_eq_u32_e64 s14, 0, v2
	s_delay_alu instid0(VALU_DEP_2) | instskip(SKIP_1) | instid1(VALU_DEP_2)
	v_dual_cndmask_b32 v1, 0, v1, vcc_lo :: v_dual_lshlrev_b32 v3, 2, v3
	v_cndmask_b32_e32 v0, 3, v0, vcc_lo
	v_and_b32_e32 v3, 0xfc, v3
	s_delay_alu instid0(VALU_DEP_2) | instskip(NEXT) | instid1(VALU_DEP_2)
	v_cmp_eq_u64_e32 vcc_lo, 0, v[0:1]
	v_and_or_b32 v0, v0, 3, v3
	s_and_b32 s14, s14, vcc_lo
	s_delay_alu instid0(VALU_DEP_1) | instid1(SALU_CYCLE_1)
	v_cndmask_b32_e64 v0, v0, 0, s14
	s_delay_alu instid0(VALU_DEP_1)
	v_or_b32_e32 v34, v0, v6
.LBB6_27186:                            ;   in Loop: Header=BB6_26858 Depth=3
	s_or_b32 exec_lo, exec_lo, s78
                                        ; implicit-def: $vgpr6
.LBB6_27187:                            ;   in Loop: Header=BB6_26858 Depth=3
	s_and_not1_saveexec_b32 s14, s77
; %bb.27188:                            ;   in Loop: Header=BB6_26858 Depth=3
	v_or_b32_e32 v34, 0x7b, v6
; %bb.27189:                            ;   in Loop: Header=BB6_26858 Depth=3
	s_or_b32 exec_lo, exec_lo, s14
                                        ; implicit-def: $vgpr2
                                        ; implicit-def: $vgpr0_vgpr1
                                        ; implicit-def: $vgpr3
.LBB6_27190:                            ;   in Loop: Header=BB6_26858 Depth=3
	s_and_not1_saveexec_b32 s14, s76
	s_cbranch_execz .LBB6_27196
; %bb.27191:                            ;   in Loop: Header=BB6_26858 Depth=3
	s_mov_b32 s76, exec_lo
                                        ; implicit-def: $vgpr34
	v_cmpx_ne_u64_e32 0, v[0:1]
	s_xor_b32 s76, exec_lo, s76
; %bb.27192:                            ;   in Loop: Header=BB6_26858 Depth=3
	v_or_b32_e32 v34, 0x7f, v3
                                        ; implicit-def: $vgpr2
; %bb.27193:                            ;   in Loop: Header=BB6_26858 Depth=3
	s_and_not1_saveexec_b32 s76, s76
; %bb.27194:                            ;   in Loop: Header=BB6_26858 Depth=3
	v_cmp_lt_i32_e32 vcc_lo, -1, v2
	v_mov_b32_e32 v0, 0x7c
	s_delay_alu instid0(VALU_DEP_1)
	v_cndmask_b32_e32 v34, 0xfc, v0, vcc_lo
; %bb.27195:                            ;   in Loop: Header=BB6_26858 Depth=3
	s_or_b32 exec_lo, exec_lo, s76
.LBB6_27196:                            ;   in Loop: Header=BB6_26858 Depth=3
	s_delay_alu instid0(SALU_CYCLE_1)
	s_or_b32 exec_lo, exec_lo, s14
	v_mov_b32_e32 v1, 0
	s_mov_b32 s14, exec_lo
	v_cmpx_lt_u32_e32 0xffffff, v10
	s_cbranch_execz .LBB6_27206
; %bb.27197:                            ;   in Loop: Header=BB6_26858 Depth=3
	v_lshrrev_b32_e32 v0, 24, v10
	v_bfrev_b32_e32 v1, 1
	s_mov_b32 s76, exec_lo
	s_delay_alu instid0(VALU_DEP_2)
	v_cmpx_ne_u32_e32 0x80, v0
	s_cbranch_execz .LBB6_27205
; %bb.27198:                            ;   in Loop: Header=BB6_26858 Depth=3
	v_and_b32_e32 v1, 0x7c000000, v10
	v_bfe_u32 v2, v10, 24, 2
	s_delay_alu instid0(VALU_DEP_2) | instskip(SKIP_1) | instid1(SALU_CYCLE_1)
	v_cmp_ne_u32_e32 vcc_lo, 0x7c000000, v1
                                        ; implicit-def: $vgpr1
	s_and_saveexec_b32 s77, vcc_lo
	s_xor_b32 s77, exec_lo, s77
	s_cbranch_execz .LBB6_27202
; %bb.27199:                            ;   in Loop: Header=BB6_26858 Depth=3
	v_bfe_u32 v1, v10, 26, 5
	s_mov_b32 s78, exec_lo
	s_delay_alu instid0(VALU_DEP_1)
	v_cmpx_eq_u32_e32 0, v1
; %bb.27200:                            ;   in Loop: Header=BB6_26858 Depth=3
	v_clz_i32_u32_e32 v1, v2
	s_delay_alu instid0(VALU_DEP_1) | instskip(NEXT) | instid1(VALU_DEP_1)
	v_min_u32_e32 v2, 32, v1
	v_subrev_nc_u32_e32 v1, 29, v2
	s_delay_alu instid0(VALU_DEP_1) | instskip(NEXT) | instid1(VALU_DEP_1)
	v_lshlrev_b64_e32 v[0:1], v1, v[0:1]
	v_dual_sub_nc_u32 v1, 30, v2 :: v_dual_bitop2_b32 v2, 3, v0 bitop3:0x40
; %bb.27201:                            ;   in Loop: Header=BB6_26858 Depth=3
	s_or_b32 exec_lo, exec_lo, s78
	v_and_b32_e32 v0, 0x80000000, v10
	s_delay_alu instid0(VALU_DEP_1) | instskip(NEXT) | instid1(VALU_DEP_1)
	v_lshl_add_u32 v0, v1, 23, v0
	v_lshl_or_b32 v0, v2, 21, v0
                                        ; implicit-def: $vgpr2
	s_delay_alu instid0(VALU_DEP_1)
	v_add_nc_u32_e32 v1, 0x38000000, v0
.LBB6_27202:                            ;   in Loop: Header=BB6_26858 Depth=3
	s_and_not1_saveexec_b32 s77, s77
; %bb.27203:                            ;   in Loop: Header=BB6_26858 Depth=3
	v_cmp_lt_i32_e32 vcc_lo, -1, v10
	v_mov_b32_e32 v0, 0x7f800000
	s_delay_alu instid0(VALU_DEP_1) | instskip(SKIP_1) | instid1(VALU_DEP_2)
	v_cndmask_b32_e32 v0, 0xff800000, v0, vcc_lo
	v_cmp_eq_u32_e32 vcc_lo, 0, v2
	v_cndmask_b32_e32 v1, 0x7f800001, v0, vcc_lo
; %bb.27204:                            ;   in Loop: Header=BB6_26858 Depth=3
	s_or_b32 exec_lo, exec_lo, s77
.LBB6_27205:                            ;   in Loop: Header=BB6_26858 Depth=3
	s_delay_alu instid0(SALU_CYCLE_1)
	s_or_b32 exec_lo, exec_lo, s76
.LBB6_27206:                            ;   in Loop: Header=BB6_26858 Depth=3
	s_delay_alu instid0(SALU_CYCLE_1) | instskip(NEXT) | instid1(VALU_DEP_1)
	s_or_b32 exec_lo, exec_lo, s14
	v_dual_mul_f32 v2, s75, v1 :: v_dual_mov_b32 v7, v113
	v_mov_b32_e32 v1, v113
                                        ; implicit-def: $vgpr36
	s_mov_b32 s14, exec_lo
	s_delay_alu instid0(VALU_DEP_2) | instskip(SKIP_2) | instid1(VALU_DEP_3)
	v_and_b32_e32 v6, 0x7f800000, v2
	v_and_b32_e32 v0, 0x7fffff, v2
	v_lshrrev_b32_e32 v3, 24, v2
	v_cmpx_ne_u64_e32 0x7f800000, v[6:7]
	s_xor_b32 s76, exec_lo, s14
	s_cbranch_execz .LBB6_27220
; %bb.27207:                            ;   in Loop: Header=BB6_26858 Depth=3
	v_and_b32_e32 v6, 0x7fffffff, v2
	v_mov_b32_e32 v7, v113
                                        ; implicit-def: $vgpr36
	s_delay_alu instid0(VALU_DEP_1) | instskip(SKIP_2) | instid1(SALU_CYCLE_1)
	v_cmp_gt_u64_e32 vcc_lo, 0x47600001, v[6:7]
	v_and_b32_e32 v6, 0x80, v3
	s_and_saveexec_b32 s14, vcc_lo
	s_xor_b32 s77, exec_lo, s14
	s_cbranch_execz .LBB6_27217
; %bb.27208:                            ;   in Loop: Header=BB6_26858 Depth=3
	v_mov_b32_e32 v36, 0
	s_mov_b32 s78, exec_lo
	v_cmpx_ne_u32_e32 0, v2
	s_cbranch_execz .LBB6_27216
; %bb.27209:                            ;   in Loop: Header=BB6_26858 Depth=3
	v_bfe_u32 v7, v2, 23, 8
	v_or_b32_e32 v9, 0x800000, v0
	s_delay_alu instid0(VALU_DEP_2) | instskip(SKIP_1) | instid1(VALU_DEP_2)
	v_sub_nc_u32_e32 v2, 0x71, v7
	v_cmp_gt_u32_e32 vcc_lo, 0x72, v7
	v_cndmask_b32_e32 v2, 0, v2, vcc_lo
	v_cmp_eq_u32_e32 vcc_lo, 0, v7
	s_delay_alu instid0(VALU_DEP_2) | instskip(SKIP_1) | instid1(VALU_DEP_2)
	v_cndmask_b32_e64 v8, v2, 0x70, vcc_lo
	v_cndmask_b32_e32 v0, v9, v0, vcc_lo
	v_dual_add_nc_u32 v2, 21, v8 :: v_dual_add_nc_u32 v25, 20, v8
	s_delay_alu instid0(VALU_DEP_1) | instskip(NEXT) | instid1(VALU_DEP_2)
	v_lshlrev_b64_e64 v[2:3], v2, -1
	v_lshlrev_b64_e64 v[32:33], v25, 1
	s_delay_alu instid0(VALU_DEP_2) | instskip(SKIP_1) | instid1(VALU_DEP_4)
	v_bfi_b32 v2, v2, 0, v0
	v_lshrrev_b64 v[0:1], v8, v[0:1]
	v_bfi_b32 v3, v3, 0, 0
	s_delay_alu instid0(VALU_DEP_1) | instskip(NEXT) | instid1(VALU_DEP_3)
	v_cmp_eq_u64_e64 s14, v[2:3], v[32:33]
	v_mov_b64_e32 v[2:3], v[0:1]
	s_and_saveexec_b32 s79, s14
; %bb.27210:                            ;   in Loop: Header=BB6_26858 Depth=3
	v_bfe_u32 v2, v0, 21, 1
	v_mov_b32_e32 v3, v113
	s_delay_alu instid0(VALU_DEP_1) | instskip(NEXT) | instid1(VALU_DEP_1)
	v_add_nc_u64_e32 v[2:3], v[0:1], v[2:3]
	v_add_nc_u64_e32 v[2:3], -1, v[2:3]
; %bb.27211:                            ;   in Loop: Header=BB6_26858 Depth=3
	s_or_b32 exec_lo, exec_lo, s79
	v_add_nc_u32_e32 v1, 0xffffff81, v7
	v_lshrrev_b32_e32 v3, 23, v0
	s_mov_b32 s14, exec_lo
	s_delay_alu instid0(VALU_DEP_2) | instskip(NEXT) | instid1(VALU_DEP_1)
	v_cndmask_b32_e64 v1, v1, 0xffffff82, vcc_lo
	v_add3_u32 v3, v8, v1, v3
	v_and_b32_e32 v1, 0x1fffff, v2
                                        ; implicit-def: $vgpr2
	s_delay_alu instid0(VALU_DEP_1) | instskip(SKIP_1) | instid1(VALU_DEP_2)
	v_dual_add_nc_u32 v7, 14, v3 :: v_dual_add_nc_u32 v0, v1, v0
	v_mov_b32_e32 v1, v113
	v_cmpx_ne_u32_e32 0, v7
	s_xor_b32 s14, exec_lo, s14
; %bb.27212:                            ;   in Loop: Header=BB6_26858 Depth=3
	s_delay_alu instid0(VALU_DEP_2) | instskip(SKIP_2) | instid1(VALU_DEP_2)
	v_cmp_lt_u64_e32 vcc_lo, 0xffffff, v[0:1]
	v_add_nc_u32_e32 v2, 15, v3
	v_cndmask_b32_e64 v3, 0, 1, vcc_lo
	v_cndmask_b32_e32 v2, v7, v2, vcc_lo
	s_delay_alu instid0(VALU_DEP_2)
	v_lshrrev_b64 v[0:1], v3, v[0:1]
; %bb.27213:                            ;   in Loop: Header=BB6_26858 Depth=3
	s_and_not1_saveexec_b32 s14, s14
; %bb.27214:                            ;   in Loop: Header=BB6_26858 Depth=3
	s_delay_alu instid0(VALU_DEP_1)
	v_bfe_u32 v2, v0, 23, 1
; %bb.27215:                            ;   in Loop: Header=BB6_26858 Depth=3
	s_or_b32 exec_lo, exec_lo, s14
	s_delay_alu instid0(VALU_DEP_2) | instskip(NEXT) | instid1(VALU_DEP_2)
	v_lshrrev_b64 v[0:1], 21, v[0:1]
	v_cmp_gt_i32_e32 vcc_lo, 32, v2
	v_min_i32_e32 v3, 31, v2
	v_cmp_eq_u32_e64 s14, 0, v2
	s_delay_alu instid0(VALU_DEP_2) | instskip(SKIP_1) | instid1(VALU_DEP_2)
	v_dual_cndmask_b32 v1, 0, v1, vcc_lo :: v_dual_lshlrev_b32 v3, 2, v3
	v_cndmask_b32_e32 v0, 3, v0, vcc_lo
	v_and_b32_e32 v3, 0xfc, v3
	s_delay_alu instid0(VALU_DEP_2) | instskip(NEXT) | instid1(VALU_DEP_2)
	v_cmp_eq_u64_e32 vcc_lo, 0, v[0:1]
	v_and_or_b32 v0, v0, 3, v3
	s_and_b32 s14, s14, vcc_lo
	s_delay_alu instid0(VALU_DEP_1) | instid1(SALU_CYCLE_1)
	v_cndmask_b32_e64 v0, v0, 0, s14
	s_delay_alu instid0(VALU_DEP_1)
	v_or_b32_e32 v36, v0, v6
.LBB6_27216:                            ;   in Loop: Header=BB6_26858 Depth=3
	s_or_b32 exec_lo, exec_lo, s78
                                        ; implicit-def: $vgpr6
.LBB6_27217:                            ;   in Loop: Header=BB6_26858 Depth=3
	s_and_not1_saveexec_b32 s14, s77
; %bb.27218:                            ;   in Loop: Header=BB6_26858 Depth=3
	v_or_b32_e32 v36, 0x7b, v6
; %bb.27219:                            ;   in Loop: Header=BB6_26858 Depth=3
	s_or_b32 exec_lo, exec_lo, s14
                                        ; implicit-def: $vgpr2
                                        ; implicit-def: $vgpr0_vgpr1
                                        ; implicit-def: $vgpr3
.LBB6_27220:                            ;   in Loop: Header=BB6_26858 Depth=3
	s_and_not1_saveexec_b32 s14, s76
	s_cbranch_execz .LBB6_27226
; %bb.27221:                            ;   in Loop: Header=BB6_26858 Depth=3
	s_mov_b32 s76, exec_lo
                                        ; implicit-def: $vgpr36
	v_cmpx_ne_u64_e32 0, v[0:1]
	s_xor_b32 s76, exec_lo, s76
; %bb.27222:                            ;   in Loop: Header=BB6_26858 Depth=3
	v_or_b32_e32 v36, 0x7f, v3
                                        ; implicit-def: $vgpr2
; %bb.27223:                            ;   in Loop: Header=BB6_26858 Depth=3
	s_and_not1_saveexec_b32 s76, s76
; %bb.27224:                            ;   in Loop: Header=BB6_26858 Depth=3
	v_cmp_lt_i32_e32 vcc_lo, -1, v2
	v_mov_b32_e32 v0, 0x7c
	s_delay_alu instid0(VALU_DEP_1)
	v_cndmask_b32_e32 v36, 0xfc, v0, vcc_lo
; %bb.27225:                            ;   in Loop: Header=BB6_26858 Depth=3
	s_or_b32 exec_lo, exec_lo, s76
.LBB6_27226:                            ;   in Loop: Header=BB6_26858 Depth=3
	s_delay_alu instid0(SALU_CYCLE_1) | instskip(SKIP_4) | instid1(VALU_DEP_3)
	s_or_b32 exec_lo, exec_lo, s14
	v_and_b32_e32 v3, 0xff, v11
	v_dual_mov_b32 v0, v11 :: v_dual_mov_b32 v1, v113
	v_mov_b32_e32 v2, 0
	s_mov_b32 s14, exec_lo
	v_cmpx_ne_u16_e32 0, v3
	s_cbranch_execz .LBB6_27236
; %bb.27227:                            ;   in Loop: Header=BB6_26858 Depth=3
	v_bfrev_b32_e32 v2, 1
	s_mov_b32 s76, exec_lo
	v_cmpx_ne_u16_e32 0x80, v3
	s_cbranch_execz .LBB6_27235
; %bb.27228:                            ;   in Loop: Header=BB6_26858 Depth=3
	v_and_b32_e32 v2, 0x7c, v11
	v_and_b32_e32 v3, 3, v11
	s_delay_alu instid0(VALU_DEP_2) | instskip(SKIP_1) | instid1(SALU_CYCLE_1)
	v_cmp_ne_u32_e32 vcc_lo, 0x7c, v2
                                        ; implicit-def: $vgpr2
	s_and_saveexec_b32 s77, vcc_lo
	s_xor_b32 s77, exec_lo, s77
	s_cbranch_execz .LBB6_27232
; %bb.27229:                            ;   in Loop: Header=BB6_26858 Depth=3
	v_bfe_u32 v2, v11, 2, 5
	s_mov_b32 s78, exec_lo
	s_delay_alu instid0(VALU_DEP_1)
	v_cmpx_eq_u32_e32 0, v2
; %bb.27230:                            ;   in Loop: Header=BB6_26858 Depth=3
	v_clz_i32_u32_e32 v2, v3
	s_delay_alu instid0(VALU_DEP_1) | instskip(NEXT) | instid1(VALU_DEP_1)
	v_min_u32_e32 v2, 32, v2
	v_subrev_nc_u32_e32 v3, 29, v2
	v_sub_nc_u32_e32 v2, 30, v2
	s_delay_alu instid0(VALU_DEP_2) | instskip(NEXT) | instid1(VALU_DEP_1)
	v_lshlrev_b64_e32 v[6:7], v3, v[0:1]
	v_and_b32_e32 v3, 3, v6
; %bb.27231:                            ;   in Loop: Header=BB6_26858 Depth=3
	s_or_b32 exec_lo, exec_lo, s78
	v_lshlrev_b32_e32 v1, 24, v11
	s_delay_alu instid0(VALU_DEP_1) | instskip(NEXT) | instid1(VALU_DEP_1)
	v_and_b32_e32 v1, 0x80000000, v1
	v_lshl_add_u32 v1, v2, 23, v1
	s_delay_alu instid0(VALU_DEP_1) | instskip(NEXT) | instid1(VALU_DEP_1)
	v_lshl_or_b32 v1, v3, 21, v1
                                        ; implicit-def: $vgpr3
	v_add_nc_u32_e32 v2, 0x38000000, v1
.LBB6_27232:                            ;   in Loop: Header=BB6_26858 Depth=3
	s_and_not1_saveexec_b32 s77, s77
; %bb.27233:                            ;   in Loop: Header=BB6_26858 Depth=3
	v_bfe_i32 v1, v11, 0, 8
	s_delay_alu instid0(VALU_DEP_1) | instskip(SKIP_1) | instid1(VALU_DEP_1)
	v_cmp_lt_i16_e32 vcc_lo, -1, v1
	v_mov_b32_e32 v1, 0x7f800000
	v_cndmask_b32_e32 v1, 0xff800000, v1, vcc_lo
	v_cmp_eq_u32_e32 vcc_lo, 0, v3
	s_delay_alu instid0(VALU_DEP_2)
	v_cndmask_b32_e32 v2, 0x7f800001, v1, vcc_lo
; %bb.27234:                            ;   in Loop: Header=BB6_26858 Depth=3
	s_or_b32 exec_lo, exec_lo, s77
.LBB6_27235:                            ;   in Loop: Header=BB6_26858 Depth=3
	s_delay_alu instid0(SALU_CYCLE_1)
	s_or_b32 exec_lo, exec_lo, s76
.LBB6_27236:                            ;   in Loop: Header=BB6_26858 Depth=3
	s_delay_alu instid0(SALU_CYCLE_1) | instskip(NEXT) | instid1(VALU_DEP_1)
	s_or_b32 exec_lo, exec_lo, s14
	v_dual_mul_f32 v6, s75, v2 :: v_dual_mov_b32 v9, v113
	v_mov_b32_e32 v3, v113
                                        ; implicit-def: $vgpr25
	s_mov_b32 s14, exec_lo
	s_delay_alu instid0(VALU_DEP_2) | instskip(SKIP_2) | instid1(VALU_DEP_3)
	v_and_b32_e32 v8, 0x7f800000, v6
	v_and_b32_e32 v2, 0x7fffff, v6
	v_lshrrev_b32_e32 v1, 24, v6
	v_cmpx_ne_u64_e32 0x7f800000, v[8:9]
	s_xor_b32 s76, exec_lo, s14
	s_cbranch_execz .LBB6_27250
; %bb.27237:                            ;   in Loop: Header=BB6_26858 Depth=3
	v_and_b32_e32 v8, 0x7fffffff, v6
	v_mov_b32_e32 v9, v113
	v_and_b32_e32 v1, 0x80, v1
                                        ; implicit-def: $vgpr25
	s_mov_b32 s14, exec_lo
	s_delay_alu instid0(VALU_DEP_2)
	v_cmpx_gt_u64_e32 0x47600001, v[8:9]
	s_xor_b32 s77, exec_lo, s14
	s_cbranch_execz .LBB6_27247
; %bb.27238:                            ;   in Loop: Header=BB6_26858 Depth=3
	v_mov_b32_e32 v25, 0
	s_mov_b32 s78, exec_lo
	v_cmpx_ne_u32_e32 0, v6
	s_cbranch_execz .LBB6_27246
; %bb.27239:                            ;   in Loop: Header=BB6_26858 Depth=3
	v_bfe_u32 v8, v6, 23, 8
	v_or_b32_e32 v25, 0x800000, v2
	s_delay_alu instid0(VALU_DEP_2) | instskip(SKIP_1) | instid1(VALU_DEP_2)
	v_sub_nc_u32_e32 v6, 0x71, v8
	v_cmp_gt_u32_e32 vcc_lo, 0x72, v8
	v_cndmask_b32_e32 v6, 0, v6, vcc_lo
	v_cmp_eq_u32_e32 vcc_lo, 0, v8
	s_delay_alu instid0(VALU_DEP_2) | instskip(NEXT) | instid1(VALU_DEP_1)
	v_cndmask_b32_e64 v9, v6, 0x70, vcc_lo
	v_dual_cndmask_b32 v2, v25, v2, vcc_lo :: v_dual_add_nc_u32 v6, 21, v9
	v_add_nc_u32_e32 v28, 20, v9
	s_delay_alu instid0(VALU_DEP_2) | instskip(NEXT) | instid1(VALU_DEP_2)
	v_lshlrev_b64_e64 v[6:7], v6, -1
	v_lshlrev_b64_e64 v[32:33], v28, 1
	s_delay_alu instid0(VALU_DEP_2) | instskip(SKIP_1) | instid1(VALU_DEP_4)
	v_bfi_b32 v6, v6, 0, v2
	v_lshrrev_b64 v[2:3], v9, v[2:3]
	v_bfi_b32 v7, v7, 0, 0
	s_delay_alu instid0(VALU_DEP_1) | instskip(NEXT) | instid1(VALU_DEP_3)
	v_cmp_eq_u64_e64 s14, v[6:7], v[32:33]
	v_mov_b64_e32 v[6:7], v[2:3]
	s_and_saveexec_b32 s79, s14
; %bb.27240:                            ;   in Loop: Header=BB6_26858 Depth=3
	v_bfe_u32 v6, v2, 21, 1
	v_mov_b32_e32 v7, v113
	s_delay_alu instid0(VALU_DEP_1) | instskip(NEXT) | instid1(VALU_DEP_1)
	v_add_nc_u64_e32 v[6:7], v[2:3], v[6:7]
	v_add_nc_u64_e32 v[6:7], -1, v[6:7]
; %bb.27241:                            ;   in Loop: Header=BB6_26858 Depth=3
	s_or_b32 exec_lo, exec_lo, s79
	v_add_nc_u32_e32 v3, 0xffffff81, v8
	v_lshrrev_b32_e32 v7, 23, v2
	s_mov_b32 s14, exec_lo
	s_delay_alu instid0(VALU_DEP_2) | instskip(NEXT) | instid1(VALU_DEP_1)
	v_cndmask_b32_e64 v3, v3, 0xffffff82, vcc_lo
	v_add3_u32 v7, v9, v3, v7
	v_and_b32_e32 v3, 0x1fffff, v6
                                        ; implicit-def: $vgpr6
	s_delay_alu instid0(VALU_DEP_1) | instskip(SKIP_1) | instid1(VALU_DEP_2)
	v_dual_add_nc_u32 v8, 14, v7 :: v_dual_add_nc_u32 v2, v3, v2
	v_mov_b32_e32 v3, v113
	v_cmpx_ne_u32_e32 0, v8
	s_xor_b32 s14, exec_lo, s14
; %bb.27242:                            ;   in Loop: Header=BB6_26858 Depth=3
	s_delay_alu instid0(VALU_DEP_2) | instskip(SKIP_2) | instid1(VALU_DEP_2)
	v_cmp_lt_u64_e32 vcc_lo, 0xffffff, v[2:3]
	v_add_nc_u32_e32 v6, 15, v7
	v_cndmask_b32_e64 v7, 0, 1, vcc_lo
	v_cndmask_b32_e32 v6, v8, v6, vcc_lo
	s_delay_alu instid0(VALU_DEP_2)
	v_lshrrev_b64 v[2:3], v7, v[2:3]
; %bb.27243:                            ;   in Loop: Header=BB6_26858 Depth=3
	s_and_not1_saveexec_b32 s14, s14
; %bb.27244:                            ;   in Loop: Header=BB6_26858 Depth=3
	s_delay_alu instid0(VALU_DEP_1)
	v_bfe_u32 v6, v2, 23, 1
; %bb.27245:                            ;   in Loop: Header=BB6_26858 Depth=3
	s_or_b32 exec_lo, exec_lo, s14
	s_delay_alu instid0(VALU_DEP_2) | instskip(NEXT) | instid1(VALU_DEP_2)
	v_lshrrev_b64 v[2:3], 21, v[2:3]
	v_cmp_gt_i32_e32 vcc_lo, 32, v6
	v_min_i32_e32 v7, 31, v6
	v_cmp_eq_u32_e64 s14, 0, v6
	s_delay_alu instid0(VALU_DEP_4) | instskip(NEXT) | instid1(VALU_DEP_3)
	v_cndmask_b32_e32 v3, 0, v3, vcc_lo
	v_dual_cndmask_b32 v2, 3, v2 :: v_dual_lshlrev_b32 v7, 2, v7
	s_delay_alu instid0(VALU_DEP_1) | instskip(NEXT) | instid1(VALU_DEP_2)
	v_and_b32_e32 v7, 0xfc, v7
	v_cmp_eq_u64_e32 vcc_lo, 0, v[2:3]
	s_delay_alu instid0(VALU_DEP_2)
	v_and_or_b32 v2, v2, 3, v7
	s_and_b32 s14, s14, vcc_lo
	s_delay_alu instid0(VALU_DEP_1) | instid1(SALU_CYCLE_1)
	v_cndmask_b32_e64 v2, v2, 0, s14
	s_delay_alu instid0(VALU_DEP_1)
	v_or_b32_e32 v25, v2, v1
.LBB6_27246:                            ;   in Loop: Header=BB6_26858 Depth=3
	s_or_b32 exec_lo, exec_lo, s78
                                        ; implicit-def: $vgpr1
.LBB6_27247:                            ;   in Loop: Header=BB6_26858 Depth=3
	s_and_not1_saveexec_b32 s14, s77
; %bb.27248:                            ;   in Loop: Header=BB6_26858 Depth=3
	v_or_b32_e32 v25, 0x7b, v1
; %bb.27249:                            ;   in Loop: Header=BB6_26858 Depth=3
	s_or_b32 exec_lo, exec_lo, s14
                                        ; implicit-def: $vgpr6
                                        ; implicit-def: $vgpr2_vgpr3
                                        ; implicit-def: $vgpr1
.LBB6_27250:                            ;   in Loop: Header=BB6_26858 Depth=3
	s_and_not1_saveexec_b32 s14, s76
	s_cbranch_execz .LBB6_27256
; %bb.27251:                            ;   in Loop: Header=BB6_26858 Depth=3
	s_mov_b32 s76, exec_lo
                                        ; implicit-def: $vgpr25
	v_cmpx_ne_u64_e32 0, v[2:3]
	s_xor_b32 s76, exec_lo, s76
; %bb.27252:                            ;   in Loop: Header=BB6_26858 Depth=3
	v_or_b32_e32 v25, 0x7f, v1
                                        ; implicit-def: $vgpr6
; %bb.27253:                            ;   in Loop: Header=BB6_26858 Depth=3
	s_and_not1_saveexec_b32 s76, s76
; %bb.27254:                            ;   in Loop: Header=BB6_26858 Depth=3
	v_cmp_lt_i32_e32 vcc_lo, -1, v6
	v_mov_b32_e32 v1, 0x7c
	s_delay_alu instid0(VALU_DEP_1)
	v_cndmask_b32_e32 v25, 0xfc, v1, vcc_lo
; %bb.27255:                            ;   in Loop: Header=BB6_26858 Depth=3
	s_or_b32 exec_lo, exec_lo, s76
.LBB6_27256:                            ;   in Loop: Header=BB6_26858 Depth=3
	s_delay_alu instid0(SALU_CYCLE_1) | instskip(SKIP_3) | instid1(VALU_DEP_2)
	s_or_b32 exec_lo, exec_lo, s14
	v_lshrrev_b16 v2, 8, v0
	v_mov_b32_e32 v6, 0
	s_mov_b32 s14, exec_lo
	v_cmpx_ne_u16_e32 0, v2
	s_cbranch_execz .LBB6_27266
; %bb.27257:                            ;   in Loop: Header=BB6_26858 Depth=3
	v_bfrev_b32_e32 v6, 1
	s_mov_b32 s76, exec_lo
	v_cmpx_ne_u16_e32 0x80, v2
	s_cbranch_execz .LBB6_27265
; %bb.27258:                            ;   in Loop: Header=BB6_26858 Depth=3
	v_and_b32_e32 v1, 0xffff, v2
	s_delay_alu instid0(VALU_DEP_1) | instskip(SKIP_1) | instid1(VALU_DEP_2)
	v_and_b32_e32 v6, 0x7c, v1
	v_and_b32_e32 v3, 3, v1
	v_cmp_ne_u32_e32 vcc_lo, 0x7c, v6
                                        ; implicit-def: $vgpr6
	s_and_saveexec_b32 s77, vcc_lo
	s_delay_alu instid0(SALU_CYCLE_1)
	s_xor_b32 s77, exec_lo, s77
	s_cbranch_execz .LBB6_27262
; %bb.27259:                            ;   in Loop: Header=BB6_26858 Depth=3
	v_bfe_u32 v1, v1, 2, 5
	s_mov_b32 s78, exec_lo
	s_delay_alu instid0(VALU_DEP_1)
	v_cmpx_eq_u32_e32 0, v1
	s_cbranch_execz .LBB6_27261
; %bb.27260:                            ;   in Loop: Header=BB6_26858 Depth=3
	v_clz_i32_u32_e32 v1, v3
	s_delay_alu instid0(VALU_DEP_1) | instskip(SKIP_1) | instid1(VALU_DEP_2)
	v_min_u32_e32 v1, 32, v1
	v_mov_b32_e32 v3, v113
	v_subrev_nc_u32_e32 v6, 29, v1
	v_sub_nc_u32_e32 v1, 30, v1
	s_delay_alu instid0(VALU_DEP_2) | instskip(NEXT) | instid1(VALU_DEP_1)
	v_lshlrev_b64_e32 v[2:3], v6, v[2:3]
	v_and_b32_e32 v3, 3, v2
.LBB6_27261:                            ;   in Loop: Header=BB6_26858 Depth=3
	s_or_b32 exec_lo, exec_lo, s78
	v_lshlrev_b32_e32 v0, 16, v0
	s_delay_alu instid0(VALU_DEP_1) | instskip(NEXT) | instid1(VALU_DEP_1)
	v_and_b32_e32 v0, 0x80000000, v0
	v_lshl_add_u32 v0, v1, 23, v0
	s_delay_alu instid0(VALU_DEP_1) | instskip(NEXT) | instid1(VALU_DEP_1)
	v_lshl_or_b32 v0, v3, 21, v0
                                        ; implicit-def: $vgpr3
	v_add_nc_u32_e32 v6, 0x38000000, v0
                                        ; implicit-def: $vgpr0_vgpr1
.LBB6_27262:                            ;   in Loop: Header=BB6_26858 Depth=3
	s_and_not1_saveexec_b32 s77, s77
; %bb.27263:                            ;   in Loop: Header=BB6_26858 Depth=3
	v_cmp_lt_i16_e32 vcc_lo, -1, v0
	v_mov_b32_e32 v0, 0x7f800000
	s_delay_alu instid0(VALU_DEP_1) | instskip(SKIP_1) | instid1(VALU_DEP_2)
	v_cndmask_b32_e32 v0, 0xff800000, v0, vcc_lo
	v_cmp_eq_u32_e32 vcc_lo, 0, v3
	v_cndmask_b32_e32 v6, 0x7f800001, v0, vcc_lo
; %bb.27264:                            ;   in Loop: Header=BB6_26858 Depth=3
	s_or_b32 exec_lo, exec_lo, s77
.LBB6_27265:                            ;   in Loop: Header=BB6_26858 Depth=3
	s_delay_alu instid0(SALU_CYCLE_1)
	s_or_b32 exec_lo, exec_lo, s76
.LBB6_27266:                            ;   in Loop: Header=BB6_26858 Depth=3
	s_delay_alu instid0(SALU_CYCLE_1) | instskip(NEXT) | instid1(VALU_DEP_1)
	s_or_b32 exec_lo, exec_lo, s14
	v_dual_mul_f32 v2, s75, v6 :: v_dual_mov_b32 v7, v113
	v_mov_b32_e32 v1, v113
                                        ; implicit-def: $vgpr28
	s_mov_b32 s14, exec_lo
	s_delay_alu instid0(VALU_DEP_2) | instskip(SKIP_2) | instid1(VALU_DEP_3)
	v_and_b32_e32 v6, 0x7f800000, v2
	v_and_b32_e32 v0, 0x7fffff, v2
	v_lshrrev_b32_e32 v3, 24, v2
	v_cmpx_ne_u64_e32 0x7f800000, v[6:7]
	s_xor_b32 s76, exec_lo, s14
	s_cbranch_execz .LBB6_27280
; %bb.27267:                            ;   in Loop: Header=BB6_26858 Depth=3
	v_and_b32_e32 v6, 0x7fffffff, v2
	v_mov_b32_e32 v7, v113
                                        ; implicit-def: $vgpr28
	s_delay_alu instid0(VALU_DEP_1) | instskip(SKIP_2) | instid1(SALU_CYCLE_1)
	v_cmp_gt_u64_e32 vcc_lo, 0x47600001, v[6:7]
	v_and_b32_e32 v6, 0x80, v3
	s_and_saveexec_b32 s14, vcc_lo
	s_xor_b32 s77, exec_lo, s14
	s_cbranch_execz .LBB6_27277
; %bb.27268:                            ;   in Loop: Header=BB6_26858 Depth=3
	v_mov_b32_e32 v28, 0
	s_mov_b32 s78, exec_lo
	v_cmpx_ne_u32_e32 0, v2
	s_cbranch_execz .LBB6_27276
; %bb.27269:                            ;   in Loop: Header=BB6_26858 Depth=3
	v_bfe_u32 v7, v2, 23, 8
	v_or_b32_e32 v9, 0x800000, v0
	s_delay_alu instid0(VALU_DEP_2) | instskip(SKIP_1) | instid1(VALU_DEP_2)
	v_sub_nc_u32_e32 v2, 0x71, v7
	v_cmp_gt_u32_e32 vcc_lo, 0x72, v7
	v_cndmask_b32_e32 v2, 0, v2, vcc_lo
	v_cmp_eq_u32_e32 vcc_lo, 0, v7
	s_delay_alu instid0(VALU_DEP_2) | instskip(SKIP_1) | instid1(VALU_DEP_2)
	v_cndmask_b32_e64 v8, v2, 0x70, vcc_lo
	v_cndmask_b32_e32 v0, v9, v0, vcc_lo
	v_dual_add_nc_u32 v2, 21, v8 :: v_dual_add_nc_u32 v28, 20, v8
	s_delay_alu instid0(VALU_DEP_1) | instskip(NEXT) | instid1(VALU_DEP_2)
	v_lshlrev_b64_e64 v[2:3], v2, -1
	v_lshlrev_b64_e64 v[32:33], v28, 1
	s_delay_alu instid0(VALU_DEP_2) | instskip(SKIP_1) | instid1(VALU_DEP_4)
	v_bfi_b32 v2, v2, 0, v0
	v_lshrrev_b64 v[0:1], v8, v[0:1]
	v_bfi_b32 v3, v3, 0, 0
	s_delay_alu instid0(VALU_DEP_1) | instskip(NEXT) | instid1(VALU_DEP_3)
	v_cmp_eq_u64_e64 s14, v[2:3], v[32:33]
	v_mov_b64_e32 v[2:3], v[0:1]
	s_and_saveexec_b32 s79, s14
; %bb.27270:                            ;   in Loop: Header=BB6_26858 Depth=3
	v_bfe_u32 v2, v0, 21, 1
	v_mov_b32_e32 v3, v113
	s_delay_alu instid0(VALU_DEP_1) | instskip(NEXT) | instid1(VALU_DEP_1)
	v_add_nc_u64_e32 v[2:3], v[0:1], v[2:3]
	v_add_nc_u64_e32 v[2:3], -1, v[2:3]
; %bb.27271:                            ;   in Loop: Header=BB6_26858 Depth=3
	s_or_b32 exec_lo, exec_lo, s79
	v_add_nc_u32_e32 v1, 0xffffff81, v7
	v_lshrrev_b32_e32 v3, 23, v0
	s_mov_b32 s14, exec_lo
	s_delay_alu instid0(VALU_DEP_2) | instskip(NEXT) | instid1(VALU_DEP_1)
	v_cndmask_b32_e64 v1, v1, 0xffffff82, vcc_lo
	v_add3_u32 v3, v8, v1, v3
	v_and_b32_e32 v1, 0x1fffff, v2
                                        ; implicit-def: $vgpr2
	s_delay_alu instid0(VALU_DEP_1) | instskip(SKIP_1) | instid1(VALU_DEP_2)
	v_dual_add_nc_u32 v7, 14, v3 :: v_dual_add_nc_u32 v0, v1, v0
	v_mov_b32_e32 v1, v113
	v_cmpx_ne_u32_e32 0, v7
	s_xor_b32 s14, exec_lo, s14
; %bb.27272:                            ;   in Loop: Header=BB6_26858 Depth=3
	s_delay_alu instid0(VALU_DEP_2) | instskip(SKIP_2) | instid1(VALU_DEP_2)
	v_cmp_lt_u64_e32 vcc_lo, 0xffffff, v[0:1]
	v_add_nc_u32_e32 v2, 15, v3
	v_cndmask_b32_e64 v3, 0, 1, vcc_lo
	v_cndmask_b32_e32 v2, v7, v2, vcc_lo
	s_delay_alu instid0(VALU_DEP_2)
	v_lshrrev_b64 v[0:1], v3, v[0:1]
; %bb.27273:                            ;   in Loop: Header=BB6_26858 Depth=3
	s_and_not1_saveexec_b32 s14, s14
; %bb.27274:                            ;   in Loop: Header=BB6_26858 Depth=3
	s_delay_alu instid0(VALU_DEP_1)
	v_bfe_u32 v2, v0, 23, 1
; %bb.27275:                            ;   in Loop: Header=BB6_26858 Depth=3
	s_or_b32 exec_lo, exec_lo, s14
	s_delay_alu instid0(VALU_DEP_2) | instskip(NEXT) | instid1(VALU_DEP_2)
	v_lshrrev_b64 v[0:1], 21, v[0:1]
	v_cmp_gt_i32_e32 vcc_lo, 32, v2
	v_min_i32_e32 v3, 31, v2
	v_cmp_eq_u32_e64 s14, 0, v2
	s_delay_alu instid0(VALU_DEP_2) | instskip(SKIP_1) | instid1(VALU_DEP_2)
	v_dual_cndmask_b32 v1, 0, v1, vcc_lo :: v_dual_lshlrev_b32 v3, 2, v3
	v_cndmask_b32_e32 v0, 3, v0, vcc_lo
	v_and_b32_e32 v3, 0xfc, v3
	s_delay_alu instid0(VALU_DEP_2) | instskip(NEXT) | instid1(VALU_DEP_2)
	v_cmp_eq_u64_e32 vcc_lo, 0, v[0:1]
	v_and_or_b32 v0, v0, 3, v3
	s_and_b32 s14, s14, vcc_lo
	s_delay_alu instid0(VALU_DEP_1) | instid1(SALU_CYCLE_1)
	v_cndmask_b32_e64 v0, v0, 0, s14
	s_delay_alu instid0(VALU_DEP_1)
	v_or_b32_e32 v28, v0, v6
.LBB6_27276:                            ;   in Loop: Header=BB6_26858 Depth=3
	s_or_b32 exec_lo, exec_lo, s78
                                        ; implicit-def: $vgpr6
.LBB6_27277:                            ;   in Loop: Header=BB6_26858 Depth=3
	s_and_not1_saveexec_b32 s14, s77
; %bb.27278:                            ;   in Loop: Header=BB6_26858 Depth=3
	v_or_b32_e32 v28, 0x7b, v6
; %bb.27279:                            ;   in Loop: Header=BB6_26858 Depth=3
	s_or_b32 exec_lo, exec_lo, s14
                                        ; implicit-def: $vgpr2
                                        ; implicit-def: $vgpr0_vgpr1
                                        ; implicit-def: $vgpr3
.LBB6_27280:                            ;   in Loop: Header=BB6_26858 Depth=3
	s_and_not1_saveexec_b32 s14, s76
	s_cbranch_execz .LBB6_27286
; %bb.27281:                            ;   in Loop: Header=BB6_26858 Depth=3
	s_mov_b32 s76, exec_lo
                                        ; implicit-def: $vgpr28
	v_cmpx_ne_u64_e32 0, v[0:1]
	s_xor_b32 s76, exec_lo, s76
; %bb.27282:                            ;   in Loop: Header=BB6_26858 Depth=3
	v_or_b32_e32 v28, 0x7f, v3
                                        ; implicit-def: $vgpr2
; %bb.27283:                            ;   in Loop: Header=BB6_26858 Depth=3
	s_and_not1_saveexec_b32 s76, s76
; %bb.27284:                            ;   in Loop: Header=BB6_26858 Depth=3
	v_cmp_lt_i32_e32 vcc_lo, -1, v2
	v_mov_b32_e32 v0, 0x7c
	s_delay_alu instid0(VALU_DEP_1)
	v_cndmask_b32_e32 v28, 0xfc, v0, vcc_lo
; %bb.27285:                            ;   in Loop: Header=BB6_26858 Depth=3
	s_or_b32 exec_lo, exec_lo, s76
.LBB6_27286:                            ;   in Loop: Header=BB6_26858 Depth=3
	s_delay_alu instid0(SALU_CYCLE_1) | instskip(SKIP_2) | instid1(VALU_DEP_1)
	s_or_b32 exec_lo, exec_lo, s14
	v_dual_mov_b32 v1, 0 :: v_dual_lshrrev_b32 v0, 16, v11
	s_mov_b32 s14, exec_lo
	v_and_b32_e32 v2, 0xff, v0
	s_delay_alu instid0(VALU_DEP_1)
	v_cmpx_ne_u16_e32 0, v2
	s_cbranch_execz .LBB6_27296
; %bb.27287:                            ;   in Loop: Header=BB6_26858 Depth=3
	v_bfrev_b32_e32 v1, 1
	s_mov_b32 s76, exec_lo
	v_cmpx_ne_u16_e32 0x80, v2
	s_cbranch_execz .LBB6_27295
; %bb.27288:                            ;   in Loop: Header=BB6_26858 Depth=3
	v_and_b32_e32 v1, 0x7c0000, v11
	v_bfe_u32 v2, v11, 16, 2
	s_delay_alu instid0(VALU_DEP_2) | instskip(SKIP_1) | instid1(SALU_CYCLE_1)
	v_cmp_ne_u32_e32 vcc_lo, 0x7c0000, v1
                                        ; implicit-def: $vgpr1
	s_and_saveexec_b32 s77, vcc_lo
	s_xor_b32 s77, exec_lo, s77
	s_cbranch_execz .LBB6_27292
; %bb.27289:                            ;   in Loop: Header=BB6_26858 Depth=3
	v_bfe_u32 v1, v11, 18, 5
	s_mov_b32 s78, exec_lo
	s_delay_alu instid0(VALU_DEP_1)
	v_cmpx_eq_u32_e32 0, v1
; %bb.27290:                            ;   in Loop: Header=BB6_26858 Depth=3
	v_clz_i32_u32_e32 v1, v2
	s_delay_alu instid0(VALU_DEP_1) | instskip(NEXT) | instid1(VALU_DEP_1)
	v_min_u32_e32 v1, 32, v1
	v_subrev_nc_u32_e32 v2, 29, v1
	s_delay_alu instid0(VALU_DEP_1) | instskip(NEXT) | instid1(VALU_DEP_1)
	v_lshlrev_b64_e32 v[2:3], v2, v[0:1]
	v_dual_sub_nc_u32 v1, 30, v1 :: v_dual_bitop2_b32 v2, 3, v2 bitop3:0x40
; %bb.27291:                            ;   in Loop: Header=BB6_26858 Depth=3
	s_or_b32 exec_lo, exec_lo, s78
	v_lshlrev_b32_e32 v0, 24, v0
	s_delay_alu instid0(VALU_DEP_1) | instskip(NEXT) | instid1(VALU_DEP_1)
	v_and_b32_e32 v0, 0x80000000, v0
	v_lshl_add_u32 v0, v1, 23, v0
	s_delay_alu instid0(VALU_DEP_1) | instskip(NEXT) | instid1(VALU_DEP_1)
	v_lshl_or_b32 v0, v2, 21, v0
                                        ; implicit-def: $vgpr2
	v_add_nc_u32_e32 v1, 0x38000000, v0
                                        ; implicit-def: $vgpr0
.LBB6_27292:                            ;   in Loop: Header=BB6_26858 Depth=3
	s_and_not1_saveexec_b32 s77, s77
; %bb.27293:                            ;   in Loop: Header=BB6_26858 Depth=3
	v_bfe_i32 v0, v0, 0, 8
	s_delay_alu instid0(VALU_DEP_1) | instskip(SKIP_1) | instid1(VALU_DEP_1)
	v_cmp_lt_i16_e32 vcc_lo, -1, v0
	v_mov_b32_e32 v0, 0x7f800000
	v_cndmask_b32_e32 v0, 0xff800000, v0, vcc_lo
	v_cmp_eq_u32_e32 vcc_lo, 0, v2
	s_delay_alu instid0(VALU_DEP_2)
	v_cndmask_b32_e32 v1, 0x7f800001, v0, vcc_lo
; %bb.27294:                            ;   in Loop: Header=BB6_26858 Depth=3
	s_or_b32 exec_lo, exec_lo, s77
.LBB6_27295:                            ;   in Loop: Header=BB6_26858 Depth=3
	s_delay_alu instid0(SALU_CYCLE_1)
	s_or_b32 exec_lo, exec_lo, s76
.LBB6_27296:                            ;   in Loop: Header=BB6_26858 Depth=3
	s_delay_alu instid0(SALU_CYCLE_1) | instskip(NEXT) | instid1(VALU_DEP_1)
	s_or_b32 exec_lo, exec_lo, s14
	v_dual_mul_f32 v2, s75, v1 :: v_dual_mov_b32 v7, v113
	v_mov_b32_e32 v1, v113
                                        ; implicit-def: $vgpr30
	s_mov_b32 s14, exec_lo
	s_delay_alu instid0(VALU_DEP_2) | instskip(SKIP_2) | instid1(VALU_DEP_3)
	v_and_b32_e32 v6, 0x7f800000, v2
	v_and_b32_e32 v0, 0x7fffff, v2
	v_lshrrev_b32_e32 v3, 24, v2
	v_cmpx_ne_u64_e32 0x7f800000, v[6:7]
	s_xor_b32 s76, exec_lo, s14
	s_cbranch_execz .LBB6_27310
; %bb.27297:                            ;   in Loop: Header=BB6_26858 Depth=3
	v_and_b32_e32 v6, 0x7fffffff, v2
	v_mov_b32_e32 v7, v113
                                        ; implicit-def: $vgpr30
	s_delay_alu instid0(VALU_DEP_1) | instskip(SKIP_2) | instid1(SALU_CYCLE_1)
	v_cmp_gt_u64_e32 vcc_lo, 0x47600001, v[6:7]
	v_and_b32_e32 v6, 0x80, v3
	s_and_saveexec_b32 s14, vcc_lo
	s_xor_b32 s77, exec_lo, s14
	s_cbranch_execz .LBB6_27307
; %bb.27298:                            ;   in Loop: Header=BB6_26858 Depth=3
	v_mov_b32_e32 v30, 0
	s_mov_b32 s78, exec_lo
	v_cmpx_ne_u32_e32 0, v2
	s_cbranch_execz .LBB6_27306
; %bb.27299:                            ;   in Loop: Header=BB6_26858 Depth=3
	v_bfe_u32 v7, v2, 23, 8
	v_or_b32_e32 v9, 0x800000, v0
	s_delay_alu instid0(VALU_DEP_2) | instskip(SKIP_1) | instid1(VALU_DEP_2)
	v_sub_nc_u32_e32 v2, 0x71, v7
	v_cmp_gt_u32_e32 vcc_lo, 0x72, v7
	v_cndmask_b32_e32 v2, 0, v2, vcc_lo
	v_cmp_eq_u32_e32 vcc_lo, 0, v7
	s_delay_alu instid0(VALU_DEP_2) | instskip(SKIP_1) | instid1(VALU_DEP_2)
	v_cndmask_b32_e64 v8, v2, 0x70, vcc_lo
	v_cndmask_b32_e32 v0, v9, v0, vcc_lo
	v_dual_add_nc_u32 v2, 21, v8 :: v_dual_add_nc_u32 v30, 20, v8
	s_delay_alu instid0(VALU_DEP_1) | instskip(NEXT) | instid1(VALU_DEP_2)
	v_lshlrev_b64_e64 v[2:3], v2, -1
	v_lshlrev_b64_e64 v[32:33], v30, 1
	s_delay_alu instid0(VALU_DEP_2) | instskip(SKIP_1) | instid1(VALU_DEP_4)
	v_bfi_b32 v2, v2, 0, v0
	v_lshrrev_b64 v[0:1], v8, v[0:1]
	v_bfi_b32 v3, v3, 0, 0
	s_delay_alu instid0(VALU_DEP_1) | instskip(NEXT) | instid1(VALU_DEP_3)
	v_cmp_eq_u64_e64 s14, v[2:3], v[32:33]
	v_mov_b64_e32 v[2:3], v[0:1]
	s_and_saveexec_b32 s79, s14
; %bb.27300:                            ;   in Loop: Header=BB6_26858 Depth=3
	v_bfe_u32 v2, v0, 21, 1
	v_mov_b32_e32 v3, v113
	s_delay_alu instid0(VALU_DEP_1) | instskip(NEXT) | instid1(VALU_DEP_1)
	v_add_nc_u64_e32 v[2:3], v[0:1], v[2:3]
	v_add_nc_u64_e32 v[2:3], -1, v[2:3]
; %bb.27301:                            ;   in Loop: Header=BB6_26858 Depth=3
	s_or_b32 exec_lo, exec_lo, s79
	v_add_nc_u32_e32 v1, 0xffffff81, v7
	v_lshrrev_b32_e32 v3, 23, v0
	s_mov_b32 s14, exec_lo
	s_delay_alu instid0(VALU_DEP_2) | instskip(NEXT) | instid1(VALU_DEP_1)
	v_cndmask_b32_e64 v1, v1, 0xffffff82, vcc_lo
	v_add3_u32 v3, v8, v1, v3
	v_and_b32_e32 v1, 0x1fffff, v2
                                        ; implicit-def: $vgpr2
	s_delay_alu instid0(VALU_DEP_1) | instskip(SKIP_1) | instid1(VALU_DEP_2)
	v_dual_add_nc_u32 v7, 14, v3 :: v_dual_add_nc_u32 v0, v1, v0
	v_mov_b32_e32 v1, v113
	v_cmpx_ne_u32_e32 0, v7
	s_xor_b32 s14, exec_lo, s14
; %bb.27302:                            ;   in Loop: Header=BB6_26858 Depth=3
	s_delay_alu instid0(VALU_DEP_2) | instskip(SKIP_2) | instid1(VALU_DEP_2)
	v_cmp_lt_u64_e32 vcc_lo, 0xffffff, v[0:1]
	v_add_nc_u32_e32 v2, 15, v3
	v_cndmask_b32_e64 v3, 0, 1, vcc_lo
	v_cndmask_b32_e32 v2, v7, v2, vcc_lo
	s_delay_alu instid0(VALU_DEP_2)
	v_lshrrev_b64 v[0:1], v3, v[0:1]
; %bb.27303:                            ;   in Loop: Header=BB6_26858 Depth=3
	s_and_not1_saveexec_b32 s14, s14
; %bb.27304:                            ;   in Loop: Header=BB6_26858 Depth=3
	s_delay_alu instid0(VALU_DEP_1)
	v_bfe_u32 v2, v0, 23, 1
; %bb.27305:                            ;   in Loop: Header=BB6_26858 Depth=3
	s_or_b32 exec_lo, exec_lo, s14
	s_delay_alu instid0(VALU_DEP_2) | instskip(NEXT) | instid1(VALU_DEP_2)
	v_lshrrev_b64 v[0:1], 21, v[0:1]
	v_cmp_gt_i32_e32 vcc_lo, 32, v2
	v_min_i32_e32 v3, 31, v2
	v_cmp_eq_u32_e64 s14, 0, v2
	s_delay_alu instid0(VALU_DEP_2) | instskip(SKIP_1) | instid1(VALU_DEP_2)
	v_dual_cndmask_b32 v1, 0, v1, vcc_lo :: v_dual_lshlrev_b32 v3, 2, v3
	v_cndmask_b32_e32 v0, 3, v0, vcc_lo
	v_and_b32_e32 v3, 0xfc, v3
	s_delay_alu instid0(VALU_DEP_2) | instskip(NEXT) | instid1(VALU_DEP_2)
	v_cmp_eq_u64_e32 vcc_lo, 0, v[0:1]
	v_and_or_b32 v0, v0, 3, v3
	s_and_b32 s14, s14, vcc_lo
	s_delay_alu instid0(VALU_DEP_1) | instid1(SALU_CYCLE_1)
	v_cndmask_b32_e64 v0, v0, 0, s14
	s_delay_alu instid0(VALU_DEP_1)
	v_or_b32_e32 v30, v0, v6
.LBB6_27306:                            ;   in Loop: Header=BB6_26858 Depth=3
	s_or_b32 exec_lo, exec_lo, s78
                                        ; implicit-def: $vgpr6
.LBB6_27307:                            ;   in Loop: Header=BB6_26858 Depth=3
	s_and_not1_saveexec_b32 s14, s77
; %bb.27308:                            ;   in Loop: Header=BB6_26858 Depth=3
	v_or_b32_e32 v30, 0x7b, v6
; %bb.27309:                            ;   in Loop: Header=BB6_26858 Depth=3
	s_or_b32 exec_lo, exec_lo, s14
                                        ; implicit-def: $vgpr2
                                        ; implicit-def: $vgpr0_vgpr1
                                        ; implicit-def: $vgpr3
.LBB6_27310:                            ;   in Loop: Header=BB6_26858 Depth=3
	s_and_not1_saveexec_b32 s14, s76
	s_cbranch_execz .LBB6_27316
; %bb.27311:                            ;   in Loop: Header=BB6_26858 Depth=3
	s_mov_b32 s76, exec_lo
                                        ; implicit-def: $vgpr30
	v_cmpx_ne_u64_e32 0, v[0:1]
	s_xor_b32 s76, exec_lo, s76
; %bb.27312:                            ;   in Loop: Header=BB6_26858 Depth=3
	v_or_b32_e32 v30, 0x7f, v3
                                        ; implicit-def: $vgpr2
; %bb.27313:                            ;   in Loop: Header=BB6_26858 Depth=3
	s_and_not1_saveexec_b32 s76, s76
; %bb.27314:                            ;   in Loop: Header=BB6_26858 Depth=3
	v_cmp_lt_i32_e32 vcc_lo, -1, v2
	v_mov_b32_e32 v0, 0x7c
	s_delay_alu instid0(VALU_DEP_1)
	v_cndmask_b32_e32 v30, 0xfc, v0, vcc_lo
; %bb.27315:                            ;   in Loop: Header=BB6_26858 Depth=3
	s_or_b32 exec_lo, exec_lo, s76
.LBB6_27316:                            ;   in Loop: Header=BB6_26858 Depth=3
	s_delay_alu instid0(SALU_CYCLE_1)
	s_or_b32 exec_lo, exec_lo, s14
	v_mov_b32_e32 v1, 0
	s_mov_b32 s14, exec_lo
	v_cmpx_lt_u64_e64 s[22:23], v[10:11]
	s_cbranch_execz .LBB6_27326
; %bb.27317:                            ;   in Loop: Header=BB6_26858 Depth=3
	v_lshrrev_b32_e32 v0, 24, v11
	v_bfrev_b32_e32 v1, 1
	s_mov_b32 s76, exec_lo
	s_delay_alu instid0(VALU_DEP_2)
	v_cmpx_ne_u32_e32 0x80, v0
	s_cbranch_execz .LBB6_27325
; %bb.27318:                            ;   in Loop: Header=BB6_26858 Depth=3
	v_and_b32_e32 v1, 0x7c000000, v11
	v_bfe_u32 v2, v11, 24, 2
	s_delay_alu instid0(VALU_DEP_2) | instskip(SKIP_1) | instid1(SALU_CYCLE_1)
	v_cmp_ne_u32_e32 vcc_lo, 0x7c000000, v1
                                        ; implicit-def: $vgpr1
	s_and_saveexec_b32 s77, vcc_lo
	s_xor_b32 s77, exec_lo, s77
	s_cbranch_execz .LBB6_27322
; %bb.27319:                            ;   in Loop: Header=BB6_26858 Depth=3
	v_bfe_u32 v1, v11, 26, 5
	s_mov_b32 s78, exec_lo
	s_delay_alu instid0(VALU_DEP_1)
	v_cmpx_eq_u32_e32 0, v1
; %bb.27320:                            ;   in Loop: Header=BB6_26858 Depth=3
	v_clz_i32_u32_e32 v1, v2
	s_delay_alu instid0(VALU_DEP_1) | instskip(NEXT) | instid1(VALU_DEP_1)
	v_min_u32_e32 v2, 32, v1
	v_subrev_nc_u32_e32 v1, 29, v2
	s_delay_alu instid0(VALU_DEP_1) | instskip(NEXT) | instid1(VALU_DEP_1)
	v_lshlrev_b64_e32 v[0:1], v1, v[0:1]
	v_dual_sub_nc_u32 v1, 30, v2 :: v_dual_bitop2_b32 v2, 3, v0 bitop3:0x40
; %bb.27321:                            ;   in Loop: Header=BB6_26858 Depth=3
	s_or_b32 exec_lo, exec_lo, s78
	v_and_b32_e32 v0, 0x80000000, v11
                                        ; implicit-def: $vgpr10_vgpr11
	s_delay_alu instid0(VALU_DEP_1) | instskip(NEXT) | instid1(VALU_DEP_1)
	v_lshl_add_u32 v0, v1, 23, v0
	v_lshl_or_b32 v0, v2, 21, v0
                                        ; implicit-def: $vgpr2
	s_delay_alu instid0(VALU_DEP_1)
	v_add_nc_u32_e32 v1, 0x38000000, v0
.LBB6_27322:                            ;   in Loop: Header=BB6_26858 Depth=3
	s_and_not1_saveexec_b32 s77, s77
; %bb.27323:                            ;   in Loop: Header=BB6_26858 Depth=3
	v_cmp_lt_i64_e32 vcc_lo, -1, v[10:11]
	v_mov_b32_e32 v0, 0x7f800000
	s_delay_alu instid0(VALU_DEP_1) | instskip(SKIP_1) | instid1(VALU_DEP_2)
	v_cndmask_b32_e32 v0, 0xff800000, v0, vcc_lo
	v_cmp_eq_u32_e32 vcc_lo, 0, v2
	v_cndmask_b32_e32 v1, 0x7f800001, v0, vcc_lo
; %bb.27324:                            ;   in Loop: Header=BB6_26858 Depth=3
	s_or_b32 exec_lo, exec_lo, s77
.LBB6_27325:                            ;   in Loop: Header=BB6_26858 Depth=3
	s_delay_alu instid0(SALU_CYCLE_1)
	s_or_b32 exec_lo, exec_lo, s76
.LBB6_27326:                            ;   in Loop: Header=BB6_26858 Depth=3
	s_delay_alu instid0(SALU_CYCLE_1) | instskip(NEXT) | instid1(VALU_DEP_1)
	s_or_b32 exec_lo, exec_lo, s14
	v_dual_mul_f32 v2, s75, v1 :: v_dual_mov_b32 v7, v113
	v_mov_b32_e32 v1, v113
                                        ; implicit-def: $vgpr33
	s_mov_b32 s14, exec_lo
	s_delay_alu instid0(VALU_DEP_2) | instskip(SKIP_2) | instid1(VALU_DEP_3)
	v_and_b32_e32 v6, 0x7f800000, v2
	v_and_b32_e32 v0, 0x7fffff, v2
	v_lshrrev_b32_e32 v3, 24, v2
	v_cmpx_ne_u64_e32 0x7f800000, v[6:7]
	s_xor_b32 s75, exec_lo, s14
	s_cbranch_execz .LBB6_27340
; %bb.27327:                            ;   in Loop: Header=BB6_26858 Depth=3
	v_and_b32_e32 v6, 0x7fffffff, v2
	v_mov_b32_e32 v7, v113
                                        ; implicit-def: $vgpr33
	s_delay_alu instid0(VALU_DEP_1) | instskip(SKIP_2) | instid1(SALU_CYCLE_1)
	v_cmp_gt_u64_e32 vcc_lo, 0x47600001, v[6:7]
	v_and_b32_e32 v6, 0x80, v3
	s_and_saveexec_b32 s14, vcc_lo
	s_xor_b32 s76, exec_lo, s14
	s_cbranch_execz .LBB6_27337
; %bb.27328:                            ;   in Loop: Header=BB6_26858 Depth=3
	v_mov_b32_e32 v33, 0
	s_mov_b32 s77, exec_lo
	v_cmpx_ne_u32_e32 0, v2
	s_cbranch_execz .LBB6_27336
; %bb.27329:                            ;   in Loop: Header=BB6_26858 Depth=3
	v_bfe_u32 v7, v2, 23, 8
	v_or_b32_e32 v9, 0x800000, v0
	s_delay_alu instid0(VALU_DEP_2) | instskip(SKIP_1) | instid1(VALU_DEP_2)
	v_sub_nc_u32_e32 v2, 0x71, v7
	v_cmp_gt_u32_e32 vcc_lo, 0x72, v7
	v_cndmask_b32_e32 v2, 0, v2, vcc_lo
	v_cmp_eq_u32_e32 vcc_lo, 0, v7
	s_delay_alu instid0(VALU_DEP_2) | instskip(SKIP_1) | instid1(VALU_DEP_2)
	v_cndmask_b32_e64 v8, v2, 0x70, vcc_lo
	v_cndmask_b32_e32 v0, v9, v0, vcc_lo
	v_dual_add_nc_u32 v2, 21, v8 :: v_dual_add_nc_u32 v10, 20, v8
	s_delay_alu instid0(VALU_DEP_1) | instskip(NEXT) | instid1(VALU_DEP_2)
	v_lshlrev_b64_e64 v[2:3], v2, -1
	v_lshlrev_b64_e64 v[10:11], v10, 1
	s_delay_alu instid0(VALU_DEP_2) | instskip(SKIP_1) | instid1(VALU_DEP_4)
	v_bfi_b32 v2, v2, 0, v0
	v_lshrrev_b64 v[0:1], v8, v[0:1]
	v_bfi_b32 v3, v3, 0, 0
	s_delay_alu instid0(VALU_DEP_1) | instskip(NEXT) | instid1(VALU_DEP_3)
	v_cmp_eq_u64_e64 s14, v[2:3], v[10:11]
	v_mov_b64_e32 v[2:3], v[0:1]
	s_and_saveexec_b32 s78, s14
; %bb.27330:                            ;   in Loop: Header=BB6_26858 Depth=3
	v_bfe_u32 v2, v0, 21, 1
	v_mov_b32_e32 v3, v113
	s_delay_alu instid0(VALU_DEP_1) | instskip(NEXT) | instid1(VALU_DEP_1)
	v_add_nc_u64_e32 v[2:3], v[0:1], v[2:3]
	v_add_nc_u64_e32 v[2:3], -1, v[2:3]
; %bb.27331:                            ;   in Loop: Header=BB6_26858 Depth=3
	s_or_b32 exec_lo, exec_lo, s78
	v_add_nc_u32_e32 v1, 0xffffff81, v7
	v_lshrrev_b32_e32 v3, 23, v0
	s_mov_b32 s14, exec_lo
	s_delay_alu instid0(VALU_DEP_2) | instskip(NEXT) | instid1(VALU_DEP_1)
	v_cndmask_b32_e64 v1, v1, 0xffffff82, vcc_lo
	v_add3_u32 v3, v8, v1, v3
	v_and_b32_e32 v1, 0x1fffff, v2
                                        ; implicit-def: $vgpr2
	s_delay_alu instid0(VALU_DEP_1) | instskip(SKIP_1) | instid1(VALU_DEP_2)
	v_dual_add_nc_u32 v7, 14, v3 :: v_dual_add_nc_u32 v0, v1, v0
	v_mov_b32_e32 v1, v113
	v_cmpx_ne_u32_e32 0, v7
	s_xor_b32 s14, exec_lo, s14
; %bb.27332:                            ;   in Loop: Header=BB6_26858 Depth=3
	s_delay_alu instid0(VALU_DEP_2) | instskip(SKIP_2) | instid1(VALU_DEP_2)
	v_cmp_lt_u64_e32 vcc_lo, 0xffffff, v[0:1]
	v_add_nc_u32_e32 v2, 15, v3
	v_cndmask_b32_e64 v3, 0, 1, vcc_lo
	v_cndmask_b32_e32 v2, v7, v2, vcc_lo
	s_delay_alu instid0(VALU_DEP_2)
	v_lshrrev_b64 v[0:1], v3, v[0:1]
; %bb.27333:                            ;   in Loop: Header=BB6_26858 Depth=3
	s_and_not1_saveexec_b32 s14, s14
; %bb.27334:                            ;   in Loop: Header=BB6_26858 Depth=3
	s_delay_alu instid0(VALU_DEP_1)
	v_bfe_u32 v2, v0, 23, 1
; %bb.27335:                            ;   in Loop: Header=BB6_26858 Depth=3
	s_or_b32 exec_lo, exec_lo, s14
	s_delay_alu instid0(VALU_DEP_2) | instskip(NEXT) | instid1(VALU_DEP_2)
	v_lshrrev_b64 v[0:1], 21, v[0:1]
	v_cmp_gt_i32_e32 vcc_lo, 32, v2
	v_min_i32_e32 v3, 31, v2
	v_cmp_eq_u32_e64 s14, 0, v2
	s_delay_alu instid0(VALU_DEP_2) | instskip(SKIP_1) | instid1(VALU_DEP_2)
	v_dual_cndmask_b32 v1, 0, v1, vcc_lo :: v_dual_lshlrev_b32 v3, 2, v3
	v_cndmask_b32_e32 v0, 3, v0, vcc_lo
	v_and_b32_e32 v3, 0xfc, v3
	s_delay_alu instid0(VALU_DEP_2) | instskip(NEXT) | instid1(VALU_DEP_2)
	v_cmp_eq_u64_e32 vcc_lo, 0, v[0:1]
	v_and_or_b32 v0, v0, 3, v3
	s_and_b32 s14, s14, vcc_lo
	s_delay_alu instid0(VALU_DEP_1) | instid1(SALU_CYCLE_1)
	v_cndmask_b32_e64 v0, v0, 0, s14
	s_delay_alu instid0(VALU_DEP_1)
	v_or_b32_e32 v33, v0, v6
.LBB6_27336:                            ;   in Loop: Header=BB6_26858 Depth=3
	s_or_b32 exec_lo, exec_lo, s77
                                        ; implicit-def: $vgpr6
.LBB6_27337:                            ;   in Loop: Header=BB6_26858 Depth=3
	s_and_not1_saveexec_b32 s14, s76
; %bb.27338:                            ;   in Loop: Header=BB6_26858 Depth=3
	v_or_b32_e32 v33, 0x7b, v6
; %bb.27339:                            ;   in Loop: Header=BB6_26858 Depth=3
	s_or_b32 exec_lo, exec_lo, s14
                                        ; implicit-def: $vgpr2
                                        ; implicit-def: $vgpr0_vgpr1
                                        ; implicit-def: $vgpr3
.LBB6_27340:                            ;   in Loop: Header=BB6_26858 Depth=3
	s_and_not1_saveexec_b32 s14, s75
	s_cbranch_execz .LBB6_27346
; %bb.27341:                            ;   in Loop: Header=BB6_26858 Depth=3
	s_mov_b32 s75, exec_lo
                                        ; implicit-def: $vgpr33
	v_cmpx_ne_u64_e32 0, v[0:1]
	s_xor_b32 s75, exec_lo, s75
; %bb.27342:                            ;   in Loop: Header=BB6_26858 Depth=3
	v_or_b32_e32 v33, 0x7f, v3
                                        ; implicit-def: $vgpr2
; %bb.27343:                            ;   in Loop: Header=BB6_26858 Depth=3
	s_and_not1_saveexec_b32 s75, s75
; %bb.27344:                            ;   in Loop: Header=BB6_26858 Depth=3
	v_cmp_lt_i32_e32 vcc_lo, -1, v2
	v_mov_b32_e32 v0, 0x7c
	s_delay_alu instid0(VALU_DEP_1)
	v_cndmask_b32_e32 v33, 0xfc, v0, vcc_lo
; %bb.27345:                            ;   in Loop: Header=BB6_26858 Depth=3
	s_or_b32 exec_lo, exec_lo, s75
.LBB6_27346:                            ;   in Loop: Header=BB6_26858 Depth=3
	s_delay_alu instid0(SALU_CYCLE_1)
	s_or_b32 exec_lo, exec_lo, s14
	global_load_b128 v[8:11], v[14:15], off th:TH_LOAD_NT
	v_lshl_or_b32 v32, v24, 8, v17
	v_dual_lshlrev_b32 v0, 16, v26 :: v_dual_lshlrev_b32 v1, 24, v29
	s_mov_b32 s14, exec_lo
	v_mov_b32_e32 v2, 0
	s_delay_alu instid0(VALU_DEP_2)
	v_or3_b32 v0, v0, v1, v32
	v_mov_b32_e32 v1, v113
	s_wait_xcnt 0x0
	v_cmpx_ne_u32_e32 0, v17
	s_cbranch_execz .LBB6_27356
; %bb.27347:                            ;   in Loop: Header=BB6_26858 Depth=3
	v_bfrev_b32_e32 v2, 1
	s_mov_b32 s75, exec_lo
	v_cmpx_ne_u32_e32 0x80, v17
	s_cbranch_execz .LBB6_27355
; %bb.27348:                            ;   in Loop: Header=BB6_26858 Depth=3
	v_and_b32_e32 v2, 0x7c, v17
	v_and_b32_e32 v3, 3, v17
	s_delay_alu instid0(VALU_DEP_2) | instskip(SKIP_1) | instid1(SALU_CYCLE_1)
	v_cmp_ne_u32_e32 vcc_lo, 0x7c, v2
                                        ; implicit-def: $vgpr2
	s_and_saveexec_b32 s76, vcc_lo
	s_xor_b32 s76, exec_lo, s76
	s_cbranch_execz .LBB6_27352
; %bb.27349:                            ;   in Loop: Header=BB6_26858 Depth=3
	v_bfe_u32 v2, v17, 2, 5
	s_mov_b32 s77, exec_lo
	s_delay_alu instid0(VALU_DEP_1)
	v_cmpx_eq_u32_e32 0, v2
; %bb.27350:                            ;   in Loop: Header=BB6_26858 Depth=3
	v_clz_i32_u32_e32 v2, v3
	s_delay_alu instid0(VALU_DEP_1) | instskip(NEXT) | instid1(VALU_DEP_1)
	v_min_u32_e32 v2, 32, v2
	v_subrev_nc_u32_e32 v3, 29, v2
	v_sub_nc_u32_e32 v2, 30, v2
	s_delay_alu instid0(VALU_DEP_2) | instskip(NEXT) | instid1(VALU_DEP_1)
	v_lshlrev_b64_e32 v[6:7], v3, v[0:1]
	v_and_b32_e32 v3, 3, v6
; %bb.27351:                            ;   in Loop: Header=BB6_26858 Depth=3
	s_or_b32 exec_lo, exec_lo, s77
	v_lshlrev_b32_e32 v1, 24, v17
                                        ; implicit-def: $vgpr17
	s_delay_alu instid0(VALU_DEP_1) | instskip(NEXT) | instid1(VALU_DEP_1)
	v_and_b32_e32 v1, 0x80000000, v1
	v_lshl_add_u32 v1, v2, 23, v1
	s_delay_alu instid0(VALU_DEP_1) | instskip(NEXT) | instid1(VALU_DEP_1)
	v_lshl_or_b32 v1, v3, 21, v1
                                        ; implicit-def: $vgpr3
	v_add_nc_u32_e32 v2, 0x38000000, v1
.LBB6_27352:                            ;   in Loop: Header=BB6_26858 Depth=3
	s_and_not1_saveexec_b32 s76, s76
; %bb.27353:                            ;   in Loop: Header=BB6_26858 Depth=3
	v_and_b32_e32 v1, 0x80, v17
	s_delay_alu instid0(VALU_DEP_1) | instskip(SKIP_1) | instid1(VALU_DEP_1)
	v_cmp_eq_u32_e32 vcc_lo, 0, v1
	v_mov_b32_e32 v1, 0x7f800000
	v_cndmask_b32_e32 v1, 0xff800000, v1, vcc_lo
	v_cmp_eq_u32_e32 vcc_lo, 0, v3
	s_delay_alu instid0(VALU_DEP_2)
	v_cndmask_b32_e32 v2, 0x7f800001, v1, vcc_lo
; %bb.27354:                            ;   in Loop: Header=BB6_26858 Depth=3
	s_or_b32 exec_lo, exec_lo, s76
.LBB6_27355:                            ;   in Loop: Header=BB6_26858 Depth=3
	s_delay_alu instid0(SALU_CYCLE_1)
	s_or_b32 exec_lo, exec_lo, s75
.LBB6_27356:                            ;   in Loop: Header=BB6_26858 Depth=3
	s_delay_alu instid0(SALU_CYCLE_1) | instskip(SKIP_4) | instid1(VALU_DEP_1)
	s_or_b32 exec_lo, exec_lo, s14
	s_wait_loadcnt 0x0
	v_and_b32_e32 v3, 0xff, v8
	s_mov_b32 s75, 0
	s_mov_b32 s14, exec_lo
	v_cmpx_lt_i16_e32 0x7f, v3
	s_xor_b32 s14, exec_lo, s14
	s_cbranch_execz .LBB6_27897
; %bb.27357:                            ;   in Loop: Header=BB6_26858 Depth=3
	s_mov_b32 s75, -1
	s_mov_b32 s76, exec_lo
	v_cmpx_eq_u16_e32 0x80, v3
; %bb.27358:                            ;   in Loop: Header=BB6_26858 Depth=3
	s_xor_b32 s75, exec_lo, -1
; %bb.27359:                            ;   in Loop: Header=BB6_26858 Depth=3
	s_or_b32 exec_lo, exec_lo, s76
	s_delay_alu instid0(SALU_CYCLE_1)
	s_and_b32 s75, s75, exec_lo
                                        ; implicit-def: $vgpr3
	s_or_saveexec_b32 s14, s14
	v_bfrev_b32_e32 v1, 1
	s_xor_b32 exec_lo, exec_lo, s14
	s_cbranch_execnz .LBB6_27898
.LBB6_27360:                            ;   in Loop: Header=BB6_26858 Depth=3
	s_or_b32 exec_lo, exec_lo, s14
	s_and_saveexec_b32 s14, s75
	s_cbranch_execz .LBB6_27362
.LBB6_27361:                            ;   in Loop: Header=BB6_26858 Depth=3
	v_and_b32_e32 v1, 3, v8
	v_bfe_u32 v17, v8, 2, 5
	s_delay_alu instid0(VALU_DEP_2) | instskip(NEXT) | instid1(VALU_DEP_2)
	v_clz_i32_u32_e32 v3, v1
	v_cmp_eq_u32_e32 vcc_lo, 0, v17
	s_delay_alu instid0(VALU_DEP_2) | instskip(NEXT) | instid1(VALU_DEP_1)
	v_min_u32_e32 v3, 32, v3
	v_subrev_nc_u32_e32 v6, 29, v3
	s_delay_alu instid0(VALU_DEP_1) | instskip(SKIP_1) | instid1(VALU_DEP_1)
	v_lshlrev_b64_e32 v[6:7], v6, v[8:9]
	v_dual_lshlrev_b32 v7, 24, v8 :: v_dual_sub_nc_u32 v3, 30, v3
	v_and_b32_e32 v7, 0x80000000, v7
	s_delay_alu instid0(VALU_DEP_2) | instskip(SKIP_1) | instid1(VALU_DEP_2)
	v_dual_cndmask_b32 v3, v17, v3, vcc_lo :: v_dual_bitop2_b32 v6, 3, v6 bitop3:0x40
	v_bfe_i32 v17, v8, 0, 8
	v_cndmask_b32_e32 v6, v1, v6, vcc_lo
	s_delay_alu instid0(VALU_DEP_3) | instskip(NEXT) | instid1(VALU_DEP_3)
	v_lshl_add_u32 v3, v3, 23, v7
	v_cmp_lt_i16_e32 vcc_lo, -1, v17
	v_mov_b32_e32 v7, 0x7f800000
	s_delay_alu instid0(VALU_DEP_3) | instskip(SKIP_1) | instid1(VALU_DEP_3)
	v_lshl_or_b32 v3, v6, 21, v3
	v_and_b32_e32 v6, 0x7c, v8
	v_cndmask_b32_e32 v7, 0xff800000, v7, vcc_lo
	v_cmp_eq_u32_e32 vcc_lo, 0, v1
	s_delay_alu instid0(VALU_DEP_4) | instskip(NEXT) | instid1(VALU_DEP_3)
	v_add_nc_u32_e32 v3, 0x38000000, v3
	v_cndmask_b32_e32 v1, 0x7f800001, v7, vcc_lo
	v_cmp_eq_u32_e32 vcc_lo, 0x7c, v6
	s_delay_alu instid0(VALU_DEP_2)
	v_cndmask_b32_e32 v1, v3, v1, vcc_lo
.LBB6_27362:                            ;   in Loop: Header=BB6_26858 Depth=3
	s_or_b32 exec_lo, exec_lo, s14
	s_delay_alu instid0(VALU_DEP_1) | instskip(SKIP_2) | instid1(VALU_DEP_2)
	v_dual_add_f32 v6, v2, v1 :: v_dual_mov_b32 v49, v113
	v_mov_b32_e32 v3, v113
                                        ; implicit-def: $vgpr24
	s_mov_b32 s14, exec_lo
	v_and_b32_e32 v48, 0x7f800000, v6
	v_and_b32_e32 v2, 0x7fffff, v6
	v_lshrrev_b32_e32 v1, 24, v6
	s_delay_alu instid0(VALU_DEP_3)
	v_cmpx_ne_u64_e32 0x7f800000, v[48:49]
	s_xor_b32 s75, exec_lo, s14
	s_cbranch_execz .LBB6_27376
; %bb.27363:                            ;   in Loop: Header=BB6_26858 Depth=3
	v_and_b32_e32 v48, 0x7fffffff, v6
	v_mov_b32_e32 v49, v113
	v_and_b32_e32 v1, 0x80, v1
                                        ; implicit-def: $vgpr24
	s_mov_b32 s14, exec_lo
	s_delay_alu instid0(VALU_DEP_2)
	v_cmpx_gt_u64_e32 0x47600001, v[48:49]
	s_xor_b32 s76, exec_lo, s14
	s_cbranch_execz .LBB6_27373
; %bb.27364:                            ;   in Loop: Header=BB6_26858 Depth=3
	v_mov_b32_e32 v24, 0
	s_mov_b32 s77, exec_lo
	v_cmpx_ne_u32_e32 0, v6
	s_cbranch_execz .LBB6_27372
; %bb.27365:                            ;   in Loop: Header=BB6_26858 Depth=3
	v_bfe_u32 v17, v6, 23, 8
	v_or_b32_e32 v26, 0x800000, v2
	s_delay_alu instid0(VALU_DEP_2) | instskip(SKIP_1) | instid1(VALU_DEP_2)
	v_sub_nc_u32_e32 v6, 0x71, v17
	v_cmp_gt_u32_e32 vcc_lo, 0x72, v17
	v_cndmask_b32_e32 v6, 0, v6, vcc_lo
	v_cmp_eq_u32_e32 vcc_lo, 0, v17
	s_delay_alu instid0(VALU_DEP_2) | instskip(NEXT) | instid1(VALU_DEP_1)
	v_cndmask_b32_e64 v24, v6, 0x70, vcc_lo
	v_dual_cndmask_b32 v2, v26, v2, vcc_lo :: v_dual_add_nc_u32 v6, 21, v24
	v_add_nc_u32_e32 v29, 20, v24
	s_delay_alu instid0(VALU_DEP_2) | instskip(NEXT) | instid1(VALU_DEP_2)
	v_lshlrev_b64_e64 v[6:7], v6, -1
	v_lshlrev_b64_e64 v[48:49], v29, 1
	s_delay_alu instid0(VALU_DEP_2) | instskip(SKIP_1) | instid1(VALU_DEP_4)
	v_bfi_b32 v6, v6, 0, v2
	v_lshrrev_b64 v[2:3], v24, v[2:3]
	v_bfi_b32 v7, v7, 0, 0
	s_delay_alu instid0(VALU_DEP_1) | instskip(NEXT) | instid1(VALU_DEP_3)
	v_cmp_eq_u64_e64 s14, v[6:7], v[48:49]
	v_mov_b64_e32 v[6:7], v[2:3]
	s_and_saveexec_b32 s78, s14
; %bb.27366:                            ;   in Loop: Header=BB6_26858 Depth=3
	v_bfe_u32 v6, v2, 21, 1
	v_mov_b32_e32 v7, v113
	s_delay_alu instid0(VALU_DEP_1) | instskip(NEXT) | instid1(VALU_DEP_1)
	v_add_nc_u64_e32 v[6:7], v[2:3], v[6:7]
	v_add_nc_u64_e32 v[6:7], -1, v[6:7]
; %bb.27367:                            ;   in Loop: Header=BB6_26858 Depth=3
	s_or_b32 exec_lo, exec_lo, s78
	v_add_nc_u32_e32 v3, 0xffffff81, v17
	v_lshrrev_b32_e32 v7, 23, v2
	s_mov_b32 s14, exec_lo
	s_delay_alu instid0(VALU_DEP_2) | instskip(NEXT) | instid1(VALU_DEP_1)
	v_cndmask_b32_e64 v3, v3, 0xffffff82, vcc_lo
	v_add3_u32 v7, v24, v3, v7
	v_and_b32_e32 v3, 0x1fffff, v6
                                        ; implicit-def: $vgpr6
	s_delay_alu instid0(VALU_DEP_1) | instskip(SKIP_1) | instid1(VALU_DEP_2)
	v_dual_add_nc_u32 v17, 14, v7 :: v_dual_add_nc_u32 v2, v3, v2
	v_mov_b32_e32 v3, v113
	v_cmpx_ne_u32_e32 0, v17
	s_xor_b32 s14, exec_lo, s14
; %bb.27368:                            ;   in Loop: Header=BB6_26858 Depth=3
	s_delay_alu instid0(VALU_DEP_2) | instskip(SKIP_2) | instid1(VALU_DEP_2)
	v_cmp_lt_u64_e32 vcc_lo, 0xffffff, v[2:3]
	v_add_nc_u32_e32 v6, 15, v7
	v_cndmask_b32_e64 v7, 0, 1, vcc_lo
	v_cndmask_b32_e32 v6, v17, v6, vcc_lo
	s_delay_alu instid0(VALU_DEP_2)
	v_lshrrev_b64 v[2:3], v7, v[2:3]
; %bb.27369:                            ;   in Loop: Header=BB6_26858 Depth=3
	s_and_not1_saveexec_b32 s14, s14
; %bb.27370:                            ;   in Loop: Header=BB6_26858 Depth=3
	s_delay_alu instid0(VALU_DEP_1)
	v_bfe_u32 v6, v2, 23, 1
; %bb.27371:                            ;   in Loop: Header=BB6_26858 Depth=3
	s_or_b32 exec_lo, exec_lo, s14
	s_delay_alu instid0(VALU_DEP_2) | instskip(NEXT) | instid1(VALU_DEP_2)
	v_lshrrev_b64 v[2:3], 21, v[2:3]
	v_cmp_gt_i32_e32 vcc_lo, 32, v6
	v_min_i32_e32 v7, 31, v6
	v_cmp_eq_u32_e64 s14, 0, v6
	s_delay_alu instid0(VALU_DEP_4) | instskip(NEXT) | instid1(VALU_DEP_3)
	v_cndmask_b32_e32 v3, 0, v3, vcc_lo
	v_dual_cndmask_b32 v2, 3, v2 :: v_dual_lshlrev_b32 v7, 2, v7
	s_delay_alu instid0(VALU_DEP_1) | instskip(NEXT) | instid1(VALU_DEP_2)
	v_and_b32_e32 v7, 0xfc, v7
	v_cmp_eq_u64_e32 vcc_lo, 0, v[2:3]
	s_delay_alu instid0(VALU_DEP_2)
	v_and_or_b32 v2, v2, 3, v7
	s_and_b32 s14, s14, vcc_lo
	s_delay_alu instid0(VALU_DEP_1) | instid1(SALU_CYCLE_1)
	v_cndmask_b32_e64 v2, v2, 0, s14
	s_delay_alu instid0(VALU_DEP_1)
	v_or_b32_e32 v24, v2, v1
.LBB6_27372:                            ;   in Loop: Header=BB6_26858 Depth=3
	s_or_b32 exec_lo, exec_lo, s77
                                        ; implicit-def: $vgpr1
.LBB6_27373:                            ;   in Loop: Header=BB6_26858 Depth=3
	s_and_not1_saveexec_b32 s14, s76
; %bb.27374:                            ;   in Loop: Header=BB6_26858 Depth=3
	v_or_b32_e32 v24, 0x7b, v1
; %bb.27375:                            ;   in Loop: Header=BB6_26858 Depth=3
	s_or_b32 exec_lo, exec_lo, s14
                                        ; implicit-def: $vgpr6
                                        ; implicit-def: $vgpr2_vgpr3
                                        ; implicit-def: $vgpr1
.LBB6_27376:                            ;   in Loop: Header=BB6_26858 Depth=3
	s_and_not1_saveexec_b32 s14, s75
	s_cbranch_execz .LBB6_27382
; %bb.27377:                            ;   in Loop: Header=BB6_26858 Depth=3
	s_mov_b32 s75, exec_lo
                                        ; implicit-def: $vgpr24
	v_cmpx_ne_u64_e32 0, v[2:3]
	s_xor_b32 s75, exec_lo, s75
; %bb.27378:                            ;   in Loop: Header=BB6_26858 Depth=3
	v_or_b32_e32 v24, 0x7f, v1
                                        ; implicit-def: $vgpr6
; %bb.27379:                            ;   in Loop: Header=BB6_26858 Depth=3
	s_and_not1_saveexec_b32 s75, s75
; %bb.27380:                            ;   in Loop: Header=BB6_26858 Depth=3
	v_cmp_lt_i32_e32 vcc_lo, -1, v6
	v_mov_b32_e32 v1, 0x7c
	s_delay_alu instid0(VALU_DEP_1)
	v_cndmask_b32_e32 v24, 0xfc, v1, vcc_lo
; %bb.27381:                            ;   in Loop: Header=BB6_26858 Depth=3
	s_or_b32 exec_lo, exec_lo, s75
.LBB6_27382:                            ;   in Loop: Header=BB6_26858 Depth=3
	s_delay_alu instid0(SALU_CYCLE_1) | instskip(SKIP_3) | instid1(VALU_DEP_2)
	s_or_b32 exec_lo, exec_lo, s14
	v_lshrrev_b16 v2, 8, v32
	v_mov_b32_e32 v1, 0
	s_mov_b32 s14, exec_lo
	v_cmpx_ne_u16_e32 0, v2
	s_cbranch_execz .LBB6_27392
; %bb.27383:                            ;   in Loop: Header=BB6_26858 Depth=3
	v_bfrev_b32_e32 v1, 1
	s_mov_b32 s75, exec_lo
	v_cmpx_ne_u16_e32 0x80, v2
	s_cbranch_execz .LBB6_27391
; %bb.27384:                            ;   in Loop: Header=BB6_26858 Depth=3
	v_and_b32_e32 v6, 0xffff, v2
	s_delay_alu instid0(VALU_DEP_1) | instskip(SKIP_1) | instid1(VALU_DEP_2)
	v_and_b32_e32 v1, 0x7c, v6
	v_and_b32_e32 v3, 3, v6
	v_cmp_ne_u32_e32 vcc_lo, 0x7c, v1
                                        ; implicit-def: $vgpr1
	s_and_saveexec_b32 s76, vcc_lo
	s_delay_alu instid0(SALU_CYCLE_1)
	s_xor_b32 s76, exec_lo, s76
	s_cbranch_execz .LBB6_27388
; %bb.27385:                            ;   in Loop: Header=BB6_26858 Depth=3
	v_bfe_u32 v1, v6, 2, 5
	s_mov_b32 s77, exec_lo
	s_delay_alu instid0(VALU_DEP_1)
	v_cmpx_eq_u32_e32 0, v1
	s_cbranch_execz .LBB6_27387
; %bb.27386:                            ;   in Loop: Header=BB6_26858 Depth=3
	v_clz_i32_u32_e32 v1, v3
	s_delay_alu instid0(VALU_DEP_1) | instskip(SKIP_1) | instid1(VALU_DEP_2)
	v_min_u32_e32 v1, 32, v1
	v_mov_b32_e32 v3, v113
	v_subrev_nc_u32_e32 v6, 29, v1
	v_sub_nc_u32_e32 v1, 30, v1
	s_delay_alu instid0(VALU_DEP_2) | instskip(NEXT) | instid1(VALU_DEP_1)
	v_lshlrev_b64_e32 v[2:3], v6, v[2:3]
	v_and_b32_e32 v3, 3, v2
.LBB6_27387:                            ;   in Loop: Header=BB6_26858 Depth=3
	s_or_b32 exec_lo, exec_lo, s77
	v_lshlrev_b32_e32 v2, 16, v32
                                        ; implicit-def: $vgpr32
	s_delay_alu instid0(VALU_DEP_1) | instskip(NEXT) | instid1(VALU_DEP_1)
	v_and_b32_e32 v2, 0x80000000, v2
	v_lshl_add_u32 v1, v1, 23, v2
	s_delay_alu instid0(VALU_DEP_1) | instskip(NEXT) | instid1(VALU_DEP_1)
	v_lshl_or_b32 v1, v3, 21, v1
                                        ; implicit-def: $vgpr3
	v_add_nc_u32_e32 v1, 0x38000000, v1
.LBB6_27388:                            ;   in Loop: Header=BB6_26858 Depth=3
	s_and_not1_saveexec_b32 s76, s76
; %bb.27389:                            ;   in Loop: Header=BB6_26858 Depth=3
	v_cmp_lt_i16_e32 vcc_lo, -1, v32
	v_mov_b32_e32 v1, 0x7f800000
	s_delay_alu instid0(VALU_DEP_1) | instskip(SKIP_1) | instid1(VALU_DEP_2)
	v_cndmask_b32_e32 v1, 0xff800000, v1, vcc_lo
	v_cmp_eq_u32_e32 vcc_lo, 0, v3
	v_cndmask_b32_e32 v1, 0x7f800001, v1, vcc_lo
; %bb.27390:                            ;   in Loop: Header=BB6_26858 Depth=3
	s_or_b32 exec_lo, exec_lo, s76
.LBB6_27391:                            ;   in Loop: Header=BB6_26858 Depth=3
	s_delay_alu instid0(SALU_CYCLE_1)
	s_or_b32 exec_lo, exec_lo, s75
.LBB6_27392:                            ;   in Loop: Header=BB6_26858 Depth=3
	s_delay_alu instid0(SALU_CYCLE_1) | instskip(SKIP_3) | instid1(VALU_DEP_1)
	s_or_b32 exec_lo, exec_lo, s14
	v_lshrrev_b16 v2, 8, v8
	s_mov_b32 s75, 0
	s_mov_b32 s14, exec_lo
	v_cmpx_lt_i16_e32 0x7f, v2
	s_xor_b32 s14, exec_lo, s14
	s_cbranch_execz .LBB6_27899
; %bb.27393:                            ;   in Loop: Header=BB6_26858 Depth=3
	s_mov_b32 s75, -1
	s_mov_b32 s76, exec_lo
	v_cmpx_eq_u16_e32 0x80, v2
; %bb.27394:                            ;   in Loop: Header=BB6_26858 Depth=3
	s_xor_b32 s75, exec_lo, -1
; %bb.27395:                            ;   in Loop: Header=BB6_26858 Depth=3
	s_or_b32 exec_lo, exec_lo, s76
	s_delay_alu instid0(SALU_CYCLE_1)
	s_and_b32 s75, s75, exec_lo
	s_or_saveexec_b32 s14, s14
	v_bfrev_b32_e32 v3, 1
	s_xor_b32 exec_lo, exec_lo, s14
	s_cbranch_execnz .LBB6_27900
.LBB6_27396:                            ;   in Loop: Header=BB6_26858 Depth=3
	s_or_b32 exec_lo, exec_lo, s14
	s_and_saveexec_b32 s14, s75
	s_cbranch_execz .LBB6_27398
.LBB6_27397:                            ;   in Loop: Header=BB6_26858 Depth=3
	v_and_b32_e32 v17, 0xffff, v2
	s_delay_alu instid0(VALU_DEP_1) | instskip(NEXT) | instid1(VALU_DEP_1)
	v_and_b32_e32 v26, 3, v17
	v_clz_i32_u32_e32 v3, v26
	s_delay_alu instid0(VALU_DEP_1) | instskip(SKIP_1) | instid1(VALU_DEP_2)
	v_min_u32_e32 v29, 32, v3
	v_mov_b32_e32 v3, v113
	v_subrev_nc_u32_e32 v6, 29, v29
	s_delay_alu instid0(VALU_DEP_1) | instskip(SKIP_2) | instid1(VALU_DEP_2)
	v_lshlrev_b64_e32 v[6:7], v6, v[2:3]
	v_bfe_u32 v3, v17, 2, 5
	v_dual_lshlrev_b32 v2, 24, v2 :: v_dual_sub_nc_u32 v7, 30, v29
	v_cmp_eq_u32_e32 vcc_lo, 0, v3
	s_delay_alu instid0(VALU_DEP_2) | instskip(NEXT) | instid1(VALU_DEP_3)
	v_and_b32_e32 v2, 0x80000000, v2
	v_dual_cndmask_b32 v3, v3, v7, vcc_lo :: v_dual_bitop2_b32 v6, 3, v6 bitop3:0x40
	s_delay_alu instid0(VALU_DEP_1) | instskip(SKIP_1) | instid1(VALU_DEP_3)
	v_cndmask_b32_e32 v6, v26, v6, vcc_lo
	v_cmp_lt_i16_e32 vcc_lo, -1, v8
	v_lshl_add_u32 v2, v3, 23, v2
	v_mov_b32_e32 v3, 0x7f800000
	s_delay_alu instid0(VALU_DEP_2) | instskip(NEXT) | instid1(VALU_DEP_2)
	v_lshl_or_b32 v2, v6, 21, v2
	v_cndmask_b32_e32 v3, 0xff800000, v3, vcc_lo
	v_and_b32_e32 v6, 0x7c, v17
	v_cmp_eq_u32_e32 vcc_lo, 0, v26
	s_delay_alu instid0(VALU_DEP_4) | instskip(NEXT) | instid1(VALU_DEP_4)
	v_add_nc_u32_e32 v2, 0x38000000, v2
	v_cndmask_b32_e32 v3, 0x7f800001, v3, vcc_lo
	s_delay_alu instid0(VALU_DEP_4) | instskip(NEXT) | instid1(VALU_DEP_2)
	v_cmp_eq_u32_e32 vcc_lo, 0x7c, v6
	v_cndmask_b32_e32 v3, v2, v3, vcc_lo
.LBB6_27398:                            ;   in Loop: Header=BB6_26858 Depth=3
	s_or_b32 exec_lo, exec_lo, s14
	s_delay_alu instid0(VALU_DEP_1) | instskip(SKIP_2) | instid1(VALU_DEP_2)
	v_add_f32_e32 v6, v1, v3
	v_dual_mov_b32 v49, v113 :: v_dual_mov_b32 v3, v113
                                        ; implicit-def: $vgpr26
	s_mov_b32 s14, exec_lo
	v_and_b32_e32 v48, 0x7f800000, v6
	v_and_b32_e32 v2, 0x7fffff, v6
	v_lshrrev_b32_e32 v1, 24, v6
	s_delay_alu instid0(VALU_DEP_3)
	v_cmpx_ne_u64_e32 0x7f800000, v[48:49]
	s_xor_b32 s75, exec_lo, s14
	s_cbranch_execz .LBB6_27412
; %bb.27399:                            ;   in Loop: Header=BB6_26858 Depth=3
	v_and_b32_e32 v48, 0x7fffffff, v6
	v_mov_b32_e32 v49, v113
	v_and_b32_e32 v1, 0x80, v1
                                        ; implicit-def: $vgpr26
	s_mov_b32 s14, exec_lo
	s_delay_alu instid0(VALU_DEP_2)
	v_cmpx_gt_u64_e32 0x47600001, v[48:49]
	s_xor_b32 s76, exec_lo, s14
	s_cbranch_execz .LBB6_27409
; %bb.27400:                            ;   in Loop: Header=BB6_26858 Depth=3
	v_mov_b32_e32 v26, 0
	s_mov_b32 s77, exec_lo
	v_cmpx_ne_u32_e32 0, v6
	s_cbranch_execz .LBB6_27408
; %bb.27401:                            ;   in Loop: Header=BB6_26858 Depth=3
	v_bfe_u32 v17, v6, 23, 8
	v_or_b32_e32 v29, 0x800000, v2
	s_delay_alu instid0(VALU_DEP_2) | instskip(SKIP_1) | instid1(VALU_DEP_2)
	v_sub_nc_u32_e32 v6, 0x71, v17
	v_cmp_gt_u32_e32 vcc_lo, 0x72, v17
	v_cndmask_b32_e32 v6, 0, v6, vcc_lo
	v_cmp_eq_u32_e32 vcc_lo, 0, v17
	s_delay_alu instid0(VALU_DEP_2) | instskip(SKIP_1) | instid1(VALU_DEP_2)
	v_cndmask_b32_e64 v26, v6, 0x70, vcc_lo
	v_cndmask_b32_e32 v2, v29, v2, vcc_lo
	v_dual_add_nc_u32 v6, 21, v26 :: v_dual_add_nc_u32 v32, 20, v26
	s_delay_alu instid0(VALU_DEP_1) | instskip(NEXT) | instid1(VALU_DEP_2)
	v_lshlrev_b64_e64 v[6:7], v6, -1
	v_lshlrev_b64_e64 v[48:49], v32, 1
	s_delay_alu instid0(VALU_DEP_2) | instskip(SKIP_1) | instid1(VALU_DEP_4)
	v_bfi_b32 v6, v6, 0, v2
	v_lshrrev_b64 v[2:3], v26, v[2:3]
	v_bfi_b32 v7, v7, 0, 0
	s_delay_alu instid0(VALU_DEP_1) | instskip(NEXT) | instid1(VALU_DEP_3)
	v_cmp_eq_u64_e64 s14, v[6:7], v[48:49]
	v_mov_b64_e32 v[6:7], v[2:3]
	s_and_saveexec_b32 s78, s14
; %bb.27402:                            ;   in Loop: Header=BB6_26858 Depth=3
	v_bfe_u32 v6, v2, 21, 1
	v_mov_b32_e32 v7, v113
	s_delay_alu instid0(VALU_DEP_1) | instskip(NEXT) | instid1(VALU_DEP_1)
	v_add_nc_u64_e32 v[6:7], v[2:3], v[6:7]
	v_add_nc_u64_e32 v[6:7], -1, v[6:7]
; %bb.27403:                            ;   in Loop: Header=BB6_26858 Depth=3
	s_or_b32 exec_lo, exec_lo, s78
	v_add_nc_u32_e32 v3, 0xffffff81, v17
	v_lshrrev_b32_e32 v7, 23, v2
	s_mov_b32 s14, exec_lo
	s_delay_alu instid0(VALU_DEP_2) | instskip(NEXT) | instid1(VALU_DEP_1)
	v_cndmask_b32_e64 v3, v3, 0xffffff82, vcc_lo
	v_add3_u32 v7, v26, v3, v7
	v_and_b32_e32 v3, 0x1fffff, v6
                                        ; implicit-def: $vgpr6
	s_delay_alu instid0(VALU_DEP_1) | instskip(SKIP_1) | instid1(VALU_DEP_2)
	v_dual_add_nc_u32 v17, 14, v7 :: v_dual_add_nc_u32 v2, v3, v2
	v_mov_b32_e32 v3, v113
	v_cmpx_ne_u32_e32 0, v17
	s_xor_b32 s14, exec_lo, s14
; %bb.27404:                            ;   in Loop: Header=BB6_26858 Depth=3
	s_delay_alu instid0(VALU_DEP_2) | instskip(SKIP_2) | instid1(VALU_DEP_2)
	v_cmp_lt_u64_e32 vcc_lo, 0xffffff, v[2:3]
	v_add_nc_u32_e32 v6, 15, v7
	v_cndmask_b32_e64 v7, 0, 1, vcc_lo
	v_cndmask_b32_e32 v6, v17, v6, vcc_lo
	s_delay_alu instid0(VALU_DEP_2)
	v_lshrrev_b64 v[2:3], v7, v[2:3]
; %bb.27405:                            ;   in Loop: Header=BB6_26858 Depth=3
	s_and_not1_saveexec_b32 s14, s14
; %bb.27406:                            ;   in Loop: Header=BB6_26858 Depth=3
	s_delay_alu instid0(VALU_DEP_1)
	v_bfe_u32 v6, v2, 23, 1
; %bb.27407:                            ;   in Loop: Header=BB6_26858 Depth=3
	s_or_b32 exec_lo, exec_lo, s14
	s_delay_alu instid0(VALU_DEP_2) | instskip(NEXT) | instid1(VALU_DEP_2)
	v_lshrrev_b64 v[2:3], 21, v[2:3]
	v_cmp_gt_i32_e32 vcc_lo, 32, v6
	v_min_i32_e32 v7, 31, v6
	v_cmp_eq_u32_e64 s14, 0, v6
	s_delay_alu instid0(VALU_DEP_4) | instskip(NEXT) | instid1(VALU_DEP_3)
	v_cndmask_b32_e32 v3, 0, v3, vcc_lo
	v_dual_cndmask_b32 v2, 3, v2 :: v_dual_lshlrev_b32 v7, 2, v7
	s_delay_alu instid0(VALU_DEP_1) | instskip(NEXT) | instid1(VALU_DEP_2)
	v_and_b32_e32 v7, 0xfc, v7
	v_cmp_eq_u64_e32 vcc_lo, 0, v[2:3]
	s_delay_alu instid0(VALU_DEP_2)
	v_and_or_b32 v2, v2, 3, v7
	s_and_b32 s14, s14, vcc_lo
	s_delay_alu instid0(VALU_DEP_1) | instid1(SALU_CYCLE_1)
	v_cndmask_b32_e64 v2, v2, 0, s14
	s_delay_alu instid0(VALU_DEP_1)
	v_or_b32_e32 v26, v2, v1
.LBB6_27408:                            ;   in Loop: Header=BB6_26858 Depth=3
	s_or_b32 exec_lo, exec_lo, s77
                                        ; implicit-def: $vgpr1
.LBB6_27409:                            ;   in Loop: Header=BB6_26858 Depth=3
	s_and_not1_saveexec_b32 s14, s76
; %bb.27410:                            ;   in Loop: Header=BB6_26858 Depth=3
	v_or_b32_e32 v26, 0x7b, v1
; %bb.27411:                            ;   in Loop: Header=BB6_26858 Depth=3
	s_or_b32 exec_lo, exec_lo, s14
                                        ; implicit-def: $vgpr6
                                        ; implicit-def: $vgpr2_vgpr3
                                        ; implicit-def: $vgpr1
.LBB6_27412:                            ;   in Loop: Header=BB6_26858 Depth=3
	s_and_not1_saveexec_b32 s14, s75
	s_cbranch_execz .LBB6_27418
; %bb.27413:                            ;   in Loop: Header=BB6_26858 Depth=3
	s_mov_b32 s75, exec_lo
                                        ; implicit-def: $vgpr26
	v_cmpx_ne_u64_e32 0, v[2:3]
	s_xor_b32 s75, exec_lo, s75
; %bb.27414:                            ;   in Loop: Header=BB6_26858 Depth=3
	v_or_b32_e32 v26, 0x7f, v1
                                        ; implicit-def: $vgpr6
; %bb.27415:                            ;   in Loop: Header=BB6_26858 Depth=3
	s_and_not1_saveexec_b32 s75, s75
; %bb.27416:                            ;   in Loop: Header=BB6_26858 Depth=3
	v_cmp_lt_i32_e32 vcc_lo, -1, v6
	v_mov_b32_e32 v1, 0x7c
	s_delay_alu instid0(VALU_DEP_1)
	v_cndmask_b32_e32 v26, 0xfc, v1, vcc_lo
; %bb.27417:                            ;   in Loop: Header=BB6_26858 Depth=3
	s_or_b32 exec_lo, exec_lo, s75
.LBB6_27418:                            ;   in Loop: Header=BB6_26858 Depth=3
	s_delay_alu instid0(SALU_CYCLE_1) | instskip(SKIP_2) | instid1(VALU_DEP_1)
	s_or_b32 exec_lo, exec_lo, s14
	v_dual_mov_b32 v1, 0 :: v_dual_lshrrev_b32 v2, 16, v0
	s_mov_b32 s14, exec_lo
	v_and_b32_e32 v3, 0xff, v2
	s_delay_alu instid0(VALU_DEP_1)
	v_cmpx_ne_u16_e32 0, v3
	s_cbranch_execz .LBB6_27428
; %bb.27419:                            ;   in Loop: Header=BB6_26858 Depth=3
	v_bfrev_b32_e32 v1, 1
	s_mov_b32 s75, exec_lo
	v_cmpx_ne_u16_e32 0x80, v3
	s_cbranch_execz .LBB6_27427
; %bb.27420:                            ;   in Loop: Header=BB6_26858 Depth=3
	v_and_b32_e32 v1, 0x7c0000, v0
	v_bfe_u32 v3, v0, 16, 2
	s_delay_alu instid0(VALU_DEP_2) | instskip(SKIP_1) | instid1(SALU_CYCLE_1)
	v_cmp_ne_u32_e32 vcc_lo, 0x7c0000, v1
                                        ; implicit-def: $vgpr1
	s_and_saveexec_b32 s76, vcc_lo
	s_xor_b32 s76, exec_lo, s76
	s_cbranch_execz .LBB6_27424
; %bb.27421:                            ;   in Loop: Header=BB6_26858 Depth=3
	v_bfe_u32 v1, v0, 18, 5
	v_lshrrev_b32_e32 v2, 16, v0
	s_mov_b32 s77, exec_lo
	s_delay_alu instid0(VALU_DEP_2)
	v_cmpx_eq_u32_e32 0, v1
; %bb.27422:                            ;   in Loop: Header=BB6_26858 Depth=3
	v_clz_i32_u32_e32 v1, v3
	s_delay_alu instid0(VALU_DEP_1) | instskip(NEXT) | instid1(VALU_DEP_1)
	v_min_u32_e32 v1, 32, v1
	v_subrev_nc_u32_e32 v3, 29, v1
	s_delay_alu instid0(VALU_DEP_1) | instskip(NEXT) | instid1(VALU_DEP_1)
	v_lshlrev_b64_e32 v[6:7], v3, v[2:3]
	v_dual_sub_nc_u32 v1, 30, v1 :: v_dual_bitop2_b32 v3, 3, v6 bitop3:0x40
; %bb.27423:                            ;   in Loop: Header=BB6_26858 Depth=3
	s_or_b32 exec_lo, exec_lo, s77
	v_lshlrev_b32_e32 v2, 24, v2
	s_delay_alu instid0(VALU_DEP_1) | instskip(NEXT) | instid1(VALU_DEP_1)
	v_and_b32_e32 v2, 0x80000000, v2
	v_lshl_add_u32 v1, v1, 23, v2
                                        ; implicit-def: $vgpr2
	s_delay_alu instid0(VALU_DEP_1) | instskip(NEXT) | instid1(VALU_DEP_1)
	v_lshl_or_b32 v1, v3, 21, v1
                                        ; implicit-def: $vgpr3
	v_add_nc_u32_e32 v1, 0x38000000, v1
.LBB6_27424:                            ;   in Loop: Header=BB6_26858 Depth=3
	s_and_not1_saveexec_b32 s76, s76
; %bb.27425:                            ;   in Loop: Header=BB6_26858 Depth=3
	v_bfe_i32 v1, v2, 0, 8
	s_delay_alu instid0(VALU_DEP_1) | instskip(SKIP_1) | instid1(VALU_DEP_1)
	v_cmp_lt_i16_e32 vcc_lo, -1, v1
	v_mov_b32_e32 v1, 0x7f800000
	v_cndmask_b32_e32 v1, 0xff800000, v1, vcc_lo
	v_cmp_eq_u32_e32 vcc_lo, 0, v3
	s_delay_alu instid0(VALU_DEP_2)
	v_cndmask_b32_e32 v1, 0x7f800001, v1, vcc_lo
; %bb.27426:                            ;   in Loop: Header=BB6_26858 Depth=3
	s_or_b32 exec_lo, exec_lo, s76
.LBB6_27427:                            ;   in Loop: Header=BB6_26858 Depth=3
	s_delay_alu instid0(SALU_CYCLE_1)
	s_or_b32 exec_lo, exec_lo, s75
.LBB6_27428:                            ;   in Loop: Header=BB6_26858 Depth=3
	s_delay_alu instid0(SALU_CYCLE_1) | instskip(SKIP_3) | instid1(VALU_DEP_1)
	s_or_b32 exec_lo, exec_lo, s14
	v_lshrrev_b32_e32 v2, 16, v8
	s_mov_b32 s75, 0
	s_mov_b32 s14, exec_lo
	v_and_b32_e32 v6, 0xff, v2
	s_delay_alu instid0(VALU_DEP_1)
	v_cmpx_lt_i16_e32 0x7f, v6
	s_xor_b32 s14, exec_lo, s14
	s_cbranch_execz .LBB6_27901
; %bb.27429:                            ;   in Loop: Header=BB6_26858 Depth=3
	s_mov_b32 s75, -1
	s_mov_b32 s76, exec_lo
	v_cmpx_eq_u16_e32 0x80, v6
; %bb.27430:                            ;   in Loop: Header=BB6_26858 Depth=3
	s_xor_b32 s75, exec_lo, -1
; %bb.27431:                            ;   in Loop: Header=BB6_26858 Depth=3
	s_or_b32 exec_lo, exec_lo, s76
	s_delay_alu instid0(SALU_CYCLE_1)
	s_and_b32 s75, s75, exec_lo
                                        ; implicit-def: $vgpr6
	s_or_saveexec_b32 s14, s14
	v_bfrev_b32_e32 v3, 1
	s_xor_b32 exec_lo, exec_lo, s14
	s_cbranch_execnz .LBB6_27902
.LBB6_27432:                            ;   in Loop: Header=BB6_26858 Depth=3
	s_or_b32 exec_lo, exec_lo, s14
	s_and_saveexec_b32 s14, s75
	s_cbranch_execz .LBB6_27434
.LBB6_27433:                            ;   in Loop: Header=BB6_26858 Depth=3
	v_and_b32_e32 v3, 3, v2
	v_bfe_u32 v29, v8, 18, 5
	s_delay_alu instid0(VALU_DEP_2) | instskip(NEXT) | instid1(VALU_DEP_2)
	v_clz_i32_u32_e32 v6, v3
	v_cmp_eq_u32_e32 vcc_lo, 0, v29
	s_delay_alu instid0(VALU_DEP_2) | instskip(NEXT) | instid1(VALU_DEP_1)
	v_min_u32_e32 v17, 32, v6
	v_subrev_nc_u32_e32 v6, 29, v17
	s_delay_alu instid0(VALU_DEP_1) | instskip(SKIP_2) | instid1(VALU_DEP_2)
	v_lshlrev_b64_e32 v[6:7], v6, v[2:3]
	v_dual_lshlrev_b32 v7, 24, v2 :: v_dual_sub_nc_u32 v17, 30, v17
	v_bfe_i32 v2, v2, 0, 8
	v_and_b32_e32 v7, 0x80000000, v7
	s_delay_alu instid0(VALU_DEP_3) | instskip(NEXT) | instid1(VALU_DEP_1)
	v_dual_cndmask_b32 v17, v29, v17, vcc_lo :: v_dual_bitop2_b32 v6, 3, v6 bitop3:0x40
	v_cndmask_b32_e32 v6, v3, v6, vcc_lo
	s_delay_alu instid0(VALU_DEP_2) | instskip(SKIP_2) | instid1(VALU_DEP_3)
	v_lshl_add_u32 v7, v17, 23, v7
	v_cmp_lt_i16_e32 vcc_lo, -1, v2
	v_mov_b32_e32 v2, 0x7f800000
	v_lshl_or_b32 v6, v6, 21, v7
	v_and_b32_e32 v7, 0x7c0000, v8
	s_delay_alu instid0(VALU_DEP_3) | instskip(SKIP_1) | instid1(VALU_DEP_4)
	v_cndmask_b32_e32 v2, 0xff800000, v2, vcc_lo
	v_cmp_eq_u32_e32 vcc_lo, 0, v3
	v_add_nc_u32_e32 v3, 0x38000000, v6
	s_delay_alu instid0(VALU_DEP_3) | instskip(SKIP_1) | instid1(VALU_DEP_2)
	v_cndmask_b32_e32 v2, 0x7f800001, v2, vcc_lo
	v_cmp_eq_u32_e32 vcc_lo, 0x7c0000, v7
	v_cndmask_b32_e32 v3, v3, v2, vcc_lo
.LBB6_27434:                            ;   in Loop: Header=BB6_26858 Depth=3
	s_or_b32 exec_lo, exec_lo, s14
	s_delay_alu instid0(VALU_DEP_1) | instskip(SKIP_2) | instid1(VALU_DEP_2)
	v_add_f32_e32 v6, v1, v3
	v_dual_mov_b32 v49, v113 :: v_dual_mov_b32 v3, v113
                                        ; implicit-def: $vgpr29
	s_mov_b32 s14, exec_lo
	v_and_b32_e32 v48, 0x7f800000, v6
	v_and_b32_e32 v2, 0x7fffff, v6
	v_lshrrev_b32_e32 v1, 24, v6
	s_delay_alu instid0(VALU_DEP_3)
	v_cmpx_ne_u64_e32 0x7f800000, v[48:49]
	s_xor_b32 s75, exec_lo, s14
	s_cbranch_execz .LBB6_27448
; %bb.27435:                            ;   in Loop: Header=BB6_26858 Depth=3
	v_and_b32_e32 v48, 0x7fffffff, v6
	v_mov_b32_e32 v49, v113
	v_and_b32_e32 v1, 0x80, v1
                                        ; implicit-def: $vgpr29
	s_mov_b32 s14, exec_lo
	s_delay_alu instid0(VALU_DEP_2)
	v_cmpx_gt_u64_e32 0x47600001, v[48:49]
	s_xor_b32 s76, exec_lo, s14
	s_cbranch_execz .LBB6_27445
; %bb.27436:                            ;   in Loop: Header=BB6_26858 Depth=3
	v_mov_b32_e32 v29, 0
	s_mov_b32 s77, exec_lo
	v_cmpx_ne_u32_e32 0, v6
	s_cbranch_execz .LBB6_27444
; %bb.27437:                            ;   in Loop: Header=BB6_26858 Depth=3
	v_bfe_u32 v17, v6, 23, 8
	v_or_b32_e32 v32, 0x800000, v2
	s_delay_alu instid0(VALU_DEP_2) | instskip(SKIP_1) | instid1(VALU_DEP_2)
	v_sub_nc_u32_e32 v6, 0x71, v17
	v_cmp_gt_u32_e32 vcc_lo, 0x72, v17
	v_cndmask_b32_e32 v6, 0, v6, vcc_lo
	v_cmp_eq_u32_e32 vcc_lo, 0, v17
	s_delay_alu instid0(VALU_DEP_2) | instskip(NEXT) | instid1(VALU_DEP_1)
	v_cndmask_b32_e64 v29, v6, 0x70, vcc_lo
	v_dual_cndmask_b32 v2, v32, v2, vcc_lo :: v_dual_add_nc_u32 v6, 21, v29
	v_add_nc_u32_e32 v39, 20, v29
	s_delay_alu instid0(VALU_DEP_2) | instskip(NEXT) | instid1(VALU_DEP_2)
	v_lshlrev_b64_e64 v[6:7], v6, -1
	v_lshlrev_b64_e64 v[48:49], v39, 1
	s_delay_alu instid0(VALU_DEP_2) | instskip(SKIP_1) | instid1(VALU_DEP_4)
	v_bfi_b32 v6, v6, 0, v2
	v_lshrrev_b64 v[2:3], v29, v[2:3]
	v_bfi_b32 v7, v7, 0, 0
	s_delay_alu instid0(VALU_DEP_1) | instskip(NEXT) | instid1(VALU_DEP_3)
	v_cmp_eq_u64_e64 s14, v[6:7], v[48:49]
	v_mov_b64_e32 v[6:7], v[2:3]
	s_and_saveexec_b32 s78, s14
; %bb.27438:                            ;   in Loop: Header=BB6_26858 Depth=3
	v_bfe_u32 v6, v2, 21, 1
	v_mov_b32_e32 v7, v113
	s_delay_alu instid0(VALU_DEP_1) | instskip(NEXT) | instid1(VALU_DEP_1)
	v_add_nc_u64_e32 v[6:7], v[2:3], v[6:7]
	v_add_nc_u64_e32 v[6:7], -1, v[6:7]
; %bb.27439:                            ;   in Loop: Header=BB6_26858 Depth=3
	s_or_b32 exec_lo, exec_lo, s78
	v_add_nc_u32_e32 v3, 0xffffff81, v17
	v_lshrrev_b32_e32 v7, 23, v2
	s_mov_b32 s14, exec_lo
	s_delay_alu instid0(VALU_DEP_2) | instskip(NEXT) | instid1(VALU_DEP_1)
	v_cndmask_b32_e64 v3, v3, 0xffffff82, vcc_lo
	v_add3_u32 v7, v29, v3, v7
	v_and_b32_e32 v3, 0x1fffff, v6
                                        ; implicit-def: $vgpr6
	s_delay_alu instid0(VALU_DEP_1) | instskip(SKIP_1) | instid1(VALU_DEP_2)
	v_dual_add_nc_u32 v17, 14, v7 :: v_dual_add_nc_u32 v2, v3, v2
	v_mov_b32_e32 v3, v113
	v_cmpx_ne_u32_e32 0, v17
	s_xor_b32 s14, exec_lo, s14
; %bb.27440:                            ;   in Loop: Header=BB6_26858 Depth=3
	s_delay_alu instid0(VALU_DEP_2) | instskip(SKIP_2) | instid1(VALU_DEP_2)
	v_cmp_lt_u64_e32 vcc_lo, 0xffffff, v[2:3]
	v_add_nc_u32_e32 v6, 15, v7
	v_cndmask_b32_e64 v7, 0, 1, vcc_lo
	v_cndmask_b32_e32 v6, v17, v6, vcc_lo
	s_delay_alu instid0(VALU_DEP_2)
	v_lshrrev_b64 v[2:3], v7, v[2:3]
; %bb.27441:                            ;   in Loop: Header=BB6_26858 Depth=3
	s_and_not1_saveexec_b32 s14, s14
; %bb.27442:                            ;   in Loop: Header=BB6_26858 Depth=3
	s_delay_alu instid0(VALU_DEP_1)
	v_bfe_u32 v6, v2, 23, 1
; %bb.27443:                            ;   in Loop: Header=BB6_26858 Depth=3
	s_or_b32 exec_lo, exec_lo, s14
	s_delay_alu instid0(VALU_DEP_2) | instskip(NEXT) | instid1(VALU_DEP_2)
	v_lshrrev_b64 v[2:3], 21, v[2:3]
	v_cmp_gt_i32_e32 vcc_lo, 32, v6
	v_min_i32_e32 v7, 31, v6
	v_cmp_eq_u32_e64 s14, 0, v6
	s_delay_alu instid0(VALU_DEP_4) | instskip(NEXT) | instid1(VALU_DEP_3)
	v_cndmask_b32_e32 v3, 0, v3, vcc_lo
	v_dual_cndmask_b32 v2, 3, v2 :: v_dual_lshlrev_b32 v7, 2, v7
	s_delay_alu instid0(VALU_DEP_1) | instskip(NEXT) | instid1(VALU_DEP_2)
	v_and_b32_e32 v7, 0xfc, v7
	v_cmp_eq_u64_e32 vcc_lo, 0, v[2:3]
	s_delay_alu instid0(VALU_DEP_2)
	v_and_or_b32 v2, v2, 3, v7
	s_and_b32 s14, s14, vcc_lo
	s_delay_alu instid0(VALU_DEP_1) | instid1(SALU_CYCLE_1)
	v_cndmask_b32_e64 v2, v2, 0, s14
	s_delay_alu instid0(VALU_DEP_1)
	v_or_b32_e32 v29, v2, v1
.LBB6_27444:                            ;   in Loop: Header=BB6_26858 Depth=3
	s_or_b32 exec_lo, exec_lo, s77
                                        ; implicit-def: $vgpr1
.LBB6_27445:                            ;   in Loop: Header=BB6_26858 Depth=3
	s_and_not1_saveexec_b32 s14, s76
; %bb.27446:                            ;   in Loop: Header=BB6_26858 Depth=3
	v_or_b32_e32 v29, 0x7b, v1
; %bb.27447:                            ;   in Loop: Header=BB6_26858 Depth=3
	s_or_b32 exec_lo, exec_lo, s14
                                        ; implicit-def: $vgpr6
                                        ; implicit-def: $vgpr2_vgpr3
                                        ; implicit-def: $vgpr1
.LBB6_27448:                            ;   in Loop: Header=BB6_26858 Depth=3
	s_and_not1_saveexec_b32 s14, s75
	s_cbranch_execz .LBB6_27454
; %bb.27449:                            ;   in Loop: Header=BB6_26858 Depth=3
	s_mov_b32 s75, exec_lo
                                        ; implicit-def: $vgpr29
	v_cmpx_ne_u64_e32 0, v[2:3]
	s_xor_b32 s75, exec_lo, s75
; %bb.27450:                            ;   in Loop: Header=BB6_26858 Depth=3
	v_or_b32_e32 v29, 0x7f, v1
                                        ; implicit-def: $vgpr6
; %bb.27451:                            ;   in Loop: Header=BB6_26858 Depth=3
	s_and_not1_saveexec_b32 s75, s75
; %bb.27452:                            ;   in Loop: Header=BB6_26858 Depth=3
	v_cmp_lt_i32_e32 vcc_lo, -1, v6
	v_mov_b32_e32 v1, 0x7c
	s_delay_alu instid0(VALU_DEP_1)
	v_cndmask_b32_e32 v29, 0xfc, v1, vcc_lo
; %bb.27453:                            ;   in Loop: Header=BB6_26858 Depth=3
	s_or_b32 exec_lo, exec_lo, s75
.LBB6_27454:                            ;   in Loop: Header=BB6_26858 Depth=3
	s_delay_alu instid0(SALU_CYCLE_1)
	s_or_b32 exec_lo, exec_lo, s14
	v_mov_b32_e32 v3, 0
	s_mov_b32 s14, exec_lo
	v_cmpx_lt_u32_e32 0xffffff, v0
	s_cbranch_execz .LBB6_27464
; %bb.27455:                            ;   in Loop: Header=BB6_26858 Depth=3
	v_lshrrev_b32_e32 v2, 24, v0
	v_bfrev_b32_e32 v3, 1
	s_mov_b32 s75, exec_lo
	s_delay_alu instid0(VALU_DEP_2)
	v_cmpx_ne_u32_e32 0x80, v2
	s_cbranch_execz .LBB6_27463
; %bb.27456:                            ;   in Loop: Header=BB6_26858 Depth=3
	v_and_b32_e32 v1, 0x7c000000, v0
	v_bfe_u32 v6, v0, 24, 2
	s_mov_b32 s76, exec_lo
                                        ; implicit-def: $vgpr3
	s_delay_alu instid0(VALU_DEP_2)
	v_cmpx_ne_u32_e32 0x7c000000, v1
	s_xor_b32 s76, exec_lo, s76
	s_cbranch_execz .LBB6_27460
; %bb.27457:                            ;   in Loop: Header=BB6_26858 Depth=3
	v_bfe_u32 v1, v0, 26, 5
	s_mov_b32 s77, exec_lo
	s_delay_alu instid0(VALU_DEP_1)
	v_cmpx_eq_u32_e32 0, v1
; %bb.27458:                            ;   in Loop: Header=BB6_26858 Depth=3
	v_clz_i32_u32_e32 v1, v6
	s_delay_alu instid0(VALU_DEP_1) | instskip(NEXT) | instid1(VALU_DEP_1)
	v_min_u32_e32 v1, 32, v1
	v_subrev_nc_u32_e32 v3, 29, v1
	s_delay_alu instid0(VALU_DEP_1) | instskip(NEXT) | instid1(VALU_DEP_1)
	v_lshlrev_b64_e32 v[2:3], v3, v[2:3]
	v_dual_sub_nc_u32 v1, 30, v1 :: v_dual_bitop2_b32 v6, 3, v2 bitop3:0x40
; %bb.27459:                            ;   in Loop: Header=BB6_26858 Depth=3
	s_or_b32 exec_lo, exec_lo, s77
	v_and_b32_e32 v0, 0x80000000, v0
	s_delay_alu instid0(VALU_DEP_1) | instskip(NEXT) | instid1(VALU_DEP_1)
	v_lshl_add_u32 v0, v1, 23, v0
	v_lshl_or_b32 v0, v6, 21, v0
                                        ; implicit-def: $vgpr6
	s_delay_alu instid0(VALU_DEP_1)
	v_add_nc_u32_e32 v3, 0x38000000, v0
                                        ; implicit-def: $vgpr0_vgpr1
.LBB6_27460:                            ;   in Loop: Header=BB6_26858 Depth=3
	s_and_not1_saveexec_b32 s76, s76
; %bb.27461:                            ;   in Loop: Header=BB6_26858 Depth=3
	v_cmp_lt_i32_e32 vcc_lo, -1, v0
	v_mov_b32_e32 v0, 0x7f800000
	s_delay_alu instid0(VALU_DEP_1) | instskip(SKIP_1) | instid1(VALU_DEP_2)
	v_cndmask_b32_e32 v0, 0xff800000, v0, vcc_lo
	v_cmp_eq_u32_e32 vcc_lo, 0, v6
	v_cndmask_b32_e32 v3, 0x7f800001, v0, vcc_lo
; %bb.27462:                            ;   in Loop: Header=BB6_26858 Depth=3
	s_or_b32 exec_lo, exec_lo, s76
.LBB6_27463:                            ;   in Loop: Header=BB6_26858 Depth=3
	s_delay_alu instid0(SALU_CYCLE_1)
	s_or_b32 exec_lo, exec_lo, s75
.LBB6_27464:                            ;   in Loop: Header=BB6_26858 Depth=3
	s_delay_alu instid0(SALU_CYCLE_1) | instskip(SKIP_3) | instid1(VALU_DEP_2)
	s_or_b32 exec_lo, exec_lo, s14
	v_bfe_u32 v1, v8, 24, 2
	v_bfe_u32 v17, v8, 26, 5
                                        ; implicit-def: $vgpr32
	s_mov_b32 s14, exec_lo
	v_clz_i32_u32_e32 v0, v1
	s_delay_alu instid0(VALU_DEP_2) | instskip(NEXT) | instid1(VALU_DEP_2)
	v_cmp_eq_u32_e32 vcc_lo, 0, v17
	v_min_u32_e32 v2, 32, v0
	v_lshrrev_b32_e32 v0, 24, v8
	s_delay_alu instid0(VALU_DEP_2) | instskip(SKIP_1) | instid1(VALU_DEP_2)
	v_subrev_nc_u32_e32 v6, 29, v2
	v_sub_nc_u32_e32 v2, 30, v2
	v_lshlrev_b64_e32 v[6:7], v6, v[0:1]
	v_and_b32_e32 v7, 0x80000000, v8
	s_delay_alu instid0(VALU_DEP_3) | instskip(NEXT) | instid1(VALU_DEP_1)
	v_cndmask_b32_e32 v2, v17, v2, vcc_lo
	v_lshl_add_u32 v2, v2, 23, v7
	s_delay_alu instid0(VALU_DEP_4) | instskip(NEXT) | instid1(VALU_DEP_1)
	v_and_b32_e32 v6, 3, v6
	v_dual_mov_b32 v7, 0x7f800000 :: v_dual_cndmask_b32 v6, v1, v6
	v_cmp_lt_i32_e32 vcc_lo, -1, v8
	s_delay_alu instid0(VALU_DEP_2) | instskip(NEXT) | instid1(VALU_DEP_3)
	v_lshl_or_b32 v2, v6, 21, v2
	v_cndmask_b32_e32 v7, 0xff800000, v7, vcc_lo
	v_and_b32_e32 v6, 0x7c000000, v8
	v_cmp_eq_u32_e32 vcc_lo, 0, v1
	s_delay_alu instid0(VALU_DEP_4) | instskip(NEXT) | instid1(VALU_DEP_4)
	v_add_nc_u32_e32 v2, 0x38000000, v2
	v_cndmask_b32_e32 v1, 0x7f800001, v7, vcc_lo
	s_delay_alu instid0(VALU_DEP_4) | instskip(NEXT) | instid1(VALU_DEP_2)
	v_cmp_eq_u32_e32 vcc_lo, 0x7c000000, v6
	v_dual_mov_b32 v7, v113 :: v_dual_cndmask_b32 v1, v2, v1, vcc_lo
	v_cmp_ne_u32_e32 vcc_lo, 0x80, v0
	s_delay_alu instid0(VALU_DEP_2) | instskip(SKIP_1) | instid1(VALU_DEP_2)
	v_dual_cndmask_b32 v0, 0x80000000, v1 :: v_dual_mov_b32 v1, v113
	v_cmp_lt_u32_e32 vcc_lo, 0xffffff, v8
	v_cndmask_b32_e32 v0, 0, v0, vcc_lo
	s_delay_alu instid0(VALU_DEP_1) | instskip(NEXT) | instid1(VALU_DEP_1)
	v_add_f32_e32 v2, v0, v3
	v_and_b32_e32 v6, 0x7f800000, v2
	v_and_b32_e32 v0, 0x7fffff, v2
	v_lshrrev_b32_e32 v3, 24, v2
	s_delay_alu instid0(VALU_DEP_3)
	v_cmpx_ne_u64_e32 0x7f800000, v[6:7]
	s_xor_b32 s75, exec_lo, s14
	s_cbranch_execz .LBB6_27478
; %bb.27465:                            ;   in Loop: Header=BB6_26858 Depth=3
	v_and_b32_e32 v6, 0x7fffffff, v2
	v_mov_b32_e32 v7, v113
                                        ; implicit-def: $vgpr32
	s_delay_alu instid0(VALU_DEP_1) | instskip(SKIP_2) | instid1(SALU_CYCLE_1)
	v_cmp_gt_u64_e32 vcc_lo, 0x47600001, v[6:7]
	v_and_b32_e32 v6, 0x80, v3
	s_and_saveexec_b32 s14, vcc_lo
	s_xor_b32 s76, exec_lo, s14
	s_cbranch_execz .LBB6_27475
; %bb.27466:                            ;   in Loop: Header=BB6_26858 Depth=3
	v_mov_b32_e32 v32, 0
	s_mov_b32 s77, exec_lo
	v_cmpx_ne_u32_e32 0, v2
	s_cbranch_execz .LBB6_27474
; %bb.27467:                            ;   in Loop: Header=BB6_26858 Depth=3
	v_bfe_u32 v7, v2, 23, 8
	v_or_b32_e32 v32, 0x800000, v0
	s_delay_alu instid0(VALU_DEP_2) | instskip(SKIP_1) | instid1(VALU_DEP_2)
	v_sub_nc_u32_e32 v2, 0x71, v7
	v_cmp_gt_u32_e32 vcc_lo, 0x72, v7
	v_cndmask_b32_e32 v2, 0, v2, vcc_lo
	v_cmp_eq_u32_e32 vcc_lo, 0, v7
	s_delay_alu instid0(VALU_DEP_2) | instskip(NEXT) | instid1(VALU_DEP_1)
	v_cndmask_b32_e64 v17, v2, 0x70, vcc_lo
	v_dual_cndmask_b32 v0, v32, v0, vcc_lo :: v_dual_add_nc_u32 v2, 21, v17
	v_add_nc_u32_e32 v39, 20, v17
	s_delay_alu instid0(VALU_DEP_2) | instskip(NEXT) | instid1(VALU_DEP_2)
	v_lshlrev_b64_e64 v[2:3], v2, -1
	v_lshlrev_b64_e64 v[48:49], v39, 1
	s_delay_alu instid0(VALU_DEP_2) | instskip(SKIP_1) | instid1(VALU_DEP_4)
	v_bfi_b32 v2, v2, 0, v0
	v_lshrrev_b64 v[0:1], v17, v[0:1]
	v_bfi_b32 v3, v3, 0, 0
	s_delay_alu instid0(VALU_DEP_1) | instskip(NEXT) | instid1(VALU_DEP_3)
	v_cmp_eq_u64_e64 s14, v[2:3], v[48:49]
	v_mov_b64_e32 v[2:3], v[0:1]
	s_and_saveexec_b32 s78, s14
; %bb.27468:                            ;   in Loop: Header=BB6_26858 Depth=3
	v_bfe_u32 v2, v0, 21, 1
	v_mov_b32_e32 v3, v113
	s_delay_alu instid0(VALU_DEP_1) | instskip(NEXT) | instid1(VALU_DEP_1)
	v_add_nc_u64_e32 v[2:3], v[0:1], v[2:3]
	v_add_nc_u64_e32 v[2:3], -1, v[2:3]
; %bb.27469:                            ;   in Loop: Header=BB6_26858 Depth=3
	s_or_b32 exec_lo, exec_lo, s78
	v_add_nc_u32_e32 v1, 0xffffff81, v7
	v_lshrrev_b32_e32 v3, 23, v0
	s_mov_b32 s14, exec_lo
	s_delay_alu instid0(VALU_DEP_2) | instskip(NEXT) | instid1(VALU_DEP_1)
	v_cndmask_b32_e64 v1, v1, 0xffffff82, vcc_lo
	v_add3_u32 v3, v17, v1, v3
	v_and_b32_e32 v1, 0x1fffff, v2
                                        ; implicit-def: $vgpr2
	s_delay_alu instid0(VALU_DEP_1) | instskip(SKIP_1) | instid1(VALU_DEP_2)
	v_dual_add_nc_u32 v7, 14, v3 :: v_dual_add_nc_u32 v0, v1, v0
	v_mov_b32_e32 v1, v113
	v_cmpx_ne_u32_e32 0, v7
	s_xor_b32 s14, exec_lo, s14
; %bb.27470:                            ;   in Loop: Header=BB6_26858 Depth=3
	s_delay_alu instid0(VALU_DEP_2) | instskip(SKIP_2) | instid1(VALU_DEP_2)
	v_cmp_lt_u64_e32 vcc_lo, 0xffffff, v[0:1]
	v_add_nc_u32_e32 v2, 15, v3
	v_cndmask_b32_e64 v3, 0, 1, vcc_lo
	v_cndmask_b32_e32 v2, v7, v2, vcc_lo
	s_delay_alu instid0(VALU_DEP_2)
	v_lshrrev_b64 v[0:1], v3, v[0:1]
; %bb.27471:                            ;   in Loop: Header=BB6_26858 Depth=3
	s_and_not1_saveexec_b32 s14, s14
; %bb.27472:                            ;   in Loop: Header=BB6_26858 Depth=3
	s_delay_alu instid0(VALU_DEP_1)
	v_bfe_u32 v2, v0, 23, 1
; %bb.27473:                            ;   in Loop: Header=BB6_26858 Depth=3
	s_or_b32 exec_lo, exec_lo, s14
	s_delay_alu instid0(VALU_DEP_2) | instskip(NEXT) | instid1(VALU_DEP_2)
	v_lshrrev_b64 v[0:1], 21, v[0:1]
	v_cmp_gt_i32_e32 vcc_lo, 32, v2
	v_min_i32_e32 v3, 31, v2
	v_cmp_eq_u32_e64 s14, 0, v2
	s_delay_alu instid0(VALU_DEP_2) | instskip(SKIP_1) | instid1(VALU_DEP_2)
	v_dual_cndmask_b32 v1, 0, v1, vcc_lo :: v_dual_lshlrev_b32 v3, 2, v3
	v_cndmask_b32_e32 v0, 3, v0, vcc_lo
	v_and_b32_e32 v3, 0xfc, v3
	s_delay_alu instid0(VALU_DEP_2) | instskip(NEXT) | instid1(VALU_DEP_2)
	v_cmp_eq_u64_e32 vcc_lo, 0, v[0:1]
	v_and_or_b32 v0, v0, 3, v3
	s_and_b32 s14, s14, vcc_lo
	s_delay_alu instid0(VALU_DEP_1) | instid1(SALU_CYCLE_1)
	v_cndmask_b32_e64 v0, v0, 0, s14
	s_delay_alu instid0(VALU_DEP_1)
	v_or_b32_e32 v32, v0, v6
.LBB6_27474:                            ;   in Loop: Header=BB6_26858 Depth=3
	s_or_b32 exec_lo, exec_lo, s77
                                        ; implicit-def: $vgpr6
.LBB6_27475:                            ;   in Loop: Header=BB6_26858 Depth=3
	s_and_not1_saveexec_b32 s14, s76
; %bb.27476:                            ;   in Loop: Header=BB6_26858 Depth=3
	v_or_b32_e32 v32, 0x7b, v6
; %bb.27477:                            ;   in Loop: Header=BB6_26858 Depth=3
	s_or_b32 exec_lo, exec_lo, s14
                                        ; implicit-def: $vgpr2
                                        ; implicit-def: $vgpr0_vgpr1
                                        ; implicit-def: $vgpr3
.LBB6_27478:                            ;   in Loop: Header=BB6_26858 Depth=3
	s_and_not1_saveexec_b32 s14, s75
	s_cbranch_execz .LBB6_27484
; %bb.27479:                            ;   in Loop: Header=BB6_26858 Depth=3
	s_mov_b32 s75, exec_lo
                                        ; implicit-def: $vgpr32
	v_cmpx_ne_u64_e32 0, v[0:1]
	s_xor_b32 s75, exec_lo, s75
; %bb.27480:                            ;   in Loop: Header=BB6_26858 Depth=3
	v_or_b32_e32 v32, 0x7f, v3
                                        ; implicit-def: $vgpr2
; %bb.27481:                            ;   in Loop: Header=BB6_26858 Depth=3
	s_and_not1_saveexec_b32 s75, s75
; %bb.27482:                            ;   in Loop: Header=BB6_26858 Depth=3
	v_cmp_lt_i32_e32 vcc_lo, -1, v2
	v_mov_b32_e32 v0, 0x7c
	s_delay_alu instid0(VALU_DEP_1)
	v_cndmask_b32_e32 v32, 0xfc, v0, vcc_lo
; %bb.27483:                            ;   in Loop: Header=BB6_26858 Depth=3
	s_or_b32 exec_lo, exec_lo, s75
.LBB6_27484:                            ;   in Loop: Header=BB6_26858 Depth=3
	s_delay_alu instid0(SALU_CYCLE_1) | instskip(SKIP_4) | instid1(VALU_DEP_2)
	s_or_b32 exec_lo, exec_lo, s14
	v_lshl_or_b32 v35, v35, 8, v16
	v_dual_lshlrev_b32 v0, 16, v37 :: v_dual_lshlrev_b32 v2, 24, v38
	v_dual_mov_b32 v1, v113 :: v_dual_mov_b32 v6, 0
	s_mov_b32 s14, exec_lo
	v_or3_b32 v0, v0, v2, v35
	v_cmpx_ne_u32_e32 0, v16
	s_cbranch_execz .LBB6_27494
; %bb.27485:                            ;   in Loop: Header=BB6_26858 Depth=3
	v_bfrev_b32_e32 v6, 1
	s_mov_b32 s75, exec_lo
	v_cmpx_ne_u32_e32 0x80, v16
	s_cbranch_execz .LBB6_27493
; %bb.27486:                            ;   in Loop: Header=BB6_26858 Depth=3
	v_and_b32_e32 v3, 0x7c, v16
	v_and_b32_e32 v2, 3, v16
	s_mov_b32 s76, exec_lo
                                        ; implicit-def: $vgpr6
	s_delay_alu instid0(VALU_DEP_2)
	v_cmpx_ne_u32_e32 0x7c, v3
	s_xor_b32 s76, exec_lo, s76
	s_cbranch_execz .LBB6_27490
; %bb.27487:                            ;   in Loop: Header=BB6_26858 Depth=3
	v_bfe_u32 v3, v16, 2, 5
	s_mov_b32 s77, exec_lo
	s_delay_alu instid0(VALU_DEP_1)
	v_cmpx_eq_u32_e32 0, v3
; %bb.27488:                            ;   in Loop: Header=BB6_26858 Depth=3
	v_clz_i32_u32_e32 v2, v2
	s_delay_alu instid0(VALU_DEP_1) | instskip(NEXT) | instid1(VALU_DEP_1)
	v_min_u32_e32 v6, 32, v2
	v_subrev_nc_u32_e32 v2, 29, v6
	s_delay_alu instid0(VALU_DEP_1) | instskip(SKIP_1) | instid1(VALU_DEP_2)
	v_lshlrev_b64_e32 v[2:3], v2, v[0:1]
	v_sub_nc_u32_e32 v3, 30, v6
	v_and_b32_e32 v2, 3, v2
; %bb.27489:                            ;   in Loop: Header=BB6_26858 Depth=3
	s_or_b32 exec_lo, exec_lo, s77
	v_lshlrev_b32_e32 v1, 24, v16
                                        ; implicit-def: $vgpr16
	s_delay_alu instid0(VALU_DEP_1) | instskip(NEXT) | instid1(VALU_DEP_1)
	v_and_b32_e32 v1, 0x80000000, v1
	v_lshl_add_u32 v1, v3, 23, v1
	s_delay_alu instid0(VALU_DEP_1) | instskip(NEXT) | instid1(VALU_DEP_1)
	v_lshl_or_b32 v1, v2, 21, v1
                                        ; implicit-def: $vgpr2
	v_add_nc_u32_e32 v6, 0x38000000, v1
.LBB6_27490:                            ;   in Loop: Header=BB6_26858 Depth=3
	s_and_not1_saveexec_b32 s76, s76
; %bb.27491:                            ;   in Loop: Header=BB6_26858 Depth=3
	v_and_b32_e32 v1, 0x80, v16
	s_delay_alu instid0(VALU_DEP_1) | instskip(SKIP_1) | instid1(VALU_DEP_1)
	v_cmp_eq_u32_e32 vcc_lo, 0, v1
	v_mov_b32_e32 v1, 0x7f800000
	v_cndmask_b32_e32 v1, 0xff800000, v1, vcc_lo
	v_cmp_eq_u32_e32 vcc_lo, 0, v2
	s_delay_alu instid0(VALU_DEP_2)
	v_cndmask_b32_e32 v6, 0x7f800001, v1, vcc_lo
; %bb.27492:                            ;   in Loop: Header=BB6_26858 Depth=3
	s_or_b32 exec_lo, exec_lo, s76
.LBB6_27493:                            ;   in Loop: Header=BB6_26858 Depth=3
	s_delay_alu instid0(SALU_CYCLE_1)
	s_or_b32 exec_lo, exec_lo, s75
.LBB6_27494:                            ;   in Loop: Header=BB6_26858 Depth=3
	s_delay_alu instid0(SALU_CYCLE_1) | instskip(SKIP_4) | instid1(VALU_DEP_2)
	s_or_b32 exec_lo, exec_lo, s14
	v_and_b32_e32 v3, 0xff, v9
	v_mov_b32_e32 v2, v9
	s_mov_b32 s75, 0
	s_mov_b32 s14, exec_lo
	v_cmpx_lt_i16_e32 0x7f, v3
	s_xor_b32 s14, exec_lo, s14
	s_cbranch_execz .LBB6_27903
; %bb.27495:                            ;   in Loop: Header=BB6_26858 Depth=3
	s_mov_b32 s75, -1
	s_mov_b32 s76, exec_lo
	v_cmpx_eq_u16_e32 0x80, v3
; %bb.27496:                            ;   in Loop: Header=BB6_26858 Depth=3
	s_xor_b32 s75, exec_lo, -1
; %bb.27497:                            ;   in Loop: Header=BB6_26858 Depth=3
	s_or_b32 exec_lo, exec_lo, s76
	s_delay_alu instid0(SALU_CYCLE_1)
	s_and_b32 s75, s75, exec_lo
                                        ; implicit-def: $vgpr3
	s_or_saveexec_b32 s14, s14
	v_bfrev_b32_e32 v1, 1
	s_xor_b32 exec_lo, exec_lo, s14
	s_cbranch_execnz .LBB6_27904
.LBB6_27498:                            ;   in Loop: Header=BB6_26858 Depth=3
	s_or_b32 exec_lo, exec_lo, s14
	v_mov_b32_e32 v3, v113
	s_and_saveexec_b32 s14, s75
	s_cbranch_execz .LBB6_27500
.LBB6_27499:                            ;   in Loop: Header=BB6_26858 Depth=3
	v_and_b32_e32 v1, 3, v9
	s_delay_alu instid0(VALU_DEP_1) | instskip(NEXT) | instid1(VALU_DEP_1)
	v_clz_i32_u32_e32 v7, v1
	v_min_u32_e32 v7, 32, v7
	s_delay_alu instid0(VALU_DEP_1) | instskip(NEXT) | instid1(VALU_DEP_1)
	v_subrev_nc_u32_e32 v16, 29, v7
	v_lshlrev_b64_e32 v[16:17], v16, v[2:3]
	v_bfe_u32 v17, v9, 2, 5
	v_dual_lshlrev_b32 v3, 24, v9 :: v_dual_sub_nc_u32 v7, 30, v7
	s_delay_alu instid0(VALU_DEP_2) | instskip(NEXT) | instid1(VALU_DEP_2)
	v_cmp_eq_u32_e32 vcc_lo, 0, v17
	v_and_b32_e32 v3, 0x80000000, v3
	s_delay_alu instid0(VALU_DEP_3) | instskip(SKIP_1) | instid1(VALU_DEP_2)
	v_dual_cndmask_b32 v7, v17, v7, vcc_lo :: v_dual_bitop2_b32 v16, 3, v16 bitop3:0x40
	v_bfe_i32 v17, v9, 0, 8
	v_cndmask_b32_e32 v16, v1, v16, vcc_lo
	s_delay_alu instid0(VALU_DEP_3) | instskip(NEXT) | instid1(VALU_DEP_3)
	v_lshl_add_u32 v3, v7, 23, v3
	v_cmp_lt_i16_e32 vcc_lo, -1, v17
	v_mov_b32_e32 v7, 0x7f800000
	s_delay_alu instid0(VALU_DEP_3) | instskip(SKIP_1) | instid1(VALU_DEP_3)
	v_lshl_or_b32 v3, v16, 21, v3
	v_and_b32_e32 v16, 0x7c, v9
	v_cndmask_b32_e32 v7, 0xff800000, v7, vcc_lo
	v_cmp_eq_u32_e32 vcc_lo, 0, v1
	s_delay_alu instid0(VALU_DEP_4) | instskip(NEXT) | instid1(VALU_DEP_3)
	v_add_nc_u32_e32 v3, 0x38000000, v3
	v_cndmask_b32_e32 v1, 0x7f800001, v7, vcc_lo
	v_cmp_eq_u32_e32 vcc_lo, 0x7c, v16
	s_delay_alu instid0(VALU_DEP_2)
	v_cndmask_b32_e32 v1, v3, v1, vcc_lo
.LBB6_27500:                            ;   in Loop: Header=BB6_26858 Depth=3
	s_or_b32 exec_lo, exec_lo, s14
	s_delay_alu instid0(VALU_DEP_1) | instskip(NEXT) | instid1(VALU_DEP_1)
	v_dual_add_f32 v3, v6, v1 :: v_dual_mov_b32 v17, v113
	v_dual_mov_b32 v7, v113 :: v_dual_lshrrev_b32 v1, 24, v3
	v_and_b32_e32 v16, 0x7f800000, v3
	v_and_b32_e32 v6, 0x7fffff, v3
	s_delay_alu instid0(VALU_DEP_2) | instskip(SKIP_1) | instid1(SALU_CYCLE_1)
	v_cmp_ne_u64_e32 vcc_lo, 0x7f800000, v[16:17]
                                        ; implicit-def: $vgpr16
	s_and_saveexec_b32 s14, vcc_lo
	s_xor_b32 s75, exec_lo, s14
	s_cbranch_execz .LBB6_27514
; %bb.27501:                            ;   in Loop: Header=BB6_26858 Depth=3
	v_and_b32_e32 v16, 0x7fffffff, v3
	v_mov_b32_e32 v17, v113
	v_and_b32_e32 v1, 0x80, v1
	s_delay_alu instid0(VALU_DEP_2) | instskip(SKIP_1) | instid1(SALU_CYCLE_1)
	v_cmp_gt_u64_e32 vcc_lo, 0x47600001, v[16:17]
                                        ; implicit-def: $vgpr16
	s_and_saveexec_b32 s14, vcc_lo
	s_xor_b32 s76, exec_lo, s14
	s_cbranch_execz .LBB6_27511
; %bb.27502:                            ;   in Loop: Header=BB6_26858 Depth=3
	v_mov_b32_e32 v16, 0
	s_mov_b32 s77, exec_lo
	v_cmpx_ne_u32_e32 0, v3
	s_cbranch_execz .LBB6_27510
; %bb.27503:                            ;   in Loop: Header=BB6_26858 Depth=3
	v_bfe_u32 v3, v3, 23, 8
	v_or_b32_e32 v38, 0x800000, v6
	s_delay_alu instid0(VALU_DEP_2) | instskip(SKIP_1) | instid1(VALU_DEP_2)
	v_sub_nc_u32_e32 v16, 0x71, v3
	v_cmp_gt_u32_e32 vcc_lo, 0x72, v3
	v_cndmask_b32_e32 v16, 0, v16, vcc_lo
	v_cmp_eq_u32_e32 vcc_lo, 0, v3
	s_delay_alu instid0(VALU_DEP_2) | instskip(NEXT) | instid1(VALU_DEP_1)
	v_cndmask_b32_e64 v37, v16, 0x70, vcc_lo
	v_dual_cndmask_b32 v6, v38, v6, vcc_lo :: v_dual_add_nc_u32 v16, 21, v37
	v_add_nc_u32_e32 v39, 20, v37
	s_delay_alu instid0(VALU_DEP_2) | instskip(NEXT) | instid1(VALU_DEP_2)
	v_lshlrev_b64_e64 v[16:17], v16, -1
	v_lshlrev_b64_e64 v[38:39], v39, 1
	s_delay_alu instid0(VALU_DEP_2) | instskip(SKIP_1) | instid1(VALU_DEP_4)
	v_bfi_b32 v16, v16, 0, v6
	v_lshrrev_b64 v[6:7], v37, v[6:7]
	v_bfi_b32 v17, v17, 0, 0
	s_delay_alu instid0(VALU_DEP_1) | instskip(NEXT) | instid1(VALU_DEP_3)
	v_cmp_eq_u64_e64 s14, v[16:17], v[38:39]
	v_mov_b64_e32 v[16:17], v[6:7]
	s_and_saveexec_b32 s78, s14
; %bb.27504:                            ;   in Loop: Header=BB6_26858 Depth=3
	v_bfe_u32 v16, v6, 21, 1
	v_mov_b32_e32 v17, v113
	s_delay_alu instid0(VALU_DEP_1) | instskip(NEXT) | instid1(VALU_DEP_1)
	v_add_nc_u64_e32 v[16:17], v[6:7], v[16:17]
	v_add_nc_u64_e32 v[16:17], -1, v[16:17]
; %bb.27505:                            ;   in Loop: Header=BB6_26858 Depth=3
	s_or_b32 exec_lo, exec_lo, s78
	v_add_nc_u32_e32 v3, 0xffffff81, v3
	v_lshrrev_b32_e32 v7, 23, v6
	s_mov_b32 s14, exec_lo
	s_delay_alu instid0(VALU_DEP_2) | instskip(NEXT) | instid1(VALU_DEP_1)
	v_cndmask_b32_e64 v3, v3, 0xffffff82, vcc_lo
	v_add3_u32 v17, v37, v3, v7
	v_and_b32_e32 v3, 0x1fffff, v16
	s_delay_alu instid0(VALU_DEP_2) | instskip(NEXT) | instid1(VALU_DEP_2)
	v_dual_mov_b32 v7, v113 :: v_dual_add_nc_u32 v16, 14, v17
	v_add_nc_u32_e32 v6, v3, v6
                                        ; implicit-def: $vgpr3
	s_delay_alu instid0(VALU_DEP_2)
	v_cmpx_ne_u32_e32 0, v16
	s_xor_b32 s14, exec_lo, s14
; %bb.27506:                            ;   in Loop: Header=BB6_26858 Depth=3
	s_delay_alu instid0(VALU_DEP_2) | instskip(SKIP_1) | instid1(VALU_DEP_1)
	v_cmp_lt_u64_e32 vcc_lo, 0xffffff, v[6:7]
	v_add_nc_u32_e32 v3, 15, v17
	v_cndmask_b32_e32 v3, v16, v3, vcc_lo
	v_cndmask_b32_e64 v16, 0, 1, vcc_lo
	s_delay_alu instid0(VALU_DEP_1)
	v_lshrrev_b64 v[6:7], v16, v[6:7]
; %bb.27507:                            ;   in Loop: Header=BB6_26858 Depth=3
	s_and_not1_saveexec_b32 s14, s14
; %bb.27508:                            ;   in Loop: Header=BB6_26858 Depth=3
	s_delay_alu instid0(VALU_DEP_1)
	v_bfe_u32 v3, v6, 23, 1
; %bb.27509:                            ;   in Loop: Header=BB6_26858 Depth=3
	s_or_b32 exec_lo, exec_lo, s14
	s_delay_alu instid0(VALU_DEP_2) | instskip(NEXT) | instid1(VALU_DEP_2)
	v_lshrrev_b64 v[6:7], 21, v[6:7]
	v_cmp_gt_i32_e32 vcc_lo, 32, v3
	v_min_i32_e32 v16, 31, v3
	v_cmp_eq_u32_e64 s14, 0, v3
	s_delay_alu instid0(VALU_DEP_2) | instskip(SKIP_1) | instid1(VALU_DEP_2)
	v_dual_cndmask_b32 v6, 3, v6, vcc_lo :: v_dual_lshlrev_b32 v16, 2, v16
	v_cndmask_b32_e32 v7, 0, v7, vcc_lo
	v_and_b32_e32 v16, 0xfc, v16
	s_delay_alu instid0(VALU_DEP_2) | instskip(NEXT) | instid1(VALU_DEP_2)
	v_cmp_eq_u64_e32 vcc_lo, 0, v[6:7]
	v_and_or_b32 v3, v6, 3, v16
	s_and_b32 s14, s14, vcc_lo
	s_delay_alu instid0(VALU_DEP_1) | instid1(SALU_CYCLE_1)
	v_cndmask_b32_e64 v3, v3, 0, s14
	s_delay_alu instid0(VALU_DEP_1)
	v_or_b32_e32 v16, v3, v1
.LBB6_27510:                            ;   in Loop: Header=BB6_26858 Depth=3
	s_or_b32 exec_lo, exec_lo, s77
                                        ; implicit-def: $vgpr1
.LBB6_27511:                            ;   in Loop: Header=BB6_26858 Depth=3
	s_and_not1_saveexec_b32 s14, s76
; %bb.27512:                            ;   in Loop: Header=BB6_26858 Depth=3
	v_or_b32_e32 v16, 0x7b, v1
; %bb.27513:                            ;   in Loop: Header=BB6_26858 Depth=3
	s_or_b32 exec_lo, exec_lo, s14
                                        ; implicit-def: $vgpr3
                                        ; implicit-def: $vgpr6_vgpr7
                                        ; implicit-def: $vgpr1
.LBB6_27514:                            ;   in Loop: Header=BB6_26858 Depth=3
	s_and_not1_saveexec_b32 s14, s75
	s_cbranch_execz .LBB6_27520
; %bb.27515:                            ;   in Loop: Header=BB6_26858 Depth=3
	s_mov_b32 s75, exec_lo
                                        ; implicit-def: $vgpr16
	v_cmpx_ne_u64_e32 0, v[6:7]
	s_xor_b32 s75, exec_lo, s75
; %bb.27516:                            ;   in Loop: Header=BB6_26858 Depth=3
	v_or_b32_e32 v16, 0x7f, v1
                                        ; implicit-def: $vgpr3
; %bb.27517:                            ;   in Loop: Header=BB6_26858 Depth=3
	s_and_not1_saveexec_b32 s75, s75
; %bb.27518:                            ;   in Loop: Header=BB6_26858 Depth=3
	v_cmp_lt_i32_e32 vcc_lo, -1, v3
	v_mov_b32_e32 v1, 0x7c
	s_delay_alu instid0(VALU_DEP_1)
	v_cndmask_b32_e32 v16, 0xfc, v1, vcc_lo
; %bb.27519:                            ;   in Loop: Header=BB6_26858 Depth=3
	s_or_b32 exec_lo, exec_lo, s75
.LBB6_27520:                            ;   in Loop: Header=BB6_26858 Depth=3
	s_delay_alu instid0(SALU_CYCLE_1) | instskip(SKIP_3) | instid1(VALU_DEP_2)
	s_or_b32 exec_lo, exec_lo, s14
	v_lshrrev_b16 v6, 8, v35
	v_mov_b32_e32 v1, 0
	s_mov_b32 s14, exec_lo
	v_cmpx_ne_u16_e32 0, v6
	s_cbranch_execz .LBB6_27530
; %bb.27521:                            ;   in Loop: Header=BB6_26858 Depth=3
	v_bfrev_b32_e32 v1, 1
	s_mov_b32 s75, exec_lo
	v_cmpx_ne_u16_e32 0x80, v6
	s_cbranch_execz .LBB6_27529
; %bb.27522:                            ;   in Loop: Header=BB6_26858 Depth=3
	v_and_b32_e32 v7, 0xffff, v6
	s_delay_alu instid0(VALU_DEP_1) | instskip(SKIP_1) | instid1(VALU_DEP_2)
	v_and_b32_e32 v1, 0x7c, v7
	v_and_b32_e32 v3, 3, v7
	v_cmp_ne_u32_e32 vcc_lo, 0x7c, v1
                                        ; implicit-def: $vgpr1
	s_and_saveexec_b32 s76, vcc_lo
	s_delay_alu instid0(SALU_CYCLE_1)
	s_xor_b32 s76, exec_lo, s76
	s_cbranch_execz .LBB6_27526
; %bb.27523:                            ;   in Loop: Header=BB6_26858 Depth=3
	v_bfe_u32 v1, v7, 2, 5
	s_mov_b32 s77, exec_lo
	s_delay_alu instid0(VALU_DEP_1)
	v_cmpx_eq_u32_e32 0, v1
	s_cbranch_execz .LBB6_27525
; %bb.27524:                            ;   in Loop: Header=BB6_26858 Depth=3
	v_clz_i32_u32_e32 v1, v3
	s_delay_alu instid0(VALU_DEP_1) | instskip(SKIP_1) | instid1(VALU_DEP_2)
	v_min_u32_e32 v1, 32, v1
	v_mov_b32_e32 v7, v113
	v_subrev_nc_u32_e32 v3, 29, v1
	v_sub_nc_u32_e32 v1, 30, v1
	s_delay_alu instid0(VALU_DEP_2) | instskip(NEXT) | instid1(VALU_DEP_1)
	v_lshlrev_b64_e32 v[6:7], v3, v[6:7]
	v_and_b32_e32 v3, 3, v6
.LBB6_27525:                            ;   in Loop: Header=BB6_26858 Depth=3
	s_or_b32 exec_lo, exec_lo, s77
	v_lshlrev_b32_e32 v6, 16, v35
                                        ; implicit-def: $vgpr35
	s_delay_alu instid0(VALU_DEP_1) | instskip(NEXT) | instid1(VALU_DEP_1)
	v_and_b32_e32 v6, 0x80000000, v6
	v_lshl_add_u32 v1, v1, 23, v6
	s_delay_alu instid0(VALU_DEP_1) | instskip(NEXT) | instid1(VALU_DEP_1)
	v_lshl_or_b32 v1, v3, 21, v1
                                        ; implicit-def: $vgpr3
	v_add_nc_u32_e32 v1, 0x38000000, v1
.LBB6_27526:                            ;   in Loop: Header=BB6_26858 Depth=3
	s_and_not1_saveexec_b32 s76, s76
; %bb.27527:                            ;   in Loop: Header=BB6_26858 Depth=3
	v_cmp_lt_i16_e32 vcc_lo, -1, v35
	v_mov_b32_e32 v1, 0x7f800000
	s_delay_alu instid0(VALU_DEP_1) | instskip(SKIP_1) | instid1(VALU_DEP_2)
	v_cndmask_b32_e32 v1, 0xff800000, v1, vcc_lo
	v_cmp_eq_u32_e32 vcc_lo, 0, v3
	v_cndmask_b32_e32 v1, 0x7f800001, v1, vcc_lo
; %bb.27528:                            ;   in Loop: Header=BB6_26858 Depth=3
	s_or_b32 exec_lo, exec_lo, s76
.LBB6_27529:                            ;   in Loop: Header=BB6_26858 Depth=3
	s_delay_alu instid0(SALU_CYCLE_1)
	s_or_b32 exec_lo, exec_lo, s75
.LBB6_27530:                            ;   in Loop: Header=BB6_26858 Depth=3
	s_delay_alu instid0(SALU_CYCLE_1) | instskip(SKIP_3) | instid1(VALU_DEP_1)
	s_or_b32 exec_lo, exec_lo, s14
	v_lshrrev_b16 v6, 8, v2
	s_mov_b32 s75, 0
	s_mov_b32 s14, exec_lo
	v_cmpx_lt_i16_e32 0x7f, v6
	s_xor_b32 s14, exec_lo, s14
	s_cbranch_execz .LBB6_27905
; %bb.27531:                            ;   in Loop: Header=BB6_26858 Depth=3
	s_mov_b32 s75, -1
	s_mov_b32 s76, exec_lo
	v_cmpx_eq_u16_e32 0x80, v6
; %bb.27532:                            ;   in Loop: Header=BB6_26858 Depth=3
	s_xor_b32 s75, exec_lo, -1
; %bb.27533:                            ;   in Loop: Header=BB6_26858 Depth=3
	s_or_b32 exec_lo, exec_lo, s76
	s_delay_alu instid0(SALU_CYCLE_1)
	s_and_b32 s75, s75, exec_lo
	s_or_saveexec_b32 s14, s14
	v_bfrev_b32_e32 v3, 1
	s_xor_b32 exec_lo, exec_lo, s14
	s_cbranch_execnz .LBB6_27906
.LBB6_27534:                            ;   in Loop: Header=BB6_26858 Depth=3
	s_or_b32 exec_lo, exec_lo, s14
	s_and_saveexec_b32 s14, s75
	s_cbranch_execz .LBB6_27536
.LBB6_27535:                            ;   in Loop: Header=BB6_26858 Depth=3
	v_and_b32_e32 v3, 0xffff, v6
	s_delay_alu instid0(VALU_DEP_1) | instskip(NEXT) | instid1(VALU_DEP_1)
	v_and_b32_e32 v17, 3, v3
	v_clz_i32_u32_e32 v7, v17
	s_delay_alu instid0(VALU_DEP_1) | instskip(SKIP_1) | instid1(VALU_DEP_2)
	v_min_u32_e32 v35, 32, v7
	v_mov_b32_e32 v7, v113
	v_subrev_nc_u32_e32 v37, 29, v35
	v_sub_nc_u32_e32 v35, 30, v35
	s_delay_alu instid0(VALU_DEP_2) | instskip(SKIP_3) | instid1(VALU_DEP_3)
	v_lshlrev_b64_e32 v[38:39], v37, v[6:7]
	v_bfe_u32 v7, v3, 2, 5
	v_lshlrev_b32_e32 v6, 24, v6
	v_and_b32_e32 v3, 0x7c, v3
	v_cmp_eq_u32_e32 vcc_lo, 0, v7
	s_delay_alu instid0(VALU_DEP_3) | instskip(SKIP_1) | instid1(VALU_DEP_1)
	v_and_b32_e32 v6, 0x80000000, v6
	v_dual_cndmask_b32 v7, v7, v35, vcc_lo :: v_dual_bitop2_b32 v37, 3, v38 bitop3:0x40
	v_cndmask_b32_e32 v35, v17, v37, vcc_lo
	v_cmp_lt_i16_e32 vcc_lo, -1, v2
	v_mov_b32_e32 v2, 0x7f800000
	s_delay_alu instid0(VALU_DEP_4) | instskip(NEXT) | instid1(VALU_DEP_2)
	v_lshl_add_u32 v6, v7, 23, v6
	v_cndmask_b32_e32 v2, 0xff800000, v2, vcc_lo
	s_delay_alu instid0(VALU_DEP_2) | instskip(SKIP_1) | instid1(VALU_DEP_2)
	v_lshl_or_b32 v6, v35, 21, v6
	v_cmp_eq_u32_e32 vcc_lo, 0, v17
	v_add_nc_u32_e32 v6, 0x38000000, v6
	s_delay_alu instid0(VALU_DEP_4) | instskip(SKIP_1) | instid1(VALU_DEP_2)
	v_cndmask_b32_e32 v2, 0x7f800001, v2, vcc_lo
	v_cmp_eq_u32_e32 vcc_lo, 0x7c, v3
	v_cndmask_b32_e32 v3, v6, v2, vcc_lo
.LBB6_27536:                            ;   in Loop: Header=BB6_26858 Depth=3
	s_or_b32 exec_lo, exec_lo, s14
	s_delay_alu instid0(VALU_DEP_1) | instskip(SKIP_2) | instid1(VALU_DEP_2)
	v_add_f32_e32 v6, v1, v3
	v_dual_mov_b32 v39, v113 :: v_dual_mov_b32 v3, v113
                                        ; implicit-def: $vgpr17
	s_mov_b32 s14, exec_lo
	v_and_b32_e32 v38, 0x7f800000, v6
	v_and_b32_e32 v2, 0x7fffff, v6
	v_lshrrev_b32_e32 v1, 24, v6
	s_delay_alu instid0(VALU_DEP_3)
	v_cmpx_ne_u64_e32 0x7f800000, v[38:39]
	s_xor_b32 s75, exec_lo, s14
	s_cbranch_execz .LBB6_27550
; %bb.27537:                            ;   in Loop: Header=BB6_26858 Depth=3
	v_and_b32_e32 v38, 0x7fffffff, v6
	v_mov_b32_e32 v39, v113
	v_and_b32_e32 v1, 0x80, v1
                                        ; implicit-def: $vgpr17
	s_mov_b32 s14, exec_lo
	s_delay_alu instid0(VALU_DEP_2)
	v_cmpx_gt_u64_e32 0x47600001, v[38:39]
	s_xor_b32 s76, exec_lo, s14
	s_cbranch_execz .LBB6_27547
; %bb.27538:                            ;   in Loop: Header=BB6_26858 Depth=3
	v_mov_b32_e32 v17, 0
	s_mov_b32 s77, exec_lo
	v_cmpx_ne_u32_e32 0, v6
	s_cbranch_execz .LBB6_27546
; %bb.27539:                            ;   in Loop: Header=BB6_26858 Depth=3
	v_bfe_u32 v17, v6, 23, 8
	v_or_b32_e32 v37, 0x800000, v2
	s_delay_alu instid0(VALU_DEP_2) | instskip(SKIP_1) | instid1(VALU_DEP_2)
	v_sub_nc_u32_e32 v6, 0x71, v17
	v_cmp_gt_u32_e32 vcc_lo, 0x72, v17
	v_cndmask_b32_e32 v6, 0, v6, vcc_lo
	v_cmp_eq_u32_e32 vcc_lo, 0, v17
	s_delay_alu instid0(VALU_DEP_2) | instskip(NEXT) | instid1(VALU_DEP_1)
	v_cndmask_b32_e64 v35, v6, 0x70, vcc_lo
	v_dual_cndmask_b32 v2, v37, v2, vcc_lo :: v_dual_add_nc_u32 v6, 21, v35
	v_add_nc_u32_e32 v38, 20, v35
	s_delay_alu instid0(VALU_DEP_2) | instskip(NEXT) | instid1(VALU_DEP_2)
	v_lshlrev_b64_e64 v[6:7], v6, -1
	v_lshlrev_b64_e64 v[38:39], v38, 1
	s_delay_alu instid0(VALU_DEP_2) | instskip(SKIP_1) | instid1(VALU_DEP_4)
	v_bfi_b32 v6, v6, 0, v2
	v_lshrrev_b64 v[2:3], v35, v[2:3]
	v_bfi_b32 v7, v7, 0, 0
	s_delay_alu instid0(VALU_DEP_1) | instskip(NEXT) | instid1(VALU_DEP_3)
	v_cmp_eq_u64_e64 s14, v[6:7], v[38:39]
	v_mov_b64_e32 v[6:7], v[2:3]
	s_and_saveexec_b32 s78, s14
; %bb.27540:                            ;   in Loop: Header=BB6_26858 Depth=3
	v_bfe_u32 v6, v2, 21, 1
	v_mov_b32_e32 v7, v113
	s_delay_alu instid0(VALU_DEP_1) | instskip(NEXT) | instid1(VALU_DEP_1)
	v_add_nc_u64_e32 v[6:7], v[2:3], v[6:7]
	v_add_nc_u64_e32 v[6:7], -1, v[6:7]
; %bb.27541:                            ;   in Loop: Header=BB6_26858 Depth=3
	s_or_b32 exec_lo, exec_lo, s78
	v_add_nc_u32_e32 v3, 0xffffff81, v17
	v_lshrrev_b32_e32 v7, 23, v2
	s_mov_b32 s14, exec_lo
	s_delay_alu instid0(VALU_DEP_2) | instskip(NEXT) | instid1(VALU_DEP_1)
	v_cndmask_b32_e64 v3, v3, 0xffffff82, vcc_lo
	v_add3_u32 v7, v35, v3, v7
	v_and_b32_e32 v3, 0x1fffff, v6
                                        ; implicit-def: $vgpr6
	s_delay_alu instid0(VALU_DEP_1) | instskip(SKIP_1) | instid1(VALU_DEP_2)
	v_dual_add_nc_u32 v17, 14, v7 :: v_dual_add_nc_u32 v2, v3, v2
	v_mov_b32_e32 v3, v113
	v_cmpx_ne_u32_e32 0, v17
	s_xor_b32 s14, exec_lo, s14
; %bb.27542:                            ;   in Loop: Header=BB6_26858 Depth=3
	s_delay_alu instid0(VALU_DEP_2) | instskip(SKIP_2) | instid1(VALU_DEP_2)
	v_cmp_lt_u64_e32 vcc_lo, 0xffffff, v[2:3]
	v_add_nc_u32_e32 v6, 15, v7
	v_cndmask_b32_e64 v7, 0, 1, vcc_lo
	v_cndmask_b32_e32 v6, v17, v6, vcc_lo
	s_delay_alu instid0(VALU_DEP_2)
	v_lshrrev_b64 v[2:3], v7, v[2:3]
; %bb.27543:                            ;   in Loop: Header=BB6_26858 Depth=3
	s_and_not1_saveexec_b32 s14, s14
; %bb.27544:                            ;   in Loop: Header=BB6_26858 Depth=3
	s_delay_alu instid0(VALU_DEP_1)
	v_bfe_u32 v6, v2, 23, 1
; %bb.27545:                            ;   in Loop: Header=BB6_26858 Depth=3
	s_or_b32 exec_lo, exec_lo, s14
	s_delay_alu instid0(VALU_DEP_2) | instskip(NEXT) | instid1(VALU_DEP_2)
	v_lshrrev_b64 v[2:3], 21, v[2:3]
	v_cmp_gt_i32_e32 vcc_lo, 32, v6
	v_min_i32_e32 v7, 31, v6
	v_cmp_eq_u32_e64 s14, 0, v6
	s_delay_alu instid0(VALU_DEP_4) | instskip(NEXT) | instid1(VALU_DEP_3)
	v_cndmask_b32_e32 v3, 0, v3, vcc_lo
	v_dual_cndmask_b32 v2, 3, v2 :: v_dual_lshlrev_b32 v7, 2, v7
	s_delay_alu instid0(VALU_DEP_1) | instskip(NEXT) | instid1(VALU_DEP_2)
	v_and_b32_e32 v7, 0xfc, v7
	v_cmp_eq_u64_e32 vcc_lo, 0, v[2:3]
	s_delay_alu instid0(VALU_DEP_2)
	v_and_or_b32 v2, v2, 3, v7
	s_and_b32 s14, s14, vcc_lo
	s_delay_alu instid0(VALU_DEP_1) | instid1(SALU_CYCLE_1)
	v_cndmask_b32_e64 v2, v2, 0, s14
	s_delay_alu instid0(VALU_DEP_1)
	v_or_b32_e32 v17, v2, v1
.LBB6_27546:                            ;   in Loop: Header=BB6_26858 Depth=3
	s_or_b32 exec_lo, exec_lo, s77
                                        ; implicit-def: $vgpr1
.LBB6_27547:                            ;   in Loop: Header=BB6_26858 Depth=3
	s_and_not1_saveexec_b32 s14, s76
; %bb.27548:                            ;   in Loop: Header=BB6_26858 Depth=3
	v_or_b32_e32 v17, 0x7b, v1
; %bb.27549:                            ;   in Loop: Header=BB6_26858 Depth=3
	s_or_b32 exec_lo, exec_lo, s14
                                        ; implicit-def: $vgpr6
                                        ; implicit-def: $vgpr2_vgpr3
                                        ; implicit-def: $vgpr1
.LBB6_27550:                            ;   in Loop: Header=BB6_26858 Depth=3
	s_and_not1_saveexec_b32 s14, s75
	s_cbranch_execz .LBB6_27556
; %bb.27551:                            ;   in Loop: Header=BB6_26858 Depth=3
	s_mov_b32 s75, exec_lo
                                        ; implicit-def: $vgpr17
	v_cmpx_ne_u64_e32 0, v[2:3]
	s_xor_b32 s75, exec_lo, s75
; %bb.27552:                            ;   in Loop: Header=BB6_26858 Depth=3
	v_or_b32_e32 v17, 0x7f, v1
                                        ; implicit-def: $vgpr6
; %bb.27553:                            ;   in Loop: Header=BB6_26858 Depth=3
	s_and_not1_saveexec_b32 s75, s75
; %bb.27554:                            ;   in Loop: Header=BB6_26858 Depth=3
	v_cmp_lt_i32_e32 vcc_lo, -1, v6
	v_mov_b32_e32 v1, 0x7c
	s_delay_alu instid0(VALU_DEP_1)
	v_cndmask_b32_e32 v17, 0xfc, v1, vcc_lo
; %bb.27555:                            ;   in Loop: Header=BB6_26858 Depth=3
	s_or_b32 exec_lo, exec_lo, s75
.LBB6_27556:                            ;   in Loop: Header=BB6_26858 Depth=3
	s_delay_alu instid0(SALU_CYCLE_1) | instskip(SKIP_2) | instid1(VALU_DEP_1)
	s_or_b32 exec_lo, exec_lo, s14
	v_dual_mov_b32 v1, 0 :: v_dual_lshrrev_b32 v2, 16, v0
	s_mov_b32 s14, exec_lo
	v_and_b32_e32 v3, 0xff, v2
	s_delay_alu instid0(VALU_DEP_1)
	v_cmpx_ne_u16_e32 0, v3
	s_cbranch_execz .LBB6_27566
; %bb.27557:                            ;   in Loop: Header=BB6_26858 Depth=3
	v_bfrev_b32_e32 v1, 1
	s_mov_b32 s75, exec_lo
	v_cmpx_ne_u16_e32 0x80, v3
	s_cbranch_execz .LBB6_27565
; %bb.27558:                            ;   in Loop: Header=BB6_26858 Depth=3
	v_and_b32_e32 v1, 0x7c0000, v0
	v_bfe_u32 v3, v0, 16, 2
	s_delay_alu instid0(VALU_DEP_2) | instskip(SKIP_1) | instid1(SALU_CYCLE_1)
	v_cmp_ne_u32_e32 vcc_lo, 0x7c0000, v1
                                        ; implicit-def: $vgpr1
	s_and_saveexec_b32 s76, vcc_lo
	s_xor_b32 s76, exec_lo, s76
	s_cbranch_execz .LBB6_27562
; %bb.27559:                            ;   in Loop: Header=BB6_26858 Depth=3
	v_bfe_u32 v1, v0, 18, 5
	s_mov_b32 s77, exec_lo
	s_delay_alu instid0(VALU_DEP_1)
	v_cmpx_eq_u32_e32 0, v1
; %bb.27560:                            ;   in Loop: Header=BB6_26858 Depth=3
	v_clz_i32_u32_e32 v1, v3
	s_delay_alu instid0(VALU_DEP_1) | instskip(NEXT) | instid1(VALU_DEP_1)
	v_min_u32_e32 v1, 32, v1
	v_subrev_nc_u32_e32 v3, 29, v1
	s_delay_alu instid0(VALU_DEP_1) | instskip(NEXT) | instid1(VALU_DEP_1)
	v_lshlrev_b64_e32 v[6:7], v3, v[2:3]
	v_dual_sub_nc_u32 v1, 30, v1 :: v_dual_bitop2_b32 v3, 3, v6 bitop3:0x40
; %bb.27561:                            ;   in Loop: Header=BB6_26858 Depth=3
	s_or_b32 exec_lo, exec_lo, s77
	v_lshlrev_b32_e32 v2, 24, v2
	s_delay_alu instid0(VALU_DEP_1) | instskip(NEXT) | instid1(VALU_DEP_1)
	v_and_b32_e32 v2, 0x80000000, v2
	v_lshl_add_u32 v1, v1, 23, v2
                                        ; implicit-def: $vgpr2
	s_delay_alu instid0(VALU_DEP_1) | instskip(NEXT) | instid1(VALU_DEP_1)
	v_lshl_or_b32 v1, v3, 21, v1
                                        ; implicit-def: $vgpr3
	v_add_nc_u32_e32 v1, 0x38000000, v1
.LBB6_27562:                            ;   in Loop: Header=BB6_26858 Depth=3
	s_and_not1_saveexec_b32 s76, s76
; %bb.27563:                            ;   in Loop: Header=BB6_26858 Depth=3
	v_bfe_i32 v1, v2, 0, 8
	s_delay_alu instid0(VALU_DEP_1) | instskip(SKIP_1) | instid1(VALU_DEP_1)
	v_cmp_lt_i16_e32 vcc_lo, -1, v1
	v_mov_b32_e32 v1, 0x7f800000
	v_cndmask_b32_e32 v1, 0xff800000, v1, vcc_lo
	v_cmp_eq_u32_e32 vcc_lo, 0, v3
	s_delay_alu instid0(VALU_DEP_2)
	v_cndmask_b32_e32 v1, 0x7f800001, v1, vcc_lo
; %bb.27564:                            ;   in Loop: Header=BB6_26858 Depth=3
	s_or_b32 exec_lo, exec_lo, s76
.LBB6_27565:                            ;   in Loop: Header=BB6_26858 Depth=3
	s_delay_alu instid0(SALU_CYCLE_1)
	s_or_b32 exec_lo, exec_lo, s75
.LBB6_27566:                            ;   in Loop: Header=BB6_26858 Depth=3
	s_delay_alu instid0(SALU_CYCLE_1) | instskip(SKIP_3) | instid1(VALU_DEP_1)
	s_or_b32 exec_lo, exec_lo, s14
	v_lshrrev_b32_e32 v2, 16, v9
	s_mov_b32 s75, 0
	s_mov_b32 s14, exec_lo
	v_and_b32_e32 v6, 0xff, v2
	s_delay_alu instid0(VALU_DEP_1)
	v_cmpx_lt_i16_e32 0x7f, v6
	s_xor_b32 s14, exec_lo, s14
	s_cbranch_execz .LBB6_27907
; %bb.27567:                            ;   in Loop: Header=BB6_26858 Depth=3
	s_mov_b32 s75, -1
	s_mov_b32 s76, exec_lo
	v_cmpx_eq_u16_e32 0x80, v6
; %bb.27568:                            ;   in Loop: Header=BB6_26858 Depth=3
	s_xor_b32 s75, exec_lo, -1
; %bb.27569:                            ;   in Loop: Header=BB6_26858 Depth=3
	s_or_b32 exec_lo, exec_lo, s76
	s_delay_alu instid0(SALU_CYCLE_1)
	s_and_b32 s75, s75, exec_lo
                                        ; implicit-def: $vgpr6
	s_or_saveexec_b32 s14, s14
	v_bfrev_b32_e32 v3, 1
	s_xor_b32 exec_lo, exec_lo, s14
	s_cbranch_execnz .LBB6_27908
.LBB6_27570:                            ;   in Loop: Header=BB6_26858 Depth=3
	s_or_b32 exec_lo, exec_lo, s14
	s_and_saveexec_b32 s14, s75
	s_cbranch_execz .LBB6_27572
.LBB6_27571:                            ;   in Loop: Header=BB6_26858 Depth=3
	v_and_b32_e32 v3, 3, v2
	v_bfe_u32 v37, v9, 18, 5
	s_delay_alu instid0(VALU_DEP_2) | instskip(NEXT) | instid1(VALU_DEP_2)
	v_clz_i32_u32_e32 v6, v3
	v_cmp_eq_u32_e32 vcc_lo, 0, v37
	s_delay_alu instid0(VALU_DEP_2) | instskip(NEXT) | instid1(VALU_DEP_1)
	v_min_u32_e32 v35, 32, v6
	v_subrev_nc_u32_e32 v6, 29, v35
	s_delay_alu instid0(VALU_DEP_1) | instskip(SKIP_2) | instid1(VALU_DEP_2)
	v_lshlrev_b64_e32 v[6:7], v6, v[2:3]
	v_dual_lshlrev_b32 v7, 24, v2 :: v_dual_sub_nc_u32 v35, 30, v35
	v_bfe_i32 v2, v2, 0, 8
	v_and_b32_e32 v7, 0x80000000, v7
	s_delay_alu instid0(VALU_DEP_3) | instskip(NEXT) | instid1(VALU_DEP_1)
	v_dual_cndmask_b32 v35, v37, v35, vcc_lo :: v_dual_bitop2_b32 v6, 3, v6 bitop3:0x40
	v_cndmask_b32_e32 v6, v3, v6, vcc_lo
	s_delay_alu instid0(VALU_DEP_2) | instskip(SKIP_2) | instid1(VALU_DEP_3)
	v_lshl_add_u32 v7, v35, 23, v7
	v_cmp_lt_i16_e32 vcc_lo, -1, v2
	v_mov_b32_e32 v2, 0x7f800000
	v_lshl_or_b32 v6, v6, 21, v7
	v_and_b32_e32 v7, 0x7c0000, v9
	s_delay_alu instid0(VALU_DEP_3) | instskip(SKIP_1) | instid1(VALU_DEP_4)
	v_cndmask_b32_e32 v2, 0xff800000, v2, vcc_lo
	v_cmp_eq_u32_e32 vcc_lo, 0, v3
	v_add_nc_u32_e32 v3, 0x38000000, v6
	s_delay_alu instid0(VALU_DEP_3) | instskip(SKIP_1) | instid1(VALU_DEP_2)
	v_cndmask_b32_e32 v2, 0x7f800001, v2, vcc_lo
	v_cmp_eq_u32_e32 vcc_lo, 0x7c0000, v7
	v_cndmask_b32_e32 v3, v3, v2, vcc_lo
.LBB6_27572:                            ;   in Loop: Header=BB6_26858 Depth=3
	s_or_b32 exec_lo, exec_lo, s14
	s_delay_alu instid0(VALU_DEP_1) | instskip(SKIP_2) | instid1(VALU_DEP_2)
	v_add_f32_e32 v6, v1, v3
	v_dual_mov_b32 v39, v113 :: v_dual_mov_b32 v3, v113
                                        ; implicit-def: $vgpr35
	s_mov_b32 s14, exec_lo
	v_and_b32_e32 v38, 0x7f800000, v6
	v_and_b32_e32 v2, 0x7fffff, v6
	v_lshrrev_b32_e32 v1, 24, v6
	s_delay_alu instid0(VALU_DEP_3)
	v_cmpx_ne_u64_e32 0x7f800000, v[38:39]
	s_xor_b32 s75, exec_lo, s14
	s_cbranch_execz .LBB6_27586
; %bb.27573:                            ;   in Loop: Header=BB6_26858 Depth=3
	v_and_b32_e32 v38, 0x7fffffff, v6
	v_mov_b32_e32 v39, v113
	v_and_b32_e32 v1, 0x80, v1
                                        ; implicit-def: $vgpr35
	s_mov_b32 s14, exec_lo
	s_delay_alu instid0(VALU_DEP_2)
	v_cmpx_gt_u64_e32 0x47600001, v[38:39]
	s_xor_b32 s76, exec_lo, s14
	s_cbranch_execz .LBB6_27583
; %bb.27574:                            ;   in Loop: Header=BB6_26858 Depth=3
	v_mov_b32_e32 v35, 0
	s_mov_b32 s77, exec_lo
	v_cmpx_ne_u32_e32 0, v6
	s_cbranch_execz .LBB6_27582
; %bb.27575:                            ;   in Loop: Header=BB6_26858 Depth=3
	v_bfe_u32 v35, v6, 23, 8
	v_or_b32_e32 v38, 0x800000, v2
	s_delay_alu instid0(VALU_DEP_2) | instskip(SKIP_1) | instid1(VALU_DEP_2)
	v_sub_nc_u32_e32 v6, 0x71, v35
	v_cmp_gt_u32_e32 vcc_lo, 0x72, v35
	v_cndmask_b32_e32 v6, 0, v6, vcc_lo
	v_cmp_eq_u32_e32 vcc_lo, 0, v35
	s_delay_alu instid0(VALU_DEP_2) | instskip(NEXT) | instid1(VALU_DEP_1)
	v_cndmask_b32_e64 v37, v6, 0x70, vcc_lo
	v_dual_cndmask_b32 v2, v38, v2, vcc_lo :: v_dual_add_nc_u32 v6, 21, v37
	v_add_nc_u32_e32 v39, 20, v37
	s_delay_alu instid0(VALU_DEP_2) | instskip(NEXT) | instid1(VALU_DEP_2)
	v_lshlrev_b64_e64 v[6:7], v6, -1
	v_lshlrev_b64_e64 v[38:39], v39, 1
	s_delay_alu instid0(VALU_DEP_2) | instskip(SKIP_1) | instid1(VALU_DEP_4)
	v_bfi_b32 v6, v6, 0, v2
	v_lshrrev_b64 v[2:3], v37, v[2:3]
	v_bfi_b32 v7, v7, 0, 0
	s_delay_alu instid0(VALU_DEP_1) | instskip(NEXT) | instid1(VALU_DEP_3)
	v_cmp_eq_u64_e64 s14, v[6:7], v[38:39]
	v_mov_b64_e32 v[6:7], v[2:3]
	s_and_saveexec_b32 s78, s14
; %bb.27576:                            ;   in Loop: Header=BB6_26858 Depth=3
	v_bfe_u32 v6, v2, 21, 1
	v_mov_b32_e32 v7, v113
	s_delay_alu instid0(VALU_DEP_1) | instskip(NEXT) | instid1(VALU_DEP_1)
	v_add_nc_u64_e32 v[6:7], v[2:3], v[6:7]
	v_add_nc_u64_e32 v[6:7], -1, v[6:7]
; %bb.27577:                            ;   in Loop: Header=BB6_26858 Depth=3
	s_or_b32 exec_lo, exec_lo, s78
	v_add_nc_u32_e32 v3, 0xffffff81, v35
	v_lshrrev_b32_e32 v7, 23, v2
	s_mov_b32 s14, exec_lo
	s_delay_alu instid0(VALU_DEP_2) | instskip(NEXT) | instid1(VALU_DEP_1)
	v_cndmask_b32_e64 v3, v3, 0xffffff82, vcc_lo
	v_add3_u32 v7, v37, v3, v7
	v_and_b32_e32 v3, 0x1fffff, v6
                                        ; implicit-def: $vgpr6
	s_delay_alu instid0(VALU_DEP_1) | instskip(SKIP_1) | instid1(VALU_DEP_2)
	v_dual_add_nc_u32 v35, 14, v7 :: v_dual_add_nc_u32 v2, v3, v2
	v_mov_b32_e32 v3, v113
	v_cmpx_ne_u32_e32 0, v35
	s_xor_b32 s14, exec_lo, s14
; %bb.27578:                            ;   in Loop: Header=BB6_26858 Depth=3
	s_delay_alu instid0(VALU_DEP_2) | instskip(SKIP_2) | instid1(VALU_DEP_2)
	v_cmp_lt_u64_e32 vcc_lo, 0xffffff, v[2:3]
	v_add_nc_u32_e32 v6, 15, v7
	v_cndmask_b32_e64 v7, 0, 1, vcc_lo
	v_cndmask_b32_e32 v6, v35, v6, vcc_lo
	s_delay_alu instid0(VALU_DEP_2)
	v_lshrrev_b64 v[2:3], v7, v[2:3]
; %bb.27579:                            ;   in Loop: Header=BB6_26858 Depth=3
	s_and_not1_saveexec_b32 s14, s14
; %bb.27580:                            ;   in Loop: Header=BB6_26858 Depth=3
	s_delay_alu instid0(VALU_DEP_1)
	v_bfe_u32 v6, v2, 23, 1
; %bb.27581:                            ;   in Loop: Header=BB6_26858 Depth=3
	s_or_b32 exec_lo, exec_lo, s14
	s_delay_alu instid0(VALU_DEP_2) | instskip(NEXT) | instid1(VALU_DEP_2)
	v_lshrrev_b64 v[2:3], 21, v[2:3]
	v_cmp_gt_i32_e32 vcc_lo, 32, v6
	v_min_i32_e32 v7, 31, v6
	v_cmp_eq_u32_e64 s14, 0, v6
	s_delay_alu instid0(VALU_DEP_4) | instskip(NEXT) | instid1(VALU_DEP_3)
	v_cndmask_b32_e32 v3, 0, v3, vcc_lo
	v_dual_cndmask_b32 v2, 3, v2 :: v_dual_lshlrev_b32 v7, 2, v7
	s_delay_alu instid0(VALU_DEP_1) | instskip(NEXT) | instid1(VALU_DEP_2)
	v_and_b32_e32 v7, 0xfc, v7
	v_cmp_eq_u64_e32 vcc_lo, 0, v[2:3]
	s_delay_alu instid0(VALU_DEP_2)
	v_and_or_b32 v2, v2, 3, v7
	s_and_b32 s14, s14, vcc_lo
	s_delay_alu instid0(VALU_DEP_1) | instid1(SALU_CYCLE_1)
	v_cndmask_b32_e64 v2, v2, 0, s14
	s_delay_alu instid0(VALU_DEP_1)
	v_or_b32_e32 v35, v2, v1
.LBB6_27582:                            ;   in Loop: Header=BB6_26858 Depth=3
	s_or_b32 exec_lo, exec_lo, s77
                                        ; implicit-def: $vgpr1
.LBB6_27583:                            ;   in Loop: Header=BB6_26858 Depth=3
	s_and_not1_saveexec_b32 s14, s76
; %bb.27584:                            ;   in Loop: Header=BB6_26858 Depth=3
	v_or_b32_e32 v35, 0x7b, v1
; %bb.27585:                            ;   in Loop: Header=BB6_26858 Depth=3
	s_or_b32 exec_lo, exec_lo, s14
                                        ; implicit-def: $vgpr6
                                        ; implicit-def: $vgpr2_vgpr3
                                        ; implicit-def: $vgpr1
.LBB6_27586:                            ;   in Loop: Header=BB6_26858 Depth=3
	s_and_not1_saveexec_b32 s14, s75
	s_cbranch_execz .LBB6_27592
; %bb.27587:                            ;   in Loop: Header=BB6_26858 Depth=3
	s_mov_b32 s75, exec_lo
                                        ; implicit-def: $vgpr35
	v_cmpx_ne_u64_e32 0, v[2:3]
	s_xor_b32 s75, exec_lo, s75
; %bb.27588:                            ;   in Loop: Header=BB6_26858 Depth=3
	v_or_b32_e32 v35, 0x7f, v1
                                        ; implicit-def: $vgpr6
; %bb.27589:                            ;   in Loop: Header=BB6_26858 Depth=3
	s_and_not1_saveexec_b32 s75, s75
; %bb.27590:                            ;   in Loop: Header=BB6_26858 Depth=3
	v_cmp_lt_i32_e32 vcc_lo, -1, v6
	v_mov_b32_e32 v1, 0x7c
	s_delay_alu instid0(VALU_DEP_1)
	v_cndmask_b32_e32 v35, 0xfc, v1, vcc_lo
; %bb.27591:                            ;   in Loop: Header=BB6_26858 Depth=3
	s_or_b32 exec_lo, exec_lo, s75
.LBB6_27592:                            ;   in Loop: Header=BB6_26858 Depth=3
	s_delay_alu instid0(SALU_CYCLE_1)
	s_or_b32 exec_lo, exec_lo, s14
	v_mov_b32_e32 v3, 0
	s_mov_b32 s14, exec_lo
	v_cmpx_lt_u32_e32 0xffffff, v0
	s_cbranch_execz .LBB6_27602
; %bb.27593:                            ;   in Loop: Header=BB6_26858 Depth=3
	v_lshrrev_b32_e32 v2, 24, v0
	v_bfrev_b32_e32 v3, 1
	s_mov_b32 s75, exec_lo
	s_delay_alu instid0(VALU_DEP_2)
	v_cmpx_ne_u32_e32 0x80, v2
	s_cbranch_execz .LBB6_27601
; %bb.27594:                            ;   in Loop: Header=BB6_26858 Depth=3
	v_and_b32_e32 v1, 0x7c000000, v0
	v_bfe_u32 v6, v0, 24, 2
	s_mov_b32 s76, exec_lo
                                        ; implicit-def: $vgpr3
	s_delay_alu instid0(VALU_DEP_2)
	v_cmpx_ne_u32_e32 0x7c000000, v1
	s_xor_b32 s76, exec_lo, s76
	s_cbranch_execz .LBB6_27598
; %bb.27595:                            ;   in Loop: Header=BB6_26858 Depth=3
	v_bfe_u32 v1, v0, 26, 5
	s_mov_b32 s77, exec_lo
	s_delay_alu instid0(VALU_DEP_1)
	v_cmpx_eq_u32_e32 0, v1
; %bb.27596:                            ;   in Loop: Header=BB6_26858 Depth=3
	v_clz_i32_u32_e32 v1, v6
	s_delay_alu instid0(VALU_DEP_1) | instskip(NEXT) | instid1(VALU_DEP_1)
	v_min_u32_e32 v1, 32, v1
	v_subrev_nc_u32_e32 v3, 29, v1
	s_delay_alu instid0(VALU_DEP_1) | instskip(NEXT) | instid1(VALU_DEP_1)
	v_lshlrev_b64_e32 v[2:3], v3, v[2:3]
	v_dual_sub_nc_u32 v1, 30, v1 :: v_dual_bitop2_b32 v6, 3, v2 bitop3:0x40
; %bb.27597:                            ;   in Loop: Header=BB6_26858 Depth=3
	s_or_b32 exec_lo, exec_lo, s77
	v_and_b32_e32 v0, 0x80000000, v0
	s_delay_alu instid0(VALU_DEP_1) | instskip(NEXT) | instid1(VALU_DEP_1)
	v_lshl_add_u32 v0, v1, 23, v0
	v_lshl_or_b32 v0, v6, 21, v0
                                        ; implicit-def: $vgpr6
	s_delay_alu instid0(VALU_DEP_1)
	v_add_nc_u32_e32 v3, 0x38000000, v0
                                        ; implicit-def: $vgpr0_vgpr1
.LBB6_27598:                            ;   in Loop: Header=BB6_26858 Depth=3
	s_and_not1_saveexec_b32 s76, s76
; %bb.27599:                            ;   in Loop: Header=BB6_26858 Depth=3
	v_cmp_lt_i32_e32 vcc_lo, -1, v0
	v_mov_b32_e32 v0, 0x7f800000
	s_delay_alu instid0(VALU_DEP_1) | instskip(SKIP_1) | instid1(VALU_DEP_2)
	v_cndmask_b32_e32 v0, 0xff800000, v0, vcc_lo
	v_cmp_eq_u32_e32 vcc_lo, 0, v6
	v_cndmask_b32_e32 v3, 0x7f800001, v0, vcc_lo
; %bb.27600:                            ;   in Loop: Header=BB6_26858 Depth=3
	s_or_b32 exec_lo, exec_lo, s76
.LBB6_27601:                            ;   in Loop: Header=BB6_26858 Depth=3
	s_delay_alu instid0(SALU_CYCLE_1)
	s_or_b32 exec_lo, exec_lo, s75
.LBB6_27602:                            ;   in Loop: Header=BB6_26858 Depth=3
	s_delay_alu instid0(SALU_CYCLE_1) | instskip(SKIP_3) | instid1(VALU_DEP_2)
	s_or_b32 exec_lo, exec_lo, s14
	v_bfe_u32 v1, v9, 24, 2
	v_bfe_u32 v37, v9, 26, 5
	s_mov_b32 s14, exec_lo
	v_clz_i32_u32_e32 v0, v1
	s_delay_alu instid0(VALU_DEP_2) | instskip(NEXT) | instid1(VALU_DEP_2)
	v_cmp_eq_u32_e32 vcc_lo, 0, v37
	v_min_u32_e32 v2, 32, v0
	v_lshrrev_b32_e32 v0, 24, v9
	s_delay_alu instid0(VALU_DEP_2) | instskip(SKIP_1) | instid1(VALU_DEP_2)
	v_subrev_nc_u32_e32 v6, 29, v2
	v_sub_nc_u32_e32 v2, 30, v2
	v_lshlrev_b64_e32 v[6:7], v6, v[0:1]
	v_and_b32_e32 v7, 0x80000000, v9
	s_delay_alu instid0(VALU_DEP_3) | instskip(NEXT) | instid1(VALU_DEP_1)
	v_cndmask_b32_e32 v2, v37, v2, vcc_lo
                                        ; implicit-def: $vgpr37
	v_lshl_add_u32 v2, v2, 23, v7
	s_delay_alu instid0(VALU_DEP_4) | instskip(NEXT) | instid1(VALU_DEP_1)
	v_and_b32_e32 v6, 3, v6
	v_dual_mov_b32 v7, 0x7f800000 :: v_dual_cndmask_b32 v6, v1, v6
	v_cmp_lt_i64_e32 vcc_lo, -1, v[8:9]
	s_delay_alu instid0(VALU_DEP_2) | instskip(SKIP_1) | instid1(VALU_DEP_4)
	v_lshl_or_b32 v2, v6, 21, v2
	v_and_b32_e32 v6, 0x7c000000, v9
	v_cndmask_b32_e32 v7, 0xff800000, v7, vcc_lo
	v_cmp_eq_u32_e32 vcc_lo, 0, v1
	s_delay_alu instid0(VALU_DEP_4) | instskip(NEXT) | instid1(VALU_DEP_3)
	v_add_nc_u32_e32 v2, 0x38000000, v2
	v_cndmask_b32_e32 v1, 0x7f800001, v7, vcc_lo
	v_cmp_eq_u32_e32 vcc_lo, 0x7c000000, v6
	s_delay_alu instid0(VALU_DEP_2) | instskip(SKIP_1) | instid1(VALU_DEP_2)
	v_dual_mov_b32 v7, v113 :: v_dual_cndmask_b32 v1, v2, v1, vcc_lo
	v_cmp_ne_u32_e32 vcc_lo, 0x80, v0
	v_dual_cndmask_b32 v0, 0x80000000, v1 :: v_dual_mov_b32 v1, v113
	v_cmp_lt_u64_e32 vcc_lo, s[22:23], v[8:9]
	s_delay_alu instid0(VALU_DEP_2) | instskip(NEXT) | instid1(VALU_DEP_1)
	v_cndmask_b32_e32 v0, 0, v0, vcc_lo
	v_add_f32_e32 v2, v0, v3
	s_delay_alu instid0(VALU_DEP_1) | instskip(SKIP_2) | instid1(VALU_DEP_3)
	v_and_b32_e32 v6, 0x7f800000, v2
	v_and_b32_e32 v0, 0x7fffff, v2
	v_lshrrev_b32_e32 v3, 24, v2
	v_cmpx_ne_u64_e32 0x7f800000, v[6:7]
	s_xor_b32 s75, exec_lo, s14
	s_cbranch_execz .LBB6_27616
; %bb.27603:                            ;   in Loop: Header=BB6_26858 Depth=3
	v_and_b32_e32 v6, 0x7fffffff, v2
	v_mov_b32_e32 v7, v113
                                        ; implicit-def: $vgpr37
	s_delay_alu instid0(VALU_DEP_1) | instskip(SKIP_2) | instid1(SALU_CYCLE_1)
	v_cmp_gt_u64_e32 vcc_lo, 0x47600001, v[6:7]
	v_and_b32_e32 v6, 0x80, v3
	s_and_saveexec_b32 s14, vcc_lo
	s_xor_b32 s76, exec_lo, s14
	s_cbranch_execz .LBB6_27613
; %bb.27604:                            ;   in Loop: Header=BB6_26858 Depth=3
	v_mov_b32_e32 v37, 0
	s_mov_b32 s77, exec_lo
	v_cmpx_ne_u32_e32 0, v2
	s_cbranch_execz .LBB6_27612
; %bb.27605:                            ;   in Loop: Header=BB6_26858 Depth=3
	v_bfe_u32 v7, v2, 23, 8
	v_or_b32_e32 v9, 0x800000, v0
	s_delay_alu instid0(VALU_DEP_2) | instskip(SKIP_1) | instid1(VALU_DEP_2)
	v_sub_nc_u32_e32 v2, 0x71, v7
	v_cmp_gt_u32_e32 vcc_lo, 0x72, v7
	v_cndmask_b32_e32 v2, 0, v2, vcc_lo
	v_cmp_eq_u32_e32 vcc_lo, 0, v7
	s_delay_alu instid0(VALU_DEP_2) | instskip(SKIP_1) | instid1(VALU_DEP_2)
	v_cndmask_b32_e64 v8, v2, 0x70, vcc_lo
	v_cndmask_b32_e32 v0, v9, v0, vcc_lo
	v_dual_add_nc_u32 v2, 21, v8 :: v_dual_add_nc_u32 v37, 20, v8
	s_delay_alu instid0(VALU_DEP_1) | instskip(NEXT) | instid1(VALU_DEP_2)
	v_lshlrev_b64_e64 v[2:3], v2, -1
	v_lshlrev_b64_e64 v[38:39], v37, 1
	s_delay_alu instid0(VALU_DEP_2) | instskip(SKIP_1) | instid1(VALU_DEP_4)
	v_bfi_b32 v2, v2, 0, v0
	v_lshrrev_b64 v[0:1], v8, v[0:1]
	v_bfi_b32 v3, v3, 0, 0
	s_delay_alu instid0(VALU_DEP_1) | instskip(NEXT) | instid1(VALU_DEP_3)
	v_cmp_eq_u64_e64 s14, v[2:3], v[38:39]
	v_mov_b64_e32 v[2:3], v[0:1]
	s_and_saveexec_b32 s78, s14
; %bb.27606:                            ;   in Loop: Header=BB6_26858 Depth=3
	v_bfe_u32 v2, v0, 21, 1
	v_mov_b32_e32 v3, v113
	s_delay_alu instid0(VALU_DEP_1) | instskip(NEXT) | instid1(VALU_DEP_1)
	v_add_nc_u64_e32 v[2:3], v[0:1], v[2:3]
	v_add_nc_u64_e32 v[2:3], -1, v[2:3]
; %bb.27607:                            ;   in Loop: Header=BB6_26858 Depth=3
	s_or_b32 exec_lo, exec_lo, s78
	v_add_nc_u32_e32 v1, 0xffffff81, v7
	v_lshrrev_b32_e32 v3, 23, v0
	s_mov_b32 s14, exec_lo
	s_delay_alu instid0(VALU_DEP_2) | instskip(NEXT) | instid1(VALU_DEP_1)
	v_cndmask_b32_e64 v1, v1, 0xffffff82, vcc_lo
	v_add3_u32 v3, v8, v1, v3
	v_and_b32_e32 v1, 0x1fffff, v2
                                        ; implicit-def: $vgpr2
	s_delay_alu instid0(VALU_DEP_1) | instskip(SKIP_1) | instid1(VALU_DEP_2)
	v_dual_add_nc_u32 v7, 14, v3 :: v_dual_add_nc_u32 v0, v1, v0
	v_mov_b32_e32 v1, v113
	v_cmpx_ne_u32_e32 0, v7
	s_xor_b32 s14, exec_lo, s14
; %bb.27608:                            ;   in Loop: Header=BB6_26858 Depth=3
	s_delay_alu instid0(VALU_DEP_2) | instskip(SKIP_2) | instid1(VALU_DEP_2)
	v_cmp_lt_u64_e32 vcc_lo, 0xffffff, v[0:1]
	v_add_nc_u32_e32 v2, 15, v3
	v_cndmask_b32_e64 v3, 0, 1, vcc_lo
	v_cndmask_b32_e32 v2, v7, v2, vcc_lo
	s_delay_alu instid0(VALU_DEP_2)
	v_lshrrev_b64 v[0:1], v3, v[0:1]
; %bb.27609:                            ;   in Loop: Header=BB6_26858 Depth=3
	s_and_not1_saveexec_b32 s14, s14
; %bb.27610:                            ;   in Loop: Header=BB6_26858 Depth=3
	s_delay_alu instid0(VALU_DEP_1)
	v_bfe_u32 v2, v0, 23, 1
; %bb.27611:                            ;   in Loop: Header=BB6_26858 Depth=3
	s_or_b32 exec_lo, exec_lo, s14
	s_delay_alu instid0(VALU_DEP_2) | instskip(NEXT) | instid1(VALU_DEP_2)
	v_lshrrev_b64 v[0:1], 21, v[0:1]
	v_cmp_gt_i32_e32 vcc_lo, 32, v2
	v_min_i32_e32 v3, 31, v2
	v_cmp_eq_u32_e64 s14, 0, v2
	s_delay_alu instid0(VALU_DEP_2) | instskip(SKIP_1) | instid1(VALU_DEP_2)
	v_dual_cndmask_b32 v1, 0, v1, vcc_lo :: v_dual_lshlrev_b32 v3, 2, v3
	v_cndmask_b32_e32 v0, 3, v0, vcc_lo
	v_and_b32_e32 v3, 0xfc, v3
	s_delay_alu instid0(VALU_DEP_2) | instskip(NEXT) | instid1(VALU_DEP_2)
	v_cmp_eq_u64_e32 vcc_lo, 0, v[0:1]
	v_and_or_b32 v0, v0, 3, v3
	s_and_b32 s14, s14, vcc_lo
	s_delay_alu instid0(VALU_DEP_1) | instid1(SALU_CYCLE_1)
	v_cndmask_b32_e64 v0, v0, 0, s14
	s_delay_alu instid0(VALU_DEP_1)
	v_or_b32_e32 v37, v0, v6
.LBB6_27612:                            ;   in Loop: Header=BB6_26858 Depth=3
	s_or_b32 exec_lo, exec_lo, s77
                                        ; implicit-def: $vgpr6
.LBB6_27613:                            ;   in Loop: Header=BB6_26858 Depth=3
	s_and_not1_saveexec_b32 s14, s76
; %bb.27614:                            ;   in Loop: Header=BB6_26858 Depth=3
	v_or_b32_e32 v37, 0x7b, v6
; %bb.27615:                            ;   in Loop: Header=BB6_26858 Depth=3
	s_or_b32 exec_lo, exec_lo, s14
                                        ; implicit-def: $vgpr2
                                        ; implicit-def: $vgpr0_vgpr1
                                        ; implicit-def: $vgpr3
.LBB6_27616:                            ;   in Loop: Header=BB6_26858 Depth=3
	s_and_not1_saveexec_b32 s14, s75
	s_cbranch_execz .LBB6_27622
; %bb.27617:                            ;   in Loop: Header=BB6_26858 Depth=3
	s_mov_b32 s75, exec_lo
                                        ; implicit-def: $vgpr37
	v_cmpx_ne_u64_e32 0, v[0:1]
	s_xor_b32 s75, exec_lo, s75
; %bb.27618:                            ;   in Loop: Header=BB6_26858 Depth=3
	v_or_b32_e32 v37, 0x7f, v3
                                        ; implicit-def: $vgpr2
; %bb.27619:                            ;   in Loop: Header=BB6_26858 Depth=3
	s_and_not1_saveexec_b32 s75, s75
; %bb.27620:                            ;   in Loop: Header=BB6_26858 Depth=3
	v_cmp_lt_i32_e32 vcc_lo, -1, v2
	v_mov_b32_e32 v0, 0x7c
	s_delay_alu instid0(VALU_DEP_1)
	v_cndmask_b32_e32 v37, 0xfc, v0, vcc_lo
; %bb.27621:                            ;   in Loop: Header=BB6_26858 Depth=3
	s_or_b32 exec_lo, exec_lo, s75
.LBB6_27622:                            ;   in Loop: Header=BB6_26858 Depth=3
	s_delay_alu instid0(SALU_CYCLE_1) | instskip(SKIP_4) | instid1(VALU_DEP_2)
	s_or_b32 exec_lo, exec_lo, s14
	v_lshl_or_b32 v8, v31, 8, v27
	v_dual_lshlrev_b32 v0, 16, v34 :: v_dual_lshlrev_b32 v2, 24, v36
	v_mov_b32_e32 v1, v113
	s_mov_b32 s14, exec_lo
	v_or3_b32 v0, v0, v2, v8
	v_mov_b32_e32 v2, 0
	v_cmpx_ne_u32_e32 0, v27
	s_cbranch_execz .LBB6_27632
; %bb.27623:                            ;   in Loop: Header=BB6_26858 Depth=3
	v_bfrev_b32_e32 v2, 1
	s_mov_b32 s75, exec_lo
	v_cmpx_ne_u32_e32 0x80, v27
	s_cbranch_execz .LBB6_27631
; %bb.27624:                            ;   in Loop: Header=BB6_26858 Depth=3
	v_and_b32_e32 v2, 0x7c, v27
	v_and_b32_e32 v3, 3, v27
	s_delay_alu instid0(VALU_DEP_2) | instskip(SKIP_1) | instid1(SALU_CYCLE_1)
	v_cmp_ne_u32_e32 vcc_lo, 0x7c, v2
                                        ; implicit-def: $vgpr2
	s_and_saveexec_b32 s76, vcc_lo
	s_xor_b32 s76, exec_lo, s76
	s_cbranch_execz .LBB6_27628
; %bb.27625:                            ;   in Loop: Header=BB6_26858 Depth=3
	v_bfe_u32 v2, v27, 2, 5
	s_mov_b32 s77, exec_lo
	s_delay_alu instid0(VALU_DEP_1)
	v_cmpx_eq_u32_e32 0, v2
; %bb.27626:                            ;   in Loop: Header=BB6_26858 Depth=3
	v_clz_i32_u32_e32 v2, v3
	s_delay_alu instid0(VALU_DEP_1) | instskip(NEXT) | instid1(VALU_DEP_1)
	v_min_u32_e32 v2, 32, v2
	v_subrev_nc_u32_e32 v3, 29, v2
	v_sub_nc_u32_e32 v2, 30, v2
	s_delay_alu instid0(VALU_DEP_2) | instskip(NEXT) | instid1(VALU_DEP_1)
	v_lshlrev_b64_e32 v[6:7], v3, v[0:1]
	v_and_b32_e32 v3, 3, v6
; %bb.27627:                            ;   in Loop: Header=BB6_26858 Depth=3
	s_or_b32 exec_lo, exec_lo, s77
	v_lshlrev_b32_e32 v1, 24, v27
                                        ; implicit-def: $vgpr27
	s_delay_alu instid0(VALU_DEP_1) | instskip(NEXT) | instid1(VALU_DEP_1)
	v_and_b32_e32 v1, 0x80000000, v1
	v_lshl_add_u32 v1, v2, 23, v1
	s_delay_alu instid0(VALU_DEP_1) | instskip(NEXT) | instid1(VALU_DEP_1)
	v_lshl_or_b32 v1, v3, 21, v1
                                        ; implicit-def: $vgpr3
	v_add_nc_u32_e32 v2, 0x38000000, v1
.LBB6_27628:                            ;   in Loop: Header=BB6_26858 Depth=3
	s_and_not1_saveexec_b32 s76, s76
; %bb.27629:                            ;   in Loop: Header=BB6_26858 Depth=3
	v_and_b32_e32 v1, 0x80, v27
	s_delay_alu instid0(VALU_DEP_1) | instskip(SKIP_1) | instid1(VALU_DEP_1)
	v_cmp_eq_u32_e32 vcc_lo, 0, v1
	v_mov_b32_e32 v1, 0x7f800000
	v_cndmask_b32_e32 v1, 0xff800000, v1, vcc_lo
	v_cmp_eq_u32_e32 vcc_lo, 0, v3
	s_delay_alu instid0(VALU_DEP_2)
	v_cndmask_b32_e32 v2, 0x7f800001, v1, vcc_lo
; %bb.27630:                            ;   in Loop: Header=BB6_26858 Depth=3
	s_or_b32 exec_lo, exec_lo, s76
.LBB6_27631:                            ;   in Loop: Header=BB6_26858 Depth=3
	s_delay_alu instid0(SALU_CYCLE_1)
	s_or_b32 exec_lo, exec_lo, s75
.LBB6_27632:                            ;   in Loop: Header=BB6_26858 Depth=3
	s_delay_alu instid0(SALU_CYCLE_1) | instskip(SKIP_3) | instid1(VALU_DEP_1)
	s_or_b32 exec_lo, exec_lo, s14
	v_and_b32_e32 v3, 0xff, v10
	s_mov_b32 s75, 0
	s_mov_b32 s14, exec_lo
	v_cmpx_lt_i16_e32 0x7f, v3
	s_xor_b32 s14, exec_lo, s14
	s_cbranch_execz .LBB6_27909
; %bb.27633:                            ;   in Loop: Header=BB6_26858 Depth=3
	s_mov_b32 s75, -1
	s_mov_b32 s76, exec_lo
	v_cmpx_eq_u16_e32 0x80, v3
; %bb.27634:                            ;   in Loop: Header=BB6_26858 Depth=3
	s_xor_b32 s75, exec_lo, -1
; %bb.27635:                            ;   in Loop: Header=BB6_26858 Depth=3
	s_or_b32 exec_lo, exec_lo, s76
	s_delay_alu instid0(SALU_CYCLE_1)
	s_and_b32 s75, s75, exec_lo
                                        ; implicit-def: $vgpr3
	s_or_saveexec_b32 s14, s14
	v_bfrev_b32_e32 v1, 1
	s_xor_b32 exec_lo, exec_lo, s14
	s_cbranch_execnz .LBB6_27910
.LBB6_27636:                            ;   in Loop: Header=BB6_26858 Depth=3
	s_or_b32 exec_lo, exec_lo, s14
	s_and_saveexec_b32 s14, s75
	s_cbranch_execz .LBB6_27638
.LBB6_27637:                            ;   in Loop: Header=BB6_26858 Depth=3
	v_and_b32_e32 v1, 3, v10
	v_bfe_u32 v9, v10, 2, 5
	s_delay_alu instid0(VALU_DEP_2) | instskip(NEXT) | instid1(VALU_DEP_2)
	v_clz_i32_u32_e32 v3, v1
	v_cmp_eq_u32_e32 vcc_lo, 0, v9
	s_delay_alu instid0(VALU_DEP_2) | instskip(NEXT) | instid1(VALU_DEP_1)
	v_min_u32_e32 v3, 32, v3
	v_subrev_nc_u32_e32 v6, 29, v3
	s_delay_alu instid0(VALU_DEP_1) | instskip(SKIP_1) | instid1(VALU_DEP_1)
	v_lshlrev_b64_e32 v[6:7], v6, v[10:11]
	v_dual_lshlrev_b32 v7, 24, v10 :: v_dual_sub_nc_u32 v3, 30, v3
	v_and_b32_e32 v7, 0x80000000, v7
	s_delay_alu instid0(VALU_DEP_2) | instskip(SKIP_1) | instid1(VALU_DEP_2)
	v_dual_cndmask_b32 v3, v9, v3, vcc_lo :: v_dual_bitop2_b32 v6, 3, v6 bitop3:0x40
	v_bfe_i32 v9, v10, 0, 8
	v_cndmask_b32_e32 v6, v1, v6, vcc_lo
	s_delay_alu instid0(VALU_DEP_3) | instskip(NEXT) | instid1(VALU_DEP_3)
	v_lshl_add_u32 v3, v3, 23, v7
	v_cmp_lt_i16_e32 vcc_lo, -1, v9
	v_mov_b32_e32 v7, 0x7f800000
	s_delay_alu instid0(VALU_DEP_3) | instskip(SKIP_1) | instid1(VALU_DEP_3)
	v_lshl_or_b32 v3, v6, 21, v3
	v_and_b32_e32 v6, 0x7c, v10
	v_cndmask_b32_e32 v7, 0xff800000, v7, vcc_lo
	v_cmp_eq_u32_e32 vcc_lo, 0, v1
	s_delay_alu instid0(VALU_DEP_4) | instskip(NEXT) | instid1(VALU_DEP_3)
	v_add_nc_u32_e32 v3, 0x38000000, v3
	v_cndmask_b32_e32 v1, 0x7f800001, v7, vcc_lo
	v_cmp_eq_u32_e32 vcc_lo, 0x7c, v6
	s_delay_alu instid0(VALU_DEP_2)
	v_cndmask_b32_e32 v1, v3, v1, vcc_lo
.LBB6_27638:                            ;   in Loop: Header=BB6_26858 Depth=3
	s_or_b32 exec_lo, exec_lo, s14
	s_delay_alu instid0(VALU_DEP_1) | instskip(SKIP_2) | instid1(VALU_DEP_2)
	v_dual_add_f32 v6, v2, v1 :: v_dual_mov_b32 v39, v113
	v_mov_b32_e32 v3, v113
                                        ; implicit-def: $vgpr27
	s_mov_b32 s14, exec_lo
	v_and_b32_e32 v38, 0x7f800000, v6
	v_and_b32_e32 v2, 0x7fffff, v6
	v_lshrrev_b32_e32 v1, 24, v6
	s_delay_alu instid0(VALU_DEP_3)
	v_cmpx_ne_u64_e32 0x7f800000, v[38:39]
	s_xor_b32 s75, exec_lo, s14
	s_cbranch_execz .LBB6_27652
; %bb.27639:                            ;   in Loop: Header=BB6_26858 Depth=3
	v_and_b32_e32 v38, 0x7fffffff, v6
	v_mov_b32_e32 v39, v113
	v_and_b32_e32 v1, 0x80, v1
                                        ; implicit-def: $vgpr27
	s_mov_b32 s14, exec_lo
	s_delay_alu instid0(VALU_DEP_2)
	v_cmpx_gt_u64_e32 0x47600001, v[38:39]
	s_xor_b32 s76, exec_lo, s14
	s_cbranch_execz .LBB6_27649
; %bb.27640:                            ;   in Loop: Header=BB6_26858 Depth=3
	v_mov_b32_e32 v27, 0
	s_mov_b32 s77, exec_lo
	v_cmpx_ne_u32_e32 0, v6
	s_cbranch_execz .LBB6_27648
; %bb.27641:                            ;   in Loop: Header=BB6_26858 Depth=3
	v_bfe_u32 v9, v6, 23, 8
	v_or_b32_e32 v31, 0x800000, v2
	s_delay_alu instid0(VALU_DEP_2) | instskip(SKIP_1) | instid1(VALU_DEP_2)
	v_sub_nc_u32_e32 v6, 0x71, v9
	v_cmp_gt_u32_e32 vcc_lo, 0x72, v9
	v_cndmask_b32_e32 v6, 0, v6, vcc_lo
	v_cmp_eq_u32_e32 vcc_lo, 0, v9
	s_delay_alu instid0(VALU_DEP_2) | instskip(NEXT) | instid1(VALU_DEP_1)
	v_cndmask_b32_e64 v27, v6, 0x70, vcc_lo
	v_dual_cndmask_b32 v2, v31, v2, vcc_lo :: v_dual_add_nc_u32 v6, 21, v27
	v_add_nc_u32_e32 v34, 20, v27
	s_delay_alu instid0(VALU_DEP_2) | instskip(NEXT) | instid1(VALU_DEP_2)
	v_lshlrev_b64_e64 v[6:7], v6, -1
	v_lshlrev_b64_e64 v[38:39], v34, 1
	s_delay_alu instid0(VALU_DEP_2) | instskip(SKIP_1) | instid1(VALU_DEP_4)
	v_bfi_b32 v6, v6, 0, v2
	v_lshrrev_b64 v[2:3], v27, v[2:3]
	v_bfi_b32 v7, v7, 0, 0
	s_delay_alu instid0(VALU_DEP_1) | instskip(NEXT) | instid1(VALU_DEP_3)
	v_cmp_eq_u64_e64 s14, v[6:7], v[38:39]
	v_mov_b64_e32 v[6:7], v[2:3]
	s_and_saveexec_b32 s78, s14
; %bb.27642:                            ;   in Loop: Header=BB6_26858 Depth=3
	v_bfe_u32 v6, v2, 21, 1
	v_mov_b32_e32 v7, v113
	s_delay_alu instid0(VALU_DEP_1) | instskip(NEXT) | instid1(VALU_DEP_1)
	v_add_nc_u64_e32 v[6:7], v[2:3], v[6:7]
	v_add_nc_u64_e32 v[6:7], -1, v[6:7]
; %bb.27643:                            ;   in Loop: Header=BB6_26858 Depth=3
	s_or_b32 exec_lo, exec_lo, s78
	v_add_nc_u32_e32 v3, 0xffffff81, v9
	v_lshrrev_b32_e32 v7, 23, v2
	s_mov_b32 s14, exec_lo
	s_delay_alu instid0(VALU_DEP_2) | instskip(NEXT) | instid1(VALU_DEP_1)
	v_cndmask_b32_e64 v3, v3, 0xffffff82, vcc_lo
	v_add3_u32 v7, v27, v3, v7
	v_and_b32_e32 v3, 0x1fffff, v6
                                        ; implicit-def: $vgpr6
	s_delay_alu instid0(VALU_DEP_1) | instskip(SKIP_1) | instid1(VALU_DEP_2)
	v_dual_add_nc_u32 v9, 14, v7 :: v_dual_add_nc_u32 v2, v3, v2
	v_mov_b32_e32 v3, v113
	v_cmpx_ne_u32_e32 0, v9
	s_xor_b32 s14, exec_lo, s14
; %bb.27644:                            ;   in Loop: Header=BB6_26858 Depth=3
	s_delay_alu instid0(VALU_DEP_2) | instskip(SKIP_2) | instid1(VALU_DEP_2)
	v_cmp_lt_u64_e32 vcc_lo, 0xffffff, v[2:3]
	v_add_nc_u32_e32 v6, 15, v7
	v_cndmask_b32_e64 v7, 0, 1, vcc_lo
	v_cndmask_b32_e32 v6, v9, v6, vcc_lo
	s_delay_alu instid0(VALU_DEP_2)
	v_lshrrev_b64 v[2:3], v7, v[2:3]
; %bb.27645:                            ;   in Loop: Header=BB6_26858 Depth=3
	s_and_not1_saveexec_b32 s14, s14
; %bb.27646:                            ;   in Loop: Header=BB6_26858 Depth=3
	s_delay_alu instid0(VALU_DEP_1)
	v_bfe_u32 v6, v2, 23, 1
; %bb.27647:                            ;   in Loop: Header=BB6_26858 Depth=3
	s_or_b32 exec_lo, exec_lo, s14
	s_delay_alu instid0(VALU_DEP_2) | instskip(NEXT) | instid1(VALU_DEP_2)
	v_lshrrev_b64 v[2:3], 21, v[2:3]
	v_cmp_gt_i32_e32 vcc_lo, 32, v6
	v_min_i32_e32 v7, 31, v6
	v_cmp_eq_u32_e64 s14, 0, v6
	s_delay_alu instid0(VALU_DEP_4) | instskip(NEXT) | instid1(VALU_DEP_3)
	v_cndmask_b32_e32 v3, 0, v3, vcc_lo
	v_dual_cndmask_b32 v2, 3, v2 :: v_dual_lshlrev_b32 v7, 2, v7
	s_delay_alu instid0(VALU_DEP_1) | instskip(NEXT) | instid1(VALU_DEP_2)
	v_and_b32_e32 v7, 0xfc, v7
	v_cmp_eq_u64_e32 vcc_lo, 0, v[2:3]
	s_delay_alu instid0(VALU_DEP_2)
	v_and_or_b32 v2, v2, 3, v7
	s_and_b32 s14, s14, vcc_lo
	s_delay_alu instid0(VALU_DEP_1) | instid1(SALU_CYCLE_1)
	v_cndmask_b32_e64 v2, v2, 0, s14
	s_delay_alu instid0(VALU_DEP_1)
	v_or_b32_e32 v27, v2, v1
.LBB6_27648:                            ;   in Loop: Header=BB6_26858 Depth=3
	s_or_b32 exec_lo, exec_lo, s77
                                        ; implicit-def: $vgpr1
.LBB6_27649:                            ;   in Loop: Header=BB6_26858 Depth=3
	s_and_not1_saveexec_b32 s14, s76
; %bb.27650:                            ;   in Loop: Header=BB6_26858 Depth=3
	v_or_b32_e32 v27, 0x7b, v1
; %bb.27651:                            ;   in Loop: Header=BB6_26858 Depth=3
	s_or_b32 exec_lo, exec_lo, s14
                                        ; implicit-def: $vgpr6
                                        ; implicit-def: $vgpr2_vgpr3
                                        ; implicit-def: $vgpr1
.LBB6_27652:                            ;   in Loop: Header=BB6_26858 Depth=3
	s_and_not1_saveexec_b32 s14, s75
	s_cbranch_execz .LBB6_27658
; %bb.27653:                            ;   in Loop: Header=BB6_26858 Depth=3
	s_mov_b32 s75, exec_lo
                                        ; implicit-def: $vgpr27
	v_cmpx_ne_u64_e32 0, v[2:3]
	s_xor_b32 s75, exec_lo, s75
; %bb.27654:                            ;   in Loop: Header=BB6_26858 Depth=3
	v_or_b32_e32 v27, 0x7f, v1
                                        ; implicit-def: $vgpr6
; %bb.27655:                            ;   in Loop: Header=BB6_26858 Depth=3
	s_and_not1_saveexec_b32 s75, s75
; %bb.27656:                            ;   in Loop: Header=BB6_26858 Depth=3
	v_cmp_lt_i32_e32 vcc_lo, -1, v6
	v_mov_b32_e32 v1, 0x7c
	s_delay_alu instid0(VALU_DEP_1)
	v_cndmask_b32_e32 v27, 0xfc, v1, vcc_lo
; %bb.27657:                            ;   in Loop: Header=BB6_26858 Depth=3
	s_or_b32 exec_lo, exec_lo, s75
.LBB6_27658:                            ;   in Loop: Header=BB6_26858 Depth=3
	s_delay_alu instid0(SALU_CYCLE_1) | instskip(SKIP_3) | instid1(VALU_DEP_2)
	s_or_b32 exec_lo, exec_lo, s14
	v_lshrrev_b16 v2, 8, v8
	v_mov_b32_e32 v1, 0
	s_mov_b32 s14, exec_lo
	v_cmpx_ne_u16_e32 0, v2
	s_cbranch_execz .LBB6_27668
; %bb.27659:                            ;   in Loop: Header=BB6_26858 Depth=3
	v_bfrev_b32_e32 v1, 1
	s_mov_b32 s75, exec_lo
	v_cmpx_ne_u16_e32 0x80, v2
	s_cbranch_execz .LBB6_27667
; %bb.27660:                            ;   in Loop: Header=BB6_26858 Depth=3
	v_and_b32_e32 v6, 0xffff, v2
	s_delay_alu instid0(VALU_DEP_1) | instskip(SKIP_1) | instid1(VALU_DEP_2)
	v_and_b32_e32 v1, 0x7c, v6
	v_and_b32_e32 v3, 3, v6
	v_cmp_ne_u32_e32 vcc_lo, 0x7c, v1
                                        ; implicit-def: $vgpr1
	s_and_saveexec_b32 s76, vcc_lo
	s_delay_alu instid0(SALU_CYCLE_1)
	s_xor_b32 s76, exec_lo, s76
	s_cbranch_execz .LBB6_27664
; %bb.27661:                            ;   in Loop: Header=BB6_26858 Depth=3
	v_bfe_u32 v1, v6, 2, 5
	s_mov_b32 s77, exec_lo
	s_delay_alu instid0(VALU_DEP_1)
	v_cmpx_eq_u32_e32 0, v1
	s_cbranch_execz .LBB6_27663
; %bb.27662:                            ;   in Loop: Header=BB6_26858 Depth=3
	v_clz_i32_u32_e32 v1, v3
	s_delay_alu instid0(VALU_DEP_1) | instskip(SKIP_1) | instid1(VALU_DEP_2)
	v_min_u32_e32 v1, 32, v1
	v_mov_b32_e32 v3, v113
	v_subrev_nc_u32_e32 v6, 29, v1
	v_sub_nc_u32_e32 v1, 30, v1
	s_delay_alu instid0(VALU_DEP_2) | instskip(NEXT) | instid1(VALU_DEP_1)
	v_lshlrev_b64_e32 v[2:3], v6, v[2:3]
	v_and_b32_e32 v3, 3, v2
.LBB6_27663:                            ;   in Loop: Header=BB6_26858 Depth=3
	s_or_b32 exec_lo, exec_lo, s77
	v_lshlrev_b32_e32 v2, 16, v8
                                        ; implicit-def: $vgpr8
	s_delay_alu instid0(VALU_DEP_1) | instskip(NEXT) | instid1(VALU_DEP_1)
	v_and_b32_e32 v2, 0x80000000, v2
	v_lshl_add_u32 v1, v1, 23, v2
	s_delay_alu instid0(VALU_DEP_1) | instskip(NEXT) | instid1(VALU_DEP_1)
	v_lshl_or_b32 v1, v3, 21, v1
                                        ; implicit-def: $vgpr3
	v_add_nc_u32_e32 v1, 0x38000000, v1
.LBB6_27664:                            ;   in Loop: Header=BB6_26858 Depth=3
	s_and_not1_saveexec_b32 s76, s76
; %bb.27665:                            ;   in Loop: Header=BB6_26858 Depth=3
	v_cmp_lt_i16_e32 vcc_lo, -1, v8
	v_mov_b32_e32 v1, 0x7f800000
	s_delay_alu instid0(VALU_DEP_1) | instskip(SKIP_1) | instid1(VALU_DEP_2)
	v_cndmask_b32_e32 v1, 0xff800000, v1, vcc_lo
	v_cmp_eq_u32_e32 vcc_lo, 0, v3
	v_cndmask_b32_e32 v1, 0x7f800001, v1, vcc_lo
; %bb.27666:                            ;   in Loop: Header=BB6_26858 Depth=3
	s_or_b32 exec_lo, exec_lo, s76
.LBB6_27667:                            ;   in Loop: Header=BB6_26858 Depth=3
	s_delay_alu instid0(SALU_CYCLE_1)
	s_or_b32 exec_lo, exec_lo, s75
.LBB6_27668:                            ;   in Loop: Header=BB6_26858 Depth=3
	s_delay_alu instid0(SALU_CYCLE_1) | instskip(SKIP_3) | instid1(VALU_DEP_1)
	s_or_b32 exec_lo, exec_lo, s14
	v_lshrrev_b16 v2, 8, v10
	s_mov_b32 s75, 0
	s_mov_b32 s14, exec_lo
	v_cmpx_lt_i16_e32 0x7f, v2
	s_xor_b32 s14, exec_lo, s14
	s_cbranch_execz .LBB6_27911
; %bb.27669:                            ;   in Loop: Header=BB6_26858 Depth=3
	s_mov_b32 s75, -1
	s_mov_b32 s76, exec_lo
	v_cmpx_eq_u16_e32 0x80, v2
; %bb.27670:                            ;   in Loop: Header=BB6_26858 Depth=3
	s_xor_b32 s75, exec_lo, -1
; %bb.27671:                            ;   in Loop: Header=BB6_26858 Depth=3
	s_or_b32 exec_lo, exec_lo, s76
	s_delay_alu instid0(SALU_CYCLE_1)
	s_and_b32 s75, s75, exec_lo
	s_or_saveexec_b32 s14, s14
	v_bfrev_b32_e32 v3, 1
	s_xor_b32 exec_lo, exec_lo, s14
	s_cbranch_execnz .LBB6_27912
.LBB6_27672:                            ;   in Loop: Header=BB6_26858 Depth=3
	s_or_b32 exec_lo, exec_lo, s14
	s_and_saveexec_b32 s14, s75
	s_cbranch_execz .LBB6_27674
.LBB6_27673:                            ;   in Loop: Header=BB6_26858 Depth=3
	v_and_b32_e32 v8, 0xffff, v2
	s_delay_alu instid0(VALU_DEP_1) | instskip(NEXT) | instid1(VALU_DEP_1)
	v_and_b32_e32 v9, 3, v8
	v_clz_i32_u32_e32 v3, v9
	s_delay_alu instid0(VALU_DEP_1) | instskip(SKIP_1) | instid1(VALU_DEP_2)
	v_min_u32_e32 v31, 32, v3
	v_mov_b32_e32 v3, v113
	v_subrev_nc_u32_e32 v6, 29, v31
	s_delay_alu instid0(VALU_DEP_1) | instskip(SKIP_2) | instid1(VALU_DEP_2)
	v_lshlrev_b64_e32 v[6:7], v6, v[2:3]
	v_bfe_u32 v3, v8, 2, 5
	v_dual_lshlrev_b32 v2, 24, v2 :: v_dual_sub_nc_u32 v7, 30, v31
	v_cmp_eq_u32_e32 vcc_lo, 0, v3
	s_delay_alu instid0(VALU_DEP_2) | instskip(NEXT) | instid1(VALU_DEP_3)
	v_and_b32_e32 v2, 0x80000000, v2
	v_dual_cndmask_b32 v3, v3, v7, vcc_lo :: v_dual_bitop2_b32 v6, 3, v6 bitop3:0x40
	s_delay_alu instid0(VALU_DEP_1) | instskip(SKIP_1) | instid1(VALU_DEP_3)
	v_cndmask_b32_e32 v6, v9, v6, vcc_lo
	v_cmp_lt_i16_e32 vcc_lo, -1, v10
	v_lshl_add_u32 v2, v3, 23, v2
	v_mov_b32_e32 v3, 0x7f800000
	s_delay_alu instid0(VALU_DEP_2) | instskip(NEXT) | instid1(VALU_DEP_2)
	v_lshl_or_b32 v2, v6, 21, v2
	v_cndmask_b32_e32 v3, 0xff800000, v3, vcc_lo
	v_and_b32_e32 v6, 0x7c, v8
	v_cmp_eq_u32_e32 vcc_lo, 0, v9
	s_delay_alu instid0(VALU_DEP_4) | instskip(NEXT) | instid1(VALU_DEP_4)
	v_add_nc_u32_e32 v2, 0x38000000, v2
	v_cndmask_b32_e32 v3, 0x7f800001, v3, vcc_lo
	s_delay_alu instid0(VALU_DEP_4) | instskip(NEXT) | instid1(VALU_DEP_2)
	v_cmp_eq_u32_e32 vcc_lo, 0x7c, v6
	v_cndmask_b32_e32 v3, v2, v3, vcc_lo
.LBB6_27674:                            ;   in Loop: Header=BB6_26858 Depth=3
	s_or_b32 exec_lo, exec_lo, s14
	s_delay_alu instid0(VALU_DEP_1) | instskip(SKIP_2) | instid1(VALU_DEP_2)
	v_add_f32_e32 v6, v1, v3
	v_dual_mov_b32 v9, v113 :: v_dual_mov_b32 v3, v113
                                        ; implicit-def: $vgpr31
	s_mov_b32 s14, exec_lo
	v_and_b32_e32 v8, 0x7f800000, v6
	v_and_b32_e32 v2, 0x7fffff, v6
	v_lshrrev_b32_e32 v1, 24, v6
	s_delay_alu instid0(VALU_DEP_3)
	v_cmpx_ne_u64_e32 0x7f800000, v[8:9]
	s_xor_b32 s75, exec_lo, s14
	s_cbranch_execz .LBB6_27688
; %bb.27675:                            ;   in Loop: Header=BB6_26858 Depth=3
	v_and_b32_e32 v8, 0x7fffffff, v6
	v_mov_b32_e32 v9, v113
	v_and_b32_e32 v1, 0x80, v1
                                        ; implicit-def: $vgpr31
	s_mov_b32 s14, exec_lo
	s_delay_alu instid0(VALU_DEP_2)
	v_cmpx_gt_u64_e32 0x47600001, v[8:9]
	s_xor_b32 s76, exec_lo, s14
	s_cbranch_execz .LBB6_27685
; %bb.27676:                            ;   in Loop: Header=BB6_26858 Depth=3
	v_mov_b32_e32 v31, 0
	s_mov_b32 s77, exec_lo
	v_cmpx_ne_u32_e32 0, v6
	s_cbranch_execz .LBB6_27684
; %bb.27677:                            ;   in Loop: Header=BB6_26858 Depth=3
	v_bfe_u32 v8, v6, 23, 8
	v_or_b32_e32 v31, 0x800000, v2
	s_delay_alu instid0(VALU_DEP_2) | instskip(SKIP_1) | instid1(VALU_DEP_2)
	v_sub_nc_u32_e32 v6, 0x71, v8
	v_cmp_gt_u32_e32 vcc_lo, 0x72, v8
	v_cndmask_b32_e32 v6, 0, v6, vcc_lo
	v_cmp_eq_u32_e32 vcc_lo, 0, v8
	s_delay_alu instid0(VALU_DEP_2) | instskip(NEXT) | instid1(VALU_DEP_1)
	v_cndmask_b32_e64 v9, v6, 0x70, vcc_lo
	v_dual_cndmask_b32 v2, v31, v2, vcc_lo :: v_dual_add_nc_u32 v6, 21, v9
	v_add_nc_u32_e32 v34, 20, v9
	s_delay_alu instid0(VALU_DEP_2) | instskip(NEXT) | instid1(VALU_DEP_2)
	v_lshlrev_b64_e64 v[6:7], v6, -1
	v_lshlrev_b64_e64 v[38:39], v34, 1
	s_delay_alu instid0(VALU_DEP_2) | instskip(SKIP_1) | instid1(VALU_DEP_4)
	v_bfi_b32 v6, v6, 0, v2
	v_lshrrev_b64 v[2:3], v9, v[2:3]
	v_bfi_b32 v7, v7, 0, 0
	s_delay_alu instid0(VALU_DEP_1) | instskip(NEXT) | instid1(VALU_DEP_3)
	v_cmp_eq_u64_e64 s14, v[6:7], v[38:39]
	v_mov_b64_e32 v[6:7], v[2:3]
	s_and_saveexec_b32 s78, s14
; %bb.27678:                            ;   in Loop: Header=BB6_26858 Depth=3
	v_bfe_u32 v6, v2, 21, 1
	v_mov_b32_e32 v7, v113
	s_delay_alu instid0(VALU_DEP_1) | instskip(NEXT) | instid1(VALU_DEP_1)
	v_add_nc_u64_e32 v[6:7], v[2:3], v[6:7]
	v_add_nc_u64_e32 v[6:7], -1, v[6:7]
; %bb.27679:                            ;   in Loop: Header=BB6_26858 Depth=3
	s_or_b32 exec_lo, exec_lo, s78
	v_add_nc_u32_e32 v3, 0xffffff81, v8
	v_lshrrev_b32_e32 v7, 23, v2
	s_mov_b32 s14, exec_lo
	s_delay_alu instid0(VALU_DEP_2) | instskip(NEXT) | instid1(VALU_DEP_1)
	v_cndmask_b32_e64 v3, v3, 0xffffff82, vcc_lo
	v_add3_u32 v7, v9, v3, v7
	v_and_b32_e32 v3, 0x1fffff, v6
                                        ; implicit-def: $vgpr6
	s_delay_alu instid0(VALU_DEP_1) | instskip(SKIP_1) | instid1(VALU_DEP_2)
	v_dual_add_nc_u32 v8, 14, v7 :: v_dual_add_nc_u32 v2, v3, v2
	v_mov_b32_e32 v3, v113
	v_cmpx_ne_u32_e32 0, v8
	s_xor_b32 s14, exec_lo, s14
; %bb.27680:                            ;   in Loop: Header=BB6_26858 Depth=3
	s_delay_alu instid0(VALU_DEP_2) | instskip(SKIP_2) | instid1(VALU_DEP_2)
	v_cmp_lt_u64_e32 vcc_lo, 0xffffff, v[2:3]
	v_add_nc_u32_e32 v6, 15, v7
	v_cndmask_b32_e64 v7, 0, 1, vcc_lo
	v_cndmask_b32_e32 v6, v8, v6, vcc_lo
	s_delay_alu instid0(VALU_DEP_2)
	v_lshrrev_b64 v[2:3], v7, v[2:3]
; %bb.27681:                            ;   in Loop: Header=BB6_26858 Depth=3
	s_and_not1_saveexec_b32 s14, s14
; %bb.27682:                            ;   in Loop: Header=BB6_26858 Depth=3
	s_delay_alu instid0(VALU_DEP_1)
	v_bfe_u32 v6, v2, 23, 1
; %bb.27683:                            ;   in Loop: Header=BB6_26858 Depth=3
	s_or_b32 exec_lo, exec_lo, s14
	s_delay_alu instid0(VALU_DEP_2) | instskip(NEXT) | instid1(VALU_DEP_2)
	v_lshrrev_b64 v[2:3], 21, v[2:3]
	v_cmp_gt_i32_e32 vcc_lo, 32, v6
	v_min_i32_e32 v7, 31, v6
	v_cmp_eq_u32_e64 s14, 0, v6
	s_delay_alu instid0(VALU_DEP_4) | instskip(NEXT) | instid1(VALU_DEP_3)
	v_cndmask_b32_e32 v3, 0, v3, vcc_lo
	v_dual_cndmask_b32 v2, 3, v2 :: v_dual_lshlrev_b32 v7, 2, v7
	s_delay_alu instid0(VALU_DEP_1) | instskip(NEXT) | instid1(VALU_DEP_2)
	v_and_b32_e32 v7, 0xfc, v7
	v_cmp_eq_u64_e32 vcc_lo, 0, v[2:3]
	s_delay_alu instid0(VALU_DEP_2)
	v_and_or_b32 v2, v2, 3, v7
	s_and_b32 s14, s14, vcc_lo
	s_delay_alu instid0(VALU_DEP_1) | instid1(SALU_CYCLE_1)
	v_cndmask_b32_e64 v2, v2, 0, s14
	s_delay_alu instid0(VALU_DEP_1)
	v_or_b32_e32 v31, v2, v1
.LBB6_27684:                            ;   in Loop: Header=BB6_26858 Depth=3
	s_or_b32 exec_lo, exec_lo, s77
                                        ; implicit-def: $vgpr1
.LBB6_27685:                            ;   in Loop: Header=BB6_26858 Depth=3
	s_and_not1_saveexec_b32 s14, s76
; %bb.27686:                            ;   in Loop: Header=BB6_26858 Depth=3
	v_or_b32_e32 v31, 0x7b, v1
; %bb.27687:                            ;   in Loop: Header=BB6_26858 Depth=3
	s_or_b32 exec_lo, exec_lo, s14
                                        ; implicit-def: $vgpr6
                                        ; implicit-def: $vgpr2_vgpr3
                                        ; implicit-def: $vgpr1
.LBB6_27688:                            ;   in Loop: Header=BB6_26858 Depth=3
	s_and_not1_saveexec_b32 s14, s75
	s_cbranch_execz .LBB6_27694
; %bb.27689:                            ;   in Loop: Header=BB6_26858 Depth=3
	s_mov_b32 s75, exec_lo
                                        ; implicit-def: $vgpr31
	v_cmpx_ne_u64_e32 0, v[2:3]
	s_xor_b32 s75, exec_lo, s75
; %bb.27690:                            ;   in Loop: Header=BB6_26858 Depth=3
	v_or_b32_e32 v31, 0x7f, v1
                                        ; implicit-def: $vgpr6
; %bb.27691:                            ;   in Loop: Header=BB6_26858 Depth=3
	s_and_not1_saveexec_b32 s75, s75
; %bb.27692:                            ;   in Loop: Header=BB6_26858 Depth=3
	v_cmp_lt_i32_e32 vcc_lo, -1, v6
	v_mov_b32_e32 v1, 0x7c
	s_delay_alu instid0(VALU_DEP_1)
	v_cndmask_b32_e32 v31, 0xfc, v1, vcc_lo
; %bb.27693:                            ;   in Loop: Header=BB6_26858 Depth=3
	s_or_b32 exec_lo, exec_lo, s75
.LBB6_27694:                            ;   in Loop: Header=BB6_26858 Depth=3
	s_delay_alu instid0(SALU_CYCLE_1) | instskip(SKIP_2) | instid1(VALU_DEP_1)
	s_or_b32 exec_lo, exec_lo, s14
	v_dual_mov_b32 v1, 0 :: v_dual_lshrrev_b32 v2, 16, v0
	s_mov_b32 s14, exec_lo
	v_and_b32_e32 v3, 0xff, v2
	s_delay_alu instid0(VALU_DEP_1)
	v_cmpx_ne_u16_e32 0, v3
	s_cbranch_execz .LBB6_27704
; %bb.27695:                            ;   in Loop: Header=BB6_26858 Depth=3
	v_bfrev_b32_e32 v1, 1
	s_mov_b32 s75, exec_lo
	v_cmpx_ne_u16_e32 0x80, v3
	s_cbranch_execz .LBB6_27703
; %bb.27696:                            ;   in Loop: Header=BB6_26858 Depth=3
	v_and_b32_e32 v1, 0x7c0000, v0
	v_bfe_u32 v3, v0, 16, 2
	s_delay_alu instid0(VALU_DEP_2) | instskip(SKIP_1) | instid1(SALU_CYCLE_1)
	v_cmp_ne_u32_e32 vcc_lo, 0x7c0000, v1
                                        ; implicit-def: $vgpr1
	s_and_saveexec_b32 s76, vcc_lo
	s_xor_b32 s76, exec_lo, s76
	s_cbranch_execz .LBB6_27700
; %bb.27697:                            ;   in Loop: Header=BB6_26858 Depth=3
	v_bfe_u32 v1, v0, 18, 5
	s_mov_b32 s77, exec_lo
	s_delay_alu instid0(VALU_DEP_1)
	v_cmpx_eq_u32_e32 0, v1
; %bb.27698:                            ;   in Loop: Header=BB6_26858 Depth=3
	v_clz_i32_u32_e32 v1, v3
	s_delay_alu instid0(VALU_DEP_1) | instskip(NEXT) | instid1(VALU_DEP_1)
	v_min_u32_e32 v1, 32, v1
	v_subrev_nc_u32_e32 v3, 29, v1
	s_delay_alu instid0(VALU_DEP_1) | instskip(NEXT) | instid1(VALU_DEP_1)
	v_lshlrev_b64_e32 v[6:7], v3, v[2:3]
	v_dual_sub_nc_u32 v1, 30, v1 :: v_dual_bitop2_b32 v3, 3, v6 bitop3:0x40
; %bb.27699:                            ;   in Loop: Header=BB6_26858 Depth=3
	s_or_b32 exec_lo, exec_lo, s77
	v_lshlrev_b32_e32 v2, 24, v2
	s_delay_alu instid0(VALU_DEP_1) | instskip(NEXT) | instid1(VALU_DEP_1)
	v_and_b32_e32 v2, 0x80000000, v2
	v_lshl_add_u32 v1, v1, 23, v2
                                        ; implicit-def: $vgpr2
	s_delay_alu instid0(VALU_DEP_1) | instskip(NEXT) | instid1(VALU_DEP_1)
	v_lshl_or_b32 v1, v3, 21, v1
                                        ; implicit-def: $vgpr3
	v_add_nc_u32_e32 v1, 0x38000000, v1
.LBB6_27700:                            ;   in Loop: Header=BB6_26858 Depth=3
	s_and_not1_saveexec_b32 s76, s76
; %bb.27701:                            ;   in Loop: Header=BB6_26858 Depth=3
	v_bfe_i32 v1, v2, 0, 8
	s_delay_alu instid0(VALU_DEP_1) | instskip(SKIP_1) | instid1(VALU_DEP_1)
	v_cmp_lt_i16_e32 vcc_lo, -1, v1
	v_mov_b32_e32 v1, 0x7f800000
	v_cndmask_b32_e32 v1, 0xff800000, v1, vcc_lo
	v_cmp_eq_u32_e32 vcc_lo, 0, v3
	s_delay_alu instid0(VALU_DEP_2)
	v_cndmask_b32_e32 v1, 0x7f800001, v1, vcc_lo
; %bb.27702:                            ;   in Loop: Header=BB6_26858 Depth=3
	s_or_b32 exec_lo, exec_lo, s76
.LBB6_27703:                            ;   in Loop: Header=BB6_26858 Depth=3
	s_delay_alu instid0(SALU_CYCLE_1)
	s_or_b32 exec_lo, exec_lo, s75
.LBB6_27704:                            ;   in Loop: Header=BB6_26858 Depth=3
	s_delay_alu instid0(SALU_CYCLE_1) | instskip(SKIP_3) | instid1(VALU_DEP_1)
	s_or_b32 exec_lo, exec_lo, s14
	v_lshrrev_b32_e32 v2, 16, v10
	s_mov_b32 s75, 0
	s_mov_b32 s14, exec_lo
	v_and_b32_e32 v6, 0xff, v2
	s_delay_alu instid0(VALU_DEP_1)
	v_cmpx_lt_i16_e32 0x7f, v6
	s_xor_b32 s14, exec_lo, s14
	s_cbranch_execz .LBB6_27913
; %bb.27705:                            ;   in Loop: Header=BB6_26858 Depth=3
	s_mov_b32 s75, -1
	s_mov_b32 s76, exec_lo
	v_cmpx_eq_u16_e32 0x80, v6
; %bb.27706:                            ;   in Loop: Header=BB6_26858 Depth=3
	s_xor_b32 s75, exec_lo, -1
; %bb.27707:                            ;   in Loop: Header=BB6_26858 Depth=3
	s_or_b32 exec_lo, exec_lo, s76
	s_delay_alu instid0(SALU_CYCLE_1)
	s_and_b32 s75, s75, exec_lo
                                        ; implicit-def: $vgpr6
	s_or_saveexec_b32 s14, s14
	v_bfrev_b32_e32 v3, 1
	s_xor_b32 exec_lo, exec_lo, s14
	s_cbranch_execnz .LBB6_27914
.LBB6_27708:                            ;   in Loop: Header=BB6_26858 Depth=3
	s_or_b32 exec_lo, exec_lo, s14
	s_and_saveexec_b32 s14, s75
	s_cbranch_execz .LBB6_27710
.LBB6_27709:                            ;   in Loop: Header=BB6_26858 Depth=3
	v_and_b32_e32 v3, 3, v2
	v_bfe_u32 v9, v10, 18, 5
	s_delay_alu instid0(VALU_DEP_2) | instskip(NEXT) | instid1(VALU_DEP_2)
	v_clz_i32_u32_e32 v6, v3
	v_cmp_eq_u32_e32 vcc_lo, 0, v9
	s_delay_alu instid0(VALU_DEP_2) | instskip(NEXT) | instid1(VALU_DEP_1)
	v_min_u32_e32 v8, 32, v6
	v_subrev_nc_u32_e32 v6, 29, v8
	s_delay_alu instid0(VALU_DEP_1) | instskip(SKIP_2) | instid1(VALU_DEP_2)
	v_lshlrev_b64_e32 v[6:7], v6, v[2:3]
	v_dual_lshlrev_b32 v7, 24, v2 :: v_dual_sub_nc_u32 v8, 30, v8
	v_bfe_i32 v2, v2, 0, 8
	v_and_b32_e32 v7, 0x80000000, v7
	s_delay_alu instid0(VALU_DEP_3) | instskip(NEXT) | instid1(VALU_DEP_1)
	v_dual_cndmask_b32 v8, v9, v8, vcc_lo :: v_dual_bitop2_b32 v6, 3, v6 bitop3:0x40
	v_cndmask_b32_e32 v6, v3, v6, vcc_lo
	s_delay_alu instid0(VALU_DEP_2) | instskip(SKIP_2) | instid1(VALU_DEP_3)
	v_lshl_add_u32 v7, v8, 23, v7
	v_cmp_lt_i16_e32 vcc_lo, -1, v2
	v_mov_b32_e32 v2, 0x7f800000
	v_lshl_or_b32 v6, v6, 21, v7
	v_and_b32_e32 v7, 0x7c0000, v10
	s_delay_alu instid0(VALU_DEP_3) | instskip(SKIP_1) | instid1(VALU_DEP_4)
	v_cndmask_b32_e32 v2, 0xff800000, v2, vcc_lo
	v_cmp_eq_u32_e32 vcc_lo, 0, v3
	v_add_nc_u32_e32 v3, 0x38000000, v6
	s_delay_alu instid0(VALU_DEP_3) | instskip(SKIP_1) | instid1(VALU_DEP_2)
	v_cndmask_b32_e32 v2, 0x7f800001, v2, vcc_lo
	v_cmp_eq_u32_e32 vcc_lo, 0x7c0000, v7
	v_cndmask_b32_e32 v3, v3, v2, vcc_lo
.LBB6_27710:                            ;   in Loop: Header=BB6_26858 Depth=3
	s_or_b32 exec_lo, exec_lo, s14
	s_delay_alu instid0(VALU_DEP_1) | instskip(SKIP_2) | instid1(VALU_DEP_2)
	v_add_f32_e32 v6, v1, v3
	v_dual_mov_b32 v9, v113 :: v_dual_mov_b32 v3, v113
                                        ; implicit-def: $vgpr34
	s_mov_b32 s14, exec_lo
	v_and_b32_e32 v8, 0x7f800000, v6
	v_and_b32_e32 v2, 0x7fffff, v6
	v_lshrrev_b32_e32 v1, 24, v6
	s_delay_alu instid0(VALU_DEP_3)
	v_cmpx_ne_u64_e32 0x7f800000, v[8:9]
	s_xor_b32 s75, exec_lo, s14
	s_cbranch_execz .LBB6_27724
; %bb.27711:                            ;   in Loop: Header=BB6_26858 Depth=3
	v_and_b32_e32 v8, 0x7fffffff, v6
	v_mov_b32_e32 v9, v113
	v_and_b32_e32 v1, 0x80, v1
                                        ; implicit-def: $vgpr34
	s_mov_b32 s14, exec_lo
	s_delay_alu instid0(VALU_DEP_2)
	v_cmpx_gt_u64_e32 0x47600001, v[8:9]
	s_xor_b32 s76, exec_lo, s14
	s_cbranch_execz .LBB6_27721
; %bb.27712:                            ;   in Loop: Header=BB6_26858 Depth=3
	v_mov_b32_e32 v34, 0
	s_mov_b32 s77, exec_lo
	v_cmpx_ne_u32_e32 0, v6
	s_cbranch_execz .LBB6_27720
; %bb.27713:                            ;   in Loop: Header=BB6_26858 Depth=3
	v_bfe_u32 v8, v6, 23, 8
	v_or_b32_e32 v34, 0x800000, v2
	s_delay_alu instid0(VALU_DEP_2) | instskip(SKIP_1) | instid1(VALU_DEP_2)
	v_sub_nc_u32_e32 v6, 0x71, v8
	v_cmp_gt_u32_e32 vcc_lo, 0x72, v8
	v_cndmask_b32_e32 v6, 0, v6, vcc_lo
	v_cmp_eq_u32_e32 vcc_lo, 0, v8
	s_delay_alu instid0(VALU_DEP_2) | instskip(NEXT) | instid1(VALU_DEP_1)
	v_cndmask_b32_e64 v9, v6, 0x70, vcc_lo
	v_dual_cndmask_b32 v2, v34, v2, vcc_lo :: v_dual_add_nc_u32 v6, 21, v9
	v_add_nc_u32_e32 v36, 20, v9
	s_delay_alu instid0(VALU_DEP_2) | instskip(NEXT) | instid1(VALU_DEP_2)
	v_lshlrev_b64_e64 v[6:7], v6, -1
	v_lshlrev_b64_e64 v[38:39], v36, 1
	s_delay_alu instid0(VALU_DEP_2) | instskip(SKIP_1) | instid1(VALU_DEP_4)
	v_bfi_b32 v6, v6, 0, v2
	v_lshrrev_b64 v[2:3], v9, v[2:3]
	v_bfi_b32 v7, v7, 0, 0
	s_delay_alu instid0(VALU_DEP_1) | instskip(NEXT) | instid1(VALU_DEP_3)
	v_cmp_eq_u64_e64 s14, v[6:7], v[38:39]
	v_mov_b64_e32 v[6:7], v[2:3]
	s_and_saveexec_b32 s78, s14
; %bb.27714:                            ;   in Loop: Header=BB6_26858 Depth=3
	v_bfe_u32 v6, v2, 21, 1
	v_mov_b32_e32 v7, v113
	s_delay_alu instid0(VALU_DEP_1) | instskip(NEXT) | instid1(VALU_DEP_1)
	v_add_nc_u64_e32 v[6:7], v[2:3], v[6:7]
	v_add_nc_u64_e32 v[6:7], -1, v[6:7]
; %bb.27715:                            ;   in Loop: Header=BB6_26858 Depth=3
	s_or_b32 exec_lo, exec_lo, s78
	v_add_nc_u32_e32 v3, 0xffffff81, v8
	v_lshrrev_b32_e32 v7, 23, v2
	s_mov_b32 s14, exec_lo
	s_delay_alu instid0(VALU_DEP_2) | instskip(NEXT) | instid1(VALU_DEP_1)
	v_cndmask_b32_e64 v3, v3, 0xffffff82, vcc_lo
	v_add3_u32 v7, v9, v3, v7
	v_and_b32_e32 v3, 0x1fffff, v6
                                        ; implicit-def: $vgpr6
	s_delay_alu instid0(VALU_DEP_1) | instskip(SKIP_1) | instid1(VALU_DEP_2)
	v_dual_add_nc_u32 v8, 14, v7 :: v_dual_add_nc_u32 v2, v3, v2
	v_mov_b32_e32 v3, v113
	v_cmpx_ne_u32_e32 0, v8
	s_xor_b32 s14, exec_lo, s14
; %bb.27716:                            ;   in Loop: Header=BB6_26858 Depth=3
	s_delay_alu instid0(VALU_DEP_2) | instskip(SKIP_2) | instid1(VALU_DEP_2)
	v_cmp_lt_u64_e32 vcc_lo, 0xffffff, v[2:3]
	v_add_nc_u32_e32 v6, 15, v7
	v_cndmask_b32_e64 v7, 0, 1, vcc_lo
	v_cndmask_b32_e32 v6, v8, v6, vcc_lo
	s_delay_alu instid0(VALU_DEP_2)
	v_lshrrev_b64 v[2:3], v7, v[2:3]
; %bb.27717:                            ;   in Loop: Header=BB6_26858 Depth=3
	s_and_not1_saveexec_b32 s14, s14
; %bb.27718:                            ;   in Loop: Header=BB6_26858 Depth=3
	s_delay_alu instid0(VALU_DEP_1)
	v_bfe_u32 v6, v2, 23, 1
; %bb.27719:                            ;   in Loop: Header=BB6_26858 Depth=3
	s_or_b32 exec_lo, exec_lo, s14
	s_delay_alu instid0(VALU_DEP_2) | instskip(NEXT) | instid1(VALU_DEP_2)
	v_lshrrev_b64 v[2:3], 21, v[2:3]
	v_cmp_gt_i32_e32 vcc_lo, 32, v6
	v_min_i32_e32 v7, 31, v6
	v_cmp_eq_u32_e64 s14, 0, v6
	s_delay_alu instid0(VALU_DEP_4) | instskip(NEXT) | instid1(VALU_DEP_3)
	v_cndmask_b32_e32 v3, 0, v3, vcc_lo
	v_dual_cndmask_b32 v2, 3, v2 :: v_dual_lshlrev_b32 v7, 2, v7
	s_delay_alu instid0(VALU_DEP_1) | instskip(NEXT) | instid1(VALU_DEP_2)
	v_and_b32_e32 v7, 0xfc, v7
	v_cmp_eq_u64_e32 vcc_lo, 0, v[2:3]
	s_delay_alu instid0(VALU_DEP_2)
	v_and_or_b32 v2, v2, 3, v7
	s_and_b32 s14, s14, vcc_lo
	s_delay_alu instid0(VALU_DEP_1) | instid1(SALU_CYCLE_1)
	v_cndmask_b32_e64 v2, v2, 0, s14
	s_delay_alu instid0(VALU_DEP_1)
	v_or_b32_e32 v34, v2, v1
.LBB6_27720:                            ;   in Loop: Header=BB6_26858 Depth=3
	s_or_b32 exec_lo, exec_lo, s77
                                        ; implicit-def: $vgpr1
.LBB6_27721:                            ;   in Loop: Header=BB6_26858 Depth=3
	s_and_not1_saveexec_b32 s14, s76
; %bb.27722:                            ;   in Loop: Header=BB6_26858 Depth=3
	v_or_b32_e32 v34, 0x7b, v1
; %bb.27723:                            ;   in Loop: Header=BB6_26858 Depth=3
	s_or_b32 exec_lo, exec_lo, s14
                                        ; implicit-def: $vgpr6
                                        ; implicit-def: $vgpr2_vgpr3
                                        ; implicit-def: $vgpr1
.LBB6_27724:                            ;   in Loop: Header=BB6_26858 Depth=3
	s_and_not1_saveexec_b32 s14, s75
	s_cbranch_execz .LBB6_27730
; %bb.27725:                            ;   in Loop: Header=BB6_26858 Depth=3
	s_mov_b32 s75, exec_lo
                                        ; implicit-def: $vgpr34
	v_cmpx_ne_u64_e32 0, v[2:3]
	s_xor_b32 s75, exec_lo, s75
; %bb.27726:                            ;   in Loop: Header=BB6_26858 Depth=3
	v_or_b32_e32 v34, 0x7f, v1
                                        ; implicit-def: $vgpr6
; %bb.27727:                            ;   in Loop: Header=BB6_26858 Depth=3
	s_and_not1_saveexec_b32 s75, s75
; %bb.27728:                            ;   in Loop: Header=BB6_26858 Depth=3
	v_cmp_lt_i32_e32 vcc_lo, -1, v6
	v_mov_b32_e32 v1, 0x7c
	s_delay_alu instid0(VALU_DEP_1)
	v_cndmask_b32_e32 v34, 0xfc, v1, vcc_lo
; %bb.27729:                            ;   in Loop: Header=BB6_26858 Depth=3
	s_or_b32 exec_lo, exec_lo, s75
.LBB6_27730:                            ;   in Loop: Header=BB6_26858 Depth=3
	s_delay_alu instid0(SALU_CYCLE_1)
	s_or_b32 exec_lo, exec_lo, s14
	v_mov_b32_e32 v3, 0
	s_mov_b32 s14, exec_lo
	v_cmpx_lt_u32_e32 0xffffff, v0
	s_cbranch_execz .LBB6_27740
; %bb.27731:                            ;   in Loop: Header=BB6_26858 Depth=3
	v_lshrrev_b32_e32 v2, 24, v0
	v_bfrev_b32_e32 v3, 1
	s_mov_b32 s75, exec_lo
	s_delay_alu instid0(VALU_DEP_2)
	v_cmpx_ne_u32_e32 0x80, v2
	s_cbranch_execz .LBB6_27739
; %bb.27732:                            ;   in Loop: Header=BB6_26858 Depth=3
	v_and_b32_e32 v1, 0x7c000000, v0
	v_bfe_u32 v6, v0, 24, 2
	s_mov_b32 s76, exec_lo
                                        ; implicit-def: $vgpr3
	s_delay_alu instid0(VALU_DEP_2)
	v_cmpx_ne_u32_e32 0x7c000000, v1
	s_xor_b32 s76, exec_lo, s76
	s_cbranch_execz .LBB6_27736
; %bb.27733:                            ;   in Loop: Header=BB6_26858 Depth=3
	v_bfe_u32 v1, v0, 26, 5
	s_mov_b32 s77, exec_lo
	s_delay_alu instid0(VALU_DEP_1)
	v_cmpx_eq_u32_e32 0, v1
; %bb.27734:                            ;   in Loop: Header=BB6_26858 Depth=3
	v_clz_i32_u32_e32 v1, v6
	s_delay_alu instid0(VALU_DEP_1) | instskip(NEXT) | instid1(VALU_DEP_1)
	v_min_u32_e32 v1, 32, v1
	v_subrev_nc_u32_e32 v3, 29, v1
	s_delay_alu instid0(VALU_DEP_1) | instskip(NEXT) | instid1(VALU_DEP_1)
	v_lshlrev_b64_e32 v[2:3], v3, v[2:3]
	v_dual_sub_nc_u32 v1, 30, v1 :: v_dual_bitop2_b32 v6, 3, v2 bitop3:0x40
; %bb.27735:                            ;   in Loop: Header=BB6_26858 Depth=3
	s_or_b32 exec_lo, exec_lo, s77
	v_and_b32_e32 v0, 0x80000000, v0
	s_delay_alu instid0(VALU_DEP_1) | instskip(NEXT) | instid1(VALU_DEP_1)
	v_lshl_add_u32 v0, v1, 23, v0
	v_lshl_or_b32 v0, v6, 21, v0
                                        ; implicit-def: $vgpr6
	s_delay_alu instid0(VALU_DEP_1)
	v_add_nc_u32_e32 v3, 0x38000000, v0
                                        ; implicit-def: $vgpr0_vgpr1
.LBB6_27736:                            ;   in Loop: Header=BB6_26858 Depth=3
	s_and_not1_saveexec_b32 s76, s76
; %bb.27737:                            ;   in Loop: Header=BB6_26858 Depth=3
	v_cmp_lt_i32_e32 vcc_lo, -1, v0
	v_mov_b32_e32 v0, 0x7f800000
	s_delay_alu instid0(VALU_DEP_1) | instskip(SKIP_1) | instid1(VALU_DEP_2)
	v_cndmask_b32_e32 v0, 0xff800000, v0, vcc_lo
	v_cmp_eq_u32_e32 vcc_lo, 0, v6
	v_cndmask_b32_e32 v3, 0x7f800001, v0, vcc_lo
; %bb.27738:                            ;   in Loop: Header=BB6_26858 Depth=3
	s_or_b32 exec_lo, exec_lo, s76
.LBB6_27739:                            ;   in Loop: Header=BB6_26858 Depth=3
	s_delay_alu instid0(SALU_CYCLE_1)
	s_or_b32 exec_lo, exec_lo, s75
.LBB6_27740:                            ;   in Loop: Header=BB6_26858 Depth=3
	s_delay_alu instid0(SALU_CYCLE_1) | instskip(SKIP_3) | instid1(VALU_DEP_2)
	s_or_b32 exec_lo, exec_lo, s14
	v_bfe_u32 v1, v10, 24, 2
	v_bfe_u32 v8, v10, 26, 5
                                        ; implicit-def: $vgpr36
	s_mov_b32 s14, exec_lo
	v_clz_i32_u32_e32 v0, v1
	s_delay_alu instid0(VALU_DEP_2) | instskip(NEXT) | instid1(VALU_DEP_2)
	v_cmp_eq_u32_e32 vcc_lo, 0, v8
	v_min_u32_e32 v2, 32, v0
	v_lshrrev_b32_e32 v0, 24, v10
	s_delay_alu instid0(VALU_DEP_2) | instskip(SKIP_1) | instid1(VALU_DEP_2)
	v_subrev_nc_u32_e32 v6, 29, v2
	v_sub_nc_u32_e32 v2, 30, v2
	v_lshlrev_b64_e32 v[6:7], v6, v[0:1]
	v_and_b32_e32 v7, 0x80000000, v10
	s_delay_alu instid0(VALU_DEP_3) | instskip(NEXT) | instid1(VALU_DEP_1)
	v_cndmask_b32_e32 v2, v8, v2, vcc_lo
	v_lshl_add_u32 v2, v2, 23, v7
	s_delay_alu instid0(VALU_DEP_4) | instskip(NEXT) | instid1(VALU_DEP_1)
	v_and_b32_e32 v6, 3, v6
	v_dual_mov_b32 v7, 0x7f800000 :: v_dual_cndmask_b32 v6, v1, v6
	v_cmp_lt_i32_e32 vcc_lo, -1, v10
	s_delay_alu instid0(VALU_DEP_2) | instskip(NEXT) | instid1(VALU_DEP_3)
	v_lshl_or_b32 v2, v6, 21, v2
	v_cndmask_b32_e32 v7, 0xff800000, v7, vcc_lo
	v_and_b32_e32 v6, 0x7c000000, v10
	v_cmp_eq_u32_e32 vcc_lo, 0, v1
	s_delay_alu instid0(VALU_DEP_4) | instskip(NEXT) | instid1(VALU_DEP_4)
	v_add_nc_u32_e32 v2, 0x38000000, v2
	v_cndmask_b32_e32 v1, 0x7f800001, v7, vcc_lo
	s_delay_alu instid0(VALU_DEP_4) | instskip(NEXT) | instid1(VALU_DEP_2)
	v_cmp_eq_u32_e32 vcc_lo, 0x7c000000, v6
	v_dual_mov_b32 v7, v113 :: v_dual_cndmask_b32 v1, v2, v1, vcc_lo
	v_cmp_ne_u32_e32 vcc_lo, 0x80, v0
	s_delay_alu instid0(VALU_DEP_2) | instskip(SKIP_1) | instid1(VALU_DEP_2)
	v_dual_cndmask_b32 v0, 0x80000000, v1 :: v_dual_mov_b32 v1, v113
	v_cmp_lt_u32_e32 vcc_lo, 0xffffff, v10
	v_cndmask_b32_e32 v0, 0, v0, vcc_lo
	s_delay_alu instid0(VALU_DEP_1) | instskip(NEXT) | instid1(VALU_DEP_1)
	v_add_f32_e32 v2, v0, v3
	v_and_b32_e32 v6, 0x7f800000, v2
	v_and_b32_e32 v0, 0x7fffff, v2
	v_lshrrev_b32_e32 v3, 24, v2
	s_delay_alu instid0(VALU_DEP_3)
	v_cmpx_ne_u64_e32 0x7f800000, v[6:7]
	s_xor_b32 s75, exec_lo, s14
	s_cbranch_execz .LBB6_27754
; %bb.27741:                            ;   in Loop: Header=BB6_26858 Depth=3
	v_and_b32_e32 v6, 0x7fffffff, v2
	v_mov_b32_e32 v7, v113
                                        ; implicit-def: $vgpr36
	s_delay_alu instid0(VALU_DEP_1) | instskip(SKIP_2) | instid1(SALU_CYCLE_1)
	v_cmp_gt_u64_e32 vcc_lo, 0x47600001, v[6:7]
	v_and_b32_e32 v6, 0x80, v3
	s_and_saveexec_b32 s14, vcc_lo
	s_xor_b32 s76, exec_lo, s14
	s_cbranch_execz .LBB6_27751
; %bb.27742:                            ;   in Loop: Header=BB6_26858 Depth=3
	v_mov_b32_e32 v36, 0
	s_mov_b32 s77, exec_lo
	v_cmpx_ne_u32_e32 0, v2
	s_cbranch_execz .LBB6_27750
; %bb.27743:                            ;   in Loop: Header=BB6_26858 Depth=3
	v_bfe_u32 v7, v2, 23, 8
	v_or_b32_e32 v9, 0x800000, v0
	s_delay_alu instid0(VALU_DEP_2) | instskip(SKIP_1) | instid1(VALU_DEP_2)
	v_sub_nc_u32_e32 v2, 0x71, v7
	v_cmp_gt_u32_e32 vcc_lo, 0x72, v7
	v_cndmask_b32_e32 v2, 0, v2, vcc_lo
	v_cmp_eq_u32_e32 vcc_lo, 0, v7
	s_delay_alu instid0(VALU_DEP_2) | instskip(SKIP_1) | instid1(VALU_DEP_2)
	v_cndmask_b32_e64 v8, v2, 0x70, vcc_lo
	v_cndmask_b32_e32 v0, v9, v0, vcc_lo
	v_dual_add_nc_u32 v2, 21, v8 :: v_dual_add_nc_u32 v36, 20, v8
	s_delay_alu instid0(VALU_DEP_1) | instskip(NEXT) | instid1(VALU_DEP_2)
	v_lshlrev_b64_e64 v[2:3], v2, -1
	v_lshlrev_b64_e64 v[38:39], v36, 1
	s_delay_alu instid0(VALU_DEP_2) | instskip(SKIP_1) | instid1(VALU_DEP_4)
	v_bfi_b32 v2, v2, 0, v0
	v_lshrrev_b64 v[0:1], v8, v[0:1]
	v_bfi_b32 v3, v3, 0, 0
	s_delay_alu instid0(VALU_DEP_1) | instskip(NEXT) | instid1(VALU_DEP_3)
	v_cmp_eq_u64_e64 s14, v[2:3], v[38:39]
	v_mov_b64_e32 v[2:3], v[0:1]
	s_and_saveexec_b32 s78, s14
; %bb.27744:                            ;   in Loop: Header=BB6_26858 Depth=3
	v_bfe_u32 v2, v0, 21, 1
	v_mov_b32_e32 v3, v113
	s_delay_alu instid0(VALU_DEP_1) | instskip(NEXT) | instid1(VALU_DEP_1)
	v_add_nc_u64_e32 v[2:3], v[0:1], v[2:3]
	v_add_nc_u64_e32 v[2:3], -1, v[2:3]
; %bb.27745:                            ;   in Loop: Header=BB6_26858 Depth=3
	s_or_b32 exec_lo, exec_lo, s78
	v_add_nc_u32_e32 v1, 0xffffff81, v7
	v_lshrrev_b32_e32 v3, 23, v0
	s_mov_b32 s14, exec_lo
	s_delay_alu instid0(VALU_DEP_2) | instskip(NEXT) | instid1(VALU_DEP_1)
	v_cndmask_b32_e64 v1, v1, 0xffffff82, vcc_lo
	v_add3_u32 v3, v8, v1, v3
	v_and_b32_e32 v1, 0x1fffff, v2
                                        ; implicit-def: $vgpr2
	s_delay_alu instid0(VALU_DEP_1) | instskip(SKIP_1) | instid1(VALU_DEP_2)
	v_dual_add_nc_u32 v7, 14, v3 :: v_dual_add_nc_u32 v0, v1, v0
	v_mov_b32_e32 v1, v113
	v_cmpx_ne_u32_e32 0, v7
	s_xor_b32 s14, exec_lo, s14
; %bb.27746:                            ;   in Loop: Header=BB6_26858 Depth=3
	s_delay_alu instid0(VALU_DEP_2) | instskip(SKIP_2) | instid1(VALU_DEP_2)
	v_cmp_lt_u64_e32 vcc_lo, 0xffffff, v[0:1]
	v_add_nc_u32_e32 v2, 15, v3
	v_cndmask_b32_e64 v3, 0, 1, vcc_lo
	v_cndmask_b32_e32 v2, v7, v2, vcc_lo
	s_delay_alu instid0(VALU_DEP_2)
	v_lshrrev_b64 v[0:1], v3, v[0:1]
; %bb.27747:                            ;   in Loop: Header=BB6_26858 Depth=3
	s_and_not1_saveexec_b32 s14, s14
; %bb.27748:                            ;   in Loop: Header=BB6_26858 Depth=3
	s_delay_alu instid0(VALU_DEP_1)
	v_bfe_u32 v2, v0, 23, 1
; %bb.27749:                            ;   in Loop: Header=BB6_26858 Depth=3
	s_or_b32 exec_lo, exec_lo, s14
	s_delay_alu instid0(VALU_DEP_2) | instskip(NEXT) | instid1(VALU_DEP_2)
	v_lshrrev_b64 v[0:1], 21, v[0:1]
	v_cmp_gt_i32_e32 vcc_lo, 32, v2
	v_min_i32_e32 v3, 31, v2
	v_cmp_eq_u32_e64 s14, 0, v2
	s_delay_alu instid0(VALU_DEP_2) | instskip(SKIP_1) | instid1(VALU_DEP_2)
	v_dual_cndmask_b32 v1, 0, v1, vcc_lo :: v_dual_lshlrev_b32 v3, 2, v3
	v_cndmask_b32_e32 v0, 3, v0, vcc_lo
	v_and_b32_e32 v3, 0xfc, v3
	s_delay_alu instid0(VALU_DEP_2) | instskip(NEXT) | instid1(VALU_DEP_2)
	v_cmp_eq_u64_e32 vcc_lo, 0, v[0:1]
	v_and_or_b32 v0, v0, 3, v3
	s_and_b32 s14, s14, vcc_lo
	s_delay_alu instid0(VALU_DEP_1) | instid1(SALU_CYCLE_1)
	v_cndmask_b32_e64 v0, v0, 0, s14
	s_delay_alu instid0(VALU_DEP_1)
	v_or_b32_e32 v36, v0, v6
.LBB6_27750:                            ;   in Loop: Header=BB6_26858 Depth=3
	s_or_b32 exec_lo, exec_lo, s77
                                        ; implicit-def: $vgpr6
.LBB6_27751:                            ;   in Loop: Header=BB6_26858 Depth=3
	s_and_not1_saveexec_b32 s14, s76
; %bb.27752:                            ;   in Loop: Header=BB6_26858 Depth=3
	v_or_b32_e32 v36, 0x7b, v6
; %bb.27753:                            ;   in Loop: Header=BB6_26858 Depth=3
	s_or_b32 exec_lo, exec_lo, s14
                                        ; implicit-def: $vgpr2
                                        ; implicit-def: $vgpr0_vgpr1
                                        ; implicit-def: $vgpr3
.LBB6_27754:                            ;   in Loop: Header=BB6_26858 Depth=3
	s_and_not1_saveexec_b32 s14, s75
	s_cbranch_execz .LBB6_27760
; %bb.27755:                            ;   in Loop: Header=BB6_26858 Depth=3
	s_mov_b32 s75, exec_lo
                                        ; implicit-def: $vgpr36
	v_cmpx_ne_u64_e32 0, v[0:1]
	s_xor_b32 s75, exec_lo, s75
; %bb.27756:                            ;   in Loop: Header=BB6_26858 Depth=3
	v_or_b32_e32 v36, 0x7f, v3
                                        ; implicit-def: $vgpr2
; %bb.27757:                            ;   in Loop: Header=BB6_26858 Depth=3
	s_and_not1_saveexec_b32 s75, s75
; %bb.27758:                            ;   in Loop: Header=BB6_26858 Depth=3
	v_cmp_lt_i32_e32 vcc_lo, -1, v2
	v_mov_b32_e32 v0, 0x7c
	s_delay_alu instid0(VALU_DEP_1)
	v_cndmask_b32_e32 v36, 0xfc, v0, vcc_lo
; %bb.27759:                            ;   in Loop: Header=BB6_26858 Depth=3
	s_or_b32 exec_lo, exec_lo, s75
.LBB6_27760:                            ;   in Loop: Header=BB6_26858 Depth=3
	s_delay_alu instid0(SALU_CYCLE_1) | instskip(SKIP_4) | instid1(VALU_DEP_2)
	s_or_b32 exec_lo, exec_lo, s14
	v_dual_lshlrev_b32 v0, 24, v33 :: v_dual_lshlrev_b32 v2, 16, v30
	v_lshl_or_b32 v28, v28, 8, v25
	v_dual_mov_b32 v1, v113 :: v_dual_mov_b32 v6, 0
	s_mov_b32 s14, exec_lo
	v_or3_b32 v0, v2, v0, v28
	v_cmpx_ne_u32_e32 0, v25
	s_cbranch_execz .LBB6_27770
; %bb.27761:                            ;   in Loop: Header=BB6_26858 Depth=3
	v_bfrev_b32_e32 v6, 1
	s_mov_b32 s75, exec_lo
	v_cmpx_ne_u32_e32 0x80, v25
	s_cbranch_execz .LBB6_27769
; %bb.27762:                            ;   in Loop: Header=BB6_26858 Depth=3
	v_and_b32_e32 v3, 0x7c, v25
	v_and_b32_e32 v2, 3, v25
	s_mov_b32 s76, exec_lo
                                        ; implicit-def: $vgpr6
	s_delay_alu instid0(VALU_DEP_2)
	v_cmpx_ne_u32_e32 0x7c, v3
	s_xor_b32 s76, exec_lo, s76
	s_cbranch_execz .LBB6_27766
; %bb.27763:                            ;   in Loop: Header=BB6_26858 Depth=3
	v_bfe_u32 v3, v25, 2, 5
	s_mov_b32 s77, exec_lo
	s_delay_alu instid0(VALU_DEP_1)
	v_cmpx_eq_u32_e32 0, v3
; %bb.27764:                            ;   in Loop: Header=BB6_26858 Depth=3
	v_clz_i32_u32_e32 v2, v2
	s_delay_alu instid0(VALU_DEP_1) | instskip(NEXT) | instid1(VALU_DEP_1)
	v_min_u32_e32 v6, 32, v2
	v_subrev_nc_u32_e32 v2, 29, v6
	s_delay_alu instid0(VALU_DEP_1) | instskip(SKIP_1) | instid1(VALU_DEP_2)
	v_lshlrev_b64_e32 v[2:3], v2, v[0:1]
	v_sub_nc_u32_e32 v3, 30, v6
	v_and_b32_e32 v2, 3, v2
; %bb.27765:                            ;   in Loop: Header=BB6_26858 Depth=3
	s_or_b32 exec_lo, exec_lo, s77
	v_lshlrev_b32_e32 v1, 24, v25
                                        ; implicit-def: $vgpr25
	s_delay_alu instid0(VALU_DEP_1) | instskip(NEXT) | instid1(VALU_DEP_1)
	v_and_b32_e32 v1, 0x80000000, v1
	v_lshl_add_u32 v1, v3, 23, v1
	s_delay_alu instid0(VALU_DEP_1) | instskip(NEXT) | instid1(VALU_DEP_1)
	v_lshl_or_b32 v1, v2, 21, v1
                                        ; implicit-def: $vgpr2
	v_add_nc_u32_e32 v6, 0x38000000, v1
.LBB6_27766:                            ;   in Loop: Header=BB6_26858 Depth=3
	s_and_not1_saveexec_b32 s76, s76
; %bb.27767:                            ;   in Loop: Header=BB6_26858 Depth=3
	v_and_b32_e32 v1, 0x80, v25
	s_delay_alu instid0(VALU_DEP_1) | instskip(SKIP_1) | instid1(VALU_DEP_1)
	v_cmp_eq_u32_e32 vcc_lo, 0, v1
	v_mov_b32_e32 v1, 0x7f800000
	v_cndmask_b32_e32 v1, 0xff800000, v1, vcc_lo
	v_cmp_eq_u32_e32 vcc_lo, 0, v2
	s_delay_alu instid0(VALU_DEP_2)
	v_cndmask_b32_e32 v6, 0x7f800001, v1, vcc_lo
; %bb.27768:                            ;   in Loop: Header=BB6_26858 Depth=3
	s_or_b32 exec_lo, exec_lo, s76
.LBB6_27769:                            ;   in Loop: Header=BB6_26858 Depth=3
	s_delay_alu instid0(SALU_CYCLE_1)
	s_or_b32 exec_lo, exec_lo, s75
.LBB6_27770:                            ;   in Loop: Header=BB6_26858 Depth=3
	s_delay_alu instid0(SALU_CYCLE_1) | instskip(SKIP_4) | instid1(VALU_DEP_2)
	s_or_b32 exec_lo, exec_lo, s14
	v_and_b32_e32 v3, 0xff, v11
	v_mov_b32_e32 v2, v11
	s_mov_b32 s75, 0
	s_mov_b32 s14, exec_lo
	v_cmpx_lt_i16_e32 0x7f, v3
	s_xor_b32 s14, exec_lo, s14
	s_cbranch_execz .LBB6_27915
; %bb.27771:                            ;   in Loop: Header=BB6_26858 Depth=3
	s_mov_b32 s75, -1
	s_mov_b32 s76, exec_lo
	v_cmpx_eq_u16_e32 0x80, v3
; %bb.27772:                            ;   in Loop: Header=BB6_26858 Depth=3
	s_xor_b32 s75, exec_lo, -1
; %bb.27773:                            ;   in Loop: Header=BB6_26858 Depth=3
	s_or_b32 exec_lo, exec_lo, s76
	s_delay_alu instid0(SALU_CYCLE_1)
	s_and_b32 s75, s75, exec_lo
                                        ; implicit-def: $vgpr3
	s_or_saveexec_b32 s14, s14
	v_bfrev_b32_e32 v1, 1
	s_xor_b32 exec_lo, exec_lo, s14
	s_cbranch_execnz .LBB6_27916
.LBB6_27774:                            ;   in Loop: Header=BB6_26858 Depth=3
	s_or_b32 exec_lo, exec_lo, s14
	v_mov_b32_e32 v3, v113
	s_and_saveexec_b32 s14, s75
	s_cbranch_execz .LBB6_27776
.LBB6_27775:                            ;   in Loop: Header=BB6_26858 Depth=3
	v_and_b32_e32 v1, 3, v11
	s_delay_alu instid0(VALU_DEP_1) | instskip(NEXT) | instid1(VALU_DEP_1)
	v_clz_i32_u32_e32 v7, v1
	v_min_u32_e32 v7, 32, v7
	s_delay_alu instid0(VALU_DEP_1) | instskip(NEXT) | instid1(VALU_DEP_1)
	v_subrev_nc_u32_e32 v8, 29, v7
	v_lshlrev_b64_e32 v[8:9], v8, v[2:3]
	v_bfe_u32 v9, v11, 2, 5
	v_lshlrev_b32_e32 v3, 24, v11
	v_sub_nc_u32_e32 v7, 30, v7
	s_delay_alu instid0(VALU_DEP_3) | instskip(NEXT) | instid1(VALU_DEP_3)
	v_cmp_eq_u32_e32 vcc_lo, 0, v9
	v_and_b32_e32 v3, 0x80000000, v3
	s_delay_alu instid0(VALU_DEP_3) | instskip(SKIP_1) | instid1(VALU_DEP_2)
	v_dual_cndmask_b32 v7, v9, v7, vcc_lo :: v_dual_bitop2_b32 v8, 3, v8 bitop3:0x40
	v_bfe_i32 v9, v11, 0, 8
	v_cndmask_b32_e32 v8, v1, v8, vcc_lo
	s_delay_alu instid0(VALU_DEP_3) | instskip(NEXT) | instid1(VALU_DEP_3)
	v_lshl_add_u32 v3, v7, 23, v3
	v_cmp_lt_i16_e32 vcc_lo, -1, v9
	v_mov_b32_e32 v7, 0x7f800000
	s_delay_alu instid0(VALU_DEP_3) | instskip(SKIP_1) | instid1(VALU_DEP_3)
	v_lshl_or_b32 v3, v8, 21, v3
	v_and_b32_e32 v8, 0x7c, v11
	v_cndmask_b32_e32 v7, 0xff800000, v7, vcc_lo
	v_cmp_eq_u32_e32 vcc_lo, 0, v1
	s_delay_alu instid0(VALU_DEP_4) | instskip(NEXT) | instid1(VALU_DEP_3)
	v_add_nc_u32_e32 v3, 0x38000000, v3
	v_cndmask_b32_e32 v1, 0x7f800001, v7, vcc_lo
	v_cmp_eq_u32_e32 vcc_lo, 0x7c, v8
	s_delay_alu instid0(VALU_DEP_2)
	v_cndmask_b32_e32 v1, v3, v1, vcc_lo
.LBB6_27776:                            ;   in Loop: Header=BB6_26858 Depth=3
	s_or_b32 exec_lo, exec_lo, s14
	s_delay_alu instid0(VALU_DEP_1) | instskip(NEXT) | instid1(VALU_DEP_1)
	v_dual_add_f32 v3, v6, v1 :: v_dual_mov_b32 v9, v113
	v_dual_mov_b32 v7, v113 :: v_dual_lshrrev_b32 v1, 24, v3
	v_and_b32_e32 v8, 0x7f800000, v3
	v_and_b32_e32 v6, 0x7fffff, v3
	s_delay_alu instid0(VALU_DEP_2) | instskip(SKIP_1) | instid1(SALU_CYCLE_1)
	v_cmp_ne_u64_e32 vcc_lo, 0x7f800000, v[8:9]
                                        ; implicit-def: $vgpr8
	s_and_saveexec_b32 s14, vcc_lo
	s_xor_b32 s75, exec_lo, s14
	s_cbranch_execz .LBB6_27790
; %bb.27777:                            ;   in Loop: Header=BB6_26858 Depth=3
	v_and_b32_e32 v8, 0x7fffffff, v3
	v_mov_b32_e32 v9, v113
	v_and_b32_e32 v1, 0x80, v1
	s_delay_alu instid0(VALU_DEP_2) | instskip(SKIP_1) | instid1(SALU_CYCLE_1)
	v_cmp_gt_u64_e32 vcc_lo, 0x47600001, v[8:9]
                                        ; implicit-def: $vgpr8
	s_and_saveexec_b32 s14, vcc_lo
	s_xor_b32 s76, exec_lo, s14
	s_cbranch_execz .LBB6_27787
; %bb.27778:                            ;   in Loop: Header=BB6_26858 Depth=3
	v_mov_b32_e32 v8, 0
	s_mov_b32 s77, exec_lo
	v_cmpx_ne_u32_e32 0, v3
	s_cbranch_execz .LBB6_27786
; %bb.27779:                            ;   in Loop: Header=BB6_26858 Depth=3
	v_bfe_u32 v3, v3, 23, 8
	v_or_b32_e32 v30, 0x800000, v6
	s_delay_alu instid0(VALU_DEP_2) | instskip(SKIP_1) | instid1(VALU_DEP_2)
	v_sub_nc_u32_e32 v8, 0x71, v3
	v_cmp_gt_u32_e32 vcc_lo, 0x72, v3
	v_cndmask_b32_e32 v8, 0, v8, vcc_lo
	v_cmp_eq_u32_e32 vcc_lo, 0, v3
	s_delay_alu instid0(VALU_DEP_2) | instskip(NEXT) | instid1(VALU_DEP_1)
	v_cndmask_b32_e64 v25, v8, 0x70, vcc_lo
	v_dual_cndmask_b32 v6, v30, v6, vcc_lo :: v_dual_add_nc_u32 v8, 21, v25
	v_add_nc_u32_e32 v33, 20, v25
	s_delay_alu instid0(VALU_DEP_2) | instskip(NEXT) | instid1(VALU_DEP_2)
	v_lshlrev_b64_e64 v[8:9], v8, -1
	v_lshlrev_b64_e64 v[38:39], v33, 1
	s_delay_alu instid0(VALU_DEP_2) | instskip(SKIP_1) | instid1(VALU_DEP_4)
	v_bfi_b32 v8, v8, 0, v6
	v_lshrrev_b64 v[6:7], v25, v[6:7]
	v_bfi_b32 v9, v9, 0, 0
	s_delay_alu instid0(VALU_DEP_1) | instskip(NEXT) | instid1(VALU_DEP_3)
	v_cmp_eq_u64_e64 s14, v[8:9], v[38:39]
	v_mov_b64_e32 v[8:9], v[6:7]
	s_and_saveexec_b32 s78, s14
; %bb.27780:                            ;   in Loop: Header=BB6_26858 Depth=3
	v_bfe_u32 v8, v6, 21, 1
	v_mov_b32_e32 v9, v113
	s_delay_alu instid0(VALU_DEP_1) | instskip(NEXT) | instid1(VALU_DEP_1)
	v_add_nc_u64_e32 v[8:9], v[6:7], v[8:9]
	v_add_nc_u64_e32 v[8:9], -1, v[8:9]
; %bb.27781:                            ;   in Loop: Header=BB6_26858 Depth=3
	s_or_b32 exec_lo, exec_lo, s78
	v_add_nc_u32_e32 v3, 0xffffff81, v3
	v_lshrrev_b32_e32 v7, 23, v6
	s_mov_b32 s14, exec_lo
	s_delay_alu instid0(VALU_DEP_2) | instskip(NEXT) | instid1(VALU_DEP_1)
	v_cndmask_b32_e64 v3, v3, 0xffffff82, vcc_lo
	v_add3_u32 v9, v25, v3, v7
	v_and_b32_e32 v3, 0x1fffff, v8
	s_delay_alu instid0(VALU_DEP_2) | instskip(NEXT) | instid1(VALU_DEP_2)
	v_dual_mov_b32 v7, v113 :: v_dual_add_nc_u32 v8, 14, v9
	v_add_nc_u32_e32 v6, v3, v6
                                        ; implicit-def: $vgpr3
	s_delay_alu instid0(VALU_DEP_2)
	v_cmpx_ne_u32_e32 0, v8
	s_xor_b32 s14, exec_lo, s14
; %bb.27782:                            ;   in Loop: Header=BB6_26858 Depth=3
	s_delay_alu instid0(VALU_DEP_2) | instskip(SKIP_1) | instid1(VALU_DEP_1)
	v_cmp_lt_u64_e32 vcc_lo, 0xffffff, v[6:7]
	v_add_nc_u32_e32 v3, 15, v9
	v_cndmask_b32_e32 v3, v8, v3, vcc_lo
	v_cndmask_b32_e64 v8, 0, 1, vcc_lo
	s_delay_alu instid0(VALU_DEP_1)
	v_lshrrev_b64 v[6:7], v8, v[6:7]
; %bb.27783:                            ;   in Loop: Header=BB6_26858 Depth=3
	s_and_not1_saveexec_b32 s14, s14
; %bb.27784:                            ;   in Loop: Header=BB6_26858 Depth=3
	s_delay_alu instid0(VALU_DEP_1)
	v_bfe_u32 v3, v6, 23, 1
; %bb.27785:                            ;   in Loop: Header=BB6_26858 Depth=3
	s_or_b32 exec_lo, exec_lo, s14
	s_delay_alu instid0(VALU_DEP_2) | instskip(NEXT) | instid1(VALU_DEP_2)
	v_lshrrev_b64 v[6:7], 21, v[6:7]
	v_cmp_gt_i32_e32 vcc_lo, 32, v3
	v_min_i32_e32 v8, 31, v3
	v_cmp_eq_u32_e64 s14, 0, v3
	s_delay_alu instid0(VALU_DEP_2) | instskip(SKIP_1) | instid1(VALU_DEP_2)
	v_dual_cndmask_b32 v6, 3, v6, vcc_lo :: v_dual_lshlrev_b32 v8, 2, v8
	v_cndmask_b32_e32 v7, 0, v7, vcc_lo
	v_and_b32_e32 v8, 0xfc, v8
	s_delay_alu instid0(VALU_DEP_2) | instskip(NEXT) | instid1(VALU_DEP_2)
	v_cmp_eq_u64_e32 vcc_lo, 0, v[6:7]
	v_and_or_b32 v3, v6, 3, v8
	s_and_b32 s14, s14, vcc_lo
	s_delay_alu instid0(VALU_DEP_1) | instid1(SALU_CYCLE_1)
	v_cndmask_b32_e64 v3, v3, 0, s14
	s_delay_alu instid0(VALU_DEP_1)
	v_or_b32_e32 v8, v3, v1
.LBB6_27786:                            ;   in Loop: Header=BB6_26858 Depth=3
	s_or_b32 exec_lo, exec_lo, s77
                                        ; implicit-def: $vgpr1
.LBB6_27787:                            ;   in Loop: Header=BB6_26858 Depth=3
	s_and_not1_saveexec_b32 s14, s76
; %bb.27788:                            ;   in Loop: Header=BB6_26858 Depth=3
	v_or_b32_e32 v8, 0x7b, v1
; %bb.27789:                            ;   in Loop: Header=BB6_26858 Depth=3
	s_or_b32 exec_lo, exec_lo, s14
                                        ; implicit-def: $vgpr3
                                        ; implicit-def: $vgpr6_vgpr7
                                        ; implicit-def: $vgpr1
.LBB6_27790:                            ;   in Loop: Header=BB6_26858 Depth=3
	s_and_not1_saveexec_b32 s14, s75
	s_cbranch_execz .LBB6_27796
; %bb.27791:                            ;   in Loop: Header=BB6_26858 Depth=3
	s_mov_b32 s75, exec_lo
                                        ; implicit-def: $vgpr8
	v_cmpx_ne_u64_e32 0, v[6:7]
	s_xor_b32 s75, exec_lo, s75
; %bb.27792:                            ;   in Loop: Header=BB6_26858 Depth=3
	v_or_b32_e32 v8, 0x7f, v1
                                        ; implicit-def: $vgpr3
; %bb.27793:                            ;   in Loop: Header=BB6_26858 Depth=3
	s_and_not1_saveexec_b32 s75, s75
; %bb.27794:                            ;   in Loop: Header=BB6_26858 Depth=3
	v_cmp_lt_i32_e32 vcc_lo, -1, v3
	v_mov_b32_e32 v1, 0x7c
	s_delay_alu instid0(VALU_DEP_1)
	v_cndmask_b32_e32 v8, 0xfc, v1, vcc_lo
; %bb.27795:                            ;   in Loop: Header=BB6_26858 Depth=3
	s_or_b32 exec_lo, exec_lo, s75
.LBB6_27796:                            ;   in Loop: Header=BB6_26858 Depth=3
	s_delay_alu instid0(SALU_CYCLE_1) | instskip(SKIP_3) | instid1(VALU_DEP_2)
	s_or_b32 exec_lo, exec_lo, s14
	v_lshrrev_b16 v6, 8, v28
	v_mov_b32_e32 v1, 0
	s_mov_b32 s14, exec_lo
	v_cmpx_ne_u16_e32 0, v6
	s_cbranch_execz .LBB6_27806
; %bb.27797:                            ;   in Loop: Header=BB6_26858 Depth=3
	v_bfrev_b32_e32 v1, 1
	s_mov_b32 s75, exec_lo
	v_cmpx_ne_u16_e32 0x80, v6
	s_cbranch_execz .LBB6_27805
; %bb.27798:                            ;   in Loop: Header=BB6_26858 Depth=3
	v_and_b32_e32 v7, 0xffff, v6
	s_delay_alu instid0(VALU_DEP_1) | instskip(SKIP_1) | instid1(VALU_DEP_2)
	v_and_b32_e32 v1, 0x7c, v7
	v_and_b32_e32 v3, 3, v7
	v_cmp_ne_u32_e32 vcc_lo, 0x7c, v1
                                        ; implicit-def: $vgpr1
	s_and_saveexec_b32 s76, vcc_lo
	s_delay_alu instid0(SALU_CYCLE_1)
	s_xor_b32 s76, exec_lo, s76
	s_cbranch_execz .LBB6_27802
; %bb.27799:                            ;   in Loop: Header=BB6_26858 Depth=3
	v_bfe_u32 v1, v7, 2, 5
	s_mov_b32 s77, exec_lo
	s_delay_alu instid0(VALU_DEP_1)
	v_cmpx_eq_u32_e32 0, v1
	s_cbranch_execz .LBB6_27801
; %bb.27800:                            ;   in Loop: Header=BB6_26858 Depth=3
	v_clz_i32_u32_e32 v1, v3
	s_delay_alu instid0(VALU_DEP_1) | instskip(SKIP_1) | instid1(VALU_DEP_2)
	v_min_u32_e32 v1, 32, v1
	v_mov_b32_e32 v7, v113
	v_subrev_nc_u32_e32 v3, 29, v1
	v_sub_nc_u32_e32 v1, 30, v1
	s_delay_alu instid0(VALU_DEP_2) | instskip(NEXT) | instid1(VALU_DEP_1)
	v_lshlrev_b64_e32 v[6:7], v3, v[6:7]
	v_and_b32_e32 v3, 3, v6
.LBB6_27801:                            ;   in Loop: Header=BB6_26858 Depth=3
	s_or_b32 exec_lo, exec_lo, s77
	v_lshlrev_b32_e32 v6, 16, v28
                                        ; implicit-def: $vgpr28
	s_delay_alu instid0(VALU_DEP_1) | instskip(NEXT) | instid1(VALU_DEP_1)
	v_and_b32_e32 v6, 0x80000000, v6
	v_lshl_add_u32 v1, v1, 23, v6
	s_delay_alu instid0(VALU_DEP_1) | instskip(NEXT) | instid1(VALU_DEP_1)
	v_lshl_or_b32 v1, v3, 21, v1
                                        ; implicit-def: $vgpr3
	v_add_nc_u32_e32 v1, 0x38000000, v1
.LBB6_27802:                            ;   in Loop: Header=BB6_26858 Depth=3
	s_and_not1_saveexec_b32 s76, s76
; %bb.27803:                            ;   in Loop: Header=BB6_26858 Depth=3
	v_cmp_lt_i16_e32 vcc_lo, -1, v28
	v_mov_b32_e32 v1, 0x7f800000
	s_delay_alu instid0(VALU_DEP_1) | instskip(SKIP_1) | instid1(VALU_DEP_2)
	v_cndmask_b32_e32 v1, 0xff800000, v1, vcc_lo
	v_cmp_eq_u32_e32 vcc_lo, 0, v3
	v_cndmask_b32_e32 v1, 0x7f800001, v1, vcc_lo
; %bb.27804:                            ;   in Loop: Header=BB6_26858 Depth=3
	s_or_b32 exec_lo, exec_lo, s76
.LBB6_27805:                            ;   in Loop: Header=BB6_26858 Depth=3
	s_delay_alu instid0(SALU_CYCLE_1)
	s_or_b32 exec_lo, exec_lo, s75
.LBB6_27806:                            ;   in Loop: Header=BB6_26858 Depth=3
	s_delay_alu instid0(SALU_CYCLE_1) | instskip(SKIP_3) | instid1(VALU_DEP_1)
	s_or_b32 exec_lo, exec_lo, s14
	v_lshrrev_b16 v6, 8, v2
	s_mov_b32 s75, 0
	s_mov_b32 s14, exec_lo
	v_cmpx_lt_i16_e32 0x7f, v6
	s_xor_b32 s14, exec_lo, s14
	s_cbranch_execz .LBB6_27917
; %bb.27807:                            ;   in Loop: Header=BB6_26858 Depth=3
	s_mov_b32 s75, -1
	s_mov_b32 s76, exec_lo
	v_cmpx_eq_u16_e32 0x80, v6
; %bb.27808:                            ;   in Loop: Header=BB6_26858 Depth=3
	s_xor_b32 s75, exec_lo, -1
; %bb.27809:                            ;   in Loop: Header=BB6_26858 Depth=3
	s_or_b32 exec_lo, exec_lo, s76
	s_delay_alu instid0(SALU_CYCLE_1)
	s_and_b32 s75, s75, exec_lo
	s_or_saveexec_b32 s14, s14
	v_bfrev_b32_e32 v3, 1
	s_xor_b32 exec_lo, exec_lo, s14
	s_cbranch_execnz .LBB6_27918
.LBB6_27810:                            ;   in Loop: Header=BB6_26858 Depth=3
	s_or_b32 exec_lo, exec_lo, s14
	s_and_saveexec_b32 s14, s75
	s_cbranch_execz .LBB6_27812
.LBB6_27811:                            ;   in Loop: Header=BB6_26858 Depth=3
	v_and_b32_e32 v3, 0xffff, v6
	s_delay_alu instid0(VALU_DEP_1) | instskip(NEXT) | instid1(VALU_DEP_1)
	v_and_b32_e32 v9, 3, v3
	v_clz_i32_u32_e32 v7, v9
	s_delay_alu instid0(VALU_DEP_1) | instskip(SKIP_1) | instid1(VALU_DEP_2)
	v_min_u32_e32 v25, 32, v7
	v_mov_b32_e32 v7, v113
	v_subrev_nc_u32_e32 v28, 29, v25
	v_sub_nc_u32_e32 v25, 30, v25
	s_delay_alu instid0(VALU_DEP_2) | instskip(SKIP_3) | instid1(VALU_DEP_3)
	v_lshlrev_b64_e32 v[38:39], v28, v[6:7]
	v_bfe_u32 v7, v3, 2, 5
	v_lshlrev_b32_e32 v6, 24, v6
	v_and_b32_e32 v3, 0x7c, v3
	v_cmp_eq_u32_e32 vcc_lo, 0, v7
	s_delay_alu instid0(VALU_DEP_3) | instskip(SKIP_1) | instid1(VALU_DEP_1)
	v_and_b32_e32 v6, 0x80000000, v6
	v_dual_cndmask_b32 v7, v7, v25, vcc_lo :: v_dual_bitop2_b32 v28, 3, v38 bitop3:0x40
	v_cndmask_b32_e32 v25, v9, v28, vcc_lo
	v_cmp_lt_i16_e32 vcc_lo, -1, v2
	v_mov_b32_e32 v2, 0x7f800000
	s_delay_alu instid0(VALU_DEP_4) | instskip(NEXT) | instid1(VALU_DEP_2)
	v_lshl_add_u32 v6, v7, 23, v6
	v_cndmask_b32_e32 v2, 0xff800000, v2, vcc_lo
	s_delay_alu instid0(VALU_DEP_2) | instskip(SKIP_1) | instid1(VALU_DEP_2)
	v_lshl_or_b32 v6, v25, 21, v6
	v_cmp_eq_u32_e32 vcc_lo, 0, v9
	v_add_nc_u32_e32 v6, 0x38000000, v6
	s_delay_alu instid0(VALU_DEP_4) | instskip(SKIP_1) | instid1(VALU_DEP_2)
	v_cndmask_b32_e32 v2, 0x7f800001, v2, vcc_lo
	v_cmp_eq_u32_e32 vcc_lo, 0x7c, v3
	v_cndmask_b32_e32 v3, v6, v2, vcc_lo
.LBB6_27812:                            ;   in Loop: Header=BB6_26858 Depth=3
	s_or_b32 exec_lo, exec_lo, s14
	s_delay_alu instid0(VALU_DEP_1) | instskip(SKIP_2) | instid1(VALU_DEP_2)
	v_add_f32_e32 v6, v1, v3
	v_dual_mov_b32 v39, v113 :: v_dual_mov_b32 v3, v113
                                        ; implicit-def: $vgpr9
	s_mov_b32 s14, exec_lo
	v_and_b32_e32 v38, 0x7f800000, v6
	v_and_b32_e32 v2, 0x7fffff, v6
	v_lshrrev_b32_e32 v1, 24, v6
	s_delay_alu instid0(VALU_DEP_3)
	v_cmpx_ne_u64_e32 0x7f800000, v[38:39]
	s_xor_b32 s75, exec_lo, s14
	s_cbranch_execz .LBB6_27826
; %bb.27813:                            ;   in Loop: Header=BB6_26858 Depth=3
	v_and_b32_e32 v38, 0x7fffffff, v6
	v_mov_b32_e32 v39, v113
	v_and_b32_e32 v1, 0x80, v1
                                        ; implicit-def: $vgpr9
	s_mov_b32 s14, exec_lo
	s_delay_alu instid0(VALU_DEP_2)
	v_cmpx_gt_u64_e32 0x47600001, v[38:39]
	s_xor_b32 s76, exec_lo, s14
	s_cbranch_execz .LBB6_27823
; %bb.27814:                            ;   in Loop: Header=BB6_26858 Depth=3
	v_mov_b32_e32 v9, 0
	s_mov_b32 s77, exec_lo
	v_cmpx_ne_u32_e32 0, v6
	s_cbranch_execz .LBB6_27822
; %bb.27815:                            ;   in Loop: Header=BB6_26858 Depth=3
	v_bfe_u32 v9, v6, 23, 8
	v_or_b32_e32 v28, 0x800000, v2
	s_delay_alu instid0(VALU_DEP_2) | instskip(SKIP_1) | instid1(VALU_DEP_2)
	v_sub_nc_u32_e32 v6, 0x71, v9
	v_cmp_gt_u32_e32 vcc_lo, 0x72, v9
	v_cndmask_b32_e32 v6, 0, v6, vcc_lo
	v_cmp_eq_u32_e32 vcc_lo, 0, v9
	s_delay_alu instid0(VALU_DEP_2) | instskip(NEXT) | instid1(VALU_DEP_1)
	v_cndmask_b32_e64 v25, v6, 0x70, vcc_lo
	v_dual_cndmask_b32 v2, v28, v2, vcc_lo :: v_dual_add_nc_u32 v6, 21, v25
	v_add_nc_u32_e32 v30, 20, v25
	s_delay_alu instid0(VALU_DEP_2) | instskip(NEXT) | instid1(VALU_DEP_2)
	v_lshlrev_b64_e64 v[6:7], v6, -1
	v_lshlrev_b64_e64 v[38:39], v30, 1
	s_delay_alu instid0(VALU_DEP_2) | instskip(SKIP_1) | instid1(VALU_DEP_4)
	v_bfi_b32 v6, v6, 0, v2
	v_lshrrev_b64 v[2:3], v25, v[2:3]
	v_bfi_b32 v7, v7, 0, 0
	s_delay_alu instid0(VALU_DEP_1) | instskip(NEXT) | instid1(VALU_DEP_3)
	v_cmp_eq_u64_e64 s14, v[6:7], v[38:39]
	v_mov_b64_e32 v[6:7], v[2:3]
	s_and_saveexec_b32 s78, s14
; %bb.27816:                            ;   in Loop: Header=BB6_26858 Depth=3
	v_bfe_u32 v6, v2, 21, 1
	v_mov_b32_e32 v7, v113
	s_delay_alu instid0(VALU_DEP_1) | instskip(NEXT) | instid1(VALU_DEP_1)
	v_add_nc_u64_e32 v[6:7], v[2:3], v[6:7]
	v_add_nc_u64_e32 v[6:7], -1, v[6:7]
; %bb.27817:                            ;   in Loop: Header=BB6_26858 Depth=3
	s_or_b32 exec_lo, exec_lo, s78
	v_add_nc_u32_e32 v3, 0xffffff81, v9
	v_lshrrev_b32_e32 v7, 23, v2
	s_mov_b32 s14, exec_lo
	s_delay_alu instid0(VALU_DEP_2) | instskip(NEXT) | instid1(VALU_DEP_1)
	v_cndmask_b32_e64 v3, v3, 0xffffff82, vcc_lo
	v_add3_u32 v7, v25, v3, v7
	v_and_b32_e32 v3, 0x1fffff, v6
                                        ; implicit-def: $vgpr6
	s_delay_alu instid0(VALU_DEP_1) | instskip(SKIP_1) | instid1(VALU_DEP_2)
	v_dual_add_nc_u32 v9, 14, v7 :: v_dual_add_nc_u32 v2, v3, v2
	v_mov_b32_e32 v3, v113
	v_cmpx_ne_u32_e32 0, v9
	s_xor_b32 s14, exec_lo, s14
; %bb.27818:                            ;   in Loop: Header=BB6_26858 Depth=3
	s_delay_alu instid0(VALU_DEP_2) | instskip(SKIP_2) | instid1(VALU_DEP_2)
	v_cmp_lt_u64_e32 vcc_lo, 0xffffff, v[2:3]
	v_add_nc_u32_e32 v6, 15, v7
	v_cndmask_b32_e64 v7, 0, 1, vcc_lo
	v_cndmask_b32_e32 v6, v9, v6, vcc_lo
	s_delay_alu instid0(VALU_DEP_2)
	v_lshrrev_b64 v[2:3], v7, v[2:3]
; %bb.27819:                            ;   in Loop: Header=BB6_26858 Depth=3
	s_and_not1_saveexec_b32 s14, s14
; %bb.27820:                            ;   in Loop: Header=BB6_26858 Depth=3
	s_delay_alu instid0(VALU_DEP_1)
	v_bfe_u32 v6, v2, 23, 1
; %bb.27821:                            ;   in Loop: Header=BB6_26858 Depth=3
	s_or_b32 exec_lo, exec_lo, s14
	s_delay_alu instid0(VALU_DEP_2) | instskip(NEXT) | instid1(VALU_DEP_2)
	v_lshrrev_b64 v[2:3], 21, v[2:3]
	v_cmp_gt_i32_e32 vcc_lo, 32, v6
	v_min_i32_e32 v7, 31, v6
	v_cmp_eq_u32_e64 s14, 0, v6
	s_delay_alu instid0(VALU_DEP_4) | instskip(NEXT) | instid1(VALU_DEP_3)
	v_cndmask_b32_e32 v3, 0, v3, vcc_lo
	v_dual_cndmask_b32 v2, 3, v2 :: v_dual_lshlrev_b32 v7, 2, v7
	s_delay_alu instid0(VALU_DEP_1) | instskip(NEXT) | instid1(VALU_DEP_2)
	v_and_b32_e32 v7, 0xfc, v7
	v_cmp_eq_u64_e32 vcc_lo, 0, v[2:3]
	s_delay_alu instid0(VALU_DEP_2)
	v_and_or_b32 v2, v2, 3, v7
	s_and_b32 s14, s14, vcc_lo
	s_delay_alu instid0(VALU_DEP_1) | instid1(SALU_CYCLE_1)
	v_cndmask_b32_e64 v2, v2, 0, s14
	s_delay_alu instid0(VALU_DEP_1)
	v_or_b32_e32 v9, v2, v1
.LBB6_27822:                            ;   in Loop: Header=BB6_26858 Depth=3
	s_or_b32 exec_lo, exec_lo, s77
                                        ; implicit-def: $vgpr1
.LBB6_27823:                            ;   in Loop: Header=BB6_26858 Depth=3
	s_and_not1_saveexec_b32 s14, s76
; %bb.27824:                            ;   in Loop: Header=BB6_26858 Depth=3
	v_or_b32_e32 v9, 0x7b, v1
; %bb.27825:                            ;   in Loop: Header=BB6_26858 Depth=3
	s_or_b32 exec_lo, exec_lo, s14
                                        ; implicit-def: $vgpr6
                                        ; implicit-def: $vgpr2_vgpr3
                                        ; implicit-def: $vgpr1
.LBB6_27826:                            ;   in Loop: Header=BB6_26858 Depth=3
	s_and_not1_saveexec_b32 s14, s75
	s_cbranch_execz .LBB6_27832
; %bb.27827:                            ;   in Loop: Header=BB6_26858 Depth=3
	s_mov_b32 s75, exec_lo
                                        ; implicit-def: $vgpr9
	v_cmpx_ne_u64_e32 0, v[2:3]
	s_xor_b32 s75, exec_lo, s75
; %bb.27828:                            ;   in Loop: Header=BB6_26858 Depth=3
	v_or_b32_e32 v9, 0x7f, v1
                                        ; implicit-def: $vgpr6
; %bb.27829:                            ;   in Loop: Header=BB6_26858 Depth=3
	s_and_not1_saveexec_b32 s75, s75
; %bb.27830:                            ;   in Loop: Header=BB6_26858 Depth=3
	v_cmp_lt_i32_e32 vcc_lo, -1, v6
	v_mov_b32_e32 v1, 0x7c
	s_delay_alu instid0(VALU_DEP_1)
	v_cndmask_b32_e32 v9, 0xfc, v1, vcc_lo
; %bb.27831:                            ;   in Loop: Header=BB6_26858 Depth=3
	s_or_b32 exec_lo, exec_lo, s75
.LBB6_27832:                            ;   in Loop: Header=BB6_26858 Depth=3
	s_delay_alu instid0(SALU_CYCLE_1) | instskip(SKIP_2) | instid1(VALU_DEP_1)
	s_or_b32 exec_lo, exec_lo, s14
	v_dual_mov_b32 v1, 0 :: v_dual_lshrrev_b32 v2, 16, v0
	s_mov_b32 s14, exec_lo
	v_and_b32_e32 v3, 0xff, v2
	s_delay_alu instid0(VALU_DEP_1)
	v_cmpx_ne_u16_e32 0, v3
	s_cbranch_execz .LBB6_27842
; %bb.27833:                            ;   in Loop: Header=BB6_26858 Depth=3
	v_bfrev_b32_e32 v1, 1
	s_mov_b32 s75, exec_lo
	v_cmpx_ne_u16_e32 0x80, v3
	s_cbranch_execz .LBB6_27841
; %bb.27834:                            ;   in Loop: Header=BB6_26858 Depth=3
	v_and_b32_e32 v1, 0x7c0000, v0
	v_bfe_u32 v3, v0, 16, 2
	s_delay_alu instid0(VALU_DEP_2) | instskip(SKIP_1) | instid1(SALU_CYCLE_1)
	v_cmp_ne_u32_e32 vcc_lo, 0x7c0000, v1
                                        ; implicit-def: $vgpr1
	s_and_saveexec_b32 s76, vcc_lo
	s_xor_b32 s76, exec_lo, s76
	s_cbranch_execz .LBB6_27838
; %bb.27835:                            ;   in Loop: Header=BB6_26858 Depth=3
	v_bfe_u32 v1, v0, 18, 5
	s_mov_b32 s77, exec_lo
	s_delay_alu instid0(VALU_DEP_1)
	v_cmpx_eq_u32_e32 0, v1
; %bb.27836:                            ;   in Loop: Header=BB6_26858 Depth=3
	v_clz_i32_u32_e32 v1, v3
	s_delay_alu instid0(VALU_DEP_1) | instskip(NEXT) | instid1(VALU_DEP_1)
	v_min_u32_e32 v1, 32, v1
	v_subrev_nc_u32_e32 v3, 29, v1
	s_delay_alu instid0(VALU_DEP_1) | instskip(NEXT) | instid1(VALU_DEP_1)
	v_lshlrev_b64_e32 v[6:7], v3, v[2:3]
	v_dual_sub_nc_u32 v1, 30, v1 :: v_dual_bitop2_b32 v3, 3, v6 bitop3:0x40
; %bb.27837:                            ;   in Loop: Header=BB6_26858 Depth=3
	s_or_b32 exec_lo, exec_lo, s77
	v_lshlrev_b32_e32 v2, 24, v2
	s_delay_alu instid0(VALU_DEP_1) | instskip(NEXT) | instid1(VALU_DEP_1)
	v_and_b32_e32 v2, 0x80000000, v2
	v_lshl_add_u32 v1, v1, 23, v2
                                        ; implicit-def: $vgpr2
	s_delay_alu instid0(VALU_DEP_1) | instskip(NEXT) | instid1(VALU_DEP_1)
	v_lshl_or_b32 v1, v3, 21, v1
                                        ; implicit-def: $vgpr3
	v_add_nc_u32_e32 v1, 0x38000000, v1
.LBB6_27838:                            ;   in Loop: Header=BB6_26858 Depth=3
	s_and_not1_saveexec_b32 s76, s76
; %bb.27839:                            ;   in Loop: Header=BB6_26858 Depth=3
	v_bfe_i32 v1, v2, 0, 8
	s_delay_alu instid0(VALU_DEP_1) | instskip(SKIP_1) | instid1(VALU_DEP_1)
	v_cmp_lt_i16_e32 vcc_lo, -1, v1
	v_mov_b32_e32 v1, 0x7f800000
	v_cndmask_b32_e32 v1, 0xff800000, v1, vcc_lo
	v_cmp_eq_u32_e32 vcc_lo, 0, v3
	s_delay_alu instid0(VALU_DEP_2)
	v_cndmask_b32_e32 v1, 0x7f800001, v1, vcc_lo
; %bb.27840:                            ;   in Loop: Header=BB6_26858 Depth=3
	s_or_b32 exec_lo, exec_lo, s76
.LBB6_27841:                            ;   in Loop: Header=BB6_26858 Depth=3
	s_delay_alu instid0(SALU_CYCLE_1)
	s_or_b32 exec_lo, exec_lo, s75
.LBB6_27842:                            ;   in Loop: Header=BB6_26858 Depth=3
	s_delay_alu instid0(SALU_CYCLE_1) | instskip(SKIP_3) | instid1(VALU_DEP_1)
	s_or_b32 exec_lo, exec_lo, s14
	v_lshrrev_b32_e32 v2, 16, v11
	s_mov_b32 s75, 0
	s_mov_b32 s14, exec_lo
	v_and_b32_e32 v6, 0xff, v2
	s_delay_alu instid0(VALU_DEP_1)
	v_cmpx_lt_i16_e32 0x7f, v6
	s_xor_b32 s14, exec_lo, s14
	s_cbranch_execz .LBB6_27919
; %bb.27843:                            ;   in Loop: Header=BB6_26858 Depth=3
	s_mov_b32 s75, -1
	s_mov_b32 s76, exec_lo
	v_cmpx_eq_u16_e32 0x80, v6
; %bb.27844:                            ;   in Loop: Header=BB6_26858 Depth=3
	s_xor_b32 s75, exec_lo, -1
; %bb.27845:                            ;   in Loop: Header=BB6_26858 Depth=3
	s_or_b32 exec_lo, exec_lo, s76
	s_delay_alu instid0(SALU_CYCLE_1)
	s_and_b32 s75, s75, exec_lo
                                        ; implicit-def: $vgpr6
	s_or_saveexec_b32 s14, s14
	v_bfrev_b32_e32 v3, 1
	s_xor_b32 exec_lo, exec_lo, s14
	s_cbranch_execnz .LBB6_27920
.LBB6_27846:                            ;   in Loop: Header=BB6_26858 Depth=3
	s_or_b32 exec_lo, exec_lo, s14
	s_and_saveexec_b32 s14, s75
	s_cbranch_execz .LBB6_27848
.LBB6_27847:                            ;   in Loop: Header=BB6_26858 Depth=3
	v_and_b32_e32 v3, 3, v2
	v_bfe_u32 v28, v11, 18, 5
	s_delay_alu instid0(VALU_DEP_2) | instskip(NEXT) | instid1(VALU_DEP_2)
	v_clz_i32_u32_e32 v6, v3
	v_cmp_eq_u32_e32 vcc_lo, 0, v28
	s_delay_alu instid0(VALU_DEP_2) | instskip(NEXT) | instid1(VALU_DEP_1)
	v_min_u32_e32 v25, 32, v6
	v_subrev_nc_u32_e32 v6, 29, v25
	s_delay_alu instid0(VALU_DEP_1) | instskip(SKIP_2) | instid1(VALU_DEP_2)
	v_lshlrev_b64_e32 v[6:7], v6, v[2:3]
	v_dual_lshlrev_b32 v7, 24, v2 :: v_dual_sub_nc_u32 v25, 30, v25
	v_bfe_i32 v2, v2, 0, 8
	v_and_b32_e32 v7, 0x80000000, v7
	s_delay_alu instid0(VALU_DEP_3) | instskip(NEXT) | instid1(VALU_DEP_1)
	v_dual_cndmask_b32 v25, v28, v25, vcc_lo :: v_dual_bitop2_b32 v6, 3, v6 bitop3:0x40
	v_cndmask_b32_e32 v6, v3, v6, vcc_lo
	s_delay_alu instid0(VALU_DEP_2) | instskip(SKIP_2) | instid1(VALU_DEP_3)
	v_lshl_add_u32 v7, v25, 23, v7
	v_cmp_lt_i16_e32 vcc_lo, -1, v2
	v_mov_b32_e32 v2, 0x7f800000
	v_lshl_or_b32 v6, v6, 21, v7
	v_and_b32_e32 v7, 0x7c0000, v11
	s_delay_alu instid0(VALU_DEP_3) | instskip(SKIP_1) | instid1(VALU_DEP_4)
	v_cndmask_b32_e32 v2, 0xff800000, v2, vcc_lo
	v_cmp_eq_u32_e32 vcc_lo, 0, v3
	v_add_nc_u32_e32 v3, 0x38000000, v6
	s_delay_alu instid0(VALU_DEP_3) | instskip(SKIP_1) | instid1(VALU_DEP_2)
	v_cndmask_b32_e32 v2, 0x7f800001, v2, vcc_lo
	v_cmp_eq_u32_e32 vcc_lo, 0x7c0000, v7
	v_cndmask_b32_e32 v3, v3, v2, vcc_lo
.LBB6_27848:                            ;   in Loop: Header=BB6_26858 Depth=3
	s_or_b32 exec_lo, exec_lo, s14
	s_delay_alu instid0(VALU_DEP_1) | instskip(SKIP_2) | instid1(VALU_DEP_2)
	v_add_f32_e32 v7, v1, v3
	v_dual_mov_b32 v39, v113 :: v_dual_mov_b32 v3, v113
                                        ; implicit-def: $vgpr6
	s_mov_b32 s14, exec_lo
	v_and_b32_e32 v38, 0x7f800000, v7
	v_and_b32_e32 v2, 0x7fffff, v7
	v_lshrrev_b32_e32 v1, 24, v7
	s_delay_alu instid0(VALU_DEP_3)
	v_cmpx_ne_u64_e32 0x7f800000, v[38:39]
	s_xor_b32 s75, exec_lo, s14
	s_cbranch_execz .LBB6_27862
; %bb.27849:                            ;   in Loop: Header=BB6_26858 Depth=3
	v_and_b32_e32 v38, 0x7fffffff, v7
	v_mov_b32_e32 v39, v113
	v_and_b32_e32 v1, 0x80, v1
                                        ; implicit-def: $vgpr6
	s_mov_b32 s14, exec_lo
	s_delay_alu instid0(VALU_DEP_2)
	v_cmpx_gt_u64_e32 0x47600001, v[38:39]
	s_xor_b32 s76, exec_lo, s14
	s_cbranch_execz .LBB6_27859
; %bb.27850:                            ;   in Loop: Header=BB6_26858 Depth=3
	v_mov_b32_e32 v6, 0
	s_mov_b32 s77, exec_lo
	v_cmpx_ne_u32_e32 0, v7
	s_cbranch_execz .LBB6_27858
; %bb.27851:                            ;   in Loop: Header=BB6_26858 Depth=3
	v_bfe_u32 v25, v7, 23, 8
	v_or_b32_e32 v30, 0x800000, v2
	s_delay_alu instid0(VALU_DEP_2) | instskip(SKIP_1) | instid1(VALU_DEP_2)
	v_sub_nc_u32_e32 v6, 0x71, v25
	v_cmp_gt_u32_e32 vcc_lo, 0x72, v25
	v_cndmask_b32_e32 v6, 0, v6, vcc_lo
	v_cmp_eq_u32_e32 vcc_lo, 0, v25
	s_delay_alu instid0(VALU_DEP_2) | instskip(NEXT) | instid1(VALU_DEP_1)
	v_cndmask_b32_e64 v28, v6, 0x70, vcc_lo
	v_dual_cndmask_b32 v2, v30, v2, vcc_lo :: v_dual_add_nc_u32 v6, 21, v28
	v_add_nc_u32_e32 v33, 20, v28
	s_delay_alu instid0(VALU_DEP_2) | instskip(NEXT) | instid1(VALU_DEP_2)
	v_lshlrev_b64_e64 v[6:7], v6, -1
	v_lshlrev_b64_e64 v[38:39], v33, 1
	s_delay_alu instid0(VALU_DEP_2) | instskip(SKIP_1) | instid1(VALU_DEP_4)
	v_bfi_b32 v6, v6, 0, v2
	v_lshrrev_b64 v[2:3], v28, v[2:3]
	v_bfi_b32 v7, v7, 0, 0
	s_delay_alu instid0(VALU_DEP_1) | instskip(NEXT) | instid1(VALU_DEP_3)
	v_cmp_eq_u64_e64 s14, v[6:7], v[38:39]
	v_mov_b64_e32 v[6:7], v[2:3]
	s_and_saveexec_b32 s78, s14
; %bb.27852:                            ;   in Loop: Header=BB6_26858 Depth=3
	v_bfe_u32 v6, v2, 21, 1
	v_mov_b32_e32 v7, v113
	s_delay_alu instid0(VALU_DEP_1) | instskip(NEXT) | instid1(VALU_DEP_1)
	v_add_nc_u64_e32 v[6:7], v[2:3], v[6:7]
	v_add_nc_u64_e32 v[6:7], -1, v[6:7]
; %bb.27853:                            ;   in Loop: Header=BB6_26858 Depth=3
	s_or_b32 exec_lo, exec_lo, s78
	v_add_nc_u32_e32 v3, 0xffffff81, v25
	v_lshrrev_b32_e32 v7, 23, v2
	s_mov_b32 s14, exec_lo
	s_delay_alu instid0(VALU_DEP_2) | instskip(NEXT) | instid1(VALU_DEP_1)
	v_cndmask_b32_e64 v3, v3, 0xffffff82, vcc_lo
	v_add3_u32 v7, v28, v3, v7
	v_and_b32_e32 v3, 0x1fffff, v6
                                        ; implicit-def: $vgpr6
	s_delay_alu instid0(VALU_DEP_1) | instskip(SKIP_1) | instid1(VALU_DEP_2)
	v_dual_add_nc_u32 v25, 14, v7 :: v_dual_add_nc_u32 v2, v3, v2
	v_mov_b32_e32 v3, v113
	v_cmpx_ne_u32_e32 0, v25
	s_xor_b32 s14, exec_lo, s14
; %bb.27854:                            ;   in Loop: Header=BB6_26858 Depth=3
	s_delay_alu instid0(VALU_DEP_2) | instskip(SKIP_2) | instid1(VALU_DEP_2)
	v_cmp_lt_u64_e32 vcc_lo, 0xffffff, v[2:3]
	v_add_nc_u32_e32 v6, 15, v7
	v_cndmask_b32_e64 v7, 0, 1, vcc_lo
	v_cndmask_b32_e32 v6, v25, v6, vcc_lo
	s_delay_alu instid0(VALU_DEP_2)
	v_lshrrev_b64 v[2:3], v7, v[2:3]
; %bb.27855:                            ;   in Loop: Header=BB6_26858 Depth=3
	s_and_not1_saveexec_b32 s14, s14
; %bb.27856:                            ;   in Loop: Header=BB6_26858 Depth=3
	s_delay_alu instid0(VALU_DEP_1)
	v_bfe_u32 v6, v2, 23, 1
; %bb.27857:                            ;   in Loop: Header=BB6_26858 Depth=3
	s_or_b32 exec_lo, exec_lo, s14
	s_delay_alu instid0(VALU_DEP_2) | instskip(NEXT) | instid1(VALU_DEP_2)
	v_lshrrev_b64 v[2:3], 21, v[2:3]
	v_cmp_gt_i32_e32 vcc_lo, 32, v6
	v_min_i32_e32 v7, 31, v6
	v_cmp_eq_u32_e64 s14, 0, v6
	s_delay_alu instid0(VALU_DEP_4) | instskip(NEXT) | instid1(VALU_DEP_3)
	v_cndmask_b32_e32 v3, 0, v3, vcc_lo
	v_dual_cndmask_b32 v2, 3, v2 :: v_dual_lshlrev_b32 v7, 2, v7
	s_delay_alu instid0(VALU_DEP_1) | instskip(NEXT) | instid1(VALU_DEP_2)
	v_and_b32_e32 v7, 0xfc, v7
	v_cmp_eq_u64_e32 vcc_lo, 0, v[2:3]
	s_delay_alu instid0(VALU_DEP_2)
	v_and_or_b32 v2, v2, 3, v7
	s_and_b32 s14, s14, vcc_lo
	s_delay_alu instid0(VALU_DEP_1) | instid1(SALU_CYCLE_1)
	v_cndmask_b32_e64 v2, v2, 0, s14
	s_delay_alu instid0(VALU_DEP_1)
	v_or_b32_e32 v6, v2, v1
.LBB6_27858:                            ;   in Loop: Header=BB6_26858 Depth=3
	s_or_b32 exec_lo, exec_lo, s77
                                        ; implicit-def: $vgpr1
.LBB6_27859:                            ;   in Loop: Header=BB6_26858 Depth=3
	s_and_not1_saveexec_b32 s14, s76
; %bb.27860:                            ;   in Loop: Header=BB6_26858 Depth=3
	v_or_b32_e32 v6, 0x7b, v1
; %bb.27861:                            ;   in Loop: Header=BB6_26858 Depth=3
	s_or_b32 exec_lo, exec_lo, s14
                                        ; implicit-def: $vgpr7
                                        ; implicit-def: $vgpr2_vgpr3
                                        ; implicit-def: $vgpr1
.LBB6_27862:                            ;   in Loop: Header=BB6_26858 Depth=3
	s_and_not1_saveexec_b32 s14, s75
	s_cbranch_execz .LBB6_27868
; %bb.27863:                            ;   in Loop: Header=BB6_26858 Depth=3
	s_mov_b32 s75, exec_lo
                                        ; implicit-def: $vgpr6
	v_cmpx_ne_u64_e32 0, v[2:3]
	s_xor_b32 s75, exec_lo, s75
; %bb.27864:                            ;   in Loop: Header=BB6_26858 Depth=3
	v_or_b32_e32 v6, 0x7f, v1
                                        ; implicit-def: $vgpr7
; %bb.27865:                            ;   in Loop: Header=BB6_26858 Depth=3
	s_and_not1_saveexec_b32 s75, s75
; %bb.27866:                            ;   in Loop: Header=BB6_26858 Depth=3
	v_cmp_lt_i32_e32 vcc_lo, -1, v7
	v_mov_b32_e32 v1, 0x7c
	s_delay_alu instid0(VALU_DEP_1)
	v_cndmask_b32_e32 v6, 0xfc, v1, vcc_lo
; %bb.27867:                            ;   in Loop: Header=BB6_26858 Depth=3
	s_or_b32 exec_lo, exec_lo, s75
.LBB6_27868:                            ;   in Loop: Header=BB6_26858 Depth=3
	s_delay_alu instid0(SALU_CYCLE_1)
	s_or_b32 exec_lo, exec_lo, s14
	v_mov_b32_e32 v3, 0
	s_mov_b32 s14, exec_lo
	v_cmpx_lt_u32_e32 0xffffff, v0
	s_cbranch_execz .LBB6_27878
; %bb.27869:                            ;   in Loop: Header=BB6_26858 Depth=3
	v_lshrrev_b32_e32 v2, 24, v0
	v_bfrev_b32_e32 v3, 1
	s_mov_b32 s75, exec_lo
	s_delay_alu instid0(VALU_DEP_2)
	v_cmpx_ne_u32_e32 0x80, v2
	s_cbranch_execz .LBB6_27877
; %bb.27870:                            ;   in Loop: Header=BB6_26858 Depth=3
	v_and_b32_e32 v1, 0x7c000000, v0
	v_bfe_u32 v7, v0, 24, 2
	s_mov_b32 s76, exec_lo
                                        ; implicit-def: $vgpr3
	s_delay_alu instid0(VALU_DEP_2)
	v_cmpx_ne_u32_e32 0x7c000000, v1
	s_xor_b32 s76, exec_lo, s76
	s_cbranch_execz .LBB6_27874
; %bb.27871:                            ;   in Loop: Header=BB6_26858 Depth=3
	v_bfe_u32 v1, v0, 26, 5
	s_mov_b32 s77, exec_lo
	s_delay_alu instid0(VALU_DEP_1)
	v_cmpx_eq_u32_e32 0, v1
; %bb.27872:                            ;   in Loop: Header=BB6_26858 Depth=3
	v_clz_i32_u32_e32 v1, v7
	s_delay_alu instid0(VALU_DEP_1) | instskip(NEXT) | instid1(VALU_DEP_1)
	v_min_u32_e32 v1, 32, v1
	v_subrev_nc_u32_e32 v3, 29, v1
	s_delay_alu instid0(VALU_DEP_1) | instskip(NEXT) | instid1(VALU_DEP_1)
	v_lshlrev_b64_e32 v[2:3], v3, v[2:3]
	v_dual_sub_nc_u32 v1, 30, v1 :: v_dual_bitop2_b32 v7, 3, v2 bitop3:0x40
; %bb.27873:                            ;   in Loop: Header=BB6_26858 Depth=3
	s_or_b32 exec_lo, exec_lo, s77
	v_and_b32_e32 v0, 0x80000000, v0
	s_delay_alu instid0(VALU_DEP_1) | instskip(NEXT) | instid1(VALU_DEP_1)
	v_lshl_add_u32 v0, v1, 23, v0
	v_lshl_or_b32 v0, v7, 21, v0
                                        ; implicit-def: $vgpr7
	s_delay_alu instid0(VALU_DEP_1)
	v_add_nc_u32_e32 v3, 0x38000000, v0
                                        ; implicit-def: $vgpr0_vgpr1
.LBB6_27874:                            ;   in Loop: Header=BB6_26858 Depth=3
	s_and_not1_saveexec_b32 s76, s76
; %bb.27875:                            ;   in Loop: Header=BB6_26858 Depth=3
	v_cmp_lt_i32_e32 vcc_lo, -1, v0
	v_mov_b32_e32 v0, 0x7f800000
	s_delay_alu instid0(VALU_DEP_1) | instskip(SKIP_1) | instid1(VALU_DEP_2)
	v_cndmask_b32_e32 v0, 0xff800000, v0, vcc_lo
	v_cmp_eq_u32_e32 vcc_lo, 0, v7
	v_cndmask_b32_e32 v3, 0x7f800001, v0, vcc_lo
; %bb.27876:                            ;   in Loop: Header=BB6_26858 Depth=3
	s_or_b32 exec_lo, exec_lo, s76
.LBB6_27877:                            ;   in Loop: Header=BB6_26858 Depth=3
	s_delay_alu instid0(SALU_CYCLE_1)
	s_or_b32 exec_lo, exec_lo, s75
.LBB6_27878:                            ;   in Loop: Header=BB6_26858 Depth=3
	s_delay_alu instid0(SALU_CYCLE_1) | instskip(SKIP_3) | instid1(VALU_DEP_2)
	s_or_b32 exec_lo, exec_lo, s14
	v_bfe_u32 v1, v11, 24, 2
	v_bfe_u32 v25, v11, 26, 5
	s_mov_b32 s14, exec_lo
	v_clz_i32_u32_e32 v0, v1
	s_delay_alu instid0(VALU_DEP_2) | instskip(NEXT) | instid1(VALU_DEP_2)
	v_cmp_eq_u32_e32 vcc_lo, 0, v25
	v_min_u32_e32 v2, 32, v0
	v_lshrrev_b32_e32 v0, 24, v11
	s_delay_alu instid0(VALU_DEP_2) | instskip(SKIP_1) | instid1(VALU_DEP_2)
	v_subrev_nc_u32_e32 v7, 29, v2
	v_sub_nc_u32_e32 v2, 30, v2
	v_lshlrev_b64_e32 v[38:39], v7, v[0:1]
	v_and_b32_e32 v7, 0x80000000, v11
	s_delay_alu instid0(VALU_DEP_3) | instskip(NEXT) | instid1(VALU_DEP_1)
	v_cndmask_b32_e32 v2, v25, v2, vcc_lo
	v_lshl_add_u32 v2, v2, 23, v7
	s_delay_alu instid0(VALU_DEP_4) | instskip(NEXT) | instid1(VALU_DEP_1)
	v_and_b32_e32 v25, 3, v38
	v_cndmask_b32_e32 v7, v1, v25, vcc_lo
	v_cmp_lt_i64_e32 vcc_lo, -1, v[10:11]
	v_mov_b32_e32 v25, 0x7f800000
	s_delay_alu instid0(VALU_DEP_3) | instskip(SKIP_1) | instid1(VALU_DEP_3)
	v_lshl_or_b32 v2, v7, 21, v2
	v_and_b32_e32 v7, 0x7c000000, v11
	v_cndmask_b32_e32 v25, 0xff800000, v25, vcc_lo
	v_cmp_eq_u32_e32 vcc_lo, 0, v1
	s_delay_alu instid0(VALU_DEP_4) | instskip(NEXT) | instid1(VALU_DEP_3)
	v_add_nc_u32_e32 v2, 0x38000000, v2
	v_cndmask_b32_e32 v1, 0x7f800001, v25, vcc_lo
	v_cmp_eq_u32_e32 vcc_lo, 0x7c000000, v7
	s_delay_alu instid0(VALU_DEP_2) | instskip(SKIP_1) | instid1(VALU_DEP_2)
	v_cndmask_b32_e32 v1, v2, v1, vcc_lo
	v_cmp_ne_u32_e32 vcc_lo, 0x80, v0
                                        ; implicit-def: $vgpr2
	v_cndmask_b32_e32 v0, 0x80000000, v1, vcc_lo
	v_cmp_lt_u64_e32 vcc_lo, s[22:23], v[10:11]
	v_dual_mov_b32 v11, v113 :: v_dual_mov_b32 v1, v113
	s_delay_alu instid0(VALU_DEP_3) | instskip(NEXT) | instid1(VALU_DEP_1)
	v_cndmask_b32_e32 v0, 0, v0, vcc_lo
	v_add_f32_e32 v3, v0, v3
	s_delay_alu instid0(VALU_DEP_1) | instskip(SKIP_2) | instid1(VALU_DEP_3)
	v_and_b32_e32 v10, 0x7f800000, v3
	v_and_b32_e32 v0, 0x7fffff, v3
	v_lshrrev_b32_e32 v7, 24, v3
	v_cmpx_ne_u64_e32 0x7f800000, v[10:11]
	s_xor_b32 s75, exec_lo, s14
	s_cbranch_execz .LBB6_27892
; %bb.27879:                            ;   in Loop: Header=BB6_26858 Depth=3
	v_and_b32_e32 v10, 0x7fffffff, v3
	v_mov_b32_e32 v11, v113
	v_and_b32_e32 v7, 0x80, v7
                                        ; implicit-def: $vgpr2
	s_mov_b32 s14, exec_lo
	s_delay_alu instid0(VALU_DEP_2)
	v_cmpx_gt_u64_e32 0x47600001, v[10:11]
	s_xor_b32 s76, exec_lo, s14
	s_cbranch_execz .LBB6_27889
; %bb.27880:                            ;   in Loop: Header=BB6_26858 Depth=3
	v_mov_b32_e32 v2, 0
	s_mov_b32 s77, exec_lo
	v_cmpx_ne_u32_e32 0, v3
	s_cbranch_execz .LBB6_27888
; %bb.27881:                            ;   in Loop: Header=BB6_26858 Depth=3
	v_bfe_u32 v10, v3, 23, 8
	v_or_b32_e32 v25, 0x800000, v0
	s_delay_alu instid0(VALU_DEP_2) | instskip(SKIP_1) | instid1(VALU_DEP_2)
	v_sub_nc_u32_e32 v2, 0x71, v10
	v_cmp_gt_u32_e32 vcc_lo, 0x72, v10
	v_cndmask_b32_e32 v2, 0, v2, vcc_lo
	v_cmp_eq_u32_e32 vcc_lo, 0, v10
	s_delay_alu instid0(VALU_DEP_2) | instskip(NEXT) | instid1(VALU_DEP_1)
	v_cndmask_b32_e64 v11, v2, 0x70, vcc_lo
	v_dual_cndmask_b32 v0, v25, v0, vcc_lo :: v_dual_add_nc_u32 v2, 21, v11
	v_add_nc_u32_e32 v28, 20, v11
	s_delay_alu instid0(VALU_DEP_2) | instskip(NEXT) | instid1(VALU_DEP_2)
	v_lshlrev_b64_e64 v[2:3], v2, -1
	v_lshlrev_b64_e64 v[38:39], v28, 1
	s_delay_alu instid0(VALU_DEP_2) | instskip(SKIP_1) | instid1(VALU_DEP_4)
	v_bfi_b32 v2, v2, 0, v0
	v_lshrrev_b64 v[0:1], v11, v[0:1]
	v_bfi_b32 v3, v3, 0, 0
	s_delay_alu instid0(VALU_DEP_1) | instskip(NEXT) | instid1(VALU_DEP_3)
	v_cmp_eq_u64_e64 s14, v[2:3], v[38:39]
	v_mov_b64_e32 v[2:3], v[0:1]
	s_and_saveexec_b32 s78, s14
; %bb.27882:                            ;   in Loop: Header=BB6_26858 Depth=3
	v_bfe_u32 v2, v0, 21, 1
	v_mov_b32_e32 v3, v113
	s_delay_alu instid0(VALU_DEP_1) | instskip(NEXT) | instid1(VALU_DEP_1)
	v_add_nc_u64_e32 v[2:3], v[0:1], v[2:3]
	v_add_nc_u64_e32 v[2:3], -1, v[2:3]
; %bb.27883:                            ;   in Loop: Header=BB6_26858 Depth=3
	s_or_b32 exec_lo, exec_lo, s78
	v_add_nc_u32_e32 v1, 0xffffff81, v10
	v_lshrrev_b32_e32 v3, 23, v0
	s_mov_b32 s14, exec_lo
	s_delay_alu instid0(VALU_DEP_2) | instskip(NEXT) | instid1(VALU_DEP_1)
	v_cndmask_b32_e64 v1, v1, 0xffffff82, vcc_lo
	v_add3_u32 v3, v11, v1, v3
	v_and_b32_e32 v1, 0x1fffff, v2
                                        ; implicit-def: $vgpr2
	s_delay_alu instid0(VALU_DEP_1) | instskip(SKIP_1) | instid1(VALU_DEP_2)
	v_dual_add_nc_u32 v10, 14, v3 :: v_dual_add_nc_u32 v0, v1, v0
	v_mov_b32_e32 v1, v113
	v_cmpx_ne_u32_e32 0, v10
	s_xor_b32 s14, exec_lo, s14
; %bb.27884:                            ;   in Loop: Header=BB6_26858 Depth=3
	s_delay_alu instid0(VALU_DEP_2) | instskip(SKIP_2) | instid1(VALU_DEP_2)
	v_cmp_lt_u64_e32 vcc_lo, 0xffffff, v[0:1]
	v_add_nc_u32_e32 v2, 15, v3
	v_cndmask_b32_e64 v3, 0, 1, vcc_lo
	v_cndmask_b32_e32 v2, v10, v2, vcc_lo
	s_delay_alu instid0(VALU_DEP_2)
	v_lshrrev_b64 v[0:1], v3, v[0:1]
; %bb.27885:                            ;   in Loop: Header=BB6_26858 Depth=3
	s_and_not1_saveexec_b32 s14, s14
; %bb.27886:                            ;   in Loop: Header=BB6_26858 Depth=3
	s_delay_alu instid0(VALU_DEP_1)
	v_bfe_u32 v2, v0, 23, 1
; %bb.27887:                            ;   in Loop: Header=BB6_26858 Depth=3
	s_or_b32 exec_lo, exec_lo, s14
	s_delay_alu instid0(VALU_DEP_2) | instskip(NEXT) | instid1(VALU_DEP_2)
	v_lshrrev_b64 v[0:1], 21, v[0:1]
	v_cmp_gt_i32_e32 vcc_lo, 32, v2
	v_min_i32_e32 v3, 31, v2
	v_cmp_eq_u32_e64 s14, 0, v2
	s_delay_alu instid0(VALU_DEP_2) | instskip(SKIP_1) | instid1(VALU_DEP_2)
	v_dual_cndmask_b32 v1, 0, v1, vcc_lo :: v_dual_lshlrev_b32 v3, 2, v3
	v_cndmask_b32_e32 v0, 3, v0, vcc_lo
	v_and_b32_e32 v3, 0xfc, v3
	s_delay_alu instid0(VALU_DEP_2) | instskip(NEXT) | instid1(VALU_DEP_2)
	v_cmp_eq_u64_e32 vcc_lo, 0, v[0:1]
	v_and_or_b32 v0, v0, 3, v3
	s_and_b32 s14, s14, vcc_lo
	s_delay_alu instid0(VALU_DEP_1) | instid1(SALU_CYCLE_1)
	v_cndmask_b32_e64 v0, v0, 0, s14
	s_delay_alu instid0(VALU_DEP_1)
	v_or_b32_e32 v2, v0, v7
.LBB6_27888:                            ;   in Loop: Header=BB6_26858 Depth=3
	s_or_b32 exec_lo, exec_lo, s77
                                        ; implicit-def: $vgpr7
.LBB6_27889:                            ;   in Loop: Header=BB6_26858 Depth=3
	s_and_not1_saveexec_b32 s14, s76
; %bb.27890:                            ;   in Loop: Header=BB6_26858 Depth=3
	v_or_b32_e32 v2, 0x7b, v7
; %bb.27891:                            ;   in Loop: Header=BB6_26858 Depth=3
	s_or_b32 exec_lo, exec_lo, s14
                                        ; implicit-def: $vgpr3
                                        ; implicit-def: $vgpr0_vgpr1
                                        ; implicit-def: $vgpr7
.LBB6_27892:                            ;   in Loop: Header=BB6_26858 Depth=3
	s_and_not1_saveexec_b32 s14, s75
	s_cbranch_execz .LBB6_26857
; %bb.27893:                            ;   in Loop: Header=BB6_26858 Depth=3
	s_mov_b32 s75, exec_lo
                                        ; implicit-def: $vgpr2
	v_cmpx_ne_u64_e32 0, v[0:1]
	s_xor_b32 s75, exec_lo, s75
; %bb.27894:                            ;   in Loop: Header=BB6_26858 Depth=3
	v_or_b32_e32 v2, 0x7f, v7
                                        ; implicit-def: $vgpr3
; %bb.27895:                            ;   in Loop: Header=BB6_26858 Depth=3
	s_and_not1_saveexec_b32 s75, s75
	s_cbranch_execz .LBB6_26856
; %bb.27896:                            ;   in Loop: Header=BB6_26858 Depth=3
	v_cmp_lt_i32_e32 vcc_lo, -1, v3
	v_mov_b32_e32 v0, 0x7c
	s_delay_alu instid0(VALU_DEP_1)
	v_cndmask_b32_e32 v2, 0xfc, v0, vcc_lo
	s_branch .LBB6_26856
.LBB6_27897:                            ;   in Loop: Header=BB6_26858 Depth=3
	s_or_saveexec_b32 s14, s14
	v_bfrev_b32_e32 v1, 1
	s_xor_b32 exec_lo, exec_lo, s14
	s_cbranch_execz .LBB6_27360
.LBB6_27898:                            ;   in Loop: Header=BB6_26858 Depth=3
	v_cmp_ne_u16_e32 vcc_lo, 0, v3
	v_mov_b32_e32 v1, 0
	s_and_not1_b32 s75, s75, exec_lo
	s_and_b32 s76, vcc_lo, exec_lo
	s_delay_alu instid0(SALU_CYCLE_1)
	s_or_b32 s75, s75, s76
	s_or_b32 exec_lo, exec_lo, s14
	s_and_saveexec_b32 s14, s75
	s_cbranch_execnz .LBB6_27361
	s_branch .LBB6_27362
.LBB6_27899:                            ;   in Loop: Header=BB6_26858 Depth=3
	s_or_saveexec_b32 s14, s14
	v_bfrev_b32_e32 v3, 1
	s_xor_b32 exec_lo, exec_lo, s14
	s_cbranch_execz .LBB6_27396
.LBB6_27900:                            ;   in Loop: Header=BB6_26858 Depth=3
	v_cmp_ne_u16_e32 vcc_lo, 0, v2
	v_mov_b32_e32 v3, 0
	s_and_not1_b32 s75, s75, exec_lo
	s_and_b32 s76, vcc_lo, exec_lo
	s_delay_alu instid0(SALU_CYCLE_1)
	s_or_b32 s75, s75, s76
	s_or_b32 exec_lo, exec_lo, s14
	s_and_saveexec_b32 s14, s75
	s_cbranch_execnz .LBB6_27397
	s_branch .LBB6_27398
.LBB6_27901:                            ;   in Loop: Header=BB6_26858 Depth=3
	s_or_saveexec_b32 s14, s14
	v_bfrev_b32_e32 v3, 1
	s_xor_b32 exec_lo, exec_lo, s14
	s_cbranch_execz .LBB6_27432
.LBB6_27902:                            ;   in Loop: Header=BB6_26858 Depth=3
	v_cmp_ne_u16_e32 vcc_lo, 0, v6
	v_mov_b32_e32 v3, 0
	s_and_not1_b32 s75, s75, exec_lo
	s_and_b32 s76, vcc_lo, exec_lo
	s_delay_alu instid0(SALU_CYCLE_1)
	s_or_b32 s75, s75, s76
	s_or_b32 exec_lo, exec_lo, s14
	s_and_saveexec_b32 s14, s75
	s_cbranch_execnz .LBB6_27433
	s_branch .LBB6_27434
.LBB6_27903:                            ;   in Loop: Header=BB6_26858 Depth=3
	s_or_saveexec_b32 s14, s14
	v_bfrev_b32_e32 v1, 1
	s_xor_b32 exec_lo, exec_lo, s14
	s_cbranch_execz .LBB6_27498
.LBB6_27904:                            ;   in Loop: Header=BB6_26858 Depth=3
	v_cmp_ne_u16_e32 vcc_lo, 0, v3
	v_mov_b32_e32 v1, 0
	s_and_not1_b32 s75, s75, exec_lo
	s_and_b32 s76, vcc_lo, exec_lo
	s_delay_alu instid0(SALU_CYCLE_1)
	s_or_b32 s75, s75, s76
	s_or_b32 exec_lo, exec_lo, s14
	v_mov_b32_e32 v3, v113
	s_and_saveexec_b32 s14, s75
	s_cbranch_execnz .LBB6_27499
	s_branch .LBB6_27500
.LBB6_27905:                            ;   in Loop: Header=BB6_26858 Depth=3
	s_or_saveexec_b32 s14, s14
	v_bfrev_b32_e32 v3, 1
	s_xor_b32 exec_lo, exec_lo, s14
	s_cbranch_execz .LBB6_27534
.LBB6_27906:                            ;   in Loop: Header=BB6_26858 Depth=3
	v_cmp_ne_u16_e32 vcc_lo, 0, v6
	v_mov_b32_e32 v3, 0
	s_and_not1_b32 s75, s75, exec_lo
	s_and_b32 s76, vcc_lo, exec_lo
	s_delay_alu instid0(SALU_CYCLE_1)
	s_or_b32 s75, s75, s76
	s_or_b32 exec_lo, exec_lo, s14
	s_and_saveexec_b32 s14, s75
	s_cbranch_execnz .LBB6_27535
	s_branch .LBB6_27536
.LBB6_27907:                            ;   in Loop: Header=BB6_26858 Depth=3
	s_or_saveexec_b32 s14, s14
	v_bfrev_b32_e32 v3, 1
	s_xor_b32 exec_lo, exec_lo, s14
	s_cbranch_execz .LBB6_27570
.LBB6_27908:                            ;   in Loop: Header=BB6_26858 Depth=3
	v_cmp_ne_u16_e32 vcc_lo, 0, v6
	v_mov_b32_e32 v3, 0
	s_and_not1_b32 s75, s75, exec_lo
	s_and_b32 s76, vcc_lo, exec_lo
	s_delay_alu instid0(SALU_CYCLE_1)
	s_or_b32 s75, s75, s76
	s_or_b32 exec_lo, exec_lo, s14
	s_and_saveexec_b32 s14, s75
	s_cbranch_execnz .LBB6_27571
	s_branch .LBB6_27572
.LBB6_27909:                            ;   in Loop: Header=BB6_26858 Depth=3
	s_or_saveexec_b32 s14, s14
	v_bfrev_b32_e32 v1, 1
	s_xor_b32 exec_lo, exec_lo, s14
	s_cbranch_execz .LBB6_27636
.LBB6_27910:                            ;   in Loop: Header=BB6_26858 Depth=3
	v_cmp_ne_u16_e32 vcc_lo, 0, v3
	v_mov_b32_e32 v1, 0
	s_and_not1_b32 s75, s75, exec_lo
	s_and_b32 s76, vcc_lo, exec_lo
	s_delay_alu instid0(SALU_CYCLE_1)
	s_or_b32 s75, s75, s76
	s_or_b32 exec_lo, exec_lo, s14
	s_and_saveexec_b32 s14, s75
	s_cbranch_execnz .LBB6_27637
	s_branch .LBB6_27638
.LBB6_27911:                            ;   in Loop: Header=BB6_26858 Depth=3
	s_or_saveexec_b32 s14, s14
	v_bfrev_b32_e32 v3, 1
	s_xor_b32 exec_lo, exec_lo, s14
	s_cbranch_execz .LBB6_27672
.LBB6_27912:                            ;   in Loop: Header=BB6_26858 Depth=3
	v_cmp_ne_u16_e32 vcc_lo, 0, v2
	v_mov_b32_e32 v3, 0
	s_and_not1_b32 s75, s75, exec_lo
	s_and_b32 s76, vcc_lo, exec_lo
	s_delay_alu instid0(SALU_CYCLE_1)
	s_or_b32 s75, s75, s76
	s_or_b32 exec_lo, exec_lo, s14
	s_and_saveexec_b32 s14, s75
	s_cbranch_execnz .LBB6_27673
	s_branch .LBB6_27674
.LBB6_27913:                            ;   in Loop: Header=BB6_26858 Depth=3
	s_or_saveexec_b32 s14, s14
	v_bfrev_b32_e32 v3, 1
	s_xor_b32 exec_lo, exec_lo, s14
	s_cbranch_execz .LBB6_27708
.LBB6_27914:                            ;   in Loop: Header=BB6_26858 Depth=3
	v_cmp_ne_u16_e32 vcc_lo, 0, v6
	v_mov_b32_e32 v3, 0
	s_and_not1_b32 s75, s75, exec_lo
	s_and_b32 s76, vcc_lo, exec_lo
	s_delay_alu instid0(SALU_CYCLE_1)
	s_or_b32 s75, s75, s76
	s_or_b32 exec_lo, exec_lo, s14
	s_and_saveexec_b32 s14, s75
	s_cbranch_execnz .LBB6_27709
	s_branch .LBB6_27710
.LBB6_27915:                            ;   in Loop: Header=BB6_26858 Depth=3
	s_or_saveexec_b32 s14, s14
	v_bfrev_b32_e32 v1, 1
	s_xor_b32 exec_lo, exec_lo, s14
	s_cbranch_execz .LBB6_27774
.LBB6_27916:                            ;   in Loop: Header=BB6_26858 Depth=3
	v_cmp_ne_u16_e32 vcc_lo, 0, v3
	v_mov_b32_e32 v1, 0
	s_and_not1_b32 s75, s75, exec_lo
	s_and_b32 s76, vcc_lo, exec_lo
	s_delay_alu instid0(SALU_CYCLE_1)
	s_or_b32 s75, s75, s76
	s_or_b32 exec_lo, exec_lo, s14
	v_mov_b32_e32 v3, v113
	s_and_saveexec_b32 s14, s75
	s_cbranch_execnz .LBB6_27775
	s_branch .LBB6_27776
.LBB6_27917:                            ;   in Loop: Header=BB6_26858 Depth=3
	s_or_saveexec_b32 s14, s14
	v_bfrev_b32_e32 v3, 1
	s_xor_b32 exec_lo, exec_lo, s14
	s_cbranch_execz .LBB6_27810
.LBB6_27918:                            ;   in Loop: Header=BB6_26858 Depth=3
	v_cmp_ne_u16_e32 vcc_lo, 0, v6
	v_mov_b32_e32 v3, 0
	s_and_not1_b32 s75, s75, exec_lo
	s_and_b32 s76, vcc_lo, exec_lo
	s_delay_alu instid0(SALU_CYCLE_1)
	s_or_b32 s75, s75, s76
	s_or_b32 exec_lo, exec_lo, s14
	s_and_saveexec_b32 s14, s75
	s_cbranch_execnz .LBB6_27811
	s_branch .LBB6_27812
.LBB6_27919:                            ;   in Loop: Header=BB6_26858 Depth=3
	s_or_saveexec_b32 s14, s14
	v_bfrev_b32_e32 v3, 1
	s_xor_b32 exec_lo, exec_lo, s14
	s_cbranch_execz .LBB6_27846
.LBB6_27920:                            ;   in Loop: Header=BB6_26858 Depth=3
	v_cmp_ne_u16_e32 vcc_lo, 0, v6
	v_mov_b32_e32 v3, 0
	s_and_not1_b32 s75, s75, exec_lo
	s_and_b32 s76, vcc_lo, exec_lo
	s_delay_alu instid0(SALU_CYCLE_1)
	s_or_b32 s75, s75, s76
	s_or_b32 exec_lo, exec_lo, s14
	s_and_saveexec_b32 s14, s75
	s_cbranch_execnz .LBB6_27847
	s_branch .LBB6_27848
.LBB6_27921:                            ;   in Loop: Header=BB6_14108 Depth=2
	s_or_b32 exec_lo, exec_lo, s43
.LBB6_27922:                            ;   in Loop: Header=BB6_14108 Depth=2
	s_delay_alu instid0(SALU_CYCLE_1)
	s_or_b32 exec_lo, exec_lo, s42
	s_clause 0x1
	scratch_load_b32 v0, off, s33 offset:432
	scratch_load_b64 v[2:3], off, s33 offset:272
	v_cmp_lt_i32_e32 vcc_lo, 0, v22
	s_wait_loadcnt 0x0
	v_dual_cndmask_b32 v2, 0, v2, vcc_lo :: v_dual_bitop2_b32 v0, 15, v0 bitop3:0x40
	s_delay_alu instid0(VALU_DEP_1) | instskip(NEXT) | instid1(VALU_DEP_1)
	v_dual_sub_nc_u32 v1, v21, v0 :: v_dual_cndmask_b32 v126, v21, v0, s13
	v_dual_cndmask_b32 v0, 0, v1, s13 :: v_dual_sub_nc_u32 v1, v2, v22
	s_delay_alu instid0(VALU_DEP_2) | instskip(NEXT) | instid1(VALU_DEP_2)
	v_cmp_ne_u32_e32 vcc_lo, 0, v126
	v_add3_u32 v8, v20, v18, v0
	s_delay_alu instid0(VALU_DEP_3)
	v_lshl_add_u32 v4, v1, 5, v19
	s_and_b32 s13, vcc_lo, exec_lo
.LBB6_27923:                            ;   in Loop: Header=BB6_14108 Depth=2
	s_wait_xcnt 0x0
	s_or_b32 exec_lo, exec_lo, s15
	s_and_saveexec_b32 s42, s13
	s_cbranch_execz .LBB6_30522
.LBB6_27924:                            ;   in Loop: Header=BB6_14108 Depth=2
	s_wait_loadcnt 0x0
	v_dual_ashrrev_i32 v0, 31, v4 :: v_dual_ashrrev_i32 v1, 31, v126
	s_mov_b32 s43, exec_lo
	s_delay_alu instid0(VALU_DEP_1) | instskip(NEXT) | instid1(VALU_DEP_1)
	v_dual_lshrrev_b32 v0, 27, v0 :: v_dual_lshrrev_b32 v1, 22, v1
	v_dual_add_nc_u32 v0, v4, v0 :: v_dual_add_nc_u32 v1, v126, v1
	s_delay_alu instid0(VALU_DEP_1) | instskip(NEXT) | instid1(VALU_DEP_1)
	v_dual_ashrrev_i32 v3, 5, v0 :: v_dual_ashrrev_i32 v1, 10, v1
	v_sub_nc_u32_e32 v112, v1, v3
	s_delay_alu instid0(VALU_DEP_1)
	v_cmpx_lt_i32_e32 0, v112
	s_cbranch_execz .LBB6_30432
; %bb.27925:                            ;   in Loop: Header=BB6_14108 Depth=2
	v_and_b32_e32 v2, 0xffffffe0, v0
	scratch_store_b32 off, v1, s33 offset:468 ; 4-byte Folded Spill
	s_trap 2
	s_clause 0x2
	scratch_store_b32 off, v3, s33 offset:464
	scratch_store_b32 off, v4, s33 offset:444
	;; [unrolled: 1-line block ×3, first 2 shown]
	s_wait_xcnt 0x2
	v_dual_lshlrev_b32 v3, 10, v3 :: v_dual_sub_nc_u32 v2, v4, v2
	scratch_load_b64 v[4:5], off, s33 offset:436 th:TH_LOAD_LU ; 8-byte Folded Reload
	ds_load_b64 v[0:1], v0
	s_mov_b32 s73, 0
	v_add3_u32 v2, v8, v2, v3
	s_delay_alu instid0(VALU_DEP_1) | instskip(SKIP_1) | instid1(VALU_DEP_1)
	v_ashrrev_i32_e32 v3, 31, v2
	s_wait_xcnt 0x1
	v_add_nc_u64_e32 v[8:9], v[2:3], v[50:51]
	s_wait_dscnt 0x0
	v_add_nc_u64_e32 v[10:11], v[0:1], v[2:3]
	s_wait_loadcnt 0x0
	v_add_nc_u64_e32 v[4:5], 0x3e0, v[4:5]
	s_delay_alu instid0(VALU_DEP_1)
	v_add_nc_u64_e32 v[12:13], v[4:5], v[2:3]
	s_branch .LBB6_27928
.LBB6_27926:                            ;   in Loop: Header=BB6_27928 Depth=3
	s_or_b32 exec_lo, exec_lo, s14
.LBB6_27927:                            ;   in Loop: Header=BB6_27928 Depth=3
	s_delay_alu instid0(SALU_CYCLE_1)
	s_or_b32 exec_lo, exec_lo, s13
	s_clause 0x17
	flat_store_b8 v[12:13], v56 offset:-992 th:TH_STORE_NT
	flat_store_b8 v[12:13], v22 offset:-960 th:TH_STORE_NT
	;; [unrolled: 1-line block ×24, first 2 shown]
	scratch_load_b64 v[0:1], off, s33 offset:272 ; 8-byte Folded Reload
	s_clause 0x7
	flat_store_b8 v[12:13], v37 offset:-224 th:TH_STORE_NT
	flat_store_b8 v[12:13], v38 offset:-192 th:TH_STORE_NT
	flat_store_b8 v[12:13], v4 offset:-160 th:TH_STORE_NT
	flat_store_b8 v[12:13], v5 offset:-128 th:TH_STORE_NT
	flat_store_b8 v[12:13], v26 offset:-96 th:TH_STORE_NT
	flat_store_b8 v[12:13], v27 offset:-64 th:TH_STORE_NT
	flat_store_b8 v[12:13], v39 offset:-32 th:TH_STORE_NT
	flat_store_b8 v[12:13], v2 th:TH_STORE_NT
	s_wait_loadcnt 0x0
	v_sub_nc_u32_e32 v112, v112, v0
	scratch_load_b64 v[0:1], off, s33 offset:280 ; 8-byte Folded Reload
	v_cmp_gt_i32_e32 vcc_lo, 1, v112
	s_or_b32 s73, vcc_lo, s73
	s_wait_loadcnt 0x0
	v_add_nc_u64_e32 v[8:9], v[8:9], v[0:1]
	v_add_nc_u64_e32 v[10:11], v[10:11], v[0:1]
	s_wait_xcnt 0x1
	v_add_nc_u64_e32 v[12:13], v[12:13], v[0:1]
	s_wait_xcnt 0x0
	s_and_not1_b32 exec_lo, exec_lo, s73
	s_cbranch_execz .LBB6_30431
.LBB6_27928:                            ;   Parent Loop BB6_47 Depth=1
                                        ;     Parent Loop BB6_14108 Depth=2
                                        ; =>    This Inner Loop Header: Depth=3
	s_trap 2
	ds_load_b64 v[0:1], v0
	s_mov_b32 s74, 0
	s_wait_dscnt 0x0
	v_and_b32_e32 v2, 0xff, v0
	v_readfirstlane_b32 s14, v0
	v_readfirstlane_b32 s15, v1
	s_delay_alu instid0(VALU_DEP_3)
	v_cmp_eq_u32_e32 vcc_lo, 0, v2
	s_cbranch_vccnz .LBB6_27936
; %bb.27929:                            ;   in Loop: Header=BB6_27928 Depth=3
	s_bfe_i32 s75, s14, 0x80000
	s_brev_b32 s74, 1
	s_and_b32 s13, 0xffff, s75
	s_delay_alu instid0(SALU_CYCLE_1)
	s_cmp_eq_u32 s13, 0xff80
	s_cbranch_scc1 .LBB6_27936
; %bb.27930:                            ;   in Loop: Header=BB6_27928 Depth=3
	s_and_b32 s74, s14, 0x7c
	s_and_b32 s13, s14, 3
	s_mov_b32 s76, -1
	s_cmp_lg_u32 s74, 0x7c
	s_sext_i32_i16 s75, s75
                                        ; implicit-def: $sgpr74
	s_cbranch_scc0 .LBB6_27934
; %bb.27931:                            ;   in Loop: Header=BB6_27928 Depth=3
	s_bfe_u32 s74, s14, 0x50002
	s_mov_b32 s76, s13
	s_cmp_lg_u32 s74, 0
	s_cbranch_scc1 .LBB6_27933
; %bb.27932:                            ;   in Loop: Header=BB6_27928 Depth=3
	s_clz_i32_u32 s74, s13
	s_delay_alu instid0(SALU_CYCLE_1) | instskip(NEXT) | instid1(SALU_CYCLE_1)
	s_min_u32 s74, s74, 32
	s_sub_co_i32 s76, s74, 29
	s_sub_co_i32 s74, 30, s74
	s_lshl_b64 s[14:15], s[14:15], s76
	s_delay_alu instid0(SALU_CYCLE_1)
	s_and_b32 s76, s14, 3
.LBB6_27933:                            ;   in Loop: Header=BB6_27928 Depth=3
	s_and_b32 s14, s75, 0x80000000
	s_lshl_b32 s15, s74, 23
	s_lshl_b32 s74, s76, 21
	s_add_co_i32 s15, s15, s14
	s_mov_b32 s76, 0
	s_or_b32 s14, s15, s74
	s_delay_alu instid0(SALU_CYCLE_1)
	s_add_co_i32 s74, s14, 0x38000000
.LBB6_27934:                            ;   in Loop: Header=BB6_27928 Depth=3
	s_and_b32 vcc_lo, exec_lo, s76
	s_cbranch_vccz .LBB6_27936
; %bb.27935:                            ;   in Loop: Header=BB6_27928 Depth=3
	s_cmp_gt_i32 s75, -1
	s_cselect_b32 s14, s47, 0xff800000
	s_cmp_eq_u32 s13, 0
	s_cselect_b32 s74, s14, 0x7f800001
.LBB6_27936:                            ;   in Loop: Header=BB6_27928 Depth=3
	flat_load_i8 v0, v[8:9] th:TH_LOAD_NT
	v_mov_b32_e32 v2, 0
	s_mov_b32 s13, exec_lo
	s_wait_loadcnt_dscnt 0x0
	s_wait_xcnt 0x0
	v_cmpx_ne_u16_e32 0, v0
	s_cbranch_execz .LBB6_27946
; %bb.27937:                            ;   in Loop: Header=BB6_27928 Depth=3
	v_bfrev_b32_e32 v2, 1
	s_mov_b32 s14, exec_lo
	v_cmpx_ne_u16_e32 0xff80, v0
	s_cbranch_execz .LBB6_27945
; %bb.27938:                            ;   in Loop: Header=BB6_27928 Depth=3
	v_and_b32_e32 v2, 0x7c, v0
	v_and_b32_e32 v1, 3, v0
	s_delay_alu instid0(VALU_DEP_2) | instskip(SKIP_1) | instid1(SALU_CYCLE_1)
	v_cmp_ne_u32_e32 vcc_lo, 0x7c, v2
                                        ; implicit-def: $vgpr2
	s_and_saveexec_b32 s15, vcc_lo
	s_xor_b32 s15, exec_lo, s15
	s_cbranch_execz .LBB6_27942
; %bb.27939:                            ;   in Loop: Header=BB6_27928 Depth=3
	v_and_b32_e32 v2, 0xff, v0
	s_mov_b32 s75, exec_lo
	s_delay_alu instid0(VALU_DEP_1) | instskip(NEXT) | instid1(VALU_DEP_1)
	v_bfe_u32 v2, v2, 2, 5
	v_cmpx_eq_u32_e32 0, v2
	s_cbranch_execz .LBB6_27941
; %bb.27940:                            ;   in Loop: Header=BB6_27928 Depth=3
	v_clz_i32_u32_e32 v1, v1
	s_delay_alu instid0(VALU_DEP_1) | instskip(SKIP_1) | instid1(VALU_DEP_2)
	v_min_u32_e32 v2, 32, v1
	v_mov_b32_e32 v1, v113
	v_subrev_nc_u32_e32 v3, 29, v2
	v_sub_nc_u32_e32 v2, 30, v2
	s_delay_alu instid0(VALU_DEP_2) | instskip(NEXT) | instid1(VALU_DEP_1)
	v_lshlrev_b64_e32 v[4:5], v3, v[0:1]
	v_and_b32_e32 v1, 3, v4
.LBB6_27941:                            ;   in Loop: Header=BB6_27928 Depth=3
	s_or_b32 exec_lo, exec_lo, s75
	v_bfe_i32 v0, v0, 0, 16
	s_delay_alu instid0(VALU_DEP_1) | instskip(NEXT) | instid1(VALU_DEP_1)
	v_and_b32_e32 v0, 0x80000000, v0
	v_lshl_add_u32 v0, v2, 23, v0
	s_delay_alu instid0(VALU_DEP_1) | instskip(NEXT) | instid1(VALU_DEP_1)
	v_lshl_or_b32 v0, v1, 21, v0
                                        ; implicit-def: $vgpr1
	v_add_nc_u32_e32 v2, 0x38000000, v0
                                        ; implicit-def: $vgpr0
.LBB6_27942:                            ;   in Loop: Header=BB6_27928 Depth=3
	s_and_not1_saveexec_b32 s15, s15
; %bb.27943:                            ;   in Loop: Header=BB6_27928 Depth=3
	v_cmp_lt_i16_e32 vcc_lo, -1, v0
	v_mov_b32_e32 v0, 0x7f800000
	s_delay_alu instid0(VALU_DEP_1) | instskip(SKIP_1) | instid1(VALU_DEP_2)
	v_cndmask_b32_e32 v0, 0xff800000, v0, vcc_lo
	v_cmp_eq_u32_e32 vcc_lo, 0, v1
	v_cndmask_b32_e32 v2, 0x7f800001, v0, vcc_lo
; %bb.27944:                            ;   in Loop: Header=BB6_27928 Depth=3
	s_or_b32 exec_lo, exec_lo, s15
.LBB6_27945:                            ;   in Loop: Header=BB6_27928 Depth=3
	s_delay_alu instid0(SALU_CYCLE_1)
	s_or_b32 exec_lo, exec_lo, s14
.LBB6_27946:                            ;   in Loop: Header=BB6_27928 Depth=3
	s_delay_alu instid0(SALU_CYCLE_1) | instskip(NEXT) | instid1(VALU_DEP_1)
	s_or_b32 exec_lo, exec_lo, s13
	v_dual_mul_f32 v3, s74, v2 :: v_dual_mov_b32 v1, v113
                                        ; implicit-def: $vgpr2
	s_delay_alu instid0(VALU_DEP_1) | instskip(NEXT) | instid1(VALU_DEP_1)
	v_and_b32_e32 v0, 0x7f800000, v3
	v_cmp_ne_u64_e32 vcc_lo, 0x7f800000, v[0:1]
	v_and_b32_e32 v0, 0x7fffff, v3
	s_and_saveexec_b32 s13, vcc_lo
	s_delay_alu instid0(SALU_CYCLE_1)
	s_xor_b32 s14, exec_lo, s13
	s_cbranch_execz .LBB6_27964
; %bb.27947:                            ;   in Loop: Header=BB6_27928 Depth=3
	v_and_b32_e32 v4, 0x7fffffff, v3
	v_dual_mov_b32 v5, v113 :: v_dual_lshrrev_b32 v2, 24, v3
	s_delay_alu instid0(VALU_DEP_1) | instskip(NEXT) | instid1(VALU_DEP_2)
	v_cmp_gt_u64_e32 vcc_lo, 0x47600001, v[4:5]
	v_and_b32_e32 v4, 0x80, v2
                                        ; implicit-def: $vgpr2
	s_and_saveexec_b32 s13, vcc_lo
	s_delay_alu instid0(SALU_CYCLE_1)
	s_xor_b32 s15, exec_lo, s13
	s_cbranch_execz .LBB6_27961
; %bb.27948:                            ;   in Loop: Header=BB6_27928 Depth=3
	v_mov_b32_e32 v2, 0
	s_mov_b32 s75, exec_lo
	v_cmpx_ne_u32_e32 0, v3
	s_cbranch_execz .LBB6_27960
; %bb.27949:                            ;   in Loop: Header=BB6_27928 Depth=3
	v_bfe_u32 v5, v3, 23, 8
	v_or_b32_e32 v7, 0x800000, v0
	s_delay_alu instid0(VALU_DEP_2) | instskip(SKIP_1) | instid1(VALU_DEP_2)
	v_sub_nc_u32_e32 v2, 0x71, v5
	v_cmp_gt_u32_e32 vcc_lo, 0x72, v5
	v_cndmask_b32_e32 v2, 0, v2, vcc_lo
	v_cmp_eq_u32_e32 vcc_lo, 0, v5
	v_cndmask_b32_e32 v0, v7, v0, vcc_lo
	s_delay_alu instid0(VALU_DEP_3) | instskip(NEXT) | instid1(VALU_DEP_1)
	v_cndmask_b32_e64 v6, v2, 0x70, vcc_lo
	v_dual_add_nc_u32 v2, 21, v6 :: v_dual_add_nc_u32 v14, 20, v6
	s_delay_alu instid0(VALU_DEP_1) | instskip(NEXT) | instid1(VALU_DEP_2)
	v_lshlrev_b64_e64 v[2:3], v2, -1
	v_lshlrev_b64_e64 v[14:15], v14, 1
	s_delay_alu instid0(VALU_DEP_2) | instskip(SKIP_1) | instid1(VALU_DEP_4)
	v_bfi_b32 v2, v2, 0, v0
	v_lshrrev_b64 v[0:1], v6, v[0:1]
	v_bfi_b32 v3, v3, 0, 0
	s_delay_alu instid0(VALU_DEP_1) | instskip(NEXT) | instid1(VALU_DEP_3)
	v_cmp_eq_u64_e64 s13, v[2:3], v[14:15]
	v_mov_b64_e32 v[2:3], v[0:1]
	s_and_saveexec_b32 s76, s13
; %bb.27950:                            ;   in Loop: Header=BB6_27928 Depth=3
	v_bfe_u32 v2, v0, 21, 1
	v_mov_b32_e32 v3, v113
	s_delay_alu instid0(VALU_DEP_1) | instskip(NEXT) | instid1(VALU_DEP_1)
	v_add_nc_u64_e32 v[2:3], v[0:1], v[2:3]
	v_add_nc_u64_e32 v[2:3], -1, v[2:3]
; %bb.27951:                            ;   in Loop: Header=BB6_27928 Depth=3
	s_or_b32 exec_lo, exec_lo, s76
	v_add_nc_u32_e32 v1, 0xffffff81, v5
	v_lshrrev_b32_e32 v3, 23, v0
	s_mov_b32 s13, exec_lo
	s_delay_alu instid0(VALU_DEP_2) | instskip(NEXT) | instid1(VALU_DEP_1)
	v_cndmask_b32_e64 v1, v1, 0xffffff82, vcc_lo
	v_add3_u32 v5, v6, v1, v3
	v_and_b32_e32 v1, 0x1fffff, v2
                                        ; implicit-def: $vgpr3
	s_delay_alu instid0(VALU_DEP_1) | instskip(SKIP_1) | instid1(VALU_DEP_2)
	v_dual_add_nc_u32 v2, 14, v5 :: v_dual_add_nc_u32 v0, v1, v0
	v_mov_b32_e32 v1, v113
	v_cmpx_ne_u32_e32 0, v2
	s_xor_b32 s13, exec_lo, s13
; %bb.27952:                            ;   in Loop: Header=BB6_27928 Depth=3
	s_delay_alu instid0(VALU_DEP_2) | instskip(SKIP_1) | instid1(VALU_DEP_1)
	v_cmp_lt_u64_e32 vcc_lo, 0xffffff, v[0:1]
	v_add_nc_u32_e32 v3, 15, v5
	v_cndmask_b32_e32 v3, v2, v3, vcc_lo
	v_cndmask_b32_e64 v2, 0, 1, vcc_lo
	s_delay_alu instid0(VALU_DEP_1)
	v_lshrrev_b64 v[0:1], v2, v[0:1]
; %bb.27953:                            ;   in Loop: Header=BB6_27928 Depth=3
	s_and_not1_saveexec_b32 s13, s13
; %bb.27954:                            ;   in Loop: Header=BB6_27928 Depth=3
	s_delay_alu instid0(VALU_DEP_1)
	v_bfe_u32 v3, v0, 23, 1
; %bb.27955:                            ;   in Loop: Header=BB6_27928 Depth=3
	s_or_b32 exec_lo, exec_lo, s13
	s_delay_alu instid0(VALU_DEP_2) | instskip(NEXT) | instid1(VALU_DEP_2)
	v_lshrrev_b64 v[0:1], 21, v[0:1]
	v_cmp_gt_i32_e32 vcc_lo, 32, v3
	v_cmp_ne_u32_e64 s13, 0, v3
                                        ; implicit-def: $vgpr2
	s_delay_alu instid0(VALU_DEP_3) | instskip(NEXT) | instid1(VALU_DEP_1)
	v_dual_cndmask_b32 v1, 0, v1 :: v_dual_cndmask_b32 v0, 3, v0
	v_cmp_ne_u64_e32 vcc_lo, 0, v[0:1]
	s_or_b32 s13, s13, vcc_lo
	s_delay_alu instid0(SALU_CYCLE_1) | instskip(NEXT) | instid1(SALU_CYCLE_1)
	s_and_saveexec_b32 s76, s13
	s_xor_b32 s13, exec_lo, s76
; %bb.27956:                            ;   in Loop: Header=BB6_27928 Depth=3
	v_min_i32_e32 v1, 31, v3
	s_delay_alu instid0(VALU_DEP_1) | instskip(NEXT) | instid1(VALU_DEP_1)
	v_lshl_or_b32 v1, v1, 2, v4
                                        ; implicit-def: $vgpr4
	v_and_or_b32 v2, v0, 3, v1
; %bb.27957:                            ;   in Loop: Header=BB6_27928 Depth=3
	s_and_not1_saveexec_b32 s13, s13
; %bb.27958:                            ;   in Loop: Header=BB6_27928 Depth=3
	v_mov_b32_e32 v2, v4
; %bb.27959:                            ;   in Loop: Header=BB6_27928 Depth=3
	s_or_b32 exec_lo, exec_lo, s13
.LBB6_27960:                            ;   in Loop: Header=BB6_27928 Depth=3
	s_delay_alu instid0(SALU_CYCLE_1)
	s_or_b32 exec_lo, exec_lo, s75
                                        ; implicit-def: $vgpr4
.LBB6_27961:                            ;   in Loop: Header=BB6_27928 Depth=3
	s_and_not1_saveexec_b32 s13, s15
; %bb.27962:                            ;   in Loop: Header=BB6_27928 Depth=3
	v_or_b32_e32 v2, 0x7b, v4
; %bb.27963:                            ;   in Loop: Header=BB6_27928 Depth=3
	s_or_b32 exec_lo, exec_lo, s13
                                        ; implicit-def: $vgpr3
                                        ; implicit-def: $vgpr0_vgpr1
.LBB6_27964:                            ;   in Loop: Header=BB6_27928 Depth=3
	s_and_not1_saveexec_b32 s13, s14
	s_cbranch_execz .LBB6_27970
; %bb.27965:                            ;   in Loop: Header=BB6_27928 Depth=3
	s_mov_b32 s14, exec_lo
                                        ; implicit-def: $vgpr2
	v_cmpx_ne_u64_e32 0, v[0:1]
	s_xor_b32 s14, exec_lo, s14
; %bb.27966:                            ;   in Loop: Header=BB6_27928 Depth=3
	v_lshrrev_b32_e32 v0, 24, v3
                                        ; implicit-def: $vgpr3
	s_delay_alu instid0(VALU_DEP_1)
	v_or_b32_e32 v2, 0x7f, v0
; %bb.27967:                            ;   in Loop: Header=BB6_27928 Depth=3
	s_and_not1_saveexec_b32 s14, s14
; %bb.27968:                            ;   in Loop: Header=BB6_27928 Depth=3
	v_cmp_lt_i32_e32 vcc_lo, -1, v3
	v_cndmask_b32_e64 v2, -4, 0x7c, vcc_lo
; %bb.27969:                            ;   in Loop: Header=BB6_27928 Depth=3
	s_or_b32 exec_lo, exec_lo, s14
.LBB6_27970:                            ;   in Loop: Header=BB6_27928 Depth=3
	s_delay_alu instid0(SALU_CYCLE_1)
	s_or_b32 exec_lo, exec_lo, s13
	flat_load_i8 v0, v[8:9] offset:32 th:TH_LOAD_NT
	v_mov_b32_e32 v3, 0
	s_mov_b32 s13, exec_lo
	s_wait_loadcnt_dscnt 0x0
	s_wait_xcnt 0x0
	v_cmpx_ne_u16_e32 0, v0
	s_cbranch_execz .LBB6_27980
; %bb.27971:                            ;   in Loop: Header=BB6_27928 Depth=3
	v_bfrev_b32_e32 v3, 1
	s_mov_b32 s14, exec_lo
	v_cmpx_ne_u16_e32 0xff80, v0
	s_cbranch_execz .LBB6_27979
; %bb.27972:                            ;   in Loop: Header=BB6_27928 Depth=3
	v_and_b32_e32 v3, 0x7c, v0
	v_and_b32_e32 v1, 3, v0
	s_delay_alu instid0(VALU_DEP_2) | instskip(SKIP_1) | instid1(SALU_CYCLE_1)
	v_cmp_ne_u32_e32 vcc_lo, 0x7c, v3
                                        ; implicit-def: $vgpr3
	s_and_saveexec_b32 s15, vcc_lo
	s_xor_b32 s15, exec_lo, s15
	s_cbranch_execz .LBB6_27976
; %bb.27973:                            ;   in Loop: Header=BB6_27928 Depth=3
	v_and_b32_e32 v3, 0xff, v0
	s_mov_b32 s75, exec_lo
	s_delay_alu instid0(VALU_DEP_1) | instskip(NEXT) | instid1(VALU_DEP_1)
	v_bfe_u32 v3, v3, 2, 5
	v_cmpx_eq_u32_e32 0, v3
	s_cbranch_execz .LBB6_27975
; %bb.27974:                            ;   in Loop: Header=BB6_27928 Depth=3
	v_clz_i32_u32_e32 v1, v1
	s_delay_alu instid0(VALU_DEP_1) | instskip(SKIP_1) | instid1(VALU_DEP_2)
	v_min_u32_e32 v3, 32, v1
	v_mov_b32_e32 v1, v113
	v_subrev_nc_u32_e32 v4, 29, v3
	v_sub_nc_u32_e32 v3, 30, v3
	s_delay_alu instid0(VALU_DEP_2) | instskip(NEXT) | instid1(VALU_DEP_1)
	v_lshlrev_b64_e32 v[4:5], v4, v[0:1]
	v_and_b32_e32 v1, 3, v4
.LBB6_27975:                            ;   in Loop: Header=BB6_27928 Depth=3
	s_or_b32 exec_lo, exec_lo, s75
	v_bfe_i32 v0, v0, 0, 16
	s_delay_alu instid0(VALU_DEP_1) | instskip(NEXT) | instid1(VALU_DEP_1)
	v_and_b32_e32 v0, 0x80000000, v0
	v_lshl_add_u32 v0, v3, 23, v0
	s_delay_alu instid0(VALU_DEP_1) | instskip(NEXT) | instid1(VALU_DEP_1)
	v_lshl_or_b32 v0, v1, 21, v0
                                        ; implicit-def: $vgpr1
	v_add_nc_u32_e32 v3, 0x38000000, v0
                                        ; implicit-def: $vgpr0
.LBB6_27976:                            ;   in Loop: Header=BB6_27928 Depth=3
	s_and_not1_saveexec_b32 s15, s15
; %bb.27977:                            ;   in Loop: Header=BB6_27928 Depth=3
	v_cmp_lt_i16_e32 vcc_lo, -1, v0
	v_mov_b32_e32 v0, 0x7f800000
	s_delay_alu instid0(VALU_DEP_1) | instskip(SKIP_1) | instid1(VALU_DEP_2)
	v_cndmask_b32_e32 v0, 0xff800000, v0, vcc_lo
	v_cmp_eq_u32_e32 vcc_lo, 0, v1
	v_cndmask_b32_e32 v3, 0x7f800001, v0, vcc_lo
; %bb.27978:                            ;   in Loop: Header=BB6_27928 Depth=3
	s_or_b32 exec_lo, exec_lo, s15
.LBB6_27979:                            ;   in Loop: Header=BB6_27928 Depth=3
	s_delay_alu instid0(SALU_CYCLE_1)
	s_or_b32 exec_lo, exec_lo, s14
.LBB6_27980:                            ;   in Loop: Header=BB6_27928 Depth=3
	s_delay_alu instid0(SALU_CYCLE_1) | instskip(NEXT) | instid1(VALU_DEP_1)
	s_or_b32 exec_lo, exec_lo, s13
	v_dual_mul_f32 v4, s74, v3 :: v_dual_mov_b32 v1, v113
                                        ; implicit-def: $vgpr42
	s_delay_alu instid0(VALU_DEP_1) | instskip(NEXT) | instid1(VALU_DEP_1)
	v_and_b32_e32 v0, 0x7f800000, v4
	v_cmp_ne_u64_e32 vcc_lo, 0x7f800000, v[0:1]
	v_and_b32_e32 v0, 0x7fffff, v4
	s_and_saveexec_b32 s13, vcc_lo
	s_delay_alu instid0(SALU_CYCLE_1)
	s_xor_b32 s14, exec_lo, s13
	s_cbranch_execz .LBB6_27998
; %bb.27981:                            ;   in Loop: Header=BB6_27928 Depth=3
	v_dual_mov_b32 v7, v113 :: v_dual_lshrrev_b32 v3, 24, v4
	v_and_b32_e32 v6, 0x7fffffff, v4
                                        ; implicit-def: $vgpr42
	s_mov_b32 s13, exec_lo
	s_delay_alu instid0(VALU_DEP_2) | instskip(NEXT) | instid1(VALU_DEP_2)
	v_and_b32_e32 v3, 0x80, v3
	v_cmpx_gt_u64_e32 0x47600001, v[6:7]
	s_xor_b32 s15, exec_lo, s13
	s_cbranch_execz .LBB6_27995
; %bb.27982:                            ;   in Loop: Header=BB6_27928 Depth=3
	v_mov_b32_e32 v42, 0
	s_mov_b32 s75, exec_lo
	v_cmpx_ne_u32_e32 0, v4
	s_cbranch_execz .LBB6_27994
; %bb.27983:                            ;   in Loop: Header=BB6_27928 Depth=3
	v_bfe_u32 v6, v4, 23, 8
	v_or_b32_e32 v14, 0x800000, v0
	s_delay_alu instid0(VALU_DEP_2) | instskip(SKIP_1) | instid1(VALU_DEP_2)
	v_sub_nc_u32_e32 v4, 0x71, v6
	v_cmp_gt_u32_e32 vcc_lo, 0x72, v6
	v_cndmask_b32_e32 v4, 0, v4, vcc_lo
	v_cmp_eq_u32_e32 vcc_lo, 0, v6
	s_delay_alu instid0(VALU_DEP_2) | instskip(NEXT) | instid1(VALU_DEP_1)
	v_cndmask_b32_e64 v7, v4, 0x70, vcc_lo
	v_dual_cndmask_b32 v0, v14, v0, vcc_lo :: v_dual_add_nc_u32 v4, 21, v7
	v_add_nc_u32_e32 v15, 20, v7
	s_delay_alu instid0(VALU_DEP_2) | instskip(NEXT) | instid1(VALU_DEP_2)
	v_lshlrev_b64_e64 v[4:5], v4, -1
	v_lshlrev_b64_e64 v[14:15], v15, 1
	s_delay_alu instid0(VALU_DEP_2) | instskip(SKIP_1) | instid1(VALU_DEP_4)
	v_bfi_b32 v4, v4, 0, v0
	v_lshrrev_b64 v[0:1], v7, v[0:1]
	v_bfi_b32 v5, v5, 0, 0
	s_delay_alu instid0(VALU_DEP_1) | instskip(NEXT) | instid1(VALU_DEP_3)
	v_cmp_eq_u64_e64 s13, v[4:5], v[14:15]
	v_mov_b64_e32 v[4:5], v[0:1]
	s_and_saveexec_b32 s76, s13
; %bb.27984:                            ;   in Loop: Header=BB6_27928 Depth=3
	v_bfe_u32 v4, v0, 21, 1
	v_mov_b32_e32 v5, v113
	s_delay_alu instid0(VALU_DEP_1) | instskip(NEXT) | instid1(VALU_DEP_1)
	v_add_nc_u64_e32 v[4:5], v[0:1], v[4:5]
	v_add_nc_u64_e32 v[4:5], -1, v[4:5]
; %bb.27985:                            ;   in Loop: Header=BB6_27928 Depth=3
	s_or_b32 exec_lo, exec_lo, s76
	v_add_nc_u32_e32 v1, 0xffffff81, v6
	v_lshrrev_b32_e32 v5, 23, v0
	s_mov_b32 s13, exec_lo
	s_delay_alu instid0(VALU_DEP_2) | instskip(NEXT) | instid1(VALU_DEP_1)
	v_cndmask_b32_e64 v1, v1, 0xffffff82, vcc_lo
	v_add3_u32 v5, v7, v1, v5
	v_and_b32_e32 v1, 0x1fffff, v4
                                        ; implicit-def: $vgpr4
	s_delay_alu instid0(VALU_DEP_1) | instskip(SKIP_1) | instid1(VALU_DEP_2)
	v_dual_add_nc_u32 v6, 14, v5 :: v_dual_add_nc_u32 v0, v1, v0
	v_mov_b32_e32 v1, v113
	v_cmpx_ne_u32_e32 0, v6
	s_xor_b32 s13, exec_lo, s13
; %bb.27986:                            ;   in Loop: Header=BB6_27928 Depth=3
	s_delay_alu instid0(VALU_DEP_2) | instskip(SKIP_2) | instid1(VALU_DEP_2)
	v_cmp_lt_u64_e32 vcc_lo, 0xffffff, v[0:1]
	v_add_nc_u32_e32 v4, 15, v5
	v_cndmask_b32_e64 v5, 0, 1, vcc_lo
	v_cndmask_b32_e32 v4, v6, v4, vcc_lo
	s_delay_alu instid0(VALU_DEP_2)
	v_lshrrev_b64 v[0:1], v5, v[0:1]
; %bb.27987:                            ;   in Loop: Header=BB6_27928 Depth=3
	s_and_not1_saveexec_b32 s13, s13
; %bb.27988:                            ;   in Loop: Header=BB6_27928 Depth=3
	s_delay_alu instid0(VALU_DEP_1)
	v_bfe_u32 v4, v0, 23, 1
; %bb.27989:                            ;   in Loop: Header=BB6_27928 Depth=3
	s_or_b32 exec_lo, exec_lo, s13
	s_delay_alu instid0(VALU_DEP_2) | instskip(NEXT) | instid1(VALU_DEP_2)
	v_lshrrev_b64 v[0:1], 21, v[0:1]
	v_cmp_gt_i32_e32 vcc_lo, 32, v4
	v_cmp_ne_u32_e64 s13, 0, v4
                                        ; implicit-def: $vgpr42
	s_delay_alu instid0(VALU_DEP_3) | instskip(NEXT) | instid1(VALU_DEP_1)
	v_dual_cndmask_b32 v1, 0, v1 :: v_dual_cndmask_b32 v0, 3, v0
	v_cmp_ne_u64_e32 vcc_lo, 0, v[0:1]
	s_or_b32 s13, s13, vcc_lo
	s_delay_alu instid0(SALU_CYCLE_1) | instskip(NEXT) | instid1(SALU_CYCLE_1)
	s_and_saveexec_b32 s76, s13
	s_xor_b32 s13, exec_lo, s76
; %bb.27990:                            ;   in Loop: Header=BB6_27928 Depth=3
	v_min_i32_e32 v1, 31, v4
	s_delay_alu instid0(VALU_DEP_1) | instskip(NEXT) | instid1(VALU_DEP_1)
	v_lshl_or_b32 v1, v1, 2, v3
                                        ; implicit-def: $vgpr3
	v_and_or_b32 v42, v0, 3, v1
; %bb.27991:                            ;   in Loop: Header=BB6_27928 Depth=3
	s_and_not1_saveexec_b32 s13, s13
; %bb.27992:                            ;   in Loop: Header=BB6_27928 Depth=3
	v_mov_b32_e32 v42, v3
; %bb.27993:                            ;   in Loop: Header=BB6_27928 Depth=3
	s_or_b32 exec_lo, exec_lo, s13
.LBB6_27994:                            ;   in Loop: Header=BB6_27928 Depth=3
	s_delay_alu instid0(SALU_CYCLE_1)
	s_or_b32 exec_lo, exec_lo, s75
                                        ; implicit-def: $vgpr3
.LBB6_27995:                            ;   in Loop: Header=BB6_27928 Depth=3
	s_and_not1_saveexec_b32 s13, s15
; %bb.27996:                            ;   in Loop: Header=BB6_27928 Depth=3
	v_or_b32_e32 v42, 0x7b, v3
; %bb.27997:                            ;   in Loop: Header=BB6_27928 Depth=3
	s_or_b32 exec_lo, exec_lo, s13
                                        ; implicit-def: $vgpr4
                                        ; implicit-def: $vgpr0_vgpr1
.LBB6_27998:                            ;   in Loop: Header=BB6_27928 Depth=3
	s_and_not1_saveexec_b32 s13, s14
	s_cbranch_execz .LBB6_28004
; %bb.27999:                            ;   in Loop: Header=BB6_27928 Depth=3
	s_mov_b32 s14, exec_lo
                                        ; implicit-def: $vgpr42
	v_cmpx_ne_u64_e32 0, v[0:1]
	s_xor_b32 s14, exec_lo, s14
; %bb.28000:                            ;   in Loop: Header=BB6_27928 Depth=3
	v_lshrrev_b32_e32 v0, 24, v4
                                        ; implicit-def: $vgpr4
	s_delay_alu instid0(VALU_DEP_1)
	v_or_b32_e32 v42, 0x7f, v0
; %bb.28001:                            ;   in Loop: Header=BB6_27928 Depth=3
	s_and_not1_saveexec_b32 s14, s14
; %bb.28002:                            ;   in Loop: Header=BB6_27928 Depth=3
	v_cmp_lt_i32_e32 vcc_lo, -1, v4
	v_cndmask_b32_e64 v42, -4, 0x7c, vcc_lo
; %bb.28003:                            ;   in Loop: Header=BB6_27928 Depth=3
	s_or_b32 exec_lo, exec_lo, s14
.LBB6_28004:                            ;   in Loop: Header=BB6_27928 Depth=3
	s_delay_alu instid0(SALU_CYCLE_1)
	s_or_b32 exec_lo, exec_lo, s13
	flat_load_i8 v0, v[8:9] offset:64 th:TH_LOAD_NT
	v_mov_b32_e32 v3, 0
	s_mov_b32 s13, exec_lo
	s_wait_loadcnt_dscnt 0x0
	s_wait_xcnt 0x0
	v_cmpx_ne_u16_e32 0, v0
	s_cbranch_execz .LBB6_28014
; %bb.28005:                            ;   in Loop: Header=BB6_27928 Depth=3
	v_bfrev_b32_e32 v3, 1
	s_mov_b32 s14, exec_lo
	v_cmpx_ne_u16_e32 0xff80, v0
	s_cbranch_execz .LBB6_28013
; %bb.28006:                            ;   in Loop: Header=BB6_27928 Depth=3
	v_and_b32_e32 v3, 0x7c, v0
	v_and_b32_e32 v1, 3, v0
	s_delay_alu instid0(VALU_DEP_2) | instskip(SKIP_1) | instid1(SALU_CYCLE_1)
	v_cmp_ne_u32_e32 vcc_lo, 0x7c, v3
                                        ; implicit-def: $vgpr3
	s_and_saveexec_b32 s15, vcc_lo
	s_xor_b32 s15, exec_lo, s15
	s_cbranch_execz .LBB6_28010
; %bb.28007:                            ;   in Loop: Header=BB6_27928 Depth=3
	v_and_b32_e32 v3, 0xff, v0
	s_mov_b32 s75, exec_lo
	s_delay_alu instid0(VALU_DEP_1) | instskip(NEXT) | instid1(VALU_DEP_1)
	v_bfe_u32 v3, v3, 2, 5
	v_cmpx_eq_u32_e32 0, v3
	s_cbranch_execz .LBB6_28009
; %bb.28008:                            ;   in Loop: Header=BB6_27928 Depth=3
	v_clz_i32_u32_e32 v1, v1
	s_delay_alu instid0(VALU_DEP_1) | instskip(SKIP_1) | instid1(VALU_DEP_2)
	v_min_u32_e32 v3, 32, v1
	v_mov_b32_e32 v1, v113
	v_subrev_nc_u32_e32 v4, 29, v3
	v_sub_nc_u32_e32 v3, 30, v3
	s_delay_alu instid0(VALU_DEP_2) | instskip(NEXT) | instid1(VALU_DEP_1)
	v_lshlrev_b64_e32 v[4:5], v4, v[0:1]
	v_and_b32_e32 v1, 3, v4
.LBB6_28009:                            ;   in Loop: Header=BB6_27928 Depth=3
	s_or_b32 exec_lo, exec_lo, s75
	v_bfe_i32 v0, v0, 0, 16
	s_delay_alu instid0(VALU_DEP_1) | instskip(NEXT) | instid1(VALU_DEP_1)
	v_and_b32_e32 v0, 0x80000000, v0
	v_lshl_add_u32 v0, v3, 23, v0
	s_delay_alu instid0(VALU_DEP_1) | instskip(NEXT) | instid1(VALU_DEP_1)
	v_lshl_or_b32 v0, v1, 21, v0
                                        ; implicit-def: $vgpr1
	v_add_nc_u32_e32 v3, 0x38000000, v0
                                        ; implicit-def: $vgpr0
.LBB6_28010:                            ;   in Loop: Header=BB6_27928 Depth=3
	s_and_not1_saveexec_b32 s15, s15
; %bb.28011:                            ;   in Loop: Header=BB6_27928 Depth=3
	v_cmp_lt_i16_e32 vcc_lo, -1, v0
	v_mov_b32_e32 v0, 0x7f800000
	s_delay_alu instid0(VALU_DEP_1) | instskip(SKIP_1) | instid1(VALU_DEP_2)
	v_cndmask_b32_e32 v0, 0xff800000, v0, vcc_lo
	v_cmp_eq_u32_e32 vcc_lo, 0, v1
	v_cndmask_b32_e32 v3, 0x7f800001, v0, vcc_lo
; %bb.28012:                            ;   in Loop: Header=BB6_27928 Depth=3
	s_or_b32 exec_lo, exec_lo, s15
.LBB6_28013:                            ;   in Loop: Header=BB6_27928 Depth=3
	s_delay_alu instid0(SALU_CYCLE_1)
	s_or_b32 exec_lo, exec_lo, s14
.LBB6_28014:                            ;   in Loop: Header=BB6_27928 Depth=3
	s_delay_alu instid0(SALU_CYCLE_1) | instskip(NEXT) | instid1(VALU_DEP_1)
	s_or_b32 exec_lo, exec_lo, s13
	v_dual_mul_f32 v4, s74, v3 :: v_dual_mov_b32 v1, v113
                                        ; implicit-def: $vgpr100
	s_delay_alu instid0(VALU_DEP_1) | instskip(NEXT) | instid1(VALU_DEP_1)
	v_and_b32_e32 v0, 0x7f800000, v4
	v_cmp_ne_u64_e32 vcc_lo, 0x7f800000, v[0:1]
	v_and_b32_e32 v0, 0x7fffff, v4
	s_and_saveexec_b32 s13, vcc_lo
	s_delay_alu instid0(SALU_CYCLE_1)
	s_xor_b32 s14, exec_lo, s13
	s_cbranch_execz .LBB6_28032
; %bb.28015:                            ;   in Loop: Header=BB6_27928 Depth=3
	v_dual_mov_b32 v7, v113 :: v_dual_lshrrev_b32 v3, 24, v4
	v_and_b32_e32 v6, 0x7fffffff, v4
                                        ; implicit-def: $vgpr100
	s_mov_b32 s13, exec_lo
	s_delay_alu instid0(VALU_DEP_2) | instskip(NEXT) | instid1(VALU_DEP_2)
	v_and_b32_e32 v3, 0x80, v3
	v_cmpx_gt_u64_e32 0x47600001, v[6:7]
	s_xor_b32 s15, exec_lo, s13
	s_cbranch_execz .LBB6_28029
; %bb.28016:                            ;   in Loop: Header=BB6_27928 Depth=3
	v_mov_b32_e32 v100, 0
	s_mov_b32 s75, exec_lo
	v_cmpx_ne_u32_e32 0, v4
	s_cbranch_execz .LBB6_28028
; %bb.28017:                            ;   in Loop: Header=BB6_27928 Depth=3
	v_bfe_u32 v6, v4, 23, 8
	v_or_b32_e32 v14, 0x800000, v0
	s_delay_alu instid0(VALU_DEP_2) | instskip(SKIP_1) | instid1(VALU_DEP_2)
	v_sub_nc_u32_e32 v4, 0x71, v6
	v_cmp_gt_u32_e32 vcc_lo, 0x72, v6
	v_cndmask_b32_e32 v4, 0, v4, vcc_lo
	v_cmp_eq_u32_e32 vcc_lo, 0, v6
	s_delay_alu instid0(VALU_DEP_2) | instskip(NEXT) | instid1(VALU_DEP_1)
	v_cndmask_b32_e64 v7, v4, 0x70, vcc_lo
	v_dual_cndmask_b32 v0, v14, v0, vcc_lo :: v_dual_add_nc_u32 v4, 21, v7
	v_add_nc_u32_e32 v15, 20, v7
	s_delay_alu instid0(VALU_DEP_2) | instskip(NEXT) | instid1(VALU_DEP_2)
	v_lshlrev_b64_e64 v[4:5], v4, -1
	v_lshlrev_b64_e64 v[14:15], v15, 1
	s_delay_alu instid0(VALU_DEP_2) | instskip(SKIP_1) | instid1(VALU_DEP_4)
	v_bfi_b32 v4, v4, 0, v0
	v_lshrrev_b64 v[0:1], v7, v[0:1]
	v_bfi_b32 v5, v5, 0, 0
	s_delay_alu instid0(VALU_DEP_1) | instskip(NEXT) | instid1(VALU_DEP_3)
	v_cmp_eq_u64_e64 s13, v[4:5], v[14:15]
	v_mov_b64_e32 v[4:5], v[0:1]
	s_and_saveexec_b32 s76, s13
; %bb.28018:                            ;   in Loop: Header=BB6_27928 Depth=3
	v_bfe_u32 v4, v0, 21, 1
	v_mov_b32_e32 v5, v113
	s_delay_alu instid0(VALU_DEP_1) | instskip(NEXT) | instid1(VALU_DEP_1)
	v_add_nc_u64_e32 v[4:5], v[0:1], v[4:5]
	v_add_nc_u64_e32 v[4:5], -1, v[4:5]
; %bb.28019:                            ;   in Loop: Header=BB6_27928 Depth=3
	s_or_b32 exec_lo, exec_lo, s76
	v_add_nc_u32_e32 v1, 0xffffff81, v6
	v_lshrrev_b32_e32 v5, 23, v0
	s_mov_b32 s13, exec_lo
	s_delay_alu instid0(VALU_DEP_2) | instskip(NEXT) | instid1(VALU_DEP_1)
	v_cndmask_b32_e64 v1, v1, 0xffffff82, vcc_lo
	v_add3_u32 v5, v7, v1, v5
	v_and_b32_e32 v1, 0x1fffff, v4
                                        ; implicit-def: $vgpr4
	s_delay_alu instid0(VALU_DEP_1) | instskip(SKIP_1) | instid1(VALU_DEP_2)
	v_dual_add_nc_u32 v6, 14, v5 :: v_dual_add_nc_u32 v0, v1, v0
	v_mov_b32_e32 v1, v113
	v_cmpx_ne_u32_e32 0, v6
	s_xor_b32 s13, exec_lo, s13
; %bb.28020:                            ;   in Loop: Header=BB6_27928 Depth=3
	s_delay_alu instid0(VALU_DEP_2) | instskip(SKIP_2) | instid1(VALU_DEP_2)
	v_cmp_lt_u64_e32 vcc_lo, 0xffffff, v[0:1]
	v_add_nc_u32_e32 v4, 15, v5
	v_cndmask_b32_e64 v5, 0, 1, vcc_lo
	v_cndmask_b32_e32 v4, v6, v4, vcc_lo
	s_delay_alu instid0(VALU_DEP_2)
	v_lshrrev_b64 v[0:1], v5, v[0:1]
; %bb.28021:                            ;   in Loop: Header=BB6_27928 Depth=3
	s_and_not1_saveexec_b32 s13, s13
; %bb.28022:                            ;   in Loop: Header=BB6_27928 Depth=3
	s_delay_alu instid0(VALU_DEP_1)
	v_bfe_u32 v4, v0, 23, 1
; %bb.28023:                            ;   in Loop: Header=BB6_27928 Depth=3
	s_or_b32 exec_lo, exec_lo, s13
	s_delay_alu instid0(VALU_DEP_2) | instskip(NEXT) | instid1(VALU_DEP_2)
	v_lshrrev_b64 v[0:1], 21, v[0:1]
	v_cmp_gt_i32_e32 vcc_lo, 32, v4
	v_cmp_ne_u32_e64 s13, 0, v4
                                        ; implicit-def: $vgpr100
	s_delay_alu instid0(VALU_DEP_3) | instskip(NEXT) | instid1(VALU_DEP_1)
	v_dual_cndmask_b32 v1, 0, v1 :: v_dual_cndmask_b32 v0, 3, v0
	v_cmp_ne_u64_e32 vcc_lo, 0, v[0:1]
	s_or_b32 s13, s13, vcc_lo
	s_delay_alu instid0(SALU_CYCLE_1) | instskip(NEXT) | instid1(SALU_CYCLE_1)
	s_and_saveexec_b32 s76, s13
	s_xor_b32 s13, exec_lo, s76
; %bb.28024:                            ;   in Loop: Header=BB6_27928 Depth=3
	v_min_i32_e32 v1, 31, v4
	s_delay_alu instid0(VALU_DEP_1) | instskip(NEXT) | instid1(VALU_DEP_1)
	v_lshl_or_b32 v1, v1, 2, v3
                                        ; implicit-def: $vgpr3
	v_and_or_b32 v100, v0, 3, v1
; %bb.28025:                            ;   in Loop: Header=BB6_27928 Depth=3
	s_and_not1_saveexec_b32 s13, s13
; %bb.28026:                            ;   in Loop: Header=BB6_27928 Depth=3
	v_mov_b32_e32 v100, v3
; %bb.28027:                            ;   in Loop: Header=BB6_27928 Depth=3
	s_or_b32 exec_lo, exec_lo, s13
.LBB6_28028:                            ;   in Loop: Header=BB6_27928 Depth=3
	s_delay_alu instid0(SALU_CYCLE_1)
	s_or_b32 exec_lo, exec_lo, s75
                                        ; implicit-def: $vgpr3
.LBB6_28029:                            ;   in Loop: Header=BB6_27928 Depth=3
	s_and_not1_saveexec_b32 s13, s15
; %bb.28030:                            ;   in Loop: Header=BB6_27928 Depth=3
	v_or_b32_e32 v100, 0x7b, v3
; %bb.28031:                            ;   in Loop: Header=BB6_27928 Depth=3
	s_or_b32 exec_lo, exec_lo, s13
                                        ; implicit-def: $vgpr4
                                        ; implicit-def: $vgpr0_vgpr1
.LBB6_28032:                            ;   in Loop: Header=BB6_27928 Depth=3
	s_and_not1_saveexec_b32 s13, s14
	s_cbranch_execz .LBB6_28038
; %bb.28033:                            ;   in Loop: Header=BB6_27928 Depth=3
	s_mov_b32 s14, exec_lo
                                        ; implicit-def: $vgpr100
	v_cmpx_ne_u64_e32 0, v[0:1]
	s_xor_b32 s14, exec_lo, s14
; %bb.28034:                            ;   in Loop: Header=BB6_27928 Depth=3
	v_lshrrev_b32_e32 v0, 24, v4
                                        ; implicit-def: $vgpr4
	s_delay_alu instid0(VALU_DEP_1)
	v_or_b32_e32 v100, 0x7f, v0
; %bb.28035:                            ;   in Loop: Header=BB6_27928 Depth=3
	s_and_not1_saveexec_b32 s14, s14
; %bb.28036:                            ;   in Loop: Header=BB6_27928 Depth=3
	v_cmp_lt_i32_e32 vcc_lo, -1, v4
	v_cndmask_b32_e64 v100, -4, 0x7c, vcc_lo
; %bb.28037:                            ;   in Loop: Header=BB6_27928 Depth=3
	s_or_b32 exec_lo, exec_lo, s14
.LBB6_28038:                            ;   in Loop: Header=BB6_27928 Depth=3
	s_delay_alu instid0(SALU_CYCLE_1)
	s_or_b32 exec_lo, exec_lo, s13
	flat_load_i8 v0, v[8:9] offset:96 th:TH_LOAD_NT
	v_mov_b32_e32 v3, 0
	s_mov_b32 s13, exec_lo
	s_wait_loadcnt_dscnt 0x0
	s_wait_xcnt 0x0
	v_cmpx_ne_u16_e32 0, v0
	s_cbranch_execz .LBB6_28048
; %bb.28039:                            ;   in Loop: Header=BB6_27928 Depth=3
	v_bfrev_b32_e32 v3, 1
	s_mov_b32 s14, exec_lo
	v_cmpx_ne_u16_e32 0xff80, v0
	s_cbranch_execz .LBB6_28047
; %bb.28040:                            ;   in Loop: Header=BB6_27928 Depth=3
	v_and_b32_e32 v3, 0x7c, v0
	v_and_b32_e32 v1, 3, v0
	s_delay_alu instid0(VALU_DEP_2) | instskip(SKIP_1) | instid1(SALU_CYCLE_1)
	v_cmp_ne_u32_e32 vcc_lo, 0x7c, v3
                                        ; implicit-def: $vgpr3
	s_and_saveexec_b32 s15, vcc_lo
	s_xor_b32 s15, exec_lo, s15
	s_cbranch_execz .LBB6_28044
; %bb.28041:                            ;   in Loop: Header=BB6_27928 Depth=3
	v_and_b32_e32 v3, 0xff, v0
	s_mov_b32 s75, exec_lo
	s_delay_alu instid0(VALU_DEP_1) | instskip(NEXT) | instid1(VALU_DEP_1)
	v_bfe_u32 v3, v3, 2, 5
	v_cmpx_eq_u32_e32 0, v3
	s_cbranch_execz .LBB6_28043
; %bb.28042:                            ;   in Loop: Header=BB6_27928 Depth=3
	v_clz_i32_u32_e32 v1, v1
	s_delay_alu instid0(VALU_DEP_1) | instskip(SKIP_1) | instid1(VALU_DEP_2)
	v_min_u32_e32 v3, 32, v1
	v_mov_b32_e32 v1, v113
	v_subrev_nc_u32_e32 v4, 29, v3
	v_sub_nc_u32_e32 v3, 30, v3
	s_delay_alu instid0(VALU_DEP_2) | instskip(NEXT) | instid1(VALU_DEP_1)
	v_lshlrev_b64_e32 v[4:5], v4, v[0:1]
	v_and_b32_e32 v1, 3, v4
.LBB6_28043:                            ;   in Loop: Header=BB6_27928 Depth=3
	s_or_b32 exec_lo, exec_lo, s75
	v_bfe_i32 v0, v0, 0, 16
	s_delay_alu instid0(VALU_DEP_1) | instskip(NEXT) | instid1(VALU_DEP_1)
	v_and_b32_e32 v0, 0x80000000, v0
	v_lshl_add_u32 v0, v3, 23, v0
	s_delay_alu instid0(VALU_DEP_1) | instskip(NEXT) | instid1(VALU_DEP_1)
	v_lshl_or_b32 v0, v1, 21, v0
                                        ; implicit-def: $vgpr1
	v_add_nc_u32_e32 v3, 0x38000000, v0
                                        ; implicit-def: $vgpr0
.LBB6_28044:                            ;   in Loop: Header=BB6_27928 Depth=3
	s_and_not1_saveexec_b32 s15, s15
; %bb.28045:                            ;   in Loop: Header=BB6_27928 Depth=3
	v_cmp_lt_i16_e32 vcc_lo, -1, v0
	v_mov_b32_e32 v0, 0x7f800000
	s_delay_alu instid0(VALU_DEP_1) | instskip(SKIP_1) | instid1(VALU_DEP_2)
	v_cndmask_b32_e32 v0, 0xff800000, v0, vcc_lo
	v_cmp_eq_u32_e32 vcc_lo, 0, v1
	v_cndmask_b32_e32 v3, 0x7f800001, v0, vcc_lo
; %bb.28046:                            ;   in Loop: Header=BB6_27928 Depth=3
	s_or_b32 exec_lo, exec_lo, s15
.LBB6_28047:                            ;   in Loop: Header=BB6_27928 Depth=3
	s_delay_alu instid0(SALU_CYCLE_1)
	s_or_b32 exec_lo, exec_lo, s14
.LBB6_28048:                            ;   in Loop: Header=BB6_27928 Depth=3
	s_delay_alu instid0(SALU_CYCLE_1) | instskip(NEXT) | instid1(VALU_DEP_1)
	s_or_b32 exec_lo, exec_lo, s13
	v_dual_mul_f32 v4, s74, v3 :: v_dual_mov_b32 v1, v113
                                        ; implicit-def: $vgpr102
	s_delay_alu instid0(VALU_DEP_1) | instskip(NEXT) | instid1(VALU_DEP_1)
	v_and_b32_e32 v0, 0x7f800000, v4
	v_cmp_ne_u64_e32 vcc_lo, 0x7f800000, v[0:1]
	v_and_b32_e32 v0, 0x7fffff, v4
	s_and_saveexec_b32 s13, vcc_lo
	s_delay_alu instid0(SALU_CYCLE_1)
	s_xor_b32 s14, exec_lo, s13
	s_cbranch_execz .LBB6_28066
; %bb.28049:                            ;   in Loop: Header=BB6_27928 Depth=3
	v_dual_mov_b32 v7, v113 :: v_dual_lshrrev_b32 v3, 24, v4
	v_and_b32_e32 v6, 0x7fffffff, v4
                                        ; implicit-def: $vgpr102
	s_mov_b32 s13, exec_lo
	s_delay_alu instid0(VALU_DEP_2) | instskip(NEXT) | instid1(VALU_DEP_2)
	v_and_b32_e32 v3, 0x80, v3
	v_cmpx_gt_u64_e32 0x47600001, v[6:7]
	s_xor_b32 s15, exec_lo, s13
	s_cbranch_execz .LBB6_28063
; %bb.28050:                            ;   in Loop: Header=BB6_27928 Depth=3
	v_mov_b32_e32 v102, 0
	s_mov_b32 s75, exec_lo
	v_cmpx_ne_u32_e32 0, v4
	s_cbranch_execz .LBB6_28062
; %bb.28051:                            ;   in Loop: Header=BB6_27928 Depth=3
	v_bfe_u32 v6, v4, 23, 8
	v_or_b32_e32 v14, 0x800000, v0
	s_delay_alu instid0(VALU_DEP_2) | instskip(SKIP_1) | instid1(VALU_DEP_2)
	v_sub_nc_u32_e32 v4, 0x71, v6
	v_cmp_gt_u32_e32 vcc_lo, 0x72, v6
	v_cndmask_b32_e32 v4, 0, v4, vcc_lo
	v_cmp_eq_u32_e32 vcc_lo, 0, v6
	s_delay_alu instid0(VALU_DEP_2) | instskip(NEXT) | instid1(VALU_DEP_1)
	v_cndmask_b32_e64 v7, v4, 0x70, vcc_lo
	v_dual_cndmask_b32 v0, v14, v0, vcc_lo :: v_dual_add_nc_u32 v4, 21, v7
	v_add_nc_u32_e32 v15, 20, v7
	s_delay_alu instid0(VALU_DEP_2) | instskip(NEXT) | instid1(VALU_DEP_2)
	v_lshlrev_b64_e64 v[4:5], v4, -1
	v_lshlrev_b64_e64 v[14:15], v15, 1
	s_delay_alu instid0(VALU_DEP_2) | instskip(SKIP_1) | instid1(VALU_DEP_4)
	v_bfi_b32 v4, v4, 0, v0
	v_lshrrev_b64 v[0:1], v7, v[0:1]
	v_bfi_b32 v5, v5, 0, 0
	s_delay_alu instid0(VALU_DEP_1) | instskip(NEXT) | instid1(VALU_DEP_3)
	v_cmp_eq_u64_e64 s13, v[4:5], v[14:15]
	v_mov_b64_e32 v[4:5], v[0:1]
	s_and_saveexec_b32 s76, s13
; %bb.28052:                            ;   in Loop: Header=BB6_27928 Depth=3
	v_bfe_u32 v4, v0, 21, 1
	v_mov_b32_e32 v5, v113
	s_delay_alu instid0(VALU_DEP_1) | instskip(NEXT) | instid1(VALU_DEP_1)
	v_add_nc_u64_e32 v[4:5], v[0:1], v[4:5]
	v_add_nc_u64_e32 v[4:5], -1, v[4:5]
; %bb.28053:                            ;   in Loop: Header=BB6_27928 Depth=3
	s_or_b32 exec_lo, exec_lo, s76
	v_add_nc_u32_e32 v1, 0xffffff81, v6
	v_lshrrev_b32_e32 v5, 23, v0
	s_mov_b32 s13, exec_lo
	s_delay_alu instid0(VALU_DEP_2) | instskip(NEXT) | instid1(VALU_DEP_1)
	v_cndmask_b32_e64 v1, v1, 0xffffff82, vcc_lo
	v_add3_u32 v5, v7, v1, v5
	v_and_b32_e32 v1, 0x1fffff, v4
                                        ; implicit-def: $vgpr4
	s_delay_alu instid0(VALU_DEP_1) | instskip(SKIP_1) | instid1(VALU_DEP_2)
	v_dual_add_nc_u32 v6, 14, v5 :: v_dual_add_nc_u32 v0, v1, v0
	v_mov_b32_e32 v1, v113
	v_cmpx_ne_u32_e32 0, v6
	s_xor_b32 s13, exec_lo, s13
; %bb.28054:                            ;   in Loop: Header=BB6_27928 Depth=3
	s_delay_alu instid0(VALU_DEP_2) | instskip(SKIP_2) | instid1(VALU_DEP_2)
	v_cmp_lt_u64_e32 vcc_lo, 0xffffff, v[0:1]
	v_add_nc_u32_e32 v4, 15, v5
	v_cndmask_b32_e64 v5, 0, 1, vcc_lo
	v_cndmask_b32_e32 v4, v6, v4, vcc_lo
	s_delay_alu instid0(VALU_DEP_2)
	v_lshrrev_b64 v[0:1], v5, v[0:1]
; %bb.28055:                            ;   in Loop: Header=BB6_27928 Depth=3
	s_and_not1_saveexec_b32 s13, s13
; %bb.28056:                            ;   in Loop: Header=BB6_27928 Depth=3
	s_delay_alu instid0(VALU_DEP_1)
	v_bfe_u32 v4, v0, 23, 1
; %bb.28057:                            ;   in Loop: Header=BB6_27928 Depth=3
	s_or_b32 exec_lo, exec_lo, s13
	s_delay_alu instid0(VALU_DEP_2) | instskip(NEXT) | instid1(VALU_DEP_2)
	v_lshrrev_b64 v[0:1], 21, v[0:1]
	v_cmp_gt_i32_e32 vcc_lo, 32, v4
	v_cmp_ne_u32_e64 s13, 0, v4
                                        ; implicit-def: $vgpr102
	s_delay_alu instid0(VALU_DEP_3) | instskip(NEXT) | instid1(VALU_DEP_1)
	v_dual_cndmask_b32 v1, 0, v1 :: v_dual_cndmask_b32 v0, 3, v0
	v_cmp_ne_u64_e32 vcc_lo, 0, v[0:1]
	s_or_b32 s13, s13, vcc_lo
	s_delay_alu instid0(SALU_CYCLE_1) | instskip(NEXT) | instid1(SALU_CYCLE_1)
	s_and_saveexec_b32 s76, s13
	s_xor_b32 s13, exec_lo, s76
; %bb.28058:                            ;   in Loop: Header=BB6_27928 Depth=3
	v_min_i32_e32 v1, 31, v4
	s_delay_alu instid0(VALU_DEP_1) | instskip(NEXT) | instid1(VALU_DEP_1)
	v_lshl_or_b32 v1, v1, 2, v3
                                        ; implicit-def: $vgpr3
	v_and_or_b32 v102, v0, 3, v1
; %bb.28059:                            ;   in Loop: Header=BB6_27928 Depth=3
	s_and_not1_saveexec_b32 s13, s13
; %bb.28060:                            ;   in Loop: Header=BB6_27928 Depth=3
	v_mov_b32_e32 v102, v3
; %bb.28061:                            ;   in Loop: Header=BB6_27928 Depth=3
	s_or_b32 exec_lo, exec_lo, s13
.LBB6_28062:                            ;   in Loop: Header=BB6_27928 Depth=3
	s_delay_alu instid0(SALU_CYCLE_1)
	s_or_b32 exec_lo, exec_lo, s75
                                        ; implicit-def: $vgpr3
.LBB6_28063:                            ;   in Loop: Header=BB6_27928 Depth=3
	s_and_not1_saveexec_b32 s13, s15
; %bb.28064:                            ;   in Loop: Header=BB6_27928 Depth=3
	v_or_b32_e32 v102, 0x7b, v3
; %bb.28065:                            ;   in Loop: Header=BB6_27928 Depth=3
	s_or_b32 exec_lo, exec_lo, s13
                                        ; implicit-def: $vgpr4
                                        ; implicit-def: $vgpr0_vgpr1
.LBB6_28066:                            ;   in Loop: Header=BB6_27928 Depth=3
	s_and_not1_saveexec_b32 s13, s14
	s_cbranch_execz .LBB6_28072
; %bb.28067:                            ;   in Loop: Header=BB6_27928 Depth=3
	s_mov_b32 s14, exec_lo
                                        ; implicit-def: $vgpr102
	v_cmpx_ne_u64_e32 0, v[0:1]
	s_xor_b32 s14, exec_lo, s14
; %bb.28068:                            ;   in Loop: Header=BB6_27928 Depth=3
	v_lshrrev_b32_e32 v0, 24, v4
                                        ; implicit-def: $vgpr4
	s_delay_alu instid0(VALU_DEP_1)
	v_or_b32_e32 v102, 0x7f, v0
; %bb.28069:                            ;   in Loop: Header=BB6_27928 Depth=3
	s_and_not1_saveexec_b32 s14, s14
; %bb.28070:                            ;   in Loop: Header=BB6_27928 Depth=3
	v_cmp_lt_i32_e32 vcc_lo, -1, v4
	v_cndmask_b32_e64 v102, -4, 0x7c, vcc_lo
; %bb.28071:                            ;   in Loop: Header=BB6_27928 Depth=3
	s_or_b32 exec_lo, exec_lo, s14
.LBB6_28072:                            ;   in Loop: Header=BB6_27928 Depth=3
	s_delay_alu instid0(SALU_CYCLE_1)
	s_or_b32 exec_lo, exec_lo, s13
	flat_load_i8 v0, v[8:9] offset:128 th:TH_LOAD_NT
	v_mov_b32_e32 v3, 0
	s_mov_b32 s13, exec_lo
	s_wait_loadcnt_dscnt 0x0
	s_wait_xcnt 0x0
	v_cmpx_ne_u16_e32 0, v0
	s_cbranch_execz .LBB6_28082
; %bb.28073:                            ;   in Loop: Header=BB6_27928 Depth=3
	v_bfrev_b32_e32 v3, 1
	s_mov_b32 s14, exec_lo
	v_cmpx_ne_u16_e32 0xff80, v0
	s_cbranch_execz .LBB6_28081
; %bb.28074:                            ;   in Loop: Header=BB6_27928 Depth=3
	v_and_b32_e32 v3, 0x7c, v0
	v_and_b32_e32 v1, 3, v0
	s_delay_alu instid0(VALU_DEP_2) | instskip(SKIP_1) | instid1(SALU_CYCLE_1)
	v_cmp_ne_u32_e32 vcc_lo, 0x7c, v3
                                        ; implicit-def: $vgpr3
	s_and_saveexec_b32 s15, vcc_lo
	s_xor_b32 s15, exec_lo, s15
	s_cbranch_execz .LBB6_28078
; %bb.28075:                            ;   in Loop: Header=BB6_27928 Depth=3
	v_and_b32_e32 v3, 0xff, v0
	s_mov_b32 s75, exec_lo
	s_delay_alu instid0(VALU_DEP_1) | instskip(NEXT) | instid1(VALU_DEP_1)
	v_bfe_u32 v3, v3, 2, 5
	v_cmpx_eq_u32_e32 0, v3
	s_cbranch_execz .LBB6_28077
; %bb.28076:                            ;   in Loop: Header=BB6_27928 Depth=3
	v_clz_i32_u32_e32 v1, v1
	s_delay_alu instid0(VALU_DEP_1) | instskip(SKIP_1) | instid1(VALU_DEP_2)
	v_min_u32_e32 v3, 32, v1
	v_mov_b32_e32 v1, v113
	v_subrev_nc_u32_e32 v4, 29, v3
	v_sub_nc_u32_e32 v3, 30, v3
	s_delay_alu instid0(VALU_DEP_2) | instskip(NEXT) | instid1(VALU_DEP_1)
	v_lshlrev_b64_e32 v[4:5], v4, v[0:1]
	v_and_b32_e32 v1, 3, v4
.LBB6_28077:                            ;   in Loop: Header=BB6_27928 Depth=3
	s_or_b32 exec_lo, exec_lo, s75
	v_bfe_i32 v0, v0, 0, 16
	s_delay_alu instid0(VALU_DEP_1) | instskip(NEXT) | instid1(VALU_DEP_1)
	v_and_b32_e32 v0, 0x80000000, v0
	v_lshl_add_u32 v0, v3, 23, v0
	s_delay_alu instid0(VALU_DEP_1) | instskip(NEXT) | instid1(VALU_DEP_1)
	v_lshl_or_b32 v0, v1, 21, v0
                                        ; implicit-def: $vgpr1
	v_add_nc_u32_e32 v3, 0x38000000, v0
                                        ; implicit-def: $vgpr0
.LBB6_28078:                            ;   in Loop: Header=BB6_27928 Depth=3
	s_and_not1_saveexec_b32 s15, s15
; %bb.28079:                            ;   in Loop: Header=BB6_27928 Depth=3
	v_cmp_lt_i16_e32 vcc_lo, -1, v0
	v_mov_b32_e32 v0, 0x7f800000
	s_delay_alu instid0(VALU_DEP_1) | instskip(SKIP_1) | instid1(VALU_DEP_2)
	v_cndmask_b32_e32 v0, 0xff800000, v0, vcc_lo
	v_cmp_eq_u32_e32 vcc_lo, 0, v1
	v_cndmask_b32_e32 v3, 0x7f800001, v0, vcc_lo
; %bb.28080:                            ;   in Loop: Header=BB6_27928 Depth=3
	s_or_b32 exec_lo, exec_lo, s15
.LBB6_28081:                            ;   in Loop: Header=BB6_27928 Depth=3
	s_delay_alu instid0(SALU_CYCLE_1)
	s_or_b32 exec_lo, exec_lo, s14
.LBB6_28082:                            ;   in Loop: Header=BB6_27928 Depth=3
	s_delay_alu instid0(SALU_CYCLE_1) | instskip(NEXT) | instid1(VALU_DEP_1)
	s_or_b32 exec_lo, exec_lo, s13
	v_dual_mul_f32 v4, s74, v3 :: v_dual_mov_b32 v1, v113
                                        ; implicit-def: $vgpr34
	s_delay_alu instid0(VALU_DEP_1) | instskip(NEXT) | instid1(VALU_DEP_1)
	v_and_b32_e32 v0, 0x7f800000, v4
	v_cmp_ne_u64_e32 vcc_lo, 0x7f800000, v[0:1]
	v_and_b32_e32 v0, 0x7fffff, v4
	s_and_saveexec_b32 s13, vcc_lo
	s_delay_alu instid0(SALU_CYCLE_1)
	s_xor_b32 s14, exec_lo, s13
	s_cbranch_execz .LBB6_28100
; %bb.28083:                            ;   in Loop: Header=BB6_27928 Depth=3
	v_dual_mov_b32 v7, v113 :: v_dual_lshrrev_b32 v3, 24, v4
	v_and_b32_e32 v6, 0x7fffffff, v4
                                        ; implicit-def: $vgpr34
	s_mov_b32 s13, exec_lo
	s_delay_alu instid0(VALU_DEP_2) | instskip(NEXT) | instid1(VALU_DEP_2)
	v_and_b32_e32 v3, 0x80, v3
	v_cmpx_gt_u64_e32 0x47600001, v[6:7]
	s_xor_b32 s15, exec_lo, s13
	s_cbranch_execz .LBB6_28097
; %bb.28084:                            ;   in Loop: Header=BB6_27928 Depth=3
	v_mov_b32_e32 v34, 0
	s_mov_b32 s75, exec_lo
	v_cmpx_ne_u32_e32 0, v4
	s_cbranch_execz .LBB6_28096
; %bb.28085:                            ;   in Loop: Header=BB6_27928 Depth=3
	v_bfe_u32 v6, v4, 23, 8
	v_or_b32_e32 v14, 0x800000, v0
	s_delay_alu instid0(VALU_DEP_2) | instskip(SKIP_1) | instid1(VALU_DEP_2)
	v_sub_nc_u32_e32 v4, 0x71, v6
	v_cmp_gt_u32_e32 vcc_lo, 0x72, v6
	v_cndmask_b32_e32 v4, 0, v4, vcc_lo
	v_cmp_eq_u32_e32 vcc_lo, 0, v6
	s_delay_alu instid0(VALU_DEP_2) | instskip(NEXT) | instid1(VALU_DEP_1)
	v_cndmask_b32_e64 v7, v4, 0x70, vcc_lo
	v_dual_cndmask_b32 v0, v14, v0, vcc_lo :: v_dual_add_nc_u32 v4, 21, v7
	v_add_nc_u32_e32 v15, 20, v7
	s_delay_alu instid0(VALU_DEP_2) | instskip(NEXT) | instid1(VALU_DEP_2)
	v_lshlrev_b64_e64 v[4:5], v4, -1
	v_lshlrev_b64_e64 v[14:15], v15, 1
	s_delay_alu instid0(VALU_DEP_2) | instskip(SKIP_1) | instid1(VALU_DEP_4)
	v_bfi_b32 v4, v4, 0, v0
	v_lshrrev_b64 v[0:1], v7, v[0:1]
	v_bfi_b32 v5, v5, 0, 0
	s_delay_alu instid0(VALU_DEP_1) | instskip(NEXT) | instid1(VALU_DEP_3)
	v_cmp_eq_u64_e64 s13, v[4:5], v[14:15]
	v_mov_b64_e32 v[4:5], v[0:1]
	s_and_saveexec_b32 s76, s13
; %bb.28086:                            ;   in Loop: Header=BB6_27928 Depth=3
	v_bfe_u32 v4, v0, 21, 1
	v_mov_b32_e32 v5, v113
	s_delay_alu instid0(VALU_DEP_1) | instskip(NEXT) | instid1(VALU_DEP_1)
	v_add_nc_u64_e32 v[4:5], v[0:1], v[4:5]
	v_add_nc_u64_e32 v[4:5], -1, v[4:5]
; %bb.28087:                            ;   in Loop: Header=BB6_27928 Depth=3
	s_or_b32 exec_lo, exec_lo, s76
	v_add_nc_u32_e32 v1, 0xffffff81, v6
	v_lshrrev_b32_e32 v5, 23, v0
	s_mov_b32 s13, exec_lo
	s_delay_alu instid0(VALU_DEP_2) | instskip(NEXT) | instid1(VALU_DEP_1)
	v_cndmask_b32_e64 v1, v1, 0xffffff82, vcc_lo
	v_add3_u32 v5, v7, v1, v5
	v_and_b32_e32 v1, 0x1fffff, v4
                                        ; implicit-def: $vgpr4
	s_delay_alu instid0(VALU_DEP_1) | instskip(SKIP_1) | instid1(VALU_DEP_2)
	v_dual_add_nc_u32 v6, 14, v5 :: v_dual_add_nc_u32 v0, v1, v0
	v_mov_b32_e32 v1, v113
	v_cmpx_ne_u32_e32 0, v6
	s_xor_b32 s13, exec_lo, s13
; %bb.28088:                            ;   in Loop: Header=BB6_27928 Depth=3
	s_delay_alu instid0(VALU_DEP_2) | instskip(SKIP_2) | instid1(VALU_DEP_2)
	v_cmp_lt_u64_e32 vcc_lo, 0xffffff, v[0:1]
	v_add_nc_u32_e32 v4, 15, v5
	v_cndmask_b32_e64 v5, 0, 1, vcc_lo
	v_cndmask_b32_e32 v4, v6, v4, vcc_lo
	s_delay_alu instid0(VALU_DEP_2)
	v_lshrrev_b64 v[0:1], v5, v[0:1]
; %bb.28089:                            ;   in Loop: Header=BB6_27928 Depth=3
	s_and_not1_saveexec_b32 s13, s13
; %bb.28090:                            ;   in Loop: Header=BB6_27928 Depth=3
	s_delay_alu instid0(VALU_DEP_1)
	v_bfe_u32 v4, v0, 23, 1
; %bb.28091:                            ;   in Loop: Header=BB6_27928 Depth=3
	s_or_b32 exec_lo, exec_lo, s13
	s_delay_alu instid0(VALU_DEP_2) | instskip(NEXT) | instid1(VALU_DEP_2)
	v_lshrrev_b64 v[0:1], 21, v[0:1]
	v_cmp_gt_i32_e32 vcc_lo, 32, v4
	v_cmp_ne_u32_e64 s13, 0, v4
                                        ; implicit-def: $vgpr34
	s_delay_alu instid0(VALU_DEP_3) | instskip(NEXT) | instid1(VALU_DEP_1)
	v_dual_cndmask_b32 v1, 0, v1 :: v_dual_cndmask_b32 v0, 3, v0
	v_cmp_ne_u64_e32 vcc_lo, 0, v[0:1]
	s_or_b32 s13, s13, vcc_lo
	s_delay_alu instid0(SALU_CYCLE_1) | instskip(NEXT) | instid1(SALU_CYCLE_1)
	s_and_saveexec_b32 s76, s13
	s_xor_b32 s13, exec_lo, s76
; %bb.28092:                            ;   in Loop: Header=BB6_27928 Depth=3
	v_min_i32_e32 v1, 31, v4
	s_delay_alu instid0(VALU_DEP_1) | instskip(NEXT) | instid1(VALU_DEP_1)
	v_lshl_or_b32 v1, v1, 2, v3
                                        ; implicit-def: $vgpr3
	v_and_or_b32 v34, v0, 3, v1
; %bb.28093:                            ;   in Loop: Header=BB6_27928 Depth=3
	s_and_not1_saveexec_b32 s13, s13
; %bb.28094:                            ;   in Loop: Header=BB6_27928 Depth=3
	v_mov_b32_e32 v34, v3
; %bb.28095:                            ;   in Loop: Header=BB6_27928 Depth=3
	s_or_b32 exec_lo, exec_lo, s13
.LBB6_28096:                            ;   in Loop: Header=BB6_27928 Depth=3
	s_delay_alu instid0(SALU_CYCLE_1)
	s_or_b32 exec_lo, exec_lo, s75
                                        ; implicit-def: $vgpr3
.LBB6_28097:                            ;   in Loop: Header=BB6_27928 Depth=3
	s_and_not1_saveexec_b32 s13, s15
; %bb.28098:                            ;   in Loop: Header=BB6_27928 Depth=3
	v_or_b32_e32 v34, 0x7b, v3
; %bb.28099:                            ;   in Loop: Header=BB6_27928 Depth=3
	s_or_b32 exec_lo, exec_lo, s13
                                        ; implicit-def: $vgpr4
                                        ; implicit-def: $vgpr0_vgpr1
.LBB6_28100:                            ;   in Loop: Header=BB6_27928 Depth=3
	s_and_not1_saveexec_b32 s13, s14
	s_cbranch_execz .LBB6_28106
; %bb.28101:                            ;   in Loop: Header=BB6_27928 Depth=3
	s_mov_b32 s14, exec_lo
                                        ; implicit-def: $vgpr34
	v_cmpx_ne_u64_e32 0, v[0:1]
	s_xor_b32 s14, exec_lo, s14
; %bb.28102:                            ;   in Loop: Header=BB6_27928 Depth=3
	v_lshrrev_b32_e32 v0, 24, v4
                                        ; implicit-def: $vgpr4
	s_delay_alu instid0(VALU_DEP_1)
	v_or_b32_e32 v34, 0x7f, v0
; %bb.28103:                            ;   in Loop: Header=BB6_27928 Depth=3
	s_and_not1_saveexec_b32 s14, s14
; %bb.28104:                            ;   in Loop: Header=BB6_27928 Depth=3
	v_cmp_lt_i32_e32 vcc_lo, -1, v4
	v_cndmask_b32_e64 v34, -4, 0x7c, vcc_lo
; %bb.28105:                            ;   in Loop: Header=BB6_27928 Depth=3
	s_or_b32 exec_lo, exec_lo, s14
.LBB6_28106:                            ;   in Loop: Header=BB6_27928 Depth=3
	s_delay_alu instid0(SALU_CYCLE_1)
	s_or_b32 exec_lo, exec_lo, s13
	flat_load_i8 v0, v[8:9] offset:160 th:TH_LOAD_NT
	v_mov_b32_e32 v3, 0
	s_mov_b32 s13, exec_lo
	s_wait_loadcnt_dscnt 0x0
	s_wait_xcnt 0x0
	v_cmpx_ne_u16_e32 0, v0
	s_cbranch_execz .LBB6_28116
; %bb.28107:                            ;   in Loop: Header=BB6_27928 Depth=3
	v_bfrev_b32_e32 v3, 1
	s_mov_b32 s14, exec_lo
	v_cmpx_ne_u16_e32 0xff80, v0
	s_cbranch_execz .LBB6_28115
; %bb.28108:                            ;   in Loop: Header=BB6_27928 Depth=3
	v_and_b32_e32 v3, 0x7c, v0
	v_and_b32_e32 v1, 3, v0
	s_delay_alu instid0(VALU_DEP_2) | instskip(SKIP_1) | instid1(SALU_CYCLE_1)
	v_cmp_ne_u32_e32 vcc_lo, 0x7c, v3
                                        ; implicit-def: $vgpr3
	s_and_saveexec_b32 s15, vcc_lo
	s_xor_b32 s15, exec_lo, s15
	s_cbranch_execz .LBB6_28112
; %bb.28109:                            ;   in Loop: Header=BB6_27928 Depth=3
	v_and_b32_e32 v3, 0xff, v0
	s_mov_b32 s75, exec_lo
	s_delay_alu instid0(VALU_DEP_1) | instskip(NEXT) | instid1(VALU_DEP_1)
	v_bfe_u32 v3, v3, 2, 5
	v_cmpx_eq_u32_e32 0, v3
	s_cbranch_execz .LBB6_28111
; %bb.28110:                            ;   in Loop: Header=BB6_27928 Depth=3
	v_clz_i32_u32_e32 v1, v1
	s_delay_alu instid0(VALU_DEP_1) | instskip(SKIP_1) | instid1(VALU_DEP_2)
	v_min_u32_e32 v3, 32, v1
	v_mov_b32_e32 v1, v113
	v_subrev_nc_u32_e32 v4, 29, v3
	v_sub_nc_u32_e32 v3, 30, v3
	s_delay_alu instid0(VALU_DEP_2) | instskip(NEXT) | instid1(VALU_DEP_1)
	v_lshlrev_b64_e32 v[4:5], v4, v[0:1]
	v_and_b32_e32 v1, 3, v4
.LBB6_28111:                            ;   in Loop: Header=BB6_27928 Depth=3
	s_or_b32 exec_lo, exec_lo, s75
	v_bfe_i32 v0, v0, 0, 16
	s_delay_alu instid0(VALU_DEP_1) | instskip(NEXT) | instid1(VALU_DEP_1)
	v_and_b32_e32 v0, 0x80000000, v0
	v_lshl_add_u32 v0, v3, 23, v0
	s_delay_alu instid0(VALU_DEP_1) | instskip(NEXT) | instid1(VALU_DEP_1)
	v_lshl_or_b32 v0, v1, 21, v0
                                        ; implicit-def: $vgpr1
	v_add_nc_u32_e32 v3, 0x38000000, v0
                                        ; implicit-def: $vgpr0
.LBB6_28112:                            ;   in Loop: Header=BB6_27928 Depth=3
	s_and_not1_saveexec_b32 s15, s15
; %bb.28113:                            ;   in Loop: Header=BB6_27928 Depth=3
	v_cmp_lt_i16_e32 vcc_lo, -1, v0
	v_mov_b32_e32 v0, 0x7f800000
	s_delay_alu instid0(VALU_DEP_1) | instskip(SKIP_1) | instid1(VALU_DEP_2)
	v_cndmask_b32_e32 v0, 0xff800000, v0, vcc_lo
	v_cmp_eq_u32_e32 vcc_lo, 0, v1
	v_cndmask_b32_e32 v3, 0x7f800001, v0, vcc_lo
; %bb.28114:                            ;   in Loop: Header=BB6_27928 Depth=3
	s_or_b32 exec_lo, exec_lo, s15
.LBB6_28115:                            ;   in Loop: Header=BB6_27928 Depth=3
	s_delay_alu instid0(SALU_CYCLE_1)
	s_or_b32 exec_lo, exec_lo, s14
.LBB6_28116:                            ;   in Loop: Header=BB6_27928 Depth=3
	s_delay_alu instid0(SALU_CYCLE_1) | instskip(NEXT) | instid1(VALU_DEP_1)
	s_or_b32 exec_lo, exec_lo, s13
	v_dual_mul_f32 v4, s74, v3 :: v_dual_mov_b32 v1, v113
                                        ; implicit-def: $vgpr120
	s_delay_alu instid0(VALU_DEP_1) | instskip(NEXT) | instid1(VALU_DEP_1)
	v_and_b32_e32 v0, 0x7f800000, v4
	v_cmp_ne_u64_e32 vcc_lo, 0x7f800000, v[0:1]
	v_and_b32_e32 v0, 0x7fffff, v4
	s_and_saveexec_b32 s13, vcc_lo
	s_delay_alu instid0(SALU_CYCLE_1)
	s_xor_b32 s14, exec_lo, s13
	s_cbranch_execz .LBB6_28134
; %bb.28117:                            ;   in Loop: Header=BB6_27928 Depth=3
	v_dual_mov_b32 v7, v113 :: v_dual_lshrrev_b32 v3, 24, v4
	v_and_b32_e32 v6, 0x7fffffff, v4
                                        ; implicit-def: $vgpr120
	s_mov_b32 s13, exec_lo
	s_delay_alu instid0(VALU_DEP_2) | instskip(NEXT) | instid1(VALU_DEP_2)
	v_and_b32_e32 v3, 0x80, v3
	v_cmpx_gt_u64_e32 0x47600001, v[6:7]
	s_xor_b32 s15, exec_lo, s13
	s_cbranch_execz .LBB6_28131
; %bb.28118:                            ;   in Loop: Header=BB6_27928 Depth=3
	v_mov_b32_e32 v120, 0
	s_mov_b32 s75, exec_lo
	v_cmpx_ne_u32_e32 0, v4
	s_cbranch_execz .LBB6_28130
; %bb.28119:                            ;   in Loop: Header=BB6_27928 Depth=3
	v_bfe_u32 v6, v4, 23, 8
	v_or_b32_e32 v14, 0x800000, v0
	s_delay_alu instid0(VALU_DEP_2) | instskip(SKIP_1) | instid1(VALU_DEP_2)
	v_sub_nc_u32_e32 v4, 0x71, v6
	v_cmp_gt_u32_e32 vcc_lo, 0x72, v6
	v_cndmask_b32_e32 v4, 0, v4, vcc_lo
	v_cmp_eq_u32_e32 vcc_lo, 0, v6
	s_delay_alu instid0(VALU_DEP_2) | instskip(NEXT) | instid1(VALU_DEP_1)
	v_cndmask_b32_e64 v7, v4, 0x70, vcc_lo
	v_dual_cndmask_b32 v0, v14, v0, vcc_lo :: v_dual_add_nc_u32 v4, 21, v7
	v_add_nc_u32_e32 v15, 20, v7
	s_delay_alu instid0(VALU_DEP_2) | instskip(NEXT) | instid1(VALU_DEP_2)
	v_lshlrev_b64_e64 v[4:5], v4, -1
	v_lshlrev_b64_e64 v[14:15], v15, 1
	s_delay_alu instid0(VALU_DEP_2) | instskip(SKIP_1) | instid1(VALU_DEP_4)
	v_bfi_b32 v4, v4, 0, v0
	v_lshrrev_b64 v[0:1], v7, v[0:1]
	v_bfi_b32 v5, v5, 0, 0
	s_delay_alu instid0(VALU_DEP_1) | instskip(NEXT) | instid1(VALU_DEP_3)
	v_cmp_eq_u64_e64 s13, v[4:5], v[14:15]
	v_mov_b64_e32 v[4:5], v[0:1]
	s_and_saveexec_b32 s76, s13
; %bb.28120:                            ;   in Loop: Header=BB6_27928 Depth=3
	v_bfe_u32 v4, v0, 21, 1
	v_mov_b32_e32 v5, v113
	s_delay_alu instid0(VALU_DEP_1) | instskip(NEXT) | instid1(VALU_DEP_1)
	v_add_nc_u64_e32 v[4:5], v[0:1], v[4:5]
	v_add_nc_u64_e32 v[4:5], -1, v[4:5]
; %bb.28121:                            ;   in Loop: Header=BB6_27928 Depth=3
	s_or_b32 exec_lo, exec_lo, s76
	v_add_nc_u32_e32 v1, 0xffffff81, v6
	v_lshrrev_b32_e32 v5, 23, v0
	s_mov_b32 s13, exec_lo
	s_delay_alu instid0(VALU_DEP_2) | instskip(NEXT) | instid1(VALU_DEP_1)
	v_cndmask_b32_e64 v1, v1, 0xffffff82, vcc_lo
	v_add3_u32 v5, v7, v1, v5
	v_and_b32_e32 v1, 0x1fffff, v4
                                        ; implicit-def: $vgpr4
	s_delay_alu instid0(VALU_DEP_1) | instskip(SKIP_1) | instid1(VALU_DEP_2)
	v_dual_add_nc_u32 v6, 14, v5 :: v_dual_add_nc_u32 v0, v1, v0
	v_mov_b32_e32 v1, v113
	v_cmpx_ne_u32_e32 0, v6
	s_xor_b32 s13, exec_lo, s13
; %bb.28122:                            ;   in Loop: Header=BB6_27928 Depth=3
	s_delay_alu instid0(VALU_DEP_2) | instskip(SKIP_2) | instid1(VALU_DEP_2)
	v_cmp_lt_u64_e32 vcc_lo, 0xffffff, v[0:1]
	v_add_nc_u32_e32 v4, 15, v5
	v_cndmask_b32_e64 v5, 0, 1, vcc_lo
	v_cndmask_b32_e32 v4, v6, v4, vcc_lo
	s_delay_alu instid0(VALU_DEP_2)
	v_lshrrev_b64 v[0:1], v5, v[0:1]
; %bb.28123:                            ;   in Loop: Header=BB6_27928 Depth=3
	s_and_not1_saveexec_b32 s13, s13
; %bb.28124:                            ;   in Loop: Header=BB6_27928 Depth=3
	s_delay_alu instid0(VALU_DEP_1)
	v_bfe_u32 v4, v0, 23, 1
; %bb.28125:                            ;   in Loop: Header=BB6_27928 Depth=3
	s_or_b32 exec_lo, exec_lo, s13
	s_delay_alu instid0(VALU_DEP_2) | instskip(NEXT) | instid1(VALU_DEP_2)
	v_lshrrev_b64 v[0:1], 21, v[0:1]
	v_cmp_gt_i32_e32 vcc_lo, 32, v4
	v_cmp_ne_u32_e64 s13, 0, v4
                                        ; implicit-def: $vgpr120
	s_delay_alu instid0(VALU_DEP_3) | instskip(NEXT) | instid1(VALU_DEP_1)
	v_dual_cndmask_b32 v1, 0, v1 :: v_dual_cndmask_b32 v0, 3, v0
	v_cmp_ne_u64_e32 vcc_lo, 0, v[0:1]
	s_or_b32 s13, s13, vcc_lo
	s_delay_alu instid0(SALU_CYCLE_1) | instskip(NEXT) | instid1(SALU_CYCLE_1)
	s_and_saveexec_b32 s76, s13
	s_xor_b32 s13, exec_lo, s76
; %bb.28126:                            ;   in Loop: Header=BB6_27928 Depth=3
	v_min_i32_e32 v1, 31, v4
	s_delay_alu instid0(VALU_DEP_1) | instskip(NEXT) | instid1(VALU_DEP_1)
	v_lshl_or_b32 v1, v1, 2, v3
                                        ; implicit-def: $vgpr3
	v_and_or_b32 v120, v0, 3, v1
; %bb.28127:                            ;   in Loop: Header=BB6_27928 Depth=3
	s_and_not1_saveexec_b32 s13, s13
; %bb.28128:                            ;   in Loop: Header=BB6_27928 Depth=3
	v_mov_b32_e32 v120, v3
; %bb.28129:                            ;   in Loop: Header=BB6_27928 Depth=3
	s_or_b32 exec_lo, exec_lo, s13
.LBB6_28130:                            ;   in Loop: Header=BB6_27928 Depth=3
	s_delay_alu instid0(SALU_CYCLE_1)
	s_or_b32 exec_lo, exec_lo, s75
                                        ; implicit-def: $vgpr3
.LBB6_28131:                            ;   in Loop: Header=BB6_27928 Depth=3
	s_and_not1_saveexec_b32 s13, s15
; %bb.28132:                            ;   in Loop: Header=BB6_27928 Depth=3
	v_or_b32_e32 v120, 0x7b, v3
; %bb.28133:                            ;   in Loop: Header=BB6_27928 Depth=3
	s_or_b32 exec_lo, exec_lo, s13
                                        ; implicit-def: $vgpr4
                                        ; implicit-def: $vgpr0_vgpr1
.LBB6_28134:                            ;   in Loop: Header=BB6_27928 Depth=3
	s_and_not1_saveexec_b32 s13, s14
	s_cbranch_execz .LBB6_28140
; %bb.28135:                            ;   in Loop: Header=BB6_27928 Depth=3
	s_mov_b32 s14, exec_lo
                                        ; implicit-def: $vgpr120
	v_cmpx_ne_u64_e32 0, v[0:1]
	s_xor_b32 s14, exec_lo, s14
; %bb.28136:                            ;   in Loop: Header=BB6_27928 Depth=3
	v_lshrrev_b32_e32 v0, 24, v4
                                        ; implicit-def: $vgpr4
	s_delay_alu instid0(VALU_DEP_1)
	v_or_b32_e32 v120, 0x7f, v0
; %bb.28137:                            ;   in Loop: Header=BB6_27928 Depth=3
	s_and_not1_saveexec_b32 s14, s14
; %bb.28138:                            ;   in Loop: Header=BB6_27928 Depth=3
	v_cmp_lt_i32_e32 vcc_lo, -1, v4
	v_cndmask_b32_e64 v120, -4, 0x7c, vcc_lo
; %bb.28139:                            ;   in Loop: Header=BB6_27928 Depth=3
	s_or_b32 exec_lo, exec_lo, s14
.LBB6_28140:                            ;   in Loop: Header=BB6_27928 Depth=3
	s_delay_alu instid0(SALU_CYCLE_1)
	s_or_b32 exec_lo, exec_lo, s13
	flat_load_i8 v0, v[8:9] offset:192 th:TH_LOAD_NT
	v_mov_b32_e32 v3, 0
	s_mov_b32 s13, exec_lo
	s_wait_loadcnt_dscnt 0x0
	s_wait_xcnt 0x0
	v_cmpx_ne_u16_e32 0, v0
	s_cbranch_execz .LBB6_28150
; %bb.28141:                            ;   in Loop: Header=BB6_27928 Depth=3
	v_bfrev_b32_e32 v3, 1
	s_mov_b32 s14, exec_lo
	v_cmpx_ne_u16_e32 0xff80, v0
	s_cbranch_execz .LBB6_28149
; %bb.28142:                            ;   in Loop: Header=BB6_27928 Depth=3
	v_and_b32_e32 v3, 0x7c, v0
	v_and_b32_e32 v1, 3, v0
	s_delay_alu instid0(VALU_DEP_2) | instskip(SKIP_1) | instid1(SALU_CYCLE_1)
	v_cmp_ne_u32_e32 vcc_lo, 0x7c, v3
                                        ; implicit-def: $vgpr3
	s_and_saveexec_b32 s15, vcc_lo
	s_xor_b32 s15, exec_lo, s15
	s_cbranch_execz .LBB6_28146
; %bb.28143:                            ;   in Loop: Header=BB6_27928 Depth=3
	v_and_b32_e32 v3, 0xff, v0
	s_mov_b32 s75, exec_lo
	s_delay_alu instid0(VALU_DEP_1) | instskip(NEXT) | instid1(VALU_DEP_1)
	v_bfe_u32 v3, v3, 2, 5
	v_cmpx_eq_u32_e32 0, v3
	s_cbranch_execz .LBB6_28145
; %bb.28144:                            ;   in Loop: Header=BB6_27928 Depth=3
	v_clz_i32_u32_e32 v1, v1
	s_delay_alu instid0(VALU_DEP_1) | instskip(SKIP_1) | instid1(VALU_DEP_2)
	v_min_u32_e32 v3, 32, v1
	v_mov_b32_e32 v1, v113
	v_subrev_nc_u32_e32 v4, 29, v3
	v_sub_nc_u32_e32 v3, 30, v3
	s_delay_alu instid0(VALU_DEP_2) | instskip(NEXT) | instid1(VALU_DEP_1)
	v_lshlrev_b64_e32 v[4:5], v4, v[0:1]
	v_and_b32_e32 v1, 3, v4
.LBB6_28145:                            ;   in Loop: Header=BB6_27928 Depth=3
	s_or_b32 exec_lo, exec_lo, s75
	v_bfe_i32 v0, v0, 0, 16
	s_delay_alu instid0(VALU_DEP_1) | instskip(NEXT) | instid1(VALU_DEP_1)
	v_and_b32_e32 v0, 0x80000000, v0
	v_lshl_add_u32 v0, v3, 23, v0
	s_delay_alu instid0(VALU_DEP_1) | instskip(NEXT) | instid1(VALU_DEP_1)
	v_lshl_or_b32 v0, v1, 21, v0
                                        ; implicit-def: $vgpr1
	v_add_nc_u32_e32 v3, 0x38000000, v0
                                        ; implicit-def: $vgpr0
.LBB6_28146:                            ;   in Loop: Header=BB6_27928 Depth=3
	s_and_not1_saveexec_b32 s15, s15
; %bb.28147:                            ;   in Loop: Header=BB6_27928 Depth=3
	v_cmp_lt_i16_e32 vcc_lo, -1, v0
	v_mov_b32_e32 v0, 0x7f800000
	s_delay_alu instid0(VALU_DEP_1) | instskip(SKIP_1) | instid1(VALU_DEP_2)
	v_cndmask_b32_e32 v0, 0xff800000, v0, vcc_lo
	v_cmp_eq_u32_e32 vcc_lo, 0, v1
	v_cndmask_b32_e32 v3, 0x7f800001, v0, vcc_lo
; %bb.28148:                            ;   in Loop: Header=BB6_27928 Depth=3
	s_or_b32 exec_lo, exec_lo, s15
.LBB6_28149:                            ;   in Loop: Header=BB6_27928 Depth=3
	s_delay_alu instid0(SALU_CYCLE_1)
	s_or_b32 exec_lo, exec_lo, s14
.LBB6_28150:                            ;   in Loop: Header=BB6_27928 Depth=3
	s_delay_alu instid0(SALU_CYCLE_1) | instskip(NEXT) | instid1(VALU_DEP_1)
	s_or_b32 exec_lo, exec_lo, s13
	v_dual_mul_f32 v4, s74, v3 :: v_dual_mov_b32 v1, v113
                                        ; implicit-def: $vgpr40
	s_delay_alu instid0(VALU_DEP_1) | instskip(NEXT) | instid1(VALU_DEP_1)
	v_and_b32_e32 v0, 0x7f800000, v4
	v_cmp_ne_u64_e32 vcc_lo, 0x7f800000, v[0:1]
	v_and_b32_e32 v0, 0x7fffff, v4
	s_and_saveexec_b32 s13, vcc_lo
	s_delay_alu instid0(SALU_CYCLE_1)
	s_xor_b32 s14, exec_lo, s13
	s_cbranch_execz .LBB6_28168
; %bb.28151:                            ;   in Loop: Header=BB6_27928 Depth=3
	v_dual_mov_b32 v7, v113 :: v_dual_lshrrev_b32 v3, 24, v4
	v_and_b32_e32 v6, 0x7fffffff, v4
                                        ; implicit-def: $vgpr40
	s_mov_b32 s13, exec_lo
	s_delay_alu instid0(VALU_DEP_2) | instskip(NEXT) | instid1(VALU_DEP_2)
	v_and_b32_e32 v3, 0x80, v3
	v_cmpx_gt_u64_e32 0x47600001, v[6:7]
	s_xor_b32 s15, exec_lo, s13
	s_cbranch_execz .LBB6_28165
; %bb.28152:                            ;   in Loop: Header=BB6_27928 Depth=3
	v_mov_b32_e32 v40, 0
	s_mov_b32 s75, exec_lo
	v_cmpx_ne_u32_e32 0, v4
	s_cbranch_execz .LBB6_28164
; %bb.28153:                            ;   in Loop: Header=BB6_27928 Depth=3
	v_bfe_u32 v6, v4, 23, 8
	v_or_b32_e32 v14, 0x800000, v0
	s_delay_alu instid0(VALU_DEP_2) | instskip(SKIP_1) | instid1(VALU_DEP_2)
	v_sub_nc_u32_e32 v4, 0x71, v6
	v_cmp_gt_u32_e32 vcc_lo, 0x72, v6
	v_cndmask_b32_e32 v4, 0, v4, vcc_lo
	v_cmp_eq_u32_e32 vcc_lo, 0, v6
	s_delay_alu instid0(VALU_DEP_2) | instskip(NEXT) | instid1(VALU_DEP_1)
	v_cndmask_b32_e64 v7, v4, 0x70, vcc_lo
	v_dual_cndmask_b32 v0, v14, v0, vcc_lo :: v_dual_add_nc_u32 v4, 21, v7
	v_add_nc_u32_e32 v15, 20, v7
	s_delay_alu instid0(VALU_DEP_2) | instskip(NEXT) | instid1(VALU_DEP_2)
	v_lshlrev_b64_e64 v[4:5], v4, -1
	v_lshlrev_b64_e64 v[14:15], v15, 1
	s_delay_alu instid0(VALU_DEP_2) | instskip(SKIP_1) | instid1(VALU_DEP_4)
	v_bfi_b32 v4, v4, 0, v0
	v_lshrrev_b64 v[0:1], v7, v[0:1]
	v_bfi_b32 v5, v5, 0, 0
	s_delay_alu instid0(VALU_DEP_1) | instskip(NEXT) | instid1(VALU_DEP_3)
	v_cmp_eq_u64_e64 s13, v[4:5], v[14:15]
	v_mov_b64_e32 v[4:5], v[0:1]
	s_and_saveexec_b32 s76, s13
; %bb.28154:                            ;   in Loop: Header=BB6_27928 Depth=3
	v_bfe_u32 v4, v0, 21, 1
	v_mov_b32_e32 v5, v113
	s_delay_alu instid0(VALU_DEP_1) | instskip(NEXT) | instid1(VALU_DEP_1)
	v_add_nc_u64_e32 v[4:5], v[0:1], v[4:5]
	v_add_nc_u64_e32 v[4:5], -1, v[4:5]
; %bb.28155:                            ;   in Loop: Header=BB6_27928 Depth=3
	s_or_b32 exec_lo, exec_lo, s76
	v_add_nc_u32_e32 v1, 0xffffff81, v6
	v_lshrrev_b32_e32 v5, 23, v0
	s_mov_b32 s13, exec_lo
	s_delay_alu instid0(VALU_DEP_2) | instskip(NEXT) | instid1(VALU_DEP_1)
	v_cndmask_b32_e64 v1, v1, 0xffffff82, vcc_lo
	v_add3_u32 v5, v7, v1, v5
	v_and_b32_e32 v1, 0x1fffff, v4
                                        ; implicit-def: $vgpr4
	s_delay_alu instid0(VALU_DEP_1) | instskip(SKIP_1) | instid1(VALU_DEP_2)
	v_dual_add_nc_u32 v6, 14, v5 :: v_dual_add_nc_u32 v0, v1, v0
	v_mov_b32_e32 v1, v113
	v_cmpx_ne_u32_e32 0, v6
	s_xor_b32 s13, exec_lo, s13
; %bb.28156:                            ;   in Loop: Header=BB6_27928 Depth=3
	s_delay_alu instid0(VALU_DEP_2) | instskip(SKIP_2) | instid1(VALU_DEP_2)
	v_cmp_lt_u64_e32 vcc_lo, 0xffffff, v[0:1]
	v_add_nc_u32_e32 v4, 15, v5
	v_cndmask_b32_e64 v5, 0, 1, vcc_lo
	v_cndmask_b32_e32 v4, v6, v4, vcc_lo
	s_delay_alu instid0(VALU_DEP_2)
	v_lshrrev_b64 v[0:1], v5, v[0:1]
; %bb.28157:                            ;   in Loop: Header=BB6_27928 Depth=3
	s_and_not1_saveexec_b32 s13, s13
; %bb.28158:                            ;   in Loop: Header=BB6_27928 Depth=3
	s_delay_alu instid0(VALU_DEP_1)
	v_bfe_u32 v4, v0, 23, 1
; %bb.28159:                            ;   in Loop: Header=BB6_27928 Depth=3
	s_or_b32 exec_lo, exec_lo, s13
	s_delay_alu instid0(VALU_DEP_2) | instskip(NEXT) | instid1(VALU_DEP_2)
	v_lshrrev_b64 v[0:1], 21, v[0:1]
	v_cmp_gt_i32_e32 vcc_lo, 32, v4
	v_cmp_ne_u32_e64 s13, 0, v4
                                        ; implicit-def: $vgpr40
	s_delay_alu instid0(VALU_DEP_3) | instskip(NEXT) | instid1(VALU_DEP_1)
	v_dual_cndmask_b32 v1, 0, v1 :: v_dual_cndmask_b32 v0, 3, v0
	v_cmp_ne_u64_e32 vcc_lo, 0, v[0:1]
	s_or_b32 s13, s13, vcc_lo
	s_delay_alu instid0(SALU_CYCLE_1) | instskip(NEXT) | instid1(SALU_CYCLE_1)
	s_and_saveexec_b32 s76, s13
	s_xor_b32 s13, exec_lo, s76
; %bb.28160:                            ;   in Loop: Header=BB6_27928 Depth=3
	v_min_i32_e32 v1, 31, v4
	s_delay_alu instid0(VALU_DEP_1) | instskip(NEXT) | instid1(VALU_DEP_1)
	v_lshl_or_b32 v1, v1, 2, v3
                                        ; implicit-def: $vgpr3
	v_and_or_b32 v40, v0, 3, v1
; %bb.28161:                            ;   in Loop: Header=BB6_27928 Depth=3
	s_and_not1_saveexec_b32 s13, s13
; %bb.28162:                            ;   in Loop: Header=BB6_27928 Depth=3
	v_mov_b32_e32 v40, v3
; %bb.28163:                            ;   in Loop: Header=BB6_27928 Depth=3
	s_or_b32 exec_lo, exec_lo, s13
.LBB6_28164:                            ;   in Loop: Header=BB6_27928 Depth=3
	s_delay_alu instid0(SALU_CYCLE_1)
	s_or_b32 exec_lo, exec_lo, s75
                                        ; implicit-def: $vgpr3
.LBB6_28165:                            ;   in Loop: Header=BB6_27928 Depth=3
	s_and_not1_saveexec_b32 s13, s15
; %bb.28166:                            ;   in Loop: Header=BB6_27928 Depth=3
	v_or_b32_e32 v40, 0x7b, v3
; %bb.28167:                            ;   in Loop: Header=BB6_27928 Depth=3
	s_or_b32 exec_lo, exec_lo, s13
                                        ; implicit-def: $vgpr4
                                        ; implicit-def: $vgpr0_vgpr1
.LBB6_28168:                            ;   in Loop: Header=BB6_27928 Depth=3
	s_and_not1_saveexec_b32 s13, s14
	s_cbranch_execz .LBB6_28174
; %bb.28169:                            ;   in Loop: Header=BB6_27928 Depth=3
	s_mov_b32 s14, exec_lo
                                        ; implicit-def: $vgpr40
	v_cmpx_ne_u64_e32 0, v[0:1]
	s_xor_b32 s14, exec_lo, s14
; %bb.28170:                            ;   in Loop: Header=BB6_27928 Depth=3
	v_lshrrev_b32_e32 v0, 24, v4
                                        ; implicit-def: $vgpr4
	s_delay_alu instid0(VALU_DEP_1)
	v_or_b32_e32 v40, 0x7f, v0
; %bb.28171:                            ;   in Loop: Header=BB6_27928 Depth=3
	s_and_not1_saveexec_b32 s14, s14
; %bb.28172:                            ;   in Loop: Header=BB6_27928 Depth=3
	v_cmp_lt_i32_e32 vcc_lo, -1, v4
	v_cndmask_b32_e64 v40, -4, 0x7c, vcc_lo
; %bb.28173:                            ;   in Loop: Header=BB6_27928 Depth=3
	s_or_b32 exec_lo, exec_lo, s14
.LBB6_28174:                            ;   in Loop: Header=BB6_27928 Depth=3
	s_delay_alu instid0(SALU_CYCLE_1)
	s_or_b32 exec_lo, exec_lo, s13
	flat_load_i8 v0, v[8:9] offset:224 th:TH_LOAD_NT
	v_mov_b32_e32 v3, 0
	s_mov_b32 s13, exec_lo
	s_wait_loadcnt_dscnt 0x0
	s_wait_xcnt 0x0
	v_cmpx_ne_u16_e32 0, v0
	s_cbranch_execz .LBB6_28184
; %bb.28175:                            ;   in Loop: Header=BB6_27928 Depth=3
	v_bfrev_b32_e32 v3, 1
	s_mov_b32 s14, exec_lo
	v_cmpx_ne_u16_e32 0xff80, v0
	s_cbranch_execz .LBB6_28183
; %bb.28176:                            ;   in Loop: Header=BB6_27928 Depth=3
	v_and_b32_e32 v3, 0x7c, v0
	v_and_b32_e32 v1, 3, v0
	s_delay_alu instid0(VALU_DEP_2) | instskip(SKIP_1) | instid1(SALU_CYCLE_1)
	v_cmp_ne_u32_e32 vcc_lo, 0x7c, v3
                                        ; implicit-def: $vgpr3
	s_and_saveexec_b32 s15, vcc_lo
	s_xor_b32 s15, exec_lo, s15
	s_cbranch_execz .LBB6_28180
; %bb.28177:                            ;   in Loop: Header=BB6_27928 Depth=3
	v_and_b32_e32 v3, 0xff, v0
	s_mov_b32 s75, exec_lo
	s_delay_alu instid0(VALU_DEP_1) | instskip(NEXT) | instid1(VALU_DEP_1)
	v_bfe_u32 v3, v3, 2, 5
	v_cmpx_eq_u32_e32 0, v3
	s_cbranch_execz .LBB6_28179
; %bb.28178:                            ;   in Loop: Header=BB6_27928 Depth=3
	v_clz_i32_u32_e32 v1, v1
	s_delay_alu instid0(VALU_DEP_1) | instskip(SKIP_1) | instid1(VALU_DEP_2)
	v_min_u32_e32 v3, 32, v1
	v_mov_b32_e32 v1, v113
	v_subrev_nc_u32_e32 v4, 29, v3
	v_sub_nc_u32_e32 v3, 30, v3
	s_delay_alu instid0(VALU_DEP_2) | instskip(NEXT) | instid1(VALU_DEP_1)
	v_lshlrev_b64_e32 v[4:5], v4, v[0:1]
	v_and_b32_e32 v1, 3, v4
.LBB6_28179:                            ;   in Loop: Header=BB6_27928 Depth=3
	s_or_b32 exec_lo, exec_lo, s75
	v_bfe_i32 v0, v0, 0, 16
	s_delay_alu instid0(VALU_DEP_1) | instskip(NEXT) | instid1(VALU_DEP_1)
	v_and_b32_e32 v0, 0x80000000, v0
	v_lshl_add_u32 v0, v3, 23, v0
	s_delay_alu instid0(VALU_DEP_1) | instskip(NEXT) | instid1(VALU_DEP_1)
	v_lshl_or_b32 v0, v1, 21, v0
                                        ; implicit-def: $vgpr1
	v_add_nc_u32_e32 v3, 0x38000000, v0
                                        ; implicit-def: $vgpr0
.LBB6_28180:                            ;   in Loop: Header=BB6_27928 Depth=3
	s_and_not1_saveexec_b32 s15, s15
; %bb.28181:                            ;   in Loop: Header=BB6_27928 Depth=3
	v_cmp_lt_i16_e32 vcc_lo, -1, v0
	v_mov_b32_e32 v0, 0x7f800000
	s_delay_alu instid0(VALU_DEP_1) | instskip(SKIP_1) | instid1(VALU_DEP_2)
	v_cndmask_b32_e32 v0, 0xff800000, v0, vcc_lo
	v_cmp_eq_u32_e32 vcc_lo, 0, v1
	v_cndmask_b32_e32 v3, 0x7f800001, v0, vcc_lo
; %bb.28182:                            ;   in Loop: Header=BB6_27928 Depth=3
	s_or_b32 exec_lo, exec_lo, s15
.LBB6_28183:                            ;   in Loop: Header=BB6_27928 Depth=3
	s_delay_alu instid0(SALU_CYCLE_1)
	s_or_b32 exec_lo, exec_lo, s14
.LBB6_28184:                            ;   in Loop: Header=BB6_27928 Depth=3
	s_delay_alu instid0(SALU_CYCLE_1) | instskip(NEXT) | instid1(VALU_DEP_1)
	s_or_b32 exec_lo, exec_lo, s13
	v_dual_mul_f32 v4, s74, v3 :: v_dual_mov_b32 v1, v113
                                        ; implicit-def: $vgpr114
	s_delay_alu instid0(VALU_DEP_1) | instskip(NEXT) | instid1(VALU_DEP_1)
	v_and_b32_e32 v0, 0x7f800000, v4
	v_cmp_ne_u64_e32 vcc_lo, 0x7f800000, v[0:1]
	v_and_b32_e32 v0, 0x7fffff, v4
	s_and_saveexec_b32 s13, vcc_lo
	s_delay_alu instid0(SALU_CYCLE_1)
	s_xor_b32 s14, exec_lo, s13
	s_cbranch_execz .LBB6_28202
; %bb.28185:                            ;   in Loop: Header=BB6_27928 Depth=3
	v_dual_mov_b32 v7, v113 :: v_dual_lshrrev_b32 v3, 24, v4
	v_and_b32_e32 v6, 0x7fffffff, v4
                                        ; implicit-def: $vgpr114
	s_mov_b32 s13, exec_lo
	s_delay_alu instid0(VALU_DEP_2) | instskip(NEXT) | instid1(VALU_DEP_2)
	v_and_b32_e32 v3, 0x80, v3
	v_cmpx_gt_u64_e32 0x47600001, v[6:7]
	s_xor_b32 s15, exec_lo, s13
	s_cbranch_execz .LBB6_28199
; %bb.28186:                            ;   in Loop: Header=BB6_27928 Depth=3
	v_mov_b32_e32 v114, 0
	s_mov_b32 s75, exec_lo
	v_cmpx_ne_u32_e32 0, v4
	s_cbranch_execz .LBB6_28198
; %bb.28187:                            ;   in Loop: Header=BB6_27928 Depth=3
	v_bfe_u32 v6, v4, 23, 8
	v_or_b32_e32 v14, 0x800000, v0
	s_delay_alu instid0(VALU_DEP_2) | instskip(SKIP_1) | instid1(VALU_DEP_2)
	v_sub_nc_u32_e32 v4, 0x71, v6
	v_cmp_gt_u32_e32 vcc_lo, 0x72, v6
	v_cndmask_b32_e32 v4, 0, v4, vcc_lo
	v_cmp_eq_u32_e32 vcc_lo, 0, v6
	s_delay_alu instid0(VALU_DEP_2) | instskip(NEXT) | instid1(VALU_DEP_1)
	v_cndmask_b32_e64 v7, v4, 0x70, vcc_lo
	v_dual_cndmask_b32 v0, v14, v0, vcc_lo :: v_dual_add_nc_u32 v4, 21, v7
	v_add_nc_u32_e32 v15, 20, v7
	s_delay_alu instid0(VALU_DEP_2) | instskip(NEXT) | instid1(VALU_DEP_2)
	v_lshlrev_b64_e64 v[4:5], v4, -1
	v_lshlrev_b64_e64 v[14:15], v15, 1
	s_delay_alu instid0(VALU_DEP_2) | instskip(SKIP_1) | instid1(VALU_DEP_4)
	v_bfi_b32 v4, v4, 0, v0
	v_lshrrev_b64 v[0:1], v7, v[0:1]
	v_bfi_b32 v5, v5, 0, 0
	s_delay_alu instid0(VALU_DEP_1) | instskip(NEXT) | instid1(VALU_DEP_3)
	v_cmp_eq_u64_e64 s13, v[4:5], v[14:15]
	v_mov_b64_e32 v[4:5], v[0:1]
	s_and_saveexec_b32 s76, s13
; %bb.28188:                            ;   in Loop: Header=BB6_27928 Depth=3
	v_bfe_u32 v4, v0, 21, 1
	v_mov_b32_e32 v5, v113
	s_delay_alu instid0(VALU_DEP_1) | instskip(NEXT) | instid1(VALU_DEP_1)
	v_add_nc_u64_e32 v[4:5], v[0:1], v[4:5]
	v_add_nc_u64_e32 v[4:5], -1, v[4:5]
; %bb.28189:                            ;   in Loop: Header=BB6_27928 Depth=3
	s_or_b32 exec_lo, exec_lo, s76
	v_add_nc_u32_e32 v1, 0xffffff81, v6
	v_lshrrev_b32_e32 v5, 23, v0
	s_mov_b32 s13, exec_lo
	s_delay_alu instid0(VALU_DEP_2) | instskip(NEXT) | instid1(VALU_DEP_1)
	v_cndmask_b32_e64 v1, v1, 0xffffff82, vcc_lo
	v_add3_u32 v5, v7, v1, v5
	v_and_b32_e32 v1, 0x1fffff, v4
                                        ; implicit-def: $vgpr4
	s_delay_alu instid0(VALU_DEP_1) | instskip(SKIP_1) | instid1(VALU_DEP_2)
	v_dual_add_nc_u32 v6, 14, v5 :: v_dual_add_nc_u32 v0, v1, v0
	v_mov_b32_e32 v1, v113
	v_cmpx_ne_u32_e32 0, v6
	s_xor_b32 s13, exec_lo, s13
; %bb.28190:                            ;   in Loop: Header=BB6_27928 Depth=3
	s_delay_alu instid0(VALU_DEP_2) | instskip(SKIP_2) | instid1(VALU_DEP_2)
	v_cmp_lt_u64_e32 vcc_lo, 0xffffff, v[0:1]
	v_add_nc_u32_e32 v4, 15, v5
	v_cndmask_b32_e64 v5, 0, 1, vcc_lo
	v_cndmask_b32_e32 v4, v6, v4, vcc_lo
	s_delay_alu instid0(VALU_DEP_2)
	v_lshrrev_b64 v[0:1], v5, v[0:1]
; %bb.28191:                            ;   in Loop: Header=BB6_27928 Depth=3
	s_and_not1_saveexec_b32 s13, s13
; %bb.28192:                            ;   in Loop: Header=BB6_27928 Depth=3
	s_delay_alu instid0(VALU_DEP_1)
	v_bfe_u32 v4, v0, 23, 1
; %bb.28193:                            ;   in Loop: Header=BB6_27928 Depth=3
	s_or_b32 exec_lo, exec_lo, s13
	s_delay_alu instid0(VALU_DEP_2) | instskip(NEXT) | instid1(VALU_DEP_2)
	v_lshrrev_b64 v[0:1], 21, v[0:1]
	v_cmp_gt_i32_e32 vcc_lo, 32, v4
	v_cmp_ne_u32_e64 s13, 0, v4
                                        ; implicit-def: $vgpr114
	s_delay_alu instid0(VALU_DEP_3) | instskip(NEXT) | instid1(VALU_DEP_1)
	v_dual_cndmask_b32 v1, 0, v1 :: v_dual_cndmask_b32 v0, 3, v0
	v_cmp_ne_u64_e32 vcc_lo, 0, v[0:1]
	s_or_b32 s13, s13, vcc_lo
	s_delay_alu instid0(SALU_CYCLE_1) | instskip(NEXT) | instid1(SALU_CYCLE_1)
	s_and_saveexec_b32 s76, s13
	s_xor_b32 s13, exec_lo, s76
; %bb.28194:                            ;   in Loop: Header=BB6_27928 Depth=3
	v_min_i32_e32 v1, 31, v4
	s_delay_alu instid0(VALU_DEP_1) | instskip(NEXT) | instid1(VALU_DEP_1)
	v_lshl_or_b32 v1, v1, 2, v3
                                        ; implicit-def: $vgpr3
	v_and_or_b32 v114, v0, 3, v1
; %bb.28195:                            ;   in Loop: Header=BB6_27928 Depth=3
	s_and_not1_saveexec_b32 s13, s13
; %bb.28196:                            ;   in Loop: Header=BB6_27928 Depth=3
	v_mov_b32_e32 v114, v3
; %bb.28197:                            ;   in Loop: Header=BB6_27928 Depth=3
	s_or_b32 exec_lo, exec_lo, s13
.LBB6_28198:                            ;   in Loop: Header=BB6_27928 Depth=3
	s_delay_alu instid0(SALU_CYCLE_1)
	s_or_b32 exec_lo, exec_lo, s75
                                        ; implicit-def: $vgpr3
.LBB6_28199:                            ;   in Loop: Header=BB6_27928 Depth=3
	s_and_not1_saveexec_b32 s13, s15
; %bb.28200:                            ;   in Loop: Header=BB6_27928 Depth=3
	v_or_b32_e32 v114, 0x7b, v3
; %bb.28201:                            ;   in Loop: Header=BB6_27928 Depth=3
	s_or_b32 exec_lo, exec_lo, s13
                                        ; implicit-def: $vgpr4
                                        ; implicit-def: $vgpr0_vgpr1
.LBB6_28202:                            ;   in Loop: Header=BB6_27928 Depth=3
	s_and_not1_saveexec_b32 s13, s14
	s_cbranch_execz .LBB6_28208
; %bb.28203:                            ;   in Loop: Header=BB6_27928 Depth=3
	s_mov_b32 s14, exec_lo
                                        ; implicit-def: $vgpr114
	v_cmpx_ne_u64_e32 0, v[0:1]
	s_xor_b32 s14, exec_lo, s14
; %bb.28204:                            ;   in Loop: Header=BB6_27928 Depth=3
	v_lshrrev_b32_e32 v0, 24, v4
                                        ; implicit-def: $vgpr4
	s_delay_alu instid0(VALU_DEP_1)
	v_or_b32_e32 v114, 0x7f, v0
; %bb.28205:                            ;   in Loop: Header=BB6_27928 Depth=3
	s_and_not1_saveexec_b32 s14, s14
; %bb.28206:                            ;   in Loop: Header=BB6_27928 Depth=3
	v_cmp_lt_i32_e32 vcc_lo, -1, v4
	v_cndmask_b32_e64 v114, -4, 0x7c, vcc_lo
; %bb.28207:                            ;   in Loop: Header=BB6_27928 Depth=3
	s_or_b32 exec_lo, exec_lo, s14
.LBB6_28208:                            ;   in Loop: Header=BB6_27928 Depth=3
	s_delay_alu instid0(SALU_CYCLE_1)
	s_or_b32 exec_lo, exec_lo, s13
	flat_load_i8 v0, v[8:9] offset:256 th:TH_LOAD_NT
	v_mov_b32_e32 v3, 0
	s_mov_b32 s13, exec_lo
	s_wait_loadcnt_dscnt 0x0
	s_wait_xcnt 0x0
	v_cmpx_ne_u16_e32 0, v0
	s_cbranch_execz .LBB6_28218
; %bb.28209:                            ;   in Loop: Header=BB6_27928 Depth=3
	v_bfrev_b32_e32 v3, 1
	s_mov_b32 s14, exec_lo
	v_cmpx_ne_u16_e32 0xff80, v0
	s_cbranch_execz .LBB6_28217
; %bb.28210:                            ;   in Loop: Header=BB6_27928 Depth=3
	v_and_b32_e32 v3, 0x7c, v0
	v_and_b32_e32 v1, 3, v0
	s_delay_alu instid0(VALU_DEP_2) | instskip(SKIP_1) | instid1(SALU_CYCLE_1)
	v_cmp_ne_u32_e32 vcc_lo, 0x7c, v3
                                        ; implicit-def: $vgpr3
	s_and_saveexec_b32 s15, vcc_lo
	s_xor_b32 s15, exec_lo, s15
	s_cbranch_execz .LBB6_28214
; %bb.28211:                            ;   in Loop: Header=BB6_27928 Depth=3
	v_and_b32_e32 v3, 0xff, v0
	s_mov_b32 s75, exec_lo
	s_delay_alu instid0(VALU_DEP_1) | instskip(NEXT) | instid1(VALU_DEP_1)
	v_bfe_u32 v3, v3, 2, 5
	v_cmpx_eq_u32_e32 0, v3
	s_cbranch_execz .LBB6_28213
; %bb.28212:                            ;   in Loop: Header=BB6_27928 Depth=3
	v_clz_i32_u32_e32 v1, v1
	s_delay_alu instid0(VALU_DEP_1) | instskip(SKIP_1) | instid1(VALU_DEP_2)
	v_min_u32_e32 v3, 32, v1
	v_mov_b32_e32 v1, v113
	v_subrev_nc_u32_e32 v4, 29, v3
	v_sub_nc_u32_e32 v3, 30, v3
	s_delay_alu instid0(VALU_DEP_2) | instskip(NEXT) | instid1(VALU_DEP_1)
	v_lshlrev_b64_e32 v[4:5], v4, v[0:1]
	v_and_b32_e32 v1, 3, v4
.LBB6_28213:                            ;   in Loop: Header=BB6_27928 Depth=3
	s_or_b32 exec_lo, exec_lo, s75
	v_bfe_i32 v0, v0, 0, 16
	s_delay_alu instid0(VALU_DEP_1) | instskip(NEXT) | instid1(VALU_DEP_1)
	v_and_b32_e32 v0, 0x80000000, v0
	v_lshl_add_u32 v0, v3, 23, v0
	s_delay_alu instid0(VALU_DEP_1) | instskip(NEXT) | instid1(VALU_DEP_1)
	v_lshl_or_b32 v0, v1, 21, v0
                                        ; implicit-def: $vgpr1
	v_add_nc_u32_e32 v3, 0x38000000, v0
                                        ; implicit-def: $vgpr0
.LBB6_28214:                            ;   in Loop: Header=BB6_27928 Depth=3
	s_and_not1_saveexec_b32 s15, s15
; %bb.28215:                            ;   in Loop: Header=BB6_27928 Depth=3
	v_cmp_lt_i16_e32 vcc_lo, -1, v0
	v_mov_b32_e32 v0, 0x7f800000
	s_delay_alu instid0(VALU_DEP_1) | instskip(SKIP_1) | instid1(VALU_DEP_2)
	v_cndmask_b32_e32 v0, 0xff800000, v0, vcc_lo
	v_cmp_eq_u32_e32 vcc_lo, 0, v1
	v_cndmask_b32_e32 v3, 0x7f800001, v0, vcc_lo
; %bb.28216:                            ;   in Loop: Header=BB6_27928 Depth=3
	s_or_b32 exec_lo, exec_lo, s15
.LBB6_28217:                            ;   in Loop: Header=BB6_27928 Depth=3
	s_delay_alu instid0(SALU_CYCLE_1)
	s_or_b32 exec_lo, exec_lo, s14
.LBB6_28218:                            ;   in Loop: Header=BB6_27928 Depth=3
	s_delay_alu instid0(SALU_CYCLE_1) | instskip(NEXT) | instid1(VALU_DEP_1)
	s_or_b32 exec_lo, exec_lo, s13
	v_dual_mul_f32 v4, s74, v3 :: v_dual_mov_b32 v1, v113
                                        ; implicit-def: $vgpr110
	s_delay_alu instid0(VALU_DEP_1) | instskip(NEXT) | instid1(VALU_DEP_1)
	v_and_b32_e32 v0, 0x7f800000, v4
	v_cmp_ne_u64_e32 vcc_lo, 0x7f800000, v[0:1]
	v_and_b32_e32 v0, 0x7fffff, v4
	s_and_saveexec_b32 s13, vcc_lo
	s_delay_alu instid0(SALU_CYCLE_1)
	s_xor_b32 s14, exec_lo, s13
	s_cbranch_execz .LBB6_28236
; %bb.28219:                            ;   in Loop: Header=BB6_27928 Depth=3
	v_dual_mov_b32 v7, v113 :: v_dual_lshrrev_b32 v3, 24, v4
	v_and_b32_e32 v6, 0x7fffffff, v4
                                        ; implicit-def: $vgpr110
	s_mov_b32 s13, exec_lo
	s_delay_alu instid0(VALU_DEP_2) | instskip(NEXT) | instid1(VALU_DEP_2)
	v_and_b32_e32 v3, 0x80, v3
	v_cmpx_gt_u64_e32 0x47600001, v[6:7]
	s_xor_b32 s15, exec_lo, s13
	s_cbranch_execz .LBB6_28233
; %bb.28220:                            ;   in Loop: Header=BB6_27928 Depth=3
	v_mov_b32_e32 v110, 0
	s_mov_b32 s75, exec_lo
	v_cmpx_ne_u32_e32 0, v4
	s_cbranch_execz .LBB6_28232
; %bb.28221:                            ;   in Loop: Header=BB6_27928 Depth=3
	v_bfe_u32 v6, v4, 23, 8
	v_or_b32_e32 v14, 0x800000, v0
	s_delay_alu instid0(VALU_DEP_2) | instskip(SKIP_1) | instid1(VALU_DEP_2)
	v_sub_nc_u32_e32 v4, 0x71, v6
	v_cmp_gt_u32_e32 vcc_lo, 0x72, v6
	v_cndmask_b32_e32 v4, 0, v4, vcc_lo
	v_cmp_eq_u32_e32 vcc_lo, 0, v6
	s_delay_alu instid0(VALU_DEP_2) | instskip(NEXT) | instid1(VALU_DEP_1)
	v_cndmask_b32_e64 v7, v4, 0x70, vcc_lo
	v_dual_cndmask_b32 v0, v14, v0, vcc_lo :: v_dual_add_nc_u32 v4, 21, v7
	v_add_nc_u32_e32 v15, 20, v7
	s_delay_alu instid0(VALU_DEP_2) | instskip(NEXT) | instid1(VALU_DEP_2)
	v_lshlrev_b64_e64 v[4:5], v4, -1
	v_lshlrev_b64_e64 v[14:15], v15, 1
	s_delay_alu instid0(VALU_DEP_2) | instskip(SKIP_1) | instid1(VALU_DEP_4)
	v_bfi_b32 v4, v4, 0, v0
	v_lshrrev_b64 v[0:1], v7, v[0:1]
	v_bfi_b32 v5, v5, 0, 0
	s_delay_alu instid0(VALU_DEP_1) | instskip(NEXT) | instid1(VALU_DEP_3)
	v_cmp_eq_u64_e64 s13, v[4:5], v[14:15]
	v_mov_b64_e32 v[4:5], v[0:1]
	s_and_saveexec_b32 s76, s13
; %bb.28222:                            ;   in Loop: Header=BB6_27928 Depth=3
	v_bfe_u32 v4, v0, 21, 1
	v_mov_b32_e32 v5, v113
	s_delay_alu instid0(VALU_DEP_1) | instskip(NEXT) | instid1(VALU_DEP_1)
	v_add_nc_u64_e32 v[4:5], v[0:1], v[4:5]
	v_add_nc_u64_e32 v[4:5], -1, v[4:5]
; %bb.28223:                            ;   in Loop: Header=BB6_27928 Depth=3
	s_or_b32 exec_lo, exec_lo, s76
	v_add_nc_u32_e32 v1, 0xffffff81, v6
	v_lshrrev_b32_e32 v5, 23, v0
	s_mov_b32 s13, exec_lo
	s_delay_alu instid0(VALU_DEP_2) | instskip(NEXT) | instid1(VALU_DEP_1)
	v_cndmask_b32_e64 v1, v1, 0xffffff82, vcc_lo
	v_add3_u32 v5, v7, v1, v5
	v_and_b32_e32 v1, 0x1fffff, v4
                                        ; implicit-def: $vgpr4
	s_delay_alu instid0(VALU_DEP_1) | instskip(SKIP_1) | instid1(VALU_DEP_2)
	v_dual_add_nc_u32 v6, 14, v5 :: v_dual_add_nc_u32 v0, v1, v0
	v_mov_b32_e32 v1, v113
	v_cmpx_ne_u32_e32 0, v6
	s_xor_b32 s13, exec_lo, s13
; %bb.28224:                            ;   in Loop: Header=BB6_27928 Depth=3
	s_delay_alu instid0(VALU_DEP_2) | instskip(SKIP_2) | instid1(VALU_DEP_2)
	v_cmp_lt_u64_e32 vcc_lo, 0xffffff, v[0:1]
	v_add_nc_u32_e32 v4, 15, v5
	v_cndmask_b32_e64 v5, 0, 1, vcc_lo
	v_cndmask_b32_e32 v4, v6, v4, vcc_lo
	s_delay_alu instid0(VALU_DEP_2)
	v_lshrrev_b64 v[0:1], v5, v[0:1]
; %bb.28225:                            ;   in Loop: Header=BB6_27928 Depth=3
	s_and_not1_saveexec_b32 s13, s13
; %bb.28226:                            ;   in Loop: Header=BB6_27928 Depth=3
	s_delay_alu instid0(VALU_DEP_1)
	v_bfe_u32 v4, v0, 23, 1
; %bb.28227:                            ;   in Loop: Header=BB6_27928 Depth=3
	s_or_b32 exec_lo, exec_lo, s13
	s_delay_alu instid0(VALU_DEP_2) | instskip(NEXT) | instid1(VALU_DEP_2)
	v_lshrrev_b64 v[0:1], 21, v[0:1]
	v_cmp_gt_i32_e32 vcc_lo, 32, v4
	v_cmp_ne_u32_e64 s13, 0, v4
                                        ; implicit-def: $vgpr110
	s_delay_alu instid0(VALU_DEP_3) | instskip(NEXT) | instid1(VALU_DEP_1)
	v_dual_cndmask_b32 v1, 0, v1 :: v_dual_cndmask_b32 v0, 3, v0
	v_cmp_ne_u64_e32 vcc_lo, 0, v[0:1]
	s_or_b32 s13, s13, vcc_lo
	s_delay_alu instid0(SALU_CYCLE_1) | instskip(NEXT) | instid1(SALU_CYCLE_1)
	s_and_saveexec_b32 s76, s13
	s_xor_b32 s13, exec_lo, s76
; %bb.28228:                            ;   in Loop: Header=BB6_27928 Depth=3
	v_min_i32_e32 v1, 31, v4
	s_delay_alu instid0(VALU_DEP_1) | instskip(NEXT) | instid1(VALU_DEP_1)
	v_lshl_or_b32 v1, v1, 2, v3
                                        ; implicit-def: $vgpr3
	v_and_or_b32 v110, v0, 3, v1
; %bb.28229:                            ;   in Loop: Header=BB6_27928 Depth=3
	s_and_not1_saveexec_b32 s13, s13
; %bb.28230:                            ;   in Loop: Header=BB6_27928 Depth=3
	v_mov_b32_e32 v110, v3
; %bb.28231:                            ;   in Loop: Header=BB6_27928 Depth=3
	s_or_b32 exec_lo, exec_lo, s13
.LBB6_28232:                            ;   in Loop: Header=BB6_27928 Depth=3
	s_delay_alu instid0(SALU_CYCLE_1)
	s_or_b32 exec_lo, exec_lo, s75
                                        ; implicit-def: $vgpr3
.LBB6_28233:                            ;   in Loop: Header=BB6_27928 Depth=3
	s_and_not1_saveexec_b32 s13, s15
; %bb.28234:                            ;   in Loop: Header=BB6_27928 Depth=3
	v_or_b32_e32 v110, 0x7b, v3
; %bb.28235:                            ;   in Loop: Header=BB6_27928 Depth=3
	s_or_b32 exec_lo, exec_lo, s13
                                        ; implicit-def: $vgpr4
                                        ; implicit-def: $vgpr0_vgpr1
.LBB6_28236:                            ;   in Loop: Header=BB6_27928 Depth=3
	s_and_not1_saveexec_b32 s13, s14
	s_cbranch_execz .LBB6_28242
; %bb.28237:                            ;   in Loop: Header=BB6_27928 Depth=3
	s_mov_b32 s14, exec_lo
                                        ; implicit-def: $vgpr110
	v_cmpx_ne_u64_e32 0, v[0:1]
	s_xor_b32 s14, exec_lo, s14
; %bb.28238:                            ;   in Loop: Header=BB6_27928 Depth=3
	v_lshrrev_b32_e32 v0, 24, v4
                                        ; implicit-def: $vgpr4
	s_delay_alu instid0(VALU_DEP_1)
	v_or_b32_e32 v110, 0x7f, v0
; %bb.28239:                            ;   in Loop: Header=BB6_27928 Depth=3
	s_and_not1_saveexec_b32 s14, s14
; %bb.28240:                            ;   in Loop: Header=BB6_27928 Depth=3
	v_cmp_lt_i32_e32 vcc_lo, -1, v4
	v_cndmask_b32_e64 v110, -4, 0x7c, vcc_lo
; %bb.28241:                            ;   in Loop: Header=BB6_27928 Depth=3
	s_or_b32 exec_lo, exec_lo, s14
.LBB6_28242:                            ;   in Loop: Header=BB6_27928 Depth=3
	s_delay_alu instid0(SALU_CYCLE_1)
	s_or_b32 exec_lo, exec_lo, s13
	flat_load_i8 v0, v[8:9] offset:288 th:TH_LOAD_NT
	v_mov_b32_e32 v3, 0
	s_mov_b32 s13, exec_lo
	s_wait_loadcnt_dscnt 0x0
	s_wait_xcnt 0x0
	v_cmpx_ne_u16_e32 0, v0
	s_cbranch_execz .LBB6_28252
; %bb.28243:                            ;   in Loop: Header=BB6_27928 Depth=3
	v_bfrev_b32_e32 v3, 1
	s_mov_b32 s14, exec_lo
	v_cmpx_ne_u16_e32 0xff80, v0
	s_cbranch_execz .LBB6_28251
; %bb.28244:                            ;   in Loop: Header=BB6_27928 Depth=3
	v_and_b32_e32 v3, 0x7c, v0
	v_and_b32_e32 v1, 3, v0
	s_delay_alu instid0(VALU_DEP_2) | instskip(SKIP_1) | instid1(SALU_CYCLE_1)
	v_cmp_ne_u32_e32 vcc_lo, 0x7c, v3
                                        ; implicit-def: $vgpr3
	s_and_saveexec_b32 s15, vcc_lo
	s_xor_b32 s15, exec_lo, s15
	s_cbranch_execz .LBB6_28248
; %bb.28245:                            ;   in Loop: Header=BB6_27928 Depth=3
	v_and_b32_e32 v3, 0xff, v0
	s_mov_b32 s75, exec_lo
	s_delay_alu instid0(VALU_DEP_1) | instskip(NEXT) | instid1(VALU_DEP_1)
	v_bfe_u32 v3, v3, 2, 5
	v_cmpx_eq_u32_e32 0, v3
	s_cbranch_execz .LBB6_28247
; %bb.28246:                            ;   in Loop: Header=BB6_27928 Depth=3
	v_clz_i32_u32_e32 v1, v1
	s_delay_alu instid0(VALU_DEP_1) | instskip(SKIP_1) | instid1(VALU_DEP_2)
	v_min_u32_e32 v3, 32, v1
	v_mov_b32_e32 v1, v113
	v_subrev_nc_u32_e32 v4, 29, v3
	v_sub_nc_u32_e32 v3, 30, v3
	s_delay_alu instid0(VALU_DEP_2) | instskip(NEXT) | instid1(VALU_DEP_1)
	v_lshlrev_b64_e32 v[4:5], v4, v[0:1]
	v_and_b32_e32 v1, 3, v4
.LBB6_28247:                            ;   in Loop: Header=BB6_27928 Depth=3
	s_or_b32 exec_lo, exec_lo, s75
	v_bfe_i32 v0, v0, 0, 16
	s_delay_alu instid0(VALU_DEP_1) | instskip(NEXT) | instid1(VALU_DEP_1)
	v_and_b32_e32 v0, 0x80000000, v0
	v_lshl_add_u32 v0, v3, 23, v0
	s_delay_alu instid0(VALU_DEP_1) | instskip(NEXT) | instid1(VALU_DEP_1)
	v_lshl_or_b32 v0, v1, 21, v0
                                        ; implicit-def: $vgpr1
	v_add_nc_u32_e32 v3, 0x38000000, v0
                                        ; implicit-def: $vgpr0
.LBB6_28248:                            ;   in Loop: Header=BB6_27928 Depth=3
	s_and_not1_saveexec_b32 s15, s15
; %bb.28249:                            ;   in Loop: Header=BB6_27928 Depth=3
	v_cmp_lt_i16_e32 vcc_lo, -1, v0
	v_mov_b32_e32 v0, 0x7f800000
	s_delay_alu instid0(VALU_DEP_1) | instskip(SKIP_1) | instid1(VALU_DEP_2)
	v_cndmask_b32_e32 v0, 0xff800000, v0, vcc_lo
	v_cmp_eq_u32_e32 vcc_lo, 0, v1
	v_cndmask_b32_e32 v3, 0x7f800001, v0, vcc_lo
; %bb.28250:                            ;   in Loop: Header=BB6_27928 Depth=3
	s_or_b32 exec_lo, exec_lo, s15
.LBB6_28251:                            ;   in Loop: Header=BB6_27928 Depth=3
	s_delay_alu instid0(SALU_CYCLE_1)
	s_or_b32 exec_lo, exec_lo, s14
.LBB6_28252:                            ;   in Loop: Header=BB6_27928 Depth=3
	s_delay_alu instid0(SALU_CYCLE_1) | instskip(NEXT) | instid1(VALU_DEP_1)
	s_or_b32 exec_lo, exec_lo, s13
	v_dual_mul_f32 v4, s74, v3 :: v_dual_mov_b32 v1, v113
                                        ; implicit-def: $vgpr46
	s_delay_alu instid0(VALU_DEP_1) | instskip(NEXT) | instid1(VALU_DEP_1)
	v_and_b32_e32 v0, 0x7f800000, v4
	v_cmp_ne_u64_e32 vcc_lo, 0x7f800000, v[0:1]
	v_and_b32_e32 v0, 0x7fffff, v4
	s_and_saveexec_b32 s13, vcc_lo
	s_delay_alu instid0(SALU_CYCLE_1)
	s_xor_b32 s14, exec_lo, s13
	s_cbranch_execz .LBB6_28270
; %bb.28253:                            ;   in Loop: Header=BB6_27928 Depth=3
	v_dual_mov_b32 v7, v113 :: v_dual_lshrrev_b32 v3, 24, v4
	v_and_b32_e32 v6, 0x7fffffff, v4
                                        ; implicit-def: $vgpr46
	s_mov_b32 s13, exec_lo
	s_delay_alu instid0(VALU_DEP_2) | instskip(NEXT) | instid1(VALU_DEP_2)
	v_and_b32_e32 v3, 0x80, v3
	v_cmpx_gt_u64_e32 0x47600001, v[6:7]
	s_xor_b32 s15, exec_lo, s13
	s_cbranch_execz .LBB6_28267
; %bb.28254:                            ;   in Loop: Header=BB6_27928 Depth=3
	v_mov_b32_e32 v46, 0
	s_mov_b32 s75, exec_lo
	v_cmpx_ne_u32_e32 0, v4
	s_cbranch_execz .LBB6_28266
; %bb.28255:                            ;   in Loop: Header=BB6_27928 Depth=3
	v_bfe_u32 v6, v4, 23, 8
	v_or_b32_e32 v14, 0x800000, v0
	s_delay_alu instid0(VALU_DEP_2) | instskip(SKIP_1) | instid1(VALU_DEP_2)
	v_sub_nc_u32_e32 v4, 0x71, v6
	v_cmp_gt_u32_e32 vcc_lo, 0x72, v6
	v_cndmask_b32_e32 v4, 0, v4, vcc_lo
	v_cmp_eq_u32_e32 vcc_lo, 0, v6
	s_delay_alu instid0(VALU_DEP_2) | instskip(NEXT) | instid1(VALU_DEP_1)
	v_cndmask_b32_e64 v7, v4, 0x70, vcc_lo
	v_dual_cndmask_b32 v0, v14, v0, vcc_lo :: v_dual_add_nc_u32 v4, 21, v7
	v_add_nc_u32_e32 v15, 20, v7
	s_delay_alu instid0(VALU_DEP_2) | instskip(NEXT) | instid1(VALU_DEP_2)
	v_lshlrev_b64_e64 v[4:5], v4, -1
	v_lshlrev_b64_e64 v[14:15], v15, 1
	s_delay_alu instid0(VALU_DEP_2) | instskip(SKIP_1) | instid1(VALU_DEP_4)
	v_bfi_b32 v4, v4, 0, v0
	v_lshrrev_b64 v[0:1], v7, v[0:1]
	v_bfi_b32 v5, v5, 0, 0
	s_delay_alu instid0(VALU_DEP_1) | instskip(NEXT) | instid1(VALU_DEP_3)
	v_cmp_eq_u64_e64 s13, v[4:5], v[14:15]
	v_mov_b64_e32 v[4:5], v[0:1]
	s_and_saveexec_b32 s76, s13
; %bb.28256:                            ;   in Loop: Header=BB6_27928 Depth=3
	v_bfe_u32 v4, v0, 21, 1
	v_mov_b32_e32 v5, v113
	s_delay_alu instid0(VALU_DEP_1) | instskip(NEXT) | instid1(VALU_DEP_1)
	v_add_nc_u64_e32 v[4:5], v[0:1], v[4:5]
	v_add_nc_u64_e32 v[4:5], -1, v[4:5]
; %bb.28257:                            ;   in Loop: Header=BB6_27928 Depth=3
	s_or_b32 exec_lo, exec_lo, s76
	v_add_nc_u32_e32 v1, 0xffffff81, v6
	v_lshrrev_b32_e32 v5, 23, v0
	s_mov_b32 s13, exec_lo
	s_delay_alu instid0(VALU_DEP_2) | instskip(NEXT) | instid1(VALU_DEP_1)
	v_cndmask_b32_e64 v1, v1, 0xffffff82, vcc_lo
	v_add3_u32 v5, v7, v1, v5
	v_and_b32_e32 v1, 0x1fffff, v4
                                        ; implicit-def: $vgpr4
	s_delay_alu instid0(VALU_DEP_1) | instskip(SKIP_1) | instid1(VALU_DEP_2)
	v_dual_add_nc_u32 v6, 14, v5 :: v_dual_add_nc_u32 v0, v1, v0
	v_mov_b32_e32 v1, v113
	v_cmpx_ne_u32_e32 0, v6
	s_xor_b32 s13, exec_lo, s13
; %bb.28258:                            ;   in Loop: Header=BB6_27928 Depth=3
	s_delay_alu instid0(VALU_DEP_2) | instskip(SKIP_2) | instid1(VALU_DEP_2)
	v_cmp_lt_u64_e32 vcc_lo, 0xffffff, v[0:1]
	v_add_nc_u32_e32 v4, 15, v5
	v_cndmask_b32_e64 v5, 0, 1, vcc_lo
	v_cndmask_b32_e32 v4, v6, v4, vcc_lo
	s_delay_alu instid0(VALU_DEP_2)
	v_lshrrev_b64 v[0:1], v5, v[0:1]
; %bb.28259:                            ;   in Loop: Header=BB6_27928 Depth=3
	s_and_not1_saveexec_b32 s13, s13
; %bb.28260:                            ;   in Loop: Header=BB6_27928 Depth=3
	s_delay_alu instid0(VALU_DEP_1)
	v_bfe_u32 v4, v0, 23, 1
; %bb.28261:                            ;   in Loop: Header=BB6_27928 Depth=3
	s_or_b32 exec_lo, exec_lo, s13
	s_delay_alu instid0(VALU_DEP_2) | instskip(NEXT) | instid1(VALU_DEP_2)
	v_lshrrev_b64 v[0:1], 21, v[0:1]
	v_cmp_gt_i32_e32 vcc_lo, 32, v4
	v_cmp_ne_u32_e64 s13, 0, v4
                                        ; implicit-def: $vgpr46
	s_delay_alu instid0(VALU_DEP_3) | instskip(NEXT) | instid1(VALU_DEP_1)
	v_dual_cndmask_b32 v1, 0, v1 :: v_dual_cndmask_b32 v0, 3, v0
	v_cmp_ne_u64_e32 vcc_lo, 0, v[0:1]
	s_or_b32 s13, s13, vcc_lo
	s_delay_alu instid0(SALU_CYCLE_1) | instskip(NEXT) | instid1(SALU_CYCLE_1)
	s_and_saveexec_b32 s76, s13
	s_xor_b32 s13, exec_lo, s76
; %bb.28262:                            ;   in Loop: Header=BB6_27928 Depth=3
	v_min_i32_e32 v1, 31, v4
	s_delay_alu instid0(VALU_DEP_1) | instskip(NEXT) | instid1(VALU_DEP_1)
	v_lshl_or_b32 v1, v1, 2, v3
                                        ; implicit-def: $vgpr3
	v_and_or_b32 v46, v0, 3, v1
; %bb.28263:                            ;   in Loop: Header=BB6_27928 Depth=3
	s_and_not1_saveexec_b32 s13, s13
; %bb.28264:                            ;   in Loop: Header=BB6_27928 Depth=3
	v_mov_b32_e32 v46, v3
; %bb.28265:                            ;   in Loop: Header=BB6_27928 Depth=3
	s_or_b32 exec_lo, exec_lo, s13
.LBB6_28266:                            ;   in Loop: Header=BB6_27928 Depth=3
	s_delay_alu instid0(SALU_CYCLE_1)
	s_or_b32 exec_lo, exec_lo, s75
                                        ; implicit-def: $vgpr3
.LBB6_28267:                            ;   in Loop: Header=BB6_27928 Depth=3
	s_and_not1_saveexec_b32 s13, s15
; %bb.28268:                            ;   in Loop: Header=BB6_27928 Depth=3
	v_or_b32_e32 v46, 0x7b, v3
; %bb.28269:                            ;   in Loop: Header=BB6_27928 Depth=3
	s_or_b32 exec_lo, exec_lo, s13
                                        ; implicit-def: $vgpr4
                                        ; implicit-def: $vgpr0_vgpr1
.LBB6_28270:                            ;   in Loop: Header=BB6_27928 Depth=3
	s_and_not1_saveexec_b32 s13, s14
	s_cbranch_execz .LBB6_28276
; %bb.28271:                            ;   in Loop: Header=BB6_27928 Depth=3
	s_mov_b32 s14, exec_lo
                                        ; implicit-def: $vgpr46
	v_cmpx_ne_u64_e32 0, v[0:1]
	s_xor_b32 s14, exec_lo, s14
; %bb.28272:                            ;   in Loop: Header=BB6_27928 Depth=3
	v_lshrrev_b32_e32 v0, 24, v4
                                        ; implicit-def: $vgpr4
	s_delay_alu instid0(VALU_DEP_1)
	v_or_b32_e32 v46, 0x7f, v0
; %bb.28273:                            ;   in Loop: Header=BB6_27928 Depth=3
	s_and_not1_saveexec_b32 s14, s14
; %bb.28274:                            ;   in Loop: Header=BB6_27928 Depth=3
	v_cmp_lt_i32_e32 vcc_lo, -1, v4
	v_cndmask_b32_e64 v46, -4, 0x7c, vcc_lo
; %bb.28275:                            ;   in Loop: Header=BB6_27928 Depth=3
	s_or_b32 exec_lo, exec_lo, s14
.LBB6_28276:                            ;   in Loop: Header=BB6_27928 Depth=3
	s_delay_alu instid0(SALU_CYCLE_1)
	s_or_b32 exec_lo, exec_lo, s13
	flat_load_i8 v0, v[8:9] offset:320 th:TH_LOAD_NT
	v_mov_b32_e32 v3, 0
	s_mov_b32 s13, exec_lo
	s_wait_loadcnt_dscnt 0x0
	s_wait_xcnt 0x0
	v_cmpx_ne_u16_e32 0, v0
	s_cbranch_execz .LBB6_28286
; %bb.28277:                            ;   in Loop: Header=BB6_27928 Depth=3
	v_bfrev_b32_e32 v3, 1
	s_mov_b32 s14, exec_lo
	v_cmpx_ne_u16_e32 0xff80, v0
	s_cbranch_execz .LBB6_28285
; %bb.28278:                            ;   in Loop: Header=BB6_27928 Depth=3
	v_and_b32_e32 v3, 0x7c, v0
	v_and_b32_e32 v1, 3, v0
	s_delay_alu instid0(VALU_DEP_2) | instskip(SKIP_1) | instid1(SALU_CYCLE_1)
	v_cmp_ne_u32_e32 vcc_lo, 0x7c, v3
                                        ; implicit-def: $vgpr3
	s_and_saveexec_b32 s15, vcc_lo
	s_xor_b32 s15, exec_lo, s15
	s_cbranch_execz .LBB6_28282
; %bb.28279:                            ;   in Loop: Header=BB6_27928 Depth=3
	v_and_b32_e32 v3, 0xff, v0
	s_mov_b32 s75, exec_lo
	s_delay_alu instid0(VALU_DEP_1) | instskip(NEXT) | instid1(VALU_DEP_1)
	v_bfe_u32 v3, v3, 2, 5
	v_cmpx_eq_u32_e32 0, v3
	s_cbranch_execz .LBB6_28281
; %bb.28280:                            ;   in Loop: Header=BB6_27928 Depth=3
	v_clz_i32_u32_e32 v1, v1
	s_delay_alu instid0(VALU_DEP_1) | instskip(SKIP_1) | instid1(VALU_DEP_2)
	v_min_u32_e32 v3, 32, v1
	v_mov_b32_e32 v1, v113
	v_subrev_nc_u32_e32 v4, 29, v3
	v_sub_nc_u32_e32 v3, 30, v3
	s_delay_alu instid0(VALU_DEP_2) | instskip(NEXT) | instid1(VALU_DEP_1)
	v_lshlrev_b64_e32 v[4:5], v4, v[0:1]
	v_and_b32_e32 v1, 3, v4
.LBB6_28281:                            ;   in Loop: Header=BB6_27928 Depth=3
	s_or_b32 exec_lo, exec_lo, s75
	v_bfe_i32 v0, v0, 0, 16
	s_delay_alu instid0(VALU_DEP_1) | instskip(NEXT) | instid1(VALU_DEP_1)
	v_and_b32_e32 v0, 0x80000000, v0
	v_lshl_add_u32 v0, v3, 23, v0
	s_delay_alu instid0(VALU_DEP_1) | instskip(NEXT) | instid1(VALU_DEP_1)
	v_lshl_or_b32 v0, v1, 21, v0
                                        ; implicit-def: $vgpr1
	v_add_nc_u32_e32 v3, 0x38000000, v0
                                        ; implicit-def: $vgpr0
.LBB6_28282:                            ;   in Loop: Header=BB6_27928 Depth=3
	s_and_not1_saveexec_b32 s15, s15
; %bb.28283:                            ;   in Loop: Header=BB6_27928 Depth=3
	v_cmp_lt_i16_e32 vcc_lo, -1, v0
	v_mov_b32_e32 v0, 0x7f800000
	s_delay_alu instid0(VALU_DEP_1) | instskip(SKIP_1) | instid1(VALU_DEP_2)
	v_cndmask_b32_e32 v0, 0xff800000, v0, vcc_lo
	v_cmp_eq_u32_e32 vcc_lo, 0, v1
	v_cndmask_b32_e32 v3, 0x7f800001, v0, vcc_lo
; %bb.28284:                            ;   in Loop: Header=BB6_27928 Depth=3
	s_or_b32 exec_lo, exec_lo, s15
.LBB6_28285:                            ;   in Loop: Header=BB6_27928 Depth=3
	s_delay_alu instid0(SALU_CYCLE_1)
	s_or_b32 exec_lo, exec_lo, s14
.LBB6_28286:                            ;   in Loop: Header=BB6_27928 Depth=3
	s_delay_alu instid0(SALU_CYCLE_1) | instskip(NEXT) | instid1(VALU_DEP_1)
	s_or_b32 exec_lo, exec_lo, s13
	v_dual_mul_f32 v4, s74, v3 :: v_dual_mov_b32 v1, v113
                                        ; implicit-def: $vgpr118
	s_delay_alu instid0(VALU_DEP_1) | instskip(NEXT) | instid1(VALU_DEP_1)
	v_and_b32_e32 v0, 0x7f800000, v4
	v_cmp_ne_u64_e32 vcc_lo, 0x7f800000, v[0:1]
	v_and_b32_e32 v0, 0x7fffff, v4
	s_and_saveexec_b32 s13, vcc_lo
	s_delay_alu instid0(SALU_CYCLE_1)
	s_xor_b32 s14, exec_lo, s13
	s_cbranch_execz .LBB6_28304
; %bb.28287:                            ;   in Loop: Header=BB6_27928 Depth=3
	v_dual_mov_b32 v7, v113 :: v_dual_lshrrev_b32 v3, 24, v4
	v_and_b32_e32 v6, 0x7fffffff, v4
                                        ; implicit-def: $vgpr118
	s_mov_b32 s13, exec_lo
	s_delay_alu instid0(VALU_DEP_2) | instskip(NEXT) | instid1(VALU_DEP_2)
	v_and_b32_e32 v3, 0x80, v3
	v_cmpx_gt_u64_e32 0x47600001, v[6:7]
	s_xor_b32 s15, exec_lo, s13
	s_cbranch_execz .LBB6_28301
; %bb.28288:                            ;   in Loop: Header=BB6_27928 Depth=3
	v_mov_b32_e32 v118, 0
	s_mov_b32 s75, exec_lo
	v_cmpx_ne_u32_e32 0, v4
	s_cbranch_execz .LBB6_28300
; %bb.28289:                            ;   in Loop: Header=BB6_27928 Depth=3
	v_bfe_u32 v6, v4, 23, 8
	v_or_b32_e32 v14, 0x800000, v0
	s_delay_alu instid0(VALU_DEP_2) | instskip(SKIP_1) | instid1(VALU_DEP_2)
	v_sub_nc_u32_e32 v4, 0x71, v6
	v_cmp_gt_u32_e32 vcc_lo, 0x72, v6
	v_cndmask_b32_e32 v4, 0, v4, vcc_lo
	v_cmp_eq_u32_e32 vcc_lo, 0, v6
	s_delay_alu instid0(VALU_DEP_2) | instskip(NEXT) | instid1(VALU_DEP_1)
	v_cndmask_b32_e64 v7, v4, 0x70, vcc_lo
	v_dual_cndmask_b32 v0, v14, v0, vcc_lo :: v_dual_add_nc_u32 v4, 21, v7
	v_add_nc_u32_e32 v15, 20, v7
	s_delay_alu instid0(VALU_DEP_2) | instskip(NEXT) | instid1(VALU_DEP_2)
	v_lshlrev_b64_e64 v[4:5], v4, -1
	v_lshlrev_b64_e64 v[14:15], v15, 1
	s_delay_alu instid0(VALU_DEP_2) | instskip(SKIP_1) | instid1(VALU_DEP_4)
	v_bfi_b32 v4, v4, 0, v0
	v_lshrrev_b64 v[0:1], v7, v[0:1]
	v_bfi_b32 v5, v5, 0, 0
	s_delay_alu instid0(VALU_DEP_1) | instskip(NEXT) | instid1(VALU_DEP_3)
	v_cmp_eq_u64_e64 s13, v[4:5], v[14:15]
	v_mov_b64_e32 v[4:5], v[0:1]
	s_and_saveexec_b32 s76, s13
; %bb.28290:                            ;   in Loop: Header=BB6_27928 Depth=3
	v_bfe_u32 v4, v0, 21, 1
	v_mov_b32_e32 v5, v113
	s_delay_alu instid0(VALU_DEP_1) | instskip(NEXT) | instid1(VALU_DEP_1)
	v_add_nc_u64_e32 v[4:5], v[0:1], v[4:5]
	v_add_nc_u64_e32 v[4:5], -1, v[4:5]
; %bb.28291:                            ;   in Loop: Header=BB6_27928 Depth=3
	s_or_b32 exec_lo, exec_lo, s76
	v_add_nc_u32_e32 v1, 0xffffff81, v6
	v_lshrrev_b32_e32 v5, 23, v0
	s_mov_b32 s13, exec_lo
	s_delay_alu instid0(VALU_DEP_2) | instskip(NEXT) | instid1(VALU_DEP_1)
	v_cndmask_b32_e64 v1, v1, 0xffffff82, vcc_lo
	v_add3_u32 v5, v7, v1, v5
	v_and_b32_e32 v1, 0x1fffff, v4
                                        ; implicit-def: $vgpr4
	s_delay_alu instid0(VALU_DEP_1) | instskip(SKIP_1) | instid1(VALU_DEP_2)
	v_dual_add_nc_u32 v6, 14, v5 :: v_dual_add_nc_u32 v0, v1, v0
	v_mov_b32_e32 v1, v113
	v_cmpx_ne_u32_e32 0, v6
	s_xor_b32 s13, exec_lo, s13
; %bb.28292:                            ;   in Loop: Header=BB6_27928 Depth=3
	s_delay_alu instid0(VALU_DEP_2) | instskip(SKIP_2) | instid1(VALU_DEP_2)
	v_cmp_lt_u64_e32 vcc_lo, 0xffffff, v[0:1]
	v_add_nc_u32_e32 v4, 15, v5
	v_cndmask_b32_e64 v5, 0, 1, vcc_lo
	v_cndmask_b32_e32 v4, v6, v4, vcc_lo
	s_delay_alu instid0(VALU_DEP_2)
	v_lshrrev_b64 v[0:1], v5, v[0:1]
; %bb.28293:                            ;   in Loop: Header=BB6_27928 Depth=3
	s_and_not1_saveexec_b32 s13, s13
; %bb.28294:                            ;   in Loop: Header=BB6_27928 Depth=3
	s_delay_alu instid0(VALU_DEP_1)
	v_bfe_u32 v4, v0, 23, 1
; %bb.28295:                            ;   in Loop: Header=BB6_27928 Depth=3
	s_or_b32 exec_lo, exec_lo, s13
	s_delay_alu instid0(VALU_DEP_2) | instskip(NEXT) | instid1(VALU_DEP_2)
	v_lshrrev_b64 v[0:1], 21, v[0:1]
	v_cmp_gt_i32_e32 vcc_lo, 32, v4
	v_cmp_ne_u32_e64 s13, 0, v4
                                        ; implicit-def: $vgpr118
	s_delay_alu instid0(VALU_DEP_3) | instskip(NEXT) | instid1(VALU_DEP_1)
	v_dual_cndmask_b32 v1, 0, v1 :: v_dual_cndmask_b32 v0, 3, v0
	v_cmp_ne_u64_e32 vcc_lo, 0, v[0:1]
	s_or_b32 s13, s13, vcc_lo
	s_delay_alu instid0(SALU_CYCLE_1) | instskip(NEXT) | instid1(SALU_CYCLE_1)
	s_and_saveexec_b32 s76, s13
	s_xor_b32 s13, exec_lo, s76
; %bb.28296:                            ;   in Loop: Header=BB6_27928 Depth=3
	v_min_i32_e32 v1, 31, v4
	s_delay_alu instid0(VALU_DEP_1) | instskip(NEXT) | instid1(VALU_DEP_1)
	v_lshl_or_b32 v1, v1, 2, v3
                                        ; implicit-def: $vgpr3
	v_and_or_b32 v118, v0, 3, v1
; %bb.28297:                            ;   in Loop: Header=BB6_27928 Depth=3
	s_and_not1_saveexec_b32 s13, s13
; %bb.28298:                            ;   in Loop: Header=BB6_27928 Depth=3
	v_mov_b32_e32 v118, v3
; %bb.28299:                            ;   in Loop: Header=BB6_27928 Depth=3
	s_or_b32 exec_lo, exec_lo, s13
.LBB6_28300:                            ;   in Loop: Header=BB6_27928 Depth=3
	s_delay_alu instid0(SALU_CYCLE_1)
	s_or_b32 exec_lo, exec_lo, s75
                                        ; implicit-def: $vgpr3
.LBB6_28301:                            ;   in Loop: Header=BB6_27928 Depth=3
	s_and_not1_saveexec_b32 s13, s15
; %bb.28302:                            ;   in Loop: Header=BB6_27928 Depth=3
	v_or_b32_e32 v118, 0x7b, v3
; %bb.28303:                            ;   in Loop: Header=BB6_27928 Depth=3
	s_or_b32 exec_lo, exec_lo, s13
                                        ; implicit-def: $vgpr4
                                        ; implicit-def: $vgpr0_vgpr1
.LBB6_28304:                            ;   in Loop: Header=BB6_27928 Depth=3
	s_and_not1_saveexec_b32 s13, s14
	s_cbranch_execz .LBB6_28310
; %bb.28305:                            ;   in Loop: Header=BB6_27928 Depth=3
	s_mov_b32 s14, exec_lo
                                        ; implicit-def: $vgpr118
	v_cmpx_ne_u64_e32 0, v[0:1]
	s_xor_b32 s14, exec_lo, s14
; %bb.28306:                            ;   in Loop: Header=BB6_27928 Depth=3
	v_lshrrev_b32_e32 v0, 24, v4
                                        ; implicit-def: $vgpr4
	s_delay_alu instid0(VALU_DEP_1)
	v_or_b32_e32 v118, 0x7f, v0
; %bb.28307:                            ;   in Loop: Header=BB6_27928 Depth=3
	s_and_not1_saveexec_b32 s14, s14
; %bb.28308:                            ;   in Loop: Header=BB6_27928 Depth=3
	v_cmp_lt_i32_e32 vcc_lo, -1, v4
	v_cndmask_b32_e64 v118, -4, 0x7c, vcc_lo
; %bb.28309:                            ;   in Loop: Header=BB6_27928 Depth=3
	s_or_b32 exec_lo, exec_lo, s14
.LBB6_28310:                            ;   in Loop: Header=BB6_27928 Depth=3
	s_delay_alu instid0(SALU_CYCLE_1)
	s_or_b32 exec_lo, exec_lo, s13
	flat_load_i8 v0, v[8:9] offset:352 th:TH_LOAD_NT
	v_mov_b32_e32 v3, 0
	s_mov_b32 s13, exec_lo
	s_wait_loadcnt_dscnt 0x0
	s_wait_xcnt 0x0
	v_cmpx_ne_u16_e32 0, v0
	s_cbranch_execz .LBB6_28320
; %bb.28311:                            ;   in Loop: Header=BB6_27928 Depth=3
	v_bfrev_b32_e32 v3, 1
	s_mov_b32 s14, exec_lo
	v_cmpx_ne_u16_e32 0xff80, v0
	s_cbranch_execz .LBB6_28319
; %bb.28312:                            ;   in Loop: Header=BB6_27928 Depth=3
	v_and_b32_e32 v3, 0x7c, v0
	v_and_b32_e32 v1, 3, v0
	s_delay_alu instid0(VALU_DEP_2) | instskip(SKIP_1) | instid1(SALU_CYCLE_1)
	v_cmp_ne_u32_e32 vcc_lo, 0x7c, v3
                                        ; implicit-def: $vgpr3
	s_and_saveexec_b32 s15, vcc_lo
	s_xor_b32 s15, exec_lo, s15
	s_cbranch_execz .LBB6_28316
; %bb.28313:                            ;   in Loop: Header=BB6_27928 Depth=3
	v_and_b32_e32 v3, 0xff, v0
	s_mov_b32 s75, exec_lo
	s_delay_alu instid0(VALU_DEP_1) | instskip(NEXT) | instid1(VALU_DEP_1)
	v_bfe_u32 v3, v3, 2, 5
	v_cmpx_eq_u32_e32 0, v3
	s_cbranch_execz .LBB6_28315
; %bb.28314:                            ;   in Loop: Header=BB6_27928 Depth=3
	v_clz_i32_u32_e32 v1, v1
	s_delay_alu instid0(VALU_DEP_1) | instskip(SKIP_1) | instid1(VALU_DEP_2)
	v_min_u32_e32 v3, 32, v1
	v_mov_b32_e32 v1, v113
	v_subrev_nc_u32_e32 v4, 29, v3
	v_sub_nc_u32_e32 v3, 30, v3
	s_delay_alu instid0(VALU_DEP_2) | instskip(NEXT) | instid1(VALU_DEP_1)
	v_lshlrev_b64_e32 v[4:5], v4, v[0:1]
	v_and_b32_e32 v1, 3, v4
.LBB6_28315:                            ;   in Loop: Header=BB6_27928 Depth=3
	s_or_b32 exec_lo, exec_lo, s75
	v_bfe_i32 v0, v0, 0, 16
	s_delay_alu instid0(VALU_DEP_1) | instskip(NEXT) | instid1(VALU_DEP_1)
	v_and_b32_e32 v0, 0x80000000, v0
	v_lshl_add_u32 v0, v3, 23, v0
	s_delay_alu instid0(VALU_DEP_1) | instskip(NEXT) | instid1(VALU_DEP_1)
	v_lshl_or_b32 v0, v1, 21, v0
                                        ; implicit-def: $vgpr1
	v_add_nc_u32_e32 v3, 0x38000000, v0
                                        ; implicit-def: $vgpr0
.LBB6_28316:                            ;   in Loop: Header=BB6_27928 Depth=3
	s_and_not1_saveexec_b32 s15, s15
; %bb.28317:                            ;   in Loop: Header=BB6_27928 Depth=3
	v_cmp_lt_i16_e32 vcc_lo, -1, v0
	v_mov_b32_e32 v0, 0x7f800000
	s_delay_alu instid0(VALU_DEP_1) | instskip(SKIP_1) | instid1(VALU_DEP_2)
	v_cndmask_b32_e32 v0, 0xff800000, v0, vcc_lo
	v_cmp_eq_u32_e32 vcc_lo, 0, v1
	v_cndmask_b32_e32 v3, 0x7f800001, v0, vcc_lo
; %bb.28318:                            ;   in Loop: Header=BB6_27928 Depth=3
	s_or_b32 exec_lo, exec_lo, s15
.LBB6_28319:                            ;   in Loop: Header=BB6_27928 Depth=3
	s_delay_alu instid0(SALU_CYCLE_1)
	s_or_b32 exec_lo, exec_lo, s14
.LBB6_28320:                            ;   in Loop: Header=BB6_27928 Depth=3
	s_delay_alu instid0(SALU_CYCLE_1) | instskip(NEXT) | instid1(VALU_DEP_1)
	s_or_b32 exec_lo, exec_lo, s13
	v_dual_mul_f32 v4, s74, v3 :: v_dual_mov_b32 v1, v113
                                        ; implicit-def: $vgpr66
	s_delay_alu instid0(VALU_DEP_1) | instskip(NEXT) | instid1(VALU_DEP_1)
	v_and_b32_e32 v0, 0x7f800000, v4
	v_cmp_ne_u64_e32 vcc_lo, 0x7f800000, v[0:1]
	v_and_b32_e32 v0, 0x7fffff, v4
	s_and_saveexec_b32 s13, vcc_lo
	s_delay_alu instid0(SALU_CYCLE_1)
	s_xor_b32 s14, exec_lo, s13
	s_cbranch_execz .LBB6_28338
; %bb.28321:                            ;   in Loop: Header=BB6_27928 Depth=3
	v_dual_mov_b32 v7, v113 :: v_dual_lshrrev_b32 v3, 24, v4
	v_and_b32_e32 v6, 0x7fffffff, v4
                                        ; implicit-def: $vgpr66
	s_mov_b32 s13, exec_lo
	s_delay_alu instid0(VALU_DEP_2) | instskip(NEXT) | instid1(VALU_DEP_2)
	v_and_b32_e32 v3, 0x80, v3
	v_cmpx_gt_u64_e32 0x47600001, v[6:7]
	s_xor_b32 s15, exec_lo, s13
	s_cbranch_execz .LBB6_28335
; %bb.28322:                            ;   in Loop: Header=BB6_27928 Depth=3
	v_mov_b32_e32 v66, 0
	s_mov_b32 s75, exec_lo
	v_cmpx_ne_u32_e32 0, v4
	s_cbranch_execz .LBB6_28334
; %bb.28323:                            ;   in Loop: Header=BB6_27928 Depth=3
	v_bfe_u32 v6, v4, 23, 8
	v_or_b32_e32 v14, 0x800000, v0
	s_delay_alu instid0(VALU_DEP_2) | instskip(SKIP_1) | instid1(VALU_DEP_2)
	v_sub_nc_u32_e32 v4, 0x71, v6
	v_cmp_gt_u32_e32 vcc_lo, 0x72, v6
	v_cndmask_b32_e32 v4, 0, v4, vcc_lo
	v_cmp_eq_u32_e32 vcc_lo, 0, v6
	s_delay_alu instid0(VALU_DEP_2) | instskip(NEXT) | instid1(VALU_DEP_1)
	v_cndmask_b32_e64 v7, v4, 0x70, vcc_lo
	v_dual_cndmask_b32 v0, v14, v0, vcc_lo :: v_dual_add_nc_u32 v4, 21, v7
	v_add_nc_u32_e32 v15, 20, v7
	s_delay_alu instid0(VALU_DEP_2) | instskip(NEXT) | instid1(VALU_DEP_2)
	v_lshlrev_b64_e64 v[4:5], v4, -1
	v_lshlrev_b64_e64 v[14:15], v15, 1
	s_delay_alu instid0(VALU_DEP_2) | instskip(SKIP_1) | instid1(VALU_DEP_4)
	v_bfi_b32 v4, v4, 0, v0
	v_lshrrev_b64 v[0:1], v7, v[0:1]
	v_bfi_b32 v5, v5, 0, 0
	s_delay_alu instid0(VALU_DEP_1) | instskip(NEXT) | instid1(VALU_DEP_3)
	v_cmp_eq_u64_e64 s13, v[4:5], v[14:15]
	v_mov_b64_e32 v[4:5], v[0:1]
	s_and_saveexec_b32 s76, s13
; %bb.28324:                            ;   in Loop: Header=BB6_27928 Depth=3
	v_bfe_u32 v4, v0, 21, 1
	v_mov_b32_e32 v5, v113
	s_delay_alu instid0(VALU_DEP_1) | instskip(NEXT) | instid1(VALU_DEP_1)
	v_add_nc_u64_e32 v[4:5], v[0:1], v[4:5]
	v_add_nc_u64_e32 v[4:5], -1, v[4:5]
; %bb.28325:                            ;   in Loop: Header=BB6_27928 Depth=3
	s_or_b32 exec_lo, exec_lo, s76
	v_add_nc_u32_e32 v1, 0xffffff81, v6
	v_lshrrev_b32_e32 v5, 23, v0
	s_mov_b32 s13, exec_lo
	s_delay_alu instid0(VALU_DEP_2) | instskip(NEXT) | instid1(VALU_DEP_1)
	v_cndmask_b32_e64 v1, v1, 0xffffff82, vcc_lo
	v_add3_u32 v5, v7, v1, v5
	v_and_b32_e32 v1, 0x1fffff, v4
                                        ; implicit-def: $vgpr4
	s_delay_alu instid0(VALU_DEP_1) | instskip(SKIP_1) | instid1(VALU_DEP_2)
	v_dual_add_nc_u32 v6, 14, v5 :: v_dual_add_nc_u32 v0, v1, v0
	v_mov_b32_e32 v1, v113
	v_cmpx_ne_u32_e32 0, v6
	s_xor_b32 s13, exec_lo, s13
; %bb.28326:                            ;   in Loop: Header=BB6_27928 Depth=3
	s_delay_alu instid0(VALU_DEP_2) | instskip(SKIP_2) | instid1(VALU_DEP_2)
	v_cmp_lt_u64_e32 vcc_lo, 0xffffff, v[0:1]
	v_add_nc_u32_e32 v4, 15, v5
	v_cndmask_b32_e64 v5, 0, 1, vcc_lo
	v_cndmask_b32_e32 v4, v6, v4, vcc_lo
	s_delay_alu instid0(VALU_DEP_2)
	v_lshrrev_b64 v[0:1], v5, v[0:1]
; %bb.28327:                            ;   in Loop: Header=BB6_27928 Depth=3
	s_and_not1_saveexec_b32 s13, s13
; %bb.28328:                            ;   in Loop: Header=BB6_27928 Depth=3
	s_delay_alu instid0(VALU_DEP_1)
	v_bfe_u32 v4, v0, 23, 1
; %bb.28329:                            ;   in Loop: Header=BB6_27928 Depth=3
	s_or_b32 exec_lo, exec_lo, s13
	s_delay_alu instid0(VALU_DEP_2) | instskip(NEXT) | instid1(VALU_DEP_2)
	v_lshrrev_b64 v[0:1], 21, v[0:1]
	v_cmp_gt_i32_e32 vcc_lo, 32, v4
	v_cmp_ne_u32_e64 s13, 0, v4
                                        ; implicit-def: $vgpr66
	s_delay_alu instid0(VALU_DEP_3) | instskip(NEXT) | instid1(VALU_DEP_1)
	v_dual_cndmask_b32 v1, 0, v1 :: v_dual_cndmask_b32 v0, 3, v0
	v_cmp_ne_u64_e32 vcc_lo, 0, v[0:1]
	s_or_b32 s13, s13, vcc_lo
	s_delay_alu instid0(SALU_CYCLE_1) | instskip(NEXT) | instid1(SALU_CYCLE_1)
	s_and_saveexec_b32 s76, s13
	s_xor_b32 s13, exec_lo, s76
; %bb.28330:                            ;   in Loop: Header=BB6_27928 Depth=3
	v_min_i32_e32 v1, 31, v4
	s_delay_alu instid0(VALU_DEP_1) | instskip(NEXT) | instid1(VALU_DEP_1)
	v_lshl_or_b32 v1, v1, 2, v3
                                        ; implicit-def: $vgpr3
	v_and_or_b32 v66, v0, 3, v1
; %bb.28331:                            ;   in Loop: Header=BB6_27928 Depth=3
	s_and_not1_saveexec_b32 s13, s13
; %bb.28332:                            ;   in Loop: Header=BB6_27928 Depth=3
	v_mov_b32_e32 v66, v3
; %bb.28333:                            ;   in Loop: Header=BB6_27928 Depth=3
	s_or_b32 exec_lo, exec_lo, s13
.LBB6_28334:                            ;   in Loop: Header=BB6_27928 Depth=3
	s_delay_alu instid0(SALU_CYCLE_1)
	s_or_b32 exec_lo, exec_lo, s75
                                        ; implicit-def: $vgpr3
.LBB6_28335:                            ;   in Loop: Header=BB6_27928 Depth=3
	s_and_not1_saveexec_b32 s13, s15
; %bb.28336:                            ;   in Loop: Header=BB6_27928 Depth=3
	v_or_b32_e32 v66, 0x7b, v3
; %bb.28337:                            ;   in Loop: Header=BB6_27928 Depth=3
	s_or_b32 exec_lo, exec_lo, s13
                                        ; implicit-def: $vgpr4
                                        ; implicit-def: $vgpr0_vgpr1
.LBB6_28338:                            ;   in Loop: Header=BB6_27928 Depth=3
	s_and_not1_saveexec_b32 s13, s14
	s_cbranch_execz .LBB6_28344
; %bb.28339:                            ;   in Loop: Header=BB6_27928 Depth=3
	s_mov_b32 s14, exec_lo
                                        ; implicit-def: $vgpr66
	v_cmpx_ne_u64_e32 0, v[0:1]
	s_xor_b32 s14, exec_lo, s14
; %bb.28340:                            ;   in Loop: Header=BB6_27928 Depth=3
	v_lshrrev_b32_e32 v0, 24, v4
                                        ; implicit-def: $vgpr4
	s_delay_alu instid0(VALU_DEP_1)
	v_or_b32_e32 v66, 0x7f, v0
; %bb.28341:                            ;   in Loop: Header=BB6_27928 Depth=3
	s_and_not1_saveexec_b32 s14, s14
; %bb.28342:                            ;   in Loop: Header=BB6_27928 Depth=3
	v_cmp_lt_i32_e32 vcc_lo, -1, v4
	v_cndmask_b32_e64 v66, -4, 0x7c, vcc_lo
; %bb.28343:                            ;   in Loop: Header=BB6_27928 Depth=3
	s_or_b32 exec_lo, exec_lo, s14
.LBB6_28344:                            ;   in Loop: Header=BB6_27928 Depth=3
	s_delay_alu instid0(SALU_CYCLE_1)
	s_or_b32 exec_lo, exec_lo, s13
	flat_load_i8 v0, v[8:9] offset:384 th:TH_LOAD_NT
	v_mov_b32_e32 v3, 0
	s_mov_b32 s13, exec_lo
	s_wait_loadcnt_dscnt 0x0
	s_wait_xcnt 0x0
	v_cmpx_ne_u16_e32 0, v0
	s_cbranch_execz .LBB6_28354
; %bb.28345:                            ;   in Loop: Header=BB6_27928 Depth=3
	v_bfrev_b32_e32 v3, 1
	s_mov_b32 s14, exec_lo
	v_cmpx_ne_u16_e32 0xff80, v0
	s_cbranch_execz .LBB6_28353
; %bb.28346:                            ;   in Loop: Header=BB6_27928 Depth=3
	v_and_b32_e32 v3, 0x7c, v0
	v_and_b32_e32 v1, 3, v0
	s_delay_alu instid0(VALU_DEP_2) | instskip(SKIP_1) | instid1(SALU_CYCLE_1)
	v_cmp_ne_u32_e32 vcc_lo, 0x7c, v3
                                        ; implicit-def: $vgpr3
	s_and_saveexec_b32 s15, vcc_lo
	s_xor_b32 s15, exec_lo, s15
	s_cbranch_execz .LBB6_28350
; %bb.28347:                            ;   in Loop: Header=BB6_27928 Depth=3
	v_and_b32_e32 v3, 0xff, v0
	s_mov_b32 s75, exec_lo
	s_delay_alu instid0(VALU_DEP_1) | instskip(NEXT) | instid1(VALU_DEP_1)
	v_bfe_u32 v3, v3, 2, 5
	v_cmpx_eq_u32_e32 0, v3
	s_cbranch_execz .LBB6_28349
; %bb.28348:                            ;   in Loop: Header=BB6_27928 Depth=3
	v_clz_i32_u32_e32 v1, v1
	s_delay_alu instid0(VALU_DEP_1) | instskip(SKIP_1) | instid1(VALU_DEP_2)
	v_min_u32_e32 v3, 32, v1
	v_mov_b32_e32 v1, v113
	v_subrev_nc_u32_e32 v4, 29, v3
	v_sub_nc_u32_e32 v3, 30, v3
	s_delay_alu instid0(VALU_DEP_2) | instskip(NEXT) | instid1(VALU_DEP_1)
	v_lshlrev_b64_e32 v[4:5], v4, v[0:1]
	v_and_b32_e32 v1, 3, v4
.LBB6_28349:                            ;   in Loop: Header=BB6_27928 Depth=3
	s_or_b32 exec_lo, exec_lo, s75
	v_bfe_i32 v0, v0, 0, 16
	s_delay_alu instid0(VALU_DEP_1) | instskip(NEXT) | instid1(VALU_DEP_1)
	v_and_b32_e32 v0, 0x80000000, v0
	v_lshl_add_u32 v0, v3, 23, v0
	s_delay_alu instid0(VALU_DEP_1) | instskip(NEXT) | instid1(VALU_DEP_1)
	v_lshl_or_b32 v0, v1, 21, v0
                                        ; implicit-def: $vgpr1
	v_add_nc_u32_e32 v3, 0x38000000, v0
                                        ; implicit-def: $vgpr0
.LBB6_28350:                            ;   in Loop: Header=BB6_27928 Depth=3
	s_and_not1_saveexec_b32 s15, s15
; %bb.28351:                            ;   in Loop: Header=BB6_27928 Depth=3
	v_cmp_lt_i16_e32 vcc_lo, -1, v0
	v_mov_b32_e32 v0, 0x7f800000
	s_delay_alu instid0(VALU_DEP_1) | instskip(SKIP_1) | instid1(VALU_DEP_2)
	v_cndmask_b32_e32 v0, 0xff800000, v0, vcc_lo
	v_cmp_eq_u32_e32 vcc_lo, 0, v1
	v_cndmask_b32_e32 v3, 0x7f800001, v0, vcc_lo
; %bb.28352:                            ;   in Loop: Header=BB6_27928 Depth=3
	s_or_b32 exec_lo, exec_lo, s15
.LBB6_28353:                            ;   in Loop: Header=BB6_27928 Depth=3
	s_delay_alu instid0(SALU_CYCLE_1)
	s_or_b32 exec_lo, exec_lo, s14
.LBB6_28354:                            ;   in Loop: Header=BB6_27928 Depth=3
	s_delay_alu instid0(SALU_CYCLE_1) | instskip(NEXT) | instid1(VALU_DEP_1)
	s_or_b32 exec_lo, exec_lo, s13
	v_dual_mul_f32 v4, s74, v3 :: v_dual_mov_b32 v1, v113
                                        ; implicit-def: $vgpr82
	s_delay_alu instid0(VALU_DEP_1) | instskip(NEXT) | instid1(VALU_DEP_1)
	v_and_b32_e32 v0, 0x7f800000, v4
	v_cmp_ne_u64_e32 vcc_lo, 0x7f800000, v[0:1]
	v_and_b32_e32 v0, 0x7fffff, v4
	s_and_saveexec_b32 s13, vcc_lo
	s_delay_alu instid0(SALU_CYCLE_1)
	s_xor_b32 s14, exec_lo, s13
	s_cbranch_execz .LBB6_28372
; %bb.28355:                            ;   in Loop: Header=BB6_27928 Depth=3
	v_dual_mov_b32 v7, v113 :: v_dual_lshrrev_b32 v3, 24, v4
	v_and_b32_e32 v6, 0x7fffffff, v4
                                        ; implicit-def: $vgpr82
	s_mov_b32 s13, exec_lo
	s_delay_alu instid0(VALU_DEP_2) | instskip(NEXT) | instid1(VALU_DEP_2)
	v_and_b32_e32 v3, 0x80, v3
	v_cmpx_gt_u64_e32 0x47600001, v[6:7]
	s_xor_b32 s15, exec_lo, s13
	s_cbranch_execz .LBB6_28369
; %bb.28356:                            ;   in Loop: Header=BB6_27928 Depth=3
	v_mov_b32_e32 v82, 0
	s_mov_b32 s75, exec_lo
	v_cmpx_ne_u32_e32 0, v4
	s_cbranch_execz .LBB6_28368
; %bb.28357:                            ;   in Loop: Header=BB6_27928 Depth=3
	v_bfe_u32 v6, v4, 23, 8
	v_or_b32_e32 v14, 0x800000, v0
	s_delay_alu instid0(VALU_DEP_2) | instskip(SKIP_1) | instid1(VALU_DEP_2)
	v_sub_nc_u32_e32 v4, 0x71, v6
	v_cmp_gt_u32_e32 vcc_lo, 0x72, v6
	v_cndmask_b32_e32 v4, 0, v4, vcc_lo
	v_cmp_eq_u32_e32 vcc_lo, 0, v6
	s_delay_alu instid0(VALU_DEP_2) | instskip(NEXT) | instid1(VALU_DEP_1)
	v_cndmask_b32_e64 v7, v4, 0x70, vcc_lo
	v_dual_cndmask_b32 v0, v14, v0, vcc_lo :: v_dual_add_nc_u32 v4, 21, v7
	v_add_nc_u32_e32 v15, 20, v7
	s_delay_alu instid0(VALU_DEP_2) | instskip(NEXT) | instid1(VALU_DEP_2)
	v_lshlrev_b64_e64 v[4:5], v4, -1
	v_lshlrev_b64_e64 v[14:15], v15, 1
	s_delay_alu instid0(VALU_DEP_2) | instskip(SKIP_1) | instid1(VALU_DEP_4)
	v_bfi_b32 v4, v4, 0, v0
	v_lshrrev_b64 v[0:1], v7, v[0:1]
	v_bfi_b32 v5, v5, 0, 0
	s_delay_alu instid0(VALU_DEP_1) | instskip(NEXT) | instid1(VALU_DEP_3)
	v_cmp_eq_u64_e64 s13, v[4:5], v[14:15]
	v_mov_b64_e32 v[4:5], v[0:1]
	s_and_saveexec_b32 s76, s13
; %bb.28358:                            ;   in Loop: Header=BB6_27928 Depth=3
	v_bfe_u32 v4, v0, 21, 1
	v_mov_b32_e32 v5, v113
	s_delay_alu instid0(VALU_DEP_1) | instskip(NEXT) | instid1(VALU_DEP_1)
	v_add_nc_u64_e32 v[4:5], v[0:1], v[4:5]
	v_add_nc_u64_e32 v[4:5], -1, v[4:5]
; %bb.28359:                            ;   in Loop: Header=BB6_27928 Depth=3
	s_or_b32 exec_lo, exec_lo, s76
	v_add_nc_u32_e32 v1, 0xffffff81, v6
	v_lshrrev_b32_e32 v5, 23, v0
	s_mov_b32 s13, exec_lo
	s_delay_alu instid0(VALU_DEP_2) | instskip(NEXT) | instid1(VALU_DEP_1)
	v_cndmask_b32_e64 v1, v1, 0xffffff82, vcc_lo
	v_add3_u32 v5, v7, v1, v5
	v_and_b32_e32 v1, 0x1fffff, v4
                                        ; implicit-def: $vgpr4
	s_delay_alu instid0(VALU_DEP_1) | instskip(SKIP_1) | instid1(VALU_DEP_2)
	v_dual_add_nc_u32 v6, 14, v5 :: v_dual_add_nc_u32 v0, v1, v0
	v_mov_b32_e32 v1, v113
	v_cmpx_ne_u32_e32 0, v6
	s_xor_b32 s13, exec_lo, s13
; %bb.28360:                            ;   in Loop: Header=BB6_27928 Depth=3
	s_delay_alu instid0(VALU_DEP_2) | instskip(SKIP_2) | instid1(VALU_DEP_2)
	v_cmp_lt_u64_e32 vcc_lo, 0xffffff, v[0:1]
	v_add_nc_u32_e32 v4, 15, v5
	v_cndmask_b32_e64 v5, 0, 1, vcc_lo
	v_cndmask_b32_e32 v4, v6, v4, vcc_lo
	s_delay_alu instid0(VALU_DEP_2)
	v_lshrrev_b64 v[0:1], v5, v[0:1]
; %bb.28361:                            ;   in Loop: Header=BB6_27928 Depth=3
	s_and_not1_saveexec_b32 s13, s13
; %bb.28362:                            ;   in Loop: Header=BB6_27928 Depth=3
	s_delay_alu instid0(VALU_DEP_1)
	v_bfe_u32 v4, v0, 23, 1
; %bb.28363:                            ;   in Loop: Header=BB6_27928 Depth=3
	s_or_b32 exec_lo, exec_lo, s13
	s_delay_alu instid0(VALU_DEP_2) | instskip(NEXT) | instid1(VALU_DEP_2)
	v_lshrrev_b64 v[0:1], 21, v[0:1]
	v_cmp_gt_i32_e32 vcc_lo, 32, v4
	v_cmp_ne_u32_e64 s13, 0, v4
                                        ; implicit-def: $vgpr82
	s_delay_alu instid0(VALU_DEP_3) | instskip(NEXT) | instid1(VALU_DEP_1)
	v_dual_cndmask_b32 v1, 0, v1 :: v_dual_cndmask_b32 v0, 3, v0
	v_cmp_ne_u64_e32 vcc_lo, 0, v[0:1]
	s_or_b32 s13, s13, vcc_lo
	s_delay_alu instid0(SALU_CYCLE_1) | instskip(NEXT) | instid1(SALU_CYCLE_1)
	s_and_saveexec_b32 s76, s13
	s_xor_b32 s13, exec_lo, s76
; %bb.28364:                            ;   in Loop: Header=BB6_27928 Depth=3
	v_min_i32_e32 v1, 31, v4
	s_delay_alu instid0(VALU_DEP_1) | instskip(NEXT) | instid1(VALU_DEP_1)
	v_lshl_or_b32 v1, v1, 2, v3
                                        ; implicit-def: $vgpr3
	v_and_or_b32 v82, v0, 3, v1
; %bb.28365:                            ;   in Loop: Header=BB6_27928 Depth=3
	s_and_not1_saveexec_b32 s13, s13
; %bb.28366:                            ;   in Loop: Header=BB6_27928 Depth=3
	v_mov_b32_e32 v82, v3
; %bb.28367:                            ;   in Loop: Header=BB6_27928 Depth=3
	s_or_b32 exec_lo, exec_lo, s13
.LBB6_28368:                            ;   in Loop: Header=BB6_27928 Depth=3
	s_delay_alu instid0(SALU_CYCLE_1)
	s_or_b32 exec_lo, exec_lo, s75
                                        ; implicit-def: $vgpr3
.LBB6_28369:                            ;   in Loop: Header=BB6_27928 Depth=3
	s_and_not1_saveexec_b32 s13, s15
; %bb.28370:                            ;   in Loop: Header=BB6_27928 Depth=3
	v_or_b32_e32 v82, 0x7b, v3
; %bb.28371:                            ;   in Loop: Header=BB6_27928 Depth=3
	s_or_b32 exec_lo, exec_lo, s13
                                        ; implicit-def: $vgpr4
                                        ; implicit-def: $vgpr0_vgpr1
.LBB6_28372:                            ;   in Loop: Header=BB6_27928 Depth=3
	s_and_not1_saveexec_b32 s13, s14
	s_cbranch_execz .LBB6_28378
; %bb.28373:                            ;   in Loop: Header=BB6_27928 Depth=3
	s_mov_b32 s14, exec_lo
                                        ; implicit-def: $vgpr82
	v_cmpx_ne_u64_e32 0, v[0:1]
	s_xor_b32 s14, exec_lo, s14
; %bb.28374:                            ;   in Loop: Header=BB6_27928 Depth=3
	v_lshrrev_b32_e32 v0, 24, v4
                                        ; implicit-def: $vgpr4
	s_delay_alu instid0(VALU_DEP_1)
	v_or_b32_e32 v82, 0x7f, v0
; %bb.28375:                            ;   in Loop: Header=BB6_27928 Depth=3
	s_and_not1_saveexec_b32 s14, s14
; %bb.28376:                            ;   in Loop: Header=BB6_27928 Depth=3
	v_cmp_lt_i32_e32 vcc_lo, -1, v4
	v_cndmask_b32_e64 v82, -4, 0x7c, vcc_lo
; %bb.28377:                            ;   in Loop: Header=BB6_27928 Depth=3
	s_or_b32 exec_lo, exec_lo, s14
.LBB6_28378:                            ;   in Loop: Header=BB6_27928 Depth=3
	s_delay_alu instid0(SALU_CYCLE_1)
	s_or_b32 exec_lo, exec_lo, s13
	flat_load_i8 v0, v[8:9] offset:416 th:TH_LOAD_NT
	v_mov_b32_e32 v3, 0
	s_mov_b32 s13, exec_lo
	s_wait_loadcnt_dscnt 0x0
	s_wait_xcnt 0x0
	v_cmpx_ne_u16_e32 0, v0
	s_cbranch_execz .LBB6_28388
; %bb.28379:                            ;   in Loop: Header=BB6_27928 Depth=3
	v_bfrev_b32_e32 v3, 1
	s_mov_b32 s14, exec_lo
	v_cmpx_ne_u16_e32 0xff80, v0
	s_cbranch_execz .LBB6_28387
; %bb.28380:                            ;   in Loop: Header=BB6_27928 Depth=3
	v_and_b32_e32 v3, 0x7c, v0
	v_and_b32_e32 v1, 3, v0
	s_delay_alu instid0(VALU_DEP_2) | instskip(SKIP_1) | instid1(SALU_CYCLE_1)
	v_cmp_ne_u32_e32 vcc_lo, 0x7c, v3
                                        ; implicit-def: $vgpr3
	s_and_saveexec_b32 s15, vcc_lo
	s_xor_b32 s15, exec_lo, s15
	s_cbranch_execz .LBB6_28384
; %bb.28381:                            ;   in Loop: Header=BB6_27928 Depth=3
	v_and_b32_e32 v3, 0xff, v0
	s_mov_b32 s75, exec_lo
	s_delay_alu instid0(VALU_DEP_1) | instskip(NEXT) | instid1(VALU_DEP_1)
	v_bfe_u32 v3, v3, 2, 5
	v_cmpx_eq_u32_e32 0, v3
	s_cbranch_execz .LBB6_28383
; %bb.28382:                            ;   in Loop: Header=BB6_27928 Depth=3
	v_clz_i32_u32_e32 v1, v1
	s_delay_alu instid0(VALU_DEP_1) | instskip(SKIP_1) | instid1(VALU_DEP_2)
	v_min_u32_e32 v3, 32, v1
	v_mov_b32_e32 v1, v113
	v_subrev_nc_u32_e32 v4, 29, v3
	v_sub_nc_u32_e32 v3, 30, v3
	s_delay_alu instid0(VALU_DEP_2) | instskip(NEXT) | instid1(VALU_DEP_1)
	v_lshlrev_b64_e32 v[4:5], v4, v[0:1]
	v_and_b32_e32 v1, 3, v4
.LBB6_28383:                            ;   in Loop: Header=BB6_27928 Depth=3
	s_or_b32 exec_lo, exec_lo, s75
	v_bfe_i32 v0, v0, 0, 16
	s_delay_alu instid0(VALU_DEP_1) | instskip(NEXT) | instid1(VALU_DEP_1)
	v_and_b32_e32 v0, 0x80000000, v0
	v_lshl_add_u32 v0, v3, 23, v0
	s_delay_alu instid0(VALU_DEP_1) | instskip(NEXT) | instid1(VALU_DEP_1)
	v_lshl_or_b32 v0, v1, 21, v0
                                        ; implicit-def: $vgpr1
	v_add_nc_u32_e32 v3, 0x38000000, v0
                                        ; implicit-def: $vgpr0
.LBB6_28384:                            ;   in Loop: Header=BB6_27928 Depth=3
	s_and_not1_saveexec_b32 s15, s15
; %bb.28385:                            ;   in Loop: Header=BB6_27928 Depth=3
	v_cmp_lt_i16_e32 vcc_lo, -1, v0
	v_mov_b32_e32 v0, 0x7f800000
	s_delay_alu instid0(VALU_DEP_1) | instskip(SKIP_1) | instid1(VALU_DEP_2)
	v_cndmask_b32_e32 v0, 0xff800000, v0, vcc_lo
	v_cmp_eq_u32_e32 vcc_lo, 0, v1
	v_cndmask_b32_e32 v3, 0x7f800001, v0, vcc_lo
; %bb.28386:                            ;   in Loop: Header=BB6_27928 Depth=3
	s_or_b32 exec_lo, exec_lo, s15
.LBB6_28387:                            ;   in Loop: Header=BB6_27928 Depth=3
	s_delay_alu instid0(SALU_CYCLE_1)
	s_or_b32 exec_lo, exec_lo, s14
.LBB6_28388:                            ;   in Loop: Header=BB6_27928 Depth=3
	s_delay_alu instid0(SALU_CYCLE_1) | instskip(NEXT) | instid1(VALU_DEP_1)
	s_or_b32 exec_lo, exec_lo, s13
	v_dual_mul_f32 v4, s74, v3 :: v_dual_mov_b32 v1, v113
                                        ; implicit-def: $vgpr24
	s_delay_alu instid0(VALU_DEP_1) | instskip(NEXT) | instid1(VALU_DEP_1)
	v_and_b32_e32 v0, 0x7f800000, v4
	v_cmp_ne_u64_e32 vcc_lo, 0x7f800000, v[0:1]
	v_and_b32_e32 v0, 0x7fffff, v4
	s_and_saveexec_b32 s13, vcc_lo
	s_delay_alu instid0(SALU_CYCLE_1)
	s_xor_b32 s14, exec_lo, s13
	s_cbranch_execz .LBB6_28406
; %bb.28389:                            ;   in Loop: Header=BB6_27928 Depth=3
	v_dual_mov_b32 v7, v113 :: v_dual_lshrrev_b32 v3, 24, v4
	v_and_b32_e32 v6, 0x7fffffff, v4
                                        ; implicit-def: $vgpr24
	s_mov_b32 s13, exec_lo
	s_delay_alu instid0(VALU_DEP_2) | instskip(NEXT) | instid1(VALU_DEP_2)
	v_and_b32_e32 v3, 0x80, v3
	v_cmpx_gt_u64_e32 0x47600001, v[6:7]
	s_xor_b32 s15, exec_lo, s13
	s_cbranch_execz .LBB6_28403
; %bb.28390:                            ;   in Loop: Header=BB6_27928 Depth=3
	v_mov_b32_e32 v24, 0
	s_mov_b32 s75, exec_lo
	v_cmpx_ne_u32_e32 0, v4
	s_cbranch_execz .LBB6_28402
; %bb.28391:                            ;   in Loop: Header=BB6_27928 Depth=3
	v_bfe_u32 v6, v4, 23, 8
	v_or_b32_e32 v14, 0x800000, v0
	s_delay_alu instid0(VALU_DEP_2) | instskip(SKIP_1) | instid1(VALU_DEP_2)
	v_sub_nc_u32_e32 v4, 0x71, v6
	v_cmp_gt_u32_e32 vcc_lo, 0x72, v6
	v_cndmask_b32_e32 v4, 0, v4, vcc_lo
	v_cmp_eq_u32_e32 vcc_lo, 0, v6
	s_delay_alu instid0(VALU_DEP_2) | instskip(NEXT) | instid1(VALU_DEP_1)
	v_cndmask_b32_e64 v7, v4, 0x70, vcc_lo
	v_dual_cndmask_b32 v0, v14, v0, vcc_lo :: v_dual_add_nc_u32 v4, 21, v7
	v_add_nc_u32_e32 v15, 20, v7
	s_delay_alu instid0(VALU_DEP_2) | instskip(NEXT) | instid1(VALU_DEP_2)
	v_lshlrev_b64_e64 v[4:5], v4, -1
	v_lshlrev_b64_e64 v[14:15], v15, 1
	s_delay_alu instid0(VALU_DEP_2) | instskip(SKIP_1) | instid1(VALU_DEP_4)
	v_bfi_b32 v4, v4, 0, v0
	v_lshrrev_b64 v[0:1], v7, v[0:1]
	v_bfi_b32 v5, v5, 0, 0
	s_delay_alu instid0(VALU_DEP_1) | instskip(NEXT) | instid1(VALU_DEP_3)
	v_cmp_eq_u64_e64 s13, v[4:5], v[14:15]
	v_mov_b64_e32 v[4:5], v[0:1]
	s_and_saveexec_b32 s76, s13
; %bb.28392:                            ;   in Loop: Header=BB6_27928 Depth=3
	v_bfe_u32 v4, v0, 21, 1
	v_mov_b32_e32 v5, v113
	s_delay_alu instid0(VALU_DEP_1) | instskip(NEXT) | instid1(VALU_DEP_1)
	v_add_nc_u64_e32 v[4:5], v[0:1], v[4:5]
	v_add_nc_u64_e32 v[4:5], -1, v[4:5]
; %bb.28393:                            ;   in Loop: Header=BB6_27928 Depth=3
	s_or_b32 exec_lo, exec_lo, s76
	v_add_nc_u32_e32 v1, 0xffffff81, v6
	v_lshrrev_b32_e32 v5, 23, v0
	s_mov_b32 s13, exec_lo
	s_delay_alu instid0(VALU_DEP_2) | instskip(NEXT) | instid1(VALU_DEP_1)
	v_cndmask_b32_e64 v1, v1, 0xffffff82, vcc_lo
	v_add3_u32 v5, v7, v1, v5
	v_and_b32_e32 v1, 0x1fffff, v4
                                        ; implicit-def: $vgpr4
	s_delay_alu instid0(VALU_DEP_1) | instskip(SKIP_1) | instid1(VALU_DEP_2)
	v_dual_add_nc_u32 v6, 14, v5 :: v_dual_add_nc_u32 v0, v1, v0
	v_mov_b32_e32 v1, v113
	v_cmpx_ne_u32_e32 0, v6
	s_xor_b32 s13, exec_lo, s13
; %bb.28394:                            ;   in Loop: Header=BB6_27928 Depth=3
	s_delay_alu instid0(VALU_DEP_2) | instskip(SKIP_2) | instid1(VALU_DEP_2)
	v_cmp_lt_u64_e32 vcc_lo, 0xffffff, v[0:1]
	v_add_nc_u32_e32 v4, 15, v5
	v_cndmask_b32_e64 v5, 0, 1, vcc_lo
	v_cndmask_b32_e32 v4, v6, v4, vcc_lo
	s_delay_alu instid0(VALU_DEP_2)
	v_lshrrev_b64 v[0:1], v5, v[0:1]
; %bb.28395:                            ;   in Loop: Header=BB6_27928 Depth=3
	s_and_not1_saveexec_b32 s13, s13
; %bb.28396:                            ;   in Loop: Header=BB6_27928 Depth=3
	s_delay_alu instid0(VALU_DEP_1)
	v_bfe_u32 v4, v0, 23, 1
; %bb.28397:                            ;   in Loop: Header=BB6_27928 Depth=3
	s_or_b32 exec_lo, exec_lo, s13
	s_delay_alu instid0(VALU_DEP_2) | instskip(NEXT) | instid1(VALU_DEP_2)
	v_lshrrev_b64 v[0:1], 21, v[0:1]
	v_cmp_gt_i32_e32 vcc_lo, 32, v4
	v_cmp_ne_u32_e64 s13, 0, v4
                                        ; implicit-def: $vgpr24
	s_delay_alu instid0(VALU_DEP_3) | instskip(NEXT) | instid1(VALU_DEP_1)
	v_dual_cndmask_b32 v1, 0, v1 :: v_dual_cndmask_b32 v0, 3, v0
	v_cmp_ne_u64_e32 vcc_lo, 0, v[0:1]
	s_or_b32 s13, s13, vcc_lo
	s_delay_alu instid0(SALU_CYCLE_1) | instskip(NEXT) | instid1(SALU_CYCLE_1)
	s_and_saveexec_b32 s76, s13
	s_xor_b32 s13, exec_lo, s76
; %bb.28398:                            ;   in Loop: Header=BB6_27928 Depth=3
	v_min_i32_e32 v1, 31, v4
	s_delay_alu instid0(VALU_DEP_1) | instskip(NEXT) | instid1(VALU_DEP_1)
	v_lshl_or_b32 v1, v1, 2, v3
                                        ; implicit-def: $vgpr3
	v_and_or_b32 v24, v0, 3, v1
; %bb.28399:                            ;   in Loop: Header=BB6_27928 Depth=3
	s_and_not1_saveexec_b32 s13, s13
; %bb.28400:                            ;   in Loop: Header=BB6_27928 Depth=3
	v_mov_b32_e32 v24, v3
; %bb.28401:                            ;   in Loop: Header=BB6_27928 Depth=3
	s_or_b32 exec_lo, exec_lo, s13
.LBB6_28402:                            ;   in Loop: Header=BB6_27928 Depth=3
	s_delay_alu instid0(SALU_CYCLE_1)
	s_or_b32 exec_lo, exec_lo, s75
                                        ; implicit-def: $vgpr3
.LBB6_28403:                            ;   in Loop: Header=BB6_27928 Depth=3
	s_and_not1_saveexec_b32 s13, s15
; %bb.28404:                            ;   in Loop: Header=BB6_27928 Depth=3
	v_or_b32_e32 v24, 0x7b, v3
; %bb.28405:                            ;   in Loop: Header=BB6_27928 Depth=3
	s_or_b32 exec_lo, exec_lo, s13
                                        ; implicit-def: $vgpr4
                                        ; implicit-def: $vgpr0_vgpr1
.LBB6_28406:                            ;   in Loop: Header=BB6_27928 Depth=3
	s_and_not1_saveexec_b32 s13, s14
	s_cbranch_execz .LBB6_28412
; %bb.28407:                            ;   in Loop: Header=BB6_27928 Depth=3
	s_mov_b32 s14, exec_lo
                                        ; implicit-def: $vgpr24
	v_cmpx_ne_u64_e32 0, v[0:1]
	s_xor_b32 s14, exec_lo, s14
; %bb.28408:                            ;   in Loop: Header=BB6_27928 Depth=3
	v_lshrrev_b32_e32 v0, 24, v4
                                        ; implicit-def: $vgpr4
	s_delay_alu instid0(VALU_DEP_1)
	v_or_b32_e32 v24, 0x7f, v0
; %bb.28409:                            ;   in Loop: Header=BB6_27928 Depth=3
	s_and_not1_saveexec_b32 s14, s14
; %bb.28410:                            ;   in Loop: Header=BB6_27928 Depth=3
	v_cmp_lt_i32_e32 vcc_lo, -1, v4
	v_cndmask_b32_e64 v24, -4, 0x7c, vcc_lo
; %bb.28411:                            ;   in Loop: Header=BB6_27928 Depth=3
	s_or_b32 exec_lo, exec_lo, s14
.LBB6_28412:                            ;   in Loop: Header=BB6_27928 Depth=3
	s_delay_alu instid0(SALU_CYCLE_1)
	s_or_b32 exec_lo, exec_lo, s13
	flat_load_i8 v0, v[8:9] offset:448 th:TH_LOAD_NT
	v_mov_b32_e32 v3, 0
	s_mov_b32 s13, exec_lo
	s_wait_loadcnt_dscnt 0x0
	s_wait_xcnt 0x0
	v_cmpx_ne_u16_e32 0, v0
	s_cbranch_execz .LBB6_28422
; %bb.28413:                            ;   in Loop: Header=BB6_27928 Depth=3
	v_bfrev_b32_e32 v3, 1
	s_mov_b32 s14, exec_lo
	v_cmpx_ne_u16_e32 0xff80, v0
	s_cbranch_execz .LBB6_28421
; %bb.28414:                            ;   in Loop: Header=BB6_27928 Depth=3
	v_and_b32_e32 v3, 0x7c, v0
	v_and_b32_e32 v1, 3, v0
	s_delay_alu instid0(VALU_DEP_2) | instskip(SKIP_1) | instid1(SALU_CYCLE_1)
	v_cmp_ne_u32_e32 vcc_lo, 0x7c, v3
                                        ; implicit-def: $vgpr3
	s_and_saveexec_b32 s15, vcc_lo
	s_xor_b32 s15, exec_lo, s15
	s_cbranch_execz .LBB6_28418
; %bb.28415:                            ;   in Loop: Header=BB6_27928 Depth=3
	v_and_b32_e32 v3, 0xff, v0
	s_mov_b32 s75, exec_lo
	s_delay_alu instid0(VALU_DEP_1) | instskip(NEXT) | instid1(VALU_DEP_1)
	v_bfe_u32 v3, v3, 2, 5
	v_cmpx_eq_u32_e32 0, v3
	s_cbranch_execz .LBB6_28417
; %bb.28416:                            ;   in Loop: Header=BB6_27928 Depth=3
	v_clz_i32_u32_e32 v1, v1
	s_delay_alu instid0(VALU_DEP_1) | instskip(SKIP_1) | instid1(VALU_DEP_2)
	v_min_u32_e32 v3, 32, v1
	v_mov_b32_e32 v1, v113
	v_subrev_nc_u32_e32 v4, 29, v3
	v_sub_nc_u32_e32 v3, 30, v3
	s_delay_alu instid0(VALU_DEP_2) | instskip(NEXT) | instid1(VALU_DEP_1)
	v_lshlrev_b64_e32 v[4:5], v4, v[0:1]
	v_and_b32_e32 v1, 3, v4
.LBB6_28417:                            ;   in Loop: Header=BB6_27928 Depth=3
	s_or_b32 exec_lo, exec_lo, s75
	v_bfe_i32 v0, v0, 0, 16
	s_delay_alu instid0(VALU_DEP_1) | instskip(NEXT) | instid1(VALU_DEP_1)
	v_and_b32_e32 v0, 0x80000000, v0
	v_lshl_add_u32 v0, v3, 23, v0
	s_delay_alu instid0(VALU_DEP_1) | instskip(NEXT) | instid1(VALU_DEP_1)
	v_lshl_or_b32 v0, v1, 21, v0
                                        ; implicit-def: $vgpr1
	v_add_nc_u32_e32 v3, 0x38000000, v0
                                        ; implicit-def: $vgpr0
.LBB6_28418:                            ;   in Loop: Header=BB6_27928 Depth=3
	s_and_not1_saveexec_b32 s15, s15
; %bb.28419:                            ;   in Loop: Header=BB6_27928 Depth=3
	v_cmp_lt_i16_e32 vcc_lo, -1, v0
	v_mov_b32_e32 v0, 0x7f800000
	s_delay_alu instid0(VALU_DEP_1) | instskip(SKIP_1) | instid1(VALU_DEP_2)
	v_cndmask_b32_e32 v0, 0xff800000, v0, vcc_lo
	v_cmp_eq_u32_e32 vcc_lo, 0, v1
	v_cndmask_b32_e32 v3, 0x7f800001, v0, vcc_lo
; %bb.28420:                            ;   in Loop: Header=BB6_27928 Depth=3
	s_or_b32 exec_lo, exec_lo, s15
.LBB6_28421:                            ;   in Loop: Header=BB6_27928 Depth=3
	s_delay_alu instid0(SALU_CYCLE_1)
	s_or_b32 exec_lo, exec_lo, s14
.LBB6_28422:                            ;   in Loop: Header=BB6_27928 Depth=3
	s_delay_alu instid0(SALU_CYCLE_1) | instskip(NEXT) | instid1(VALU_DEP_1)
	s_or_b32 exec_lo, exec_lo, s13
	v_dual_mul_f32 v4, s74, v3 :: v_dual_mov_b32 v1, v113
                                        ; implicit-def: $vgpr30
	s_delay_alu instid0(VALU_DEP_1) | instskip(NEXT) | instid1(VALU_DEP_1)
	v_and_b32_e32 v0, 0x7f800000, v4
	v_cmp_ne_u64_e32 vcc_lo, 0x7f800000, v[0:1]
	v_and_b32_e32 v0, 0x7fffff, v4
	s_and_saveexec_b32 s13, vcc_lo
	s_delay_alu instid0(SALU_CYCLE_1)
	s_xor_b32 s14, exec_lo, s13
	s_cbranch_execz .LBB6_28440
; %bb.28423:                            ;   in Loop: Header=BB6_27928 Depth=3
	v_dual_mov_b32 v7, v113 :: v_dual_lshrrev_b32 v3, 24, v4
	v_and_b32_e32 v6, 0x7fffffff, v4
                                        ; implicit-def: $vgpr30
	s_mov_b32 s13, exec_lo
	s_delay_alu instid0(VALU_DEP_2) | instskip(NEXT) | instid1(VALU_DEP_2)
	v_and_b32_e32 v3, 0x80, v3
	v_cmpx_gt_u64_e32 0x47600001, v[6:7]
	s_xor_b32 s15, exec_lo, s13
	s_cbranch_execz .LBB6_28437
; %bb.28424:                            ;   in Loop: Header=BB6_27928 Depth=3
	v_mov_b32_e32 v30, 0
	s_mov_b32 s75, exec_lo
	v_cmpx_ne_u32_e32 0, v4
	s_cbranch_execz .LBB6_28436
; %bb.28425:                            ;   in Loop: Header=BB6_27928 Depth=3
	v_bfe_u32 v6, v4, 23, 8
	v_or_b32_e32 v14, 0x800000, v0
	s_delay_alu instid0(VALU_DEP_2) | instskip(SKIP_1) | instid1(VALU_DEP_2)
	v_sub_nc_u32_e32 v4, 0x71, v6
	v_cmp_gt_u32_e32 vcc_lo, 0x72, v6
	v_cndmask_b32_e32 v4, 0, v4, vcc_lo
	v_cmp_eq_u32_e32 vcc_lo, 0, v6
	s_delay_alu instid0(VALU_DEP_2) | instskip(NEXT) | instid1(VALU_DEP_1)
	v_cndmask_b32_e64 v7, v4, 0x70, vcc_lo
	v_dual_cndmask_b32 v0, v14, v0, vcc_lo :: v_dual_add_nc_u32 v4, 21, v7
	v_add_nc_u32_e32 v15, 20, v7
	s_delay_alu instid0(VALU_DEP_2) | instskip(NEXT) | instid1(VALU_DEP_2)
	v_lshlrev_b64_e64 v[4:5], v4, -1
	v_lshlrev_b64_e64 v[14:15], v15, 1
	s_delay_alu instid0(VALU_DEP_2) | instskip(SKIP_1) | instid1(VALU_DEP_4)
	v_bfi_b32 v4, v4, 0, v0
	v_lshrrev_b64 v[0:1], v7, v[0:1]
	v_bfi_b32 v5, v5, 0, 0
	s_delay_alu instid0(VALU_DEP_1) | instskip(NEXT) | instid1(VALU_DEP_3)
	v_cmp_eq_u64_e64 s13, v[4:5], v[14:15]
	v_mov_b64_e32 v[4:5], v[0:1]
	s_and_saveexec_b32 s76, s13
; %bb.28426:                            ;   in Loop: Header=BB6_27928 Depth=3
	v_bfe_u32 v4, v0, 21, 1
	v_mov_b32_e32 v5, v113
	s_delay_alu instid0(VALU_DEP_1) | instskip(NEXT) | instid1(VALU_DEP_1)
	v_add_nc_u64_e32 v[4:5], v[0:1], v[4:5]
	v_add_nc_u64_e32 v[4:5], -1, v[4:5]
; %bb.28427:                            ;   in Loop: Header=BB6_27928 Depth=3
	s_or_b32 exec_lo, exec_lo, s76
	v_add_nc_u32_e32 v1, 0xffffff81, v6
	v_lshrrev_b32_e32 v5, 23, v0
	s_mov_b32 s13, exec_lo
	s_delay_alu instid0(VALU_DEP_2) | instskip(NEXT) | instid1(VALU_DEP_1)
	v_cndmask_b32_e64 v1, v1, 0xffffff82, vcc_lo
	v_add3_u32 v5, v7, v1, v5
	v_and_b32_e32 v1, 0x1fffff, v4
                                        ; implicit-def: $vgpr4
	s_delay_alu instid0(VALU_DEP_1) | instskip(SKIP_1) | instid1(VALU_DEP_2)
	v_dual_add_nc_u32 v6, 14, v5 :: v_dual_add_nc_u32 v0, v1, v0
	v_mov_b32_e32 v1, v113
	v_cmpx_ne_u32_e32 0, v6
	s_xor_b32 s13, exec_lo, s13
; %bb.28428:                            ;   in Loop: Header=BB6_27928 Depth=3
	s_delay_alu instid0(VALU_DEP_2) | instskip(SKIP_2) | instid1(VALU_DEP_2)
	v_cmp_lt_u64_e32 vcc_lo, 0xffffff, v[0:1]
	v_add_nc_u32_e32 v4, 15, v5
	v_cndmask_b32_e64 v5, 0, 1, vcc_lo
	v_cndmask_b32_e32 v4, v6, v4, vcc_lo
	s_delay_alu instid0(VALU_DEP_2)
	v_lshrrev_b64 v[0:1], v5, v[0:1]
; %bb.28429:                            ;   in Loop: Header=BB6_27928 Depth=3
	s_and_not1_saveexec_b32 s13, s13
; %bb.28430:                            ;   in Loop: Header=BB6_27928 Depth=3
	s_delay_alu instid0(VALU_DEP_1)
	v_bfe_u32 v4, v0, 23, 1
; %bb.28431:                            ;   in Loop: Header=BB6_27928 Depth=3
	s_or_b32 exec_lo, exec_lo, s13
	s_delay_alu instid0(VALU_DEP_2) | instskip(NEXT) | instid1(VALU_DEP_2)
	v_lshrrev_b64 v[0:1], 21, v[0:1]
	v_cmp_gt_i32_e32 vcc_lo, 32, v4
	v_cmp_ne_u32_e64 s13, 0, v4
                                        ; implicit-def: $vgpr30
	s_delay_alu instid0(VALU_DEP_3) | instskip(NEXT) | instid1(VALU_DEP_1)
	v_dual_cndmask_b32 v1, 0, v1 :: v_dual_cndmask_b32 v0, 3, v0
	v_cmp_ne_u64_e32 vcc_lo, 0, v[0:1]
	s_or_b32 s13, s13, vcc_lo
	s_delay_alu instid0(SALU_CYCLE_1) | instskip(NEXT) | instid1(SALU_CYCLE_1)
	s_and_saveexec_b32 s76, s13
	s_xor_b32 s13, exec_lo, s76
; %bb.28432:                            ;   in Loop: Header=BB6_27928 Depth=3
	v_min_i32_e32 v1, 31, v4
	s_delay_alu instid0(VALU_DEP_1) | instskip(NEXT) | instid1(VALU_DEP_1)
	v_lshl_or_b32 v1, v1, 2, v3
                                        ; implicit-def: $vgpr3
	v_and_or_b32 v30, v0, 3, v1
; %bb.28433:                            ;   in Loop: Header=BB6_27928 Depth=3
	s_and_not1_saveexec_b32 s13, s13
; %bb.28434:                            ;   in Loop: Header=BB6_27928 Depth=3
	v_mov_b32_e32 v30, v3
; %bb.28435:                            ;   in Loop: Header=BB6_27928 Depth=3
	s_or_b32 exec_lo, exec_lo, s13
.LBB6_28436:                            ;   in Loop: Header=BB6_27928 Depth=3
	s_delay_alu instid0(SALU_CYCLE_1)
	s_or_b32 exec_lo, exec_lo, s75
                                        ; implicit-def: $vgpr3
.LBB6_28437:                            ;   in Loop: Header=BB6_27928 Depth=3
	s_and_not1_saveexec_b32 s13, s15
; %bb.28438:                            ;   in Loop: Header=BB6_27928 Depth=3
	v_or_b32_e32 v30, 0x7b, v3
; %bb.28439:                            ;   in Loop: Header=BB6_27928 Depth=3
	s_or_b32 exec_lo, exec_lo, s13
                                        ; implicit-def: $vgpr4
                                        ; implicit-def: $vgpr0_vgpr1
.LBB6_28440:                            ;   in Loop: Header=BB6_27928 Depth=3
	s_and_not1_saveexec_b32 s13, s14
	s_cbranch_execz .LBB6_28446
; %bb.28441:                            ;   in Loop: Header=BB6_27928 Depth=3
	s_mov_b32 s14, exec_lo
                                        ; implicit-def: $vgpr30
	v_cmpx_ne_u64_e32 0, v[0:1]
	s_xor_b32 s14, exec_lo, s14
; %bb.28442:                            ;   in Loop: Header=BB6_27928 Depth=3
	v_lshrrev_b32_e32 v0, 24, v4
                                        ; implicit-def: $vgpr4
	s_delay_alu instid0(VALU_DEP_1)
	v_or_b32_e32 v30, 0x7f, v0
; %bb.28443:                            ;   in Loop: Header=BB6_27928 Depth=3
	s_and_not1_saveexec_b32 s14, s14
; %bb.28444:                            ;   in Loop: Header=BB6_27928 Depth=3
	v_cmp_lt_i32_e32 vcc_lo, -1, v4
	v_cndmask_b32_e64 v30, -4, 0x7c, vcc_lo
; %bb.28445:                            ;   in Loop: Header=BB6_27928 Depth=3
	s_or_b32 exec_lo, exec_lo, s14
.LBB6_28446:                            ;   in Loop: Header=BB6_27928 Depth=3
	s_delay_alu instid0(SALU_CYCLE_1)
	s_or_b32 exec_lo, exec_lo, s13
	flat_load_i8 v0, v[8:9] offset:480 th:TH_LOAD_NT
	v_mov_b32_e32 v3, 0
	s_mov_b32 s13, exec_lo
	s_wait_loadcnt_dscnt 0x0
	s_wait_xcnt 0x0
	v_cmpx_ne_u16_e32 0, v0
	s_cbranch_execz .LBB6_28456
; %bb.28447:                            ;   in Loop: Header=BB6_27928 Depth=3
	v_bfrev_b32_e32 v3, 1
	s_mov_b32 s14, exec_lo
	v_cmpx_ne_u16_e32 0xff80, v0
	s_cbranch_execz .LBB6_28455
; %bb.28448:                            ;   in Loop: Header=BB6_27928 Depth=3
	v_and_b32_e32 v3, 0x7c, v0
	v_and_b32_e32 v1, 3, v0
	s_delay_alu instid0(VALU_DEP_2) | instskip(SKIP_1) | instid1(SALU_CYCLE_1)
	v_cmp_ne_u32_e32 vcc_lo, 0x7c, v3
                                        ; implicit-def: $vgpr3
	s_and_saveexec_b32 s15, vcc_lo
	s_xor_b32 s15, exec_lo, s15
	s_cbranch_execz .LBB6_28452
; %bb.28449:                            ;   in Loop: Header=BB6_27928 Depth=3
	v_and_b32_e32 v3, 0xff, v0
	s_mov_b32 s75, exec_lo
	s_delay_alu instid0(VALU_DEP_1) | instskip(NEXT) | instid1(VALU_DEP_1)
	v_bfe_u32 v3, v3, 2, 5
	v_cmpx_eq_u32_e32 0, v3
	s_cbranch_execz .LBB6_28451
; %bb.28450:                            ;   in Loop: Header=BB6_27928 Depth=3
	v_clz_i32_u32_e32 v1, v1
	s_delay_alu instid0(VALU_DEP_1) | instskip(SKIP_1) | instid1(VALU_DEP_2)
	v_min_u32_e32 v3, 32, v1
	v_mov_b32_e32 v1, v113
	v_subrev_nc_u32_e32 v4, 29, v3
	v_sub_nc_u32_e32 v3, 30, v3
	s_delay_alu instid0(VALU_DEP_2) | instskip(NEXT) | instid1(VALU_DEP_1)
	v_lshlrev_b64_e32 v[4:5], v4, v[0:1]
	v_and_b32_e32 v1, 3, v4
.LBB6_28451:                            ;   in Loop: Header=BB6_27928 Depth=3
	s_or_b32 exec_lo, exec_lo, s75
	v_bfe_i32 v0, v0, 0, 16
	s_delay_alu instid0(VALU_DEP_1) | instskip(NEXT) | instid1(VALU_DEP_1)
	v_and_b32_e32 v0, 0x80000000, v0
	v_lshl_add_u32 v0, v3, 23, v0
	s_delay_alu instid0(VALU_DEP_1) | instskip(NEXT) | instid1(VALU_DEP_1)
	v_lshl_or_b32 v0, v1, 21, v0
                                        ; implicit-def: $vgpr1
	v_add_nc_u32_e32 v3, 0x38000000, v0
                                        ; implicit-def: $vgpr0
.LBB6_28452:                            ;   in Loop: Header=BB6_27928 Depth=3
	s_and_not1_saveexec_b32 s15, s15
; %bb.28453:                            ;   in Loop: Header=BB6_27928 Depth=3
	v_cmp_lt_i16_e32 vcc_lo, -1, v0
	v_mov_b32_e32 v0, 0x7f800000
	s_delay_alu instid0(VALU_DEP_1) | instskip(SKIP_1) | instid1(VALU_DEP_2)
	v_cndmask_b32_e32 v0, 0xff800000, v0, vcc_lo
	v_cmp_eq_u32_e32 vcc_lo, 0, v1
	v_cndmask_b32_e32 v3, 0x7f800001, v0, vcc_lo
; %bb.28454:                            ;   in Loop: Header=BB6_27928 Depth=3
	s_or_b32 exec_lo, exec_lo, s15
.LBB6_28455:                            ;   in Loop: Header=BB6_27928 Depth=3
	s_delay_alu instid0(SALU_CYCLE_1)
	s_or_b32 exec_lo, exec_lo, s14
.LBB6_28456:                            ;   in Loop: Header=BB6_27928 Depth=3
	s_delay_alu instid0(SALU_CYCLE_1) | instskip(NEXT) | instid1(VALU_DEP_1)
	s_or_b32 exec_lo, exec_lo, s13
	v_dual_mul_f32 v4, s74, v3 :: v_dual_mov_b32 v1, v113
                                        ; implicit-def: $vgpr28
	s_delay_alu instid0(VALU_DEP_1) | instskip(NEXT) | instid1(VALU_DEP_1)
	v_and_b32_e32 v0, 0x7f800000, v4
	v_cmp_ne_u64_e32 vcc_lo, 0x7f800000, v[0:1]
	v_and_b32_e32 v0, 0x7fffff, v4
	s_and_saveexec_b32 s13, vcc_lo
	s_delay_alu instid0(SALU_CYCLE_1)
	s_xor_b32 s14, exec_lo, s13
	s_cbranch_execz .LBB6_28474
; %bb.28457:                            ;   in Loop: Header=BB6_27928 Depth=3
	v_dual_mov_b32 v7, v113 :: v_dual_lshrrev_b32 v3, 24, v4
	v_and_b32_e32 v6, 0x7fffffff, v4
                                        ; implicit-def: $vgpr28
	s_mov_b32 s13, exec_lo
	s_delay_alu instid0(VALU_DEP_2) | instskip(NEXT) | instid1(VALU_DEP_2)
	v_and_b32_e32 v3, 0x80, v3
	v_cmpx_gt_u64_e32 0x47600001, v[6:7]
	s_xor_b32 s15, exec_lo, s13
	s_cbranch_execz .LBB6_28471
; %bb.28458:                            ;   in Loop: Header=BB6_27928 Depth=3
	v_mov_b32_e32 v28, 0
	s_mov_b32 s75, exec_lo
	v_cmpx_ne_u32_e32 0, v4
	s_cbranch_execz .LBB6_28470
; %bb.28459:                            ;   in Loop: Header=BB6_27928 Depth=3
	v_bfe_u32 v6, v4, 23, 8
	v_or_b32_e32 v14, 0x800000, v0
	s_delay_alu instid0(VALU_DEP_2) | instskip(SKIP_1) | instid1(VALU_DEP_2)
	v_sub_nc_u32_e32 v4, 0x71, v6
	v_cmp_gt_u32_e32 vcc_lo, 0x72, v6
	v_cndmask_b32_e32 v4, 0, v4, vcc_lo
	v_cmp_eq_u32_e32 vcc_lo, 0, v6
	s_delay_alu instid0(VALU_DEP_2) | instskip(NEXT) | instid1(VALU_DEP_1)
	v_cndmask_b32_e64 v7, v4, 0x70, vcc_lo
	v_dual_cndmask_b32 v0, v14, v0, vcc_lo :: v_dual_add_nc_u32 v4, 21, v7
	v_add_nc_u32_e32 v15, 20, v7
	s_delay_alu instid0(VALU_DEP_2) | instskip(NEXT) | instid1(VALU_DEP_2)
	v_lshlrev_b64_e64 v[4:5], v4, -1
	v_lshlrev_b64_e64 v[14:15], v15, 1
	s_delay_alu instid0(VALU_DEP_2) | instskip(SKIP_1) | instid1(VALU_DEP_4)
	v_bfi_b32 v4, v4, 0, v0
	v_lshrrev_b64 v[0:1], v7, v[0:1]
	v_bfi_b32 v5, v5, 0, 0
	s_delay_alu instid0(VALU_DEP_1) | instskip(NEXT) | instid1(VALU_DEP_3)
	v_cmp_eq_u64_e64 s13, v[4:5], v[14:15]
	v_mov_b64_e32 v[4:5], v[0:1]
	s_and_saveexec_b32 s76, s13
; %bb.28460:                            ;   in Loop: Header=BB6_27928 Depth=3
	v_bfe_u32 v4, v0, 21, 1
	v_mov_b32_e32 v5, v113
	s_delay_alu instid0(VALU_DEP_1) | instskip(NEXT) | instid1(VALU_DEP_1)
	v_add_nc_u64_e32 v[4:5], v[0:1], v[4:5]
	v_add_nc_u64_e32 v[4:5], -1, v[4:5]
; %bb.28461:                            ;   in Loop: Header=BB6_27928 Depth=3
	s_or_b32 exec_lo, exec_lo, s76
	v_add_nc_u32_e32 v1, 0xffffff81, v6
	v_lshrrev_b32_e32 v5, 23, v0
	s_mov_b32 s13, exec_lo
	s_delay_alu instid0(VALU_DEP_2) | instskip(NEXT) | instid1(VALU_DEP_1)
	v_cndmask_b32_e64 v1, v1, 0xffffff82, vcc_lo
	v_add3_u32 v5, v7, v1, v5
	v_and_b32_e32 v1, 0x1fffff, v4
                                        ; implicit-def: $vgpr4
	s_delay_alu instid0(VALU_DEP_1) | instskip(SKIP_1) | instid1(VALU_DEP_2)
	v_dual_add_nc_u32 v6, 14, v5 :: v_dual_add_nc_u32 v0, v1, v0
	v_mov_b32_e32 v1, v113
	v_cmpx_ne_u32_e32 0, v6
	s_xor_b32 s13, exec_lo, s13
; %bb.28462:                            ;   in Loop: Header=BB6_27928 Depth=3
	s_delay_alu instid0(VALU_DEP_2) | instskip(SKIP_2) | instid1(VALU_DEP_2)
	v_cmp_lt_u64_e32 vcc_lo, 0xffffff, v[0:1]
	v_add_nc_u32_e32 v4, 15, v5
	v_cndmask_b32_e64 v5, 0, 1, vcc_lo
	v_cndmask_b32_e32 v4, v6, v4, vcc_lo
	s_delay_alu instid0(VALU_DEP_2)
	v_lshrrev_b64 v[0:1], v5, v[0:1]
; %bb.28463:                            ;   in Loop: Header=BB6_27928 Depth=3
	s_and_not1_saveexec_b32 s13, s13
; %bb.28464:                            ;   in Loop: Header=BB6_27928 Depth=3
	s_delay_alu instid0(VALU_DEP_1)
	v_bfe_u32 v4, v0, 23, 1
; %bb.28465:                            ;   in Loop: Header=BB6_27928 Depth=3
	s_or_b32 exec_lo, exec_lo, s13
	s_delay_alu instid0(VALU_DEP_2) | instskip(NEXT) | instid1(VALU_DEP_2)
	v_lshrrev_b64 v[0:1], 21, v[0:1]
	v_cmp_gt_i32_e32 vcc_lo, 32, v4
	v_cmp_ne_u32_e64 s13, 0, v4
                                        ; implicit-def: $vgpr28
	s_delay_alu instid0(VALU_DEP_3) | instskip(NEXT) | instid1(VALU_DEP_1)
	v_dual_cndmask_b32 v1, 0, v1 :: v_dual_cndmask_b32 v0, 3, v0
	v_cmp_ne_u64_e32 vcc_lo, 0, v[0:1]
	s_or_b32 s13, s13, vcc_lo
	s_delay_alu instid0(SALU_CYCLE_1) | instskip(NEXT) | instid1(SALU_CYCLE_1)
	s_and_saveexec_b32 s76, s13
	s_xor_b32 s13, exec_lo, s76
; %bb.28466:                            ;   in Loop: Header=BB6_27928 Depth=3
	v_min_i32_e32 v1, 31, v4
	s_delay_alu instid0(VALU_DEP_1) | instskip(NEXT) | instid1(VALU_DEP_1)
	v_lshl_or_b32 v1, v1, 2, v3
                                        ; implicit-def: $vgpr3
	v_and_or_b32 v28, v0, 3, v1
; %bb.28467:                            ;   in Loop: Header=BB6_27928 Depth=3
	s_and_not1_saveexec_b32 s13, s13
; %bb.28468:                            ;   in Loop: Header=BB6_27928 Depth=3
	v_mov_b32_e32 v28, v3
; %bb.28469:                            ;   in Loop: Header=BB6_27928 Depth=3
	s_or_b32 exec_lo, exec_lo, s13
.LBB6_28470:                            ;   in Loop: Header=BB6_27928 Depth=3
	s_delay_alu instid0(SALU_CYCLE_1)
	s_or_b32 exec_lo, exec_lo, s75
                                        ; implicit-def: $vgpr3
.LBB6_28471:                            ;   in Loop: Header=BB6_27928 Depth=3
	s_and_not1_saveexec_b32 s13, s15
; %bb.28472:                            ;   in Loop: Header=BB6_27928 Depth=3
	v_or_b32_e32 v28, 0x7b, v3
; %bb.28473:                            ;   in Loop: Header=BB6_27928 Depth=3
	s_or_b32 exec_lo, exec_lo, s13
                                        ; implicit-def: $vgpr4
                                        ; implicit-def: $vgpr0_vgpr1
.LBB6_28474:                            ;   in Loop: Header=BB6_27928 Depth=3
	s_and_not1_saveexec_b32 s13, s14
	s_cbranch_execz .LBB6_28480
; %bb.28475:                            ;   in Loop: Header=BB6_27928 Depth=3
	s_mov_b32 s14, exec_lo
                                        ; implicit-def: $vgpr28
	v_cmpx_ne_u64_e32 0, v[0:1]
	s_xor_b32 s14, exec_lo, s14
; %bb.28476:                            ;   in Loop: Header=BB6_27928 Depth=3
	v_lshrrev_b32_e32 v0, 24, v4
                                        ; implicit-def: $vgpr4
	s_delay_alu instid0(VALU_DEP_1)
	v_or_b32_e32 v28, 0x7f, v0
; %bb.28477:                            ;   in Loop: Header=BB6_27928 Depth=3
	s_and_not1_saveexec_b32 s14, s14
; %bb.28478:                            ;   in Loop: Header=BB6_27928 Depth=3
	v_cmp_lt_i32_e32 vcc_lo, -1, v4
	v_cndmask_b32_e64 v28, -4, 0x7c, vcc_lo
; %bb.28479:                            ;   in Loop: Header=BB6_27928 Depth=3
	s_or_b32 exec_lo, exec_lo, s14
.LBB6_28480:                            ;   in Loop: Header=BB6_27928 Depth=3
	s_delay_alu instid0(SALU_CYCLE_1)
	s_or_b32 exec_lo, exec_lo, s13
	flat_load_i8 v0, v[8:9] offset:512 th:TH_LOAD_NT
	v_mov_b32_e32 v3, 0
	s_mov_b32 s13, exec_lo
	s_wait_loadcnt_dscnt 0x0
	s_wait_xcnt 0x0
	v_cmpx_ne_u16_e32 0, v0
	s_cbranch_execz .LBB6_28490
; %bb.28481:                            ;   in Loop: Header=BB6_27928 Depth=3
	v_bfrev_b32_e32 v3, 1
	s_mov_b32 s14, exec_lo
	v_cmpx_ne_u16_e32 0xff80, v0
	s_cbranch_execz .LBB6_28489
; %bb.28482:                            ;   in Loop: Header=BB6_27928 Depth=3
	v_and_b32_e32 v3, 0x7c, v0
	v_and_b32_e32 v1, 3, v0
	s_delay_alu instid0(VALU_DEP_2) | instskip(SKIP_1) | instid1(SALU_CYCLE_1)
	v_cmp_ne_u32_e32 vcc_lo, 0x7c, v3
                                        ; implicit-def: $vgpr3
	s_and_saveexec_b32 s15, vcc_lo
	s_xor_b32 s15, exec_lo, s15
	s_cbranch_execz .LBB6_28486
; %bb.28483:                            ;   in Loop: Header=BB6_27928 Depth=3
	v_and_b32_e32 v3, 0xff, v0
	s_mov_b32 s75, exec_lo
	s_delay_alu instid0(VALU_DEP_1) | instskip(NEXT) | instid1(VALU_DEP_1)
	v_bfe_u32 v3, v3, 2, 5
	v_cmpx_eq_u32_e32 0, v3
	s_cbranch_execz .LBB6_28485
; %bb.28484:                            ;   in Loop: Header=BB6_27928 Depth=3
	v_clz_i32_u32_e32 v1, v1
	s_delay_alu instid0(VALU_DEP_1) | instskip(SKIP_1) | instid1(VALU_DEP_2)
	v_min_u32_e32 v3, 32, v1
	v_mov_b32_e32 v1, v113
	v_subrev_nc_u32_e32 v4, 29, v3
	v_sub_nc_u32_e32 v3, 30, v3
	s_delay_alu instid0(VALU_DEP_2) | instskip(NEXT) | instid1(VALU_DEP_1)
	v_lshlrev_b64_e32 v[4:5], v4, v[0:1]
	v_and_b32_e32 v1, 3, v4
.LBB6_28485:                            ;   in Loop: Header=BB6_27928 Depth=3
	s_or_b32 exec_lo, exec_lo, s75
	v_bfe_i32 v0, v0, 0, 16
	s_delay_alu instid0(VALU_DEP_1) | instskip(NEXT) | instid1(VALU_DEP_1)
	v_and_b32_e32 v0, 0x80000000, v0
	v_lshl_add_u32 v0, v3, 23, v0
	s_delay_alu instid0(VALU_DEP_1) | instskip(NEXT) | instid1(VALU_DEP_1)
	v_lshl_or_b32 v0, v1, 21, v0
                                        ; implicit-def: $vgpr1
	v_add_nc_u32_e32 v3, 0x38000000, v0
                                        ; implicit-def: $vgpr0
.LBB6_28486:                            ;   in Loop: Header=BB6_27928 Depth=3
	s_and_not1_saveexec_b32 s15, s15
; %bb.28487:                            ;   in Loop: Header=BB6_27928 Depth=3
	v_cmp_lt_i16_e32 vcc_lo, -1, v0
	v_mov_b32_e32 v0, 0x7f800000
	s_delay_alu instid0(VALU_DEP_1) | instskip(SKIP_1) | instid1(VALU_DEP_2)
	v_cndmask_b32_e32 v0, 0xff800000, v0, vcc_lo
	v_cmp_eq_u32_e32 vcc_lo, 0, v1
	v_cndmask_b32_e32 v3, 0x7f800001, v0, vcc_lo
; %bb.28488:                            ;   in Loop: Header=BB6_27928 Depth=3
	s_or_b32 exec_lo, exec_lo, s15
.LBB6_28489:                            ;   in Loop: Header=BB6_27928 Depth=3
	s_delay_alu instid0(SALU_CYCLE_1)
	s_or_b32 exec_lo, exec_lo, s14
.LBB6_28490:                            ;   in Loop: Header=BB6_27928 Depth=3
	s_delay_alu instid0(SALU_CYCLE_1) | instskip(NEXT) | instid1(VALU_DEP_1)
	s_or_b32 exec_lo, exec_lo, s13
	v_dual_mul_f32 v4, s74, v3 :: v_dual_mov_b32 v1, v113
                                        ; implicit-def: $vgpr108
	s_delay_alu instid0(VALU_DEP_1) | instskip(NEXT) | instid1(VALU_DEP_1)
	v_and_b32_e32 v0, 0x7f800000, v4
	v_cmp_ne_u64_e32 vcc_lo, 0x7f800000, v[0:1]
	v_and_b32_e32 v0, 0x7fffff, v4
	s_and_saveexec_b32 s13, vcc_lo
	s_delay_alu instid0(SALU_CYCLE_1)
	s_xor_b32 s14, exec_lo, s13
	s_cbranch_execz .LBB6_28508
; %bb.28491:                            ;   in Loop: Header=BB6_27928 Depth=3
	v_dual_mov_b32 v7, v113 :: v_dual_lshrrev_b32 v3, 24, v4
	v_and_b32_e32 v6, 0x7fffffff, v4
                                        ; implicit-def: $vgpr108
	s_mov_b32 s13, exec_lo
	s_delay_alu instid0(VALU_DEP_2) | instskip(NEXT) | instid1(VALU_DEP_2)
	v_and_b32_e32 v3, 0x80, v3
	v_cmpx_gt_u64_e32 0x47600001, v[6:7]
	s_xor_b32 s15, exec_lo, s13
	s_cbranch_execz .LBB6_28505
; %bb.28492:                            ;   in Loop: Header=BB6_27928 Depth=3
	v_mov_b32_e32 v108, 0
	s_mov_b32 s75, exec_lo
	v_cmpx_ne_u32_e32 0, v4
	s_cbranch_execz .LBB6_28504
; %bb.28493:                            ;   in Loop: Header=BB6_27928 Depth=3
	v_bfe_u32 v6, v4, 23, 8
	v_or_b32_e32 v14, 0x800000, v0
	s_delay_alu instid0(VALU_DEP_2) | instskip(SKIP_1) | instid1(VALU_DEP_2)
	v_sub_nc_u32_e32 v4, 0x71, v6
	v_cmp_gt_u32_e32 vcc_lo, 0x72, v6
	v_cndmask_b32_e32 v4, 0, v4, vcc_lo
	v_cmp_eq_u32_e32 vcc_lo, 0, v6
	s_delay_alu instid0(VALU_DEP_2) | instskip(NEXT) | instid1(VALU_DEP_1)
	v_cndmask_b32_e64 v7, v4, 0x70, vcc_lo
	v_dual_cndmask_b32 v0, v14, v0, vcc_lo :: v_dual_add_nc_u32 v4, 21, v7
	v_add_nc_u32_e32 v15, 20, v7
	s_delay_alu instid0(VALU_DEP_2) | instskip(NEXT) | instid1(VALU_DEP_2)
	v_lshlrev_b64_e64 v[4:5], v4, -1
	v_lshlrev_b64_e64 v[14:15], v15, 1
	s_delay_alu instid0(VALU_DEP_2) | instskip(SKIP_1) | instid1(VALU_DEP_4)
	v_bfi_b32 v4, v4, 0, v0
	v_lshrrev_b64 v[0:1], v7, v[0:1]
	v_bfi_b32 v5, v5, 0, 0
	s_delay_alu instid0(VALU_DEP_1) | instskip(NEXT) | instid1(VALU_DEP_3)
	v_cmp_eq_u64_e64 s13, v[4:5], v[14:15]
	v_mov_b64_e32 v[4:5], v[0:1]
	s_and_saveexec_b32 s76, s13
; %bb.28494:                            ;   in Loop: Header=BB6_27928 Depth=3
	v_bfe_u32 v4, v0, 21, 1
	v_mov_b32_e32 v5, v113
	s_delay_alu instid0(VALU_DEP_1) | instskip(NEXT) | instid1(VALU_DEP_1)
	v_add_nc_u64_e32 v[4:5], v[0:1], v[4:5]
	v_add_nc_u64_e32 v[4:5], -1, v[4:5]
; %bb.28495:                            ;   in Loop: Header=BB6_27928 Depth=3
	s_or_b32 exec_lo, exec_lo, s76
	v_add_nc_u32_e32 v1, 0xffffff81, v6
	v_lshrrev_b32_e32 v5, 23, v0
	s_mov_b32 s13, exec_lo
	s_delay_alu instid0(VALU_DEP_2) | instskip(NEXT) | instid1(VALU_DEP_1)
	v_cndmask_b32_e64 v1, v1, 0xffffff82, vcc_lo
	v_add3_u32 v5, v7, v1, v5
	v_and_b32_e32 v1, 0x1fffff, v4
                                        ; implicit-def: $vgpr4
	s_delay_alu instid0(VALU_DEP_1) | instskip(SKIP_1) | instid1(VALU_DEP_2)
	v_dual_add_nc_u32 v6, 14, v5 :: v_dual_add_nc_u32 v0, v1, v0
	v_mov_b32_e32 v1, v113
	v_cmpx_ne_u32_e32 0, v6
	s_xor_b32 s13, exec_lo, s13
; %bb.28496:                            ;   in Loop: Header=BB6_27928 Depth=3
	s_delay_alu instid0(VALU_DEP_2) | instskip(SKIP_2) | instid1(VALU_DEP_2)
	v_cmp_lt_u64_e32 vcc_lo, 0xffffff, v[0:1]
	v_add_nc_u32_e32 v4, 15, v5
	v_cndmask_b32_e64 v5, 0, 1, vcc_lo
	v_cndmask_b32_e32 v4, v6, v4, vcc_lo
	s_delay_alu instid0(VALU_DEP_2)
	v_lshrrev_b64 v[0:1], v5, v[0:1]
; %bb.28497:                            ;   in Loop: Header=BB6_27928 Depth=3
	s_and_not1_saveexec_b32 s13, s13
; %bb.28498:                            ;   in Loop: Header=BB6_27928 Depth=3
	s_delay_alu instid0(VALU_DEP_1)
	v_bfe_u32 v4, v0, 23, 1
; %bb.28499:                            ;   in Loop: Header=BB6_27928 Depth=3
	s_or_b32 exec_lo, exec_lo, s13
	s_delay_alu instid0(VALU_DEP_2) | instskip(NEXT) | instid1(VALU_DEP_2)
	v_lshrrev_b64 v[0:1], 21, v[0:1]
	v_cmp_gt_i32_e32 vcc_lo, 32, v4
	v_cmp_ne_u32_e64 s13, 0, v4
                                        ; implicit-def: $vgpr108
	s_delay_alu instid0(VALU_DEP_3) | instskip(NEXT) | instid1(VALU_DEP_1)
	v_dual_cndmask_b32 v1, 0, v1 :: v_dual_cndmask_b32 v0, 3, v0
	v_cmp_ne_u64_e32 vcc_lo, 0, v[0:1]
	s_or_b32 s13, s13, vcc_lo
	s_delay_alu instid0(SALU_CYCLE_1) | instskip(NEXT) | instid1(SALU_CYCLE_1)
	s_and_saveexec_b32 s76, s13
	s_xor_b32 s13, exec_lo, s76
; %bb.28500:                            ;   in Loop: Header=BB6_27928 Depth=3
	v_min_i32_e32 v1, 31, v4
	s_delay_alu instid0(VALU_DEP_1) | instskip(NEXT) | instid1(VALU_DEP_1)
	v_lshl_or_b32 v1, v1, 2, v3
                                        ; implicit-def: $vgpr3
	v_and_or_b32 v108, v0, 3, v1
; %bb.28501:                            ;   in Loop: Header=BB6_27928 Depth=3
	s_and_not1_saveexec_b32 s13, s13
; %bb.28502:                            ;   in Loop: Header=BB6_27928 Depth=3
	v_mov_b32_e32 v108, v3
; %bb.28503:                            ;   in Loop: Header=BB6_27928 Depth=3
	s_or_b32 exec_lo, exec_lo, s13
.LBB6_28504:                            ;   in Loop: Header=BB6_27928 Depth=3
	s_delay_alu instid0(SALU_CYCLE_1)
	s_or_b32 exec_lo, exec_lo, s75
                                        ; implicit-def: $vgpr3
.LBB6_28505:                            ;   in Loop: Header=BB6_27928 Depth=3
	s_and_not1_saveexec_b32 s13, s15
; %bb.28506:                            ;   in Loop: Header=BB6_27928 Depth=3
	v_or_b32_e32 v108, 0x7b, v3
; %bb.28507:                            ;   in Loop: Header=BB6_27928 Depth=3
	s_or_b32 exec_lo, exec_lo, s13
                                        ; implicit-def: $vgpr4
                                        ; implicit-def: $vgpr0_vgpr1
.LBB6_28508:                            ;   in Loop: Header=BB6_27928 Depth=3
	s_and_not1_saveexec_b32 s13, s14
	s_cbranch_execz .LBB6_28514
; %bb.28509:                            ;   in Loop: Header=BB6_27928 Depth=3
	s_mov_b32 s14, exec_lo
                                        ; implicit-def: $vgpr108
	v_cmpx_ne_u64_e32 0, v[0:1]
	s_xor_b32 s14, exec_lo, s14
; %bb.28510:                            ;   in Loop: Header=BB6_27928 Depth=3
	v_lshrrev_b32_e32 v0, 24, v4
                                        ; implicit-def: $vgpr4
	s_delay_alu instid0(VALU_DEP_1)
	v_or_b32_e32 v108, 0x7f, v0
; %bb.28511:                            ;   in Loop: Header=BB6_27928 Depth=3
	s_and_not1_saveexec_b32 s14, s14
; %bb.28512:                            ;   in Loop: Header=BB6_27928 Depth=3
	v_cmp_lt_i32_e32 vcc_lo, -1, v4
	v_cndmask_b32_e64 v108, -4, 0x7c, vcc_lo
; %bb.28513:                            ;   in Loop: Header=BB6_27928 Depth=3
	s_or_b32 exec_lo, exec_lo, s14
.LBB6_28514:                            ;   in Loop: Header=BB6_27928 Depth=3
	s_delay_alu instid0(SALU_CYCLE_1)
	s_or_b32 exec_lo, exec_lo, s13
	flat_load_i8 v0, v[8:9] offset:544 th:TH_LOAD_NT
	v_mov_b32_e32 v3, 0
	s_mov_b32 s13, exec_lo
	s_wait_loadcnt_dscnt 0x0
	s_wait_xcnt 0x0
	v_cmpx_ne_u16_e32 0, v0
	s_cbranch_execz .LBB6_28524
; %bb.28515:                            ;   in Loop: Header=BB6_27928 Depth=3
	v_bfrev_b32_e32 v3, 1
	s_mov_b32 s14, exec_lo
	v_cmpx_ne_u16_e32 0xff80, v0
	s_cbranch_execz .LBB6_28523
; %bb.28516:                            ;   in Loop: Header=BB6_27928 Depth=3
	v_and_b32_e32 v3, 0x7c, v0
	v_and_b32_e32 v1, 3, v0
	s_delay_alu instid0(VALU_DEP_2) | instskip(SKIP_1) | instid1(SALU_CYCLE_1)
	v_cmp_ne_u32_e32 vcc_lo, 0x7c, v3
                                        ; implicit-def: $vgpr3
	s_and_saveexec_b32 s15, vcc_lo
	s_xor_b32 s15, exec_lo, s15
	s_cbranch_execz .LBB6_28520
; %bb.28517:                            ;   in Loop: Header=BB6_27928 Depth=3
	v_and_b32_e32 v3, 0xff, v0
	s_mov_b32 s75, exec_lo
	s_delay_alu instid0(VALU_DEP_1) | instskip(NEXT) | instid1(VALU_DEP_1)
	v_bfe_u32 v3, v3, 2, 5
	v_cmpx_eq_u32_e32 0, v3
	s_cbranch_execz .LBB6_28519
; %bb.28518:                            ;   in Loop: Header=BB6_27928 Depth=3
	v_clz_i32_u32_e32 v1, v1
	s_delay_alu instid0(VALU_DEP_1) | instskip(SKIP_1) | instid1(VALU_DEP_2)
	v_min_u32_e32 v3, 32, v1
	v_mov_b32_e32 v1, v113
	v_subrev_nc_u32_e32 v4, 29, v3
	v_sub_nc_u32_e32 v3, 30, v3
	s_delay_alu instid0(VALU_DEP_2) | instskip(NEXT) | instid1(VALU_DEP_1)
	v_lshlrev_b64_e32 v[4:5], v4, v[0:1]
	v_and_b32_e32 v1, 3, v4
.LBB6_28519:                            ;   in Loop: Header=BB6_27928 Depth=3
	s_or_b32 exec_lo, exec_lo, s75
	v_bfe_i32 v0, v0, 0, 16
	s_delay_alu instid0(VALU_DEP_1) | instskip(NEXT) | instid1(VALU_DEP_1)
	v_and_b32_e32 v0, 0x80000000, v0
	v_lshl_add_u32 v0, v3, 23, v0
	s_delay_alu instid0(VALU_DEP_1) | instskip(NEXT) | instid1(VALU_DEP_1)
	v_lshl_or_b32 v0, v1, 21, v0
                                        ; implicit-def: $vgpr1
	v_add_nc_u32_e32 v3, 0x38000000, v0
                                        ; implicit-def: $vgpr0
.LBB6_28520:                            ;   in Loop: Header=BB6_27928 Depth=3
	s_and_not1_saveexec_b32 s15, s15
; %bb.28521:                            ;   in Loop: Header=BB6_27928 Depth=3
	v_cmp_lt_i16_e32 vcc_lo, -1, v0
	v_mov_b32_e32 v0, 0x7f800000
	s_delay_alu instid0(VALU_DEP_1) | instskip(SKIP_1) | instid1(VALU_DEP_2)
	v_cndmask_b32_e32 v0, 0xff800000, v0, vcc_lo
	v_cmp_eq_u32_e32 vcc_lo, 0, v1
	v_cndmask_b32_e32 v3, 0x7f800001, v0, vcc_lo
; %bb.28522:                            ;   in Loop: Header=BB6_27928 Depth=3
	s_or_b32 exec_lo, exec_lo, s15
.LBB6_28523:                            ;   in Loop: Header=BB6_27928 Depth=3
	s_delay_alu instid0(SALU_CYCLE_1)
	s_or_b32 exec_lo, exec_lo, s14
.LBB6_28524:                            ;   in Loop: Header=BB6_27928 Depth=3
	s_delay_alu instid0(SALU_CYCLE_1) | instskip(NEXT) | instid1(VALU_DEP_1)
	s_or_b32 exec_lo, exec_lo, s13
	v_dual_mul_f32 v4, s74, v3 :: v_dual_mov_b32 v1, v113
                                        ; implicit-def: $vgpr106
	s_delay_alu instid0(VALU_DEP_1) | instskip(NEXT) | instid1(VALU_DEP_1)
	v_and_b32_e32 v0, 0x7f800000, v4
	v_cmp_ne_u64_e32 vcc_lo, 0x7f800000, v[0:1]
	v_and_b32_e32 v0, 0x7fffff, v4
	s_and_saveexec_b32 s13, vcc_lo
	s_delay_alu instid0(SALU_CYCLE_1)
	s_xor_b32 s14, exec_lo, s13
	s_cbranch_execz .LBB6_28542
; %bb.28525:                            ;   in Loop: Header=BB6_27928 Depth=3
	v_dual_mov_b32 v7, v113 :: v_dual_lshrrev_b32 v3, 24, v4
	v_and_b32_e32 v6, 0x7fffffff, v4
                                        ; implicit-def: $vgpr106
	s_mov_b32 s13, exec_lo
	s_delay_alu instid0(VALU_DEP_2) | instskip(NEXT) | instid1(VALU_DEP_2)
	v_and_b32_e32 v3, 0x80, v3
	v_cmpx_gt_u64_e32 0x47600001, v[6:7]
	s_xor_b32 s15, exec_lo, s13
	s_cbranch_execz .LBB6_28539
; %bb.28526:                            ;   in Loop: Header=BB6_27928 Depth=3
	v_mov_b32_e32 v106, 0
	s_mov_b32 s75, exec_lo
	v_cmpx_ne_u32_e32 0, v4
	s_cbranch_execz .LBB6_28538
; %bb.28527:                            ;   in Loop: Header=BB6_27928 Depth=3
	v_bfe_u32 v6, v4, 23, 8
	v_or_b32_e32 v14, 0x800000, v0
	s_delay_alu instid0(VALU_DEP_2) | instskip(SKIP_1) | instid1(VALU_DEP_2)
	v_sub_nc_u32_e32 v4, 0x71, v6
	v_cmp_gt_u32_e32 vcc_lo, 0x72, v6
	v_cndmask_b32_e32 v4, 0, v4, vcc_lo
	v_cmp_eq_u32_e32 vcc_lo, 0, v6
	s_delay_alu instid0(VALU_DEP_2) | instskip(NEXT) | instid1(VALU_DEP_1)
	v_cndmask_b32_e64 v7, v4, 0x70, vcc_lo
	v_dual_cndmask_b32 v0, v14, v0, vcc_lo :: v_dual_add_nc_u32 v4, 21, v7
	v_add_nc_u32_e32 v15, 20, v7
	s_delay_alu instid0(VALU_DEP_2) | instskip(NEXT) | instid1(VALU_DEP_2)
	v_lshlrev_b64_e64 v[4:5], v4, -1
	v_lshlrev_b64_e64 v[14:15], v15, 1
	s_delay_alu instid0(VALU_DEP_2) | instskip(SKIP_1) | instid1(VALU_DEP_4)
	v_bfi_b32 v4, v4, 0, v0
	v_lshrrev_b64 v[0:1], v7, v[0:1]
	v_bfi_b32 v5, v5, 0, 0
	s_delay_alu instid0(VALU_DEP_1) | instskip(NEXT) | instid1(VALU_DEP_3)
	v_cmp_eq_u64_e64 s13, v[4:5], v[14:15]
	v_mov_b64_e32 v[4:5], v[0:1]
	s_and_saveexec_b32 s76, s13
; %bb.28528:                            ;   in Loop: Header=BB6_27928 Depth=3
	v_bfe_u32 v4, v0, 21, 1
	v_mov_b32_e32 v5, v113
	s_delay_alu instid0(VALU_DEP_1) | instskip(NEXT) | instid1(VALU_DEP_1)
	v_add_nc_u64_e32 v[4:5], v[0:1], v[4:5]
	v_add_nc_u64_e32 v[4:5], -1, v[4:5]
; %bb.28529:                            ;   in Loop: Header=BB6_27928 Depth=3
	s_or_b32 exec_lo, exec_lo, s76
	v_add_nc_u32_e32 v1, 0xffffff81, v6
	v_lshrrev_b32_e32 v5, 23, v0
	s_mov_b32 s13, exec_lo
	s_delay_alu instid0(VALU_DEP_2) | instskip(NEXT) | instid1(VALU_DEP_1)
	v_cndmask_b32_e64 v1, v1, 0xffffff82, vcc_lo
	v_add3_u32 v5, v7, v1, v5
	v_and_b32_e32 v1, 0x1fffff, v4
                                        ; implicit-def: $vgpr4
	s_delay_alu instid0(VALU_DEP_1) | instskip(SKIP_1) | instid1(VALU_DEP_2)
	v_dual_add_nc_u32 v6, 14, v5 :: v_dual_add_nc_u32 v0, v1, v0
	v_mov_b32_e32 v1, v113
	v_cmpx_ne_u32_e32 0, v6
	s_xor_b32 s13, exec_lo, s13
; %bb.28530:                            ;   in Loop: Header=BB6_27928 Depth=3
	s_delay_alu instid0(VALU_DEP_2) | instskip(SKIP_2) | instid1(VALU_DEP_2)
	v_cmp_lt_u64_e32 vcc_lo, 0xffffff, v[0:1]
	v_add_nc_u32_e32 v4, 15, v5
	v_cndmask_b32_e64 v5, 0, 1, vcc_lo
	v_cndmask_b32_e32 v4, v6, v4, vcc_lo
	s_delay_alu instid0(VALU_DEP_2)
	v_lshrrev_b64 v[0:1], v5, v[0:1]
; %bb.28531:                            ;   in Loop: Header=BB6_27928 Depth=3
	s_and_not1_saveexec_b32 s13, s13
; %bb.28532:                            ;   in Loop: Header=BB6_27928 Depth=3
	s_delay_alu instid0(VALU_DEP_1)
	v_bfe_u32 v4, v0, 23, 1
; %bb.28533:                            ;   in Loop: Header=BB6_27928 Depth=3
	s_or_b32 exec_lo, exec_lo, s13
	s_delay_alu instid0(VALU_DEP_2) | instskip(NEXT) | instid1(VALU_DEP_2)
	v_lshrrev_b64 v[0:1], 21, v[0:1]
	v_cmp_gt_i32_e32 vcc_lo, 32, v4
	v_cmp_ne_u32_e64 s13, 0, v4
                                        ; implicit-def: $vgpr106
	s_delay_alu instid0(VALU_DEP_3) | instskip(NEXT) | instid1(VALU_DEP_1)
	v_dual_cndmask_b32 v1, 0, v1 :: v_dual_cndmask_b32 v0, 3, v0
	v_cmp_ne_u64_e32 vcc_lo, 0, v[0:1]
	s_or_b32 s13, s13, vcc_lo
	s_delay_alu instid0(SALU_CYCLE_1) | instskip(NEXT) | instid1(SALU_CYCLE_1)
	s_and_saveexec_b32 s76, s13
	s_xor_b32 s13, exec_lo, s76
; %bb.28534:                            ;   in Loop: Header=BB6_27928 Depth=3
	v_min_i32_e32 v1, 31, v4
	s_delay_alu instid0(VALU_DEP_1) | instskip(NEXT) | instid1(VALU_DEP_1)
	v_lshl_or_b32 v1, v1, 2, v3
                                        ; implicit-def: $vgpr3
	v_and_or_b32 v106, v0, 3, v1
; %bb.28535:                            ;   in Loop: Header=BB6_27928 Depth=3
	s_and_not1_saveexec_b32 s13, s13
; %bb.28536:                            ;   in Loop: Header=BB6_27928 Depth=3
	v_mov_b32_e32 v106, v3
; %bb.28537:                            ;   in Loop: Header=BB6_27928 Depth=3
	s_or_b32 exec_lo, exec_lo, s13
.LBB6_28538:                            ;   in Loop: Header=BB6_27928 Depth=3
	s_delay_alu instid0(SALU_CYCLE_1)
	s_or_b32 exec_lo, exec_lo, s75
                                        ; implicit-def: $vgpr3
.LBB6_28539:                            ;   in Loop: Header=BB6_27928 Depth=3
	s_and_not1_saveexec_b32 s13, s15
; %bb.28540:                            ;   in Loop: Header=BB6_27928 Depth=3
	v_or_b32_e32 v106, 0x7b, v3
; %bb.28541:                            ;   in Loop: Header=BB6_27928 Depth=3
	s_or_b32 exec_lo, exec_lo, s13
                                        ; implicit-def: $vgpr4
                                        ; implicit-def: $vgpr0_vgpr1
.LBB6_28542:                            ;   in Loop: Header=BB6_27928 Depth=3
	s_and_not1_saveexec_b32 s13, s14
	s_cbranch_execz .LBB6_28548
; %bb.28543:                            ;   in Loop: Header=BB6_27928 Depth=3
	s_mov_b32 s14, exec_lo
                                        ; implicit-def: $vgpr106
	v_cmpx_ne_u64_e32 0, v[0:1]
	s_xor_b32 s14, exec_lo, s14
; %bb.28544:                            ;   in Loop: Header=BB6_27928 Depth=3
	v_lshrrev_b32_e32 v0, 24, v4
                                        ; implicit-def: $vgpr4
	s_delay_alu instid0(VALU_DEP_1)
	v_or_b32_e32 v106, 0x7f, v0
; %bb.28545:                            ;   in Loop: Header=BB6_27928 Depth=3
	s_and_not1_saveexec_b32 s14, s14
; %bb.28546:                            ;   in Loop: Header=BB6_27928 Depth=3
	v_cmp_lt_i32_e32 vcc_lo, -1, v4
	v_cndmask_b32_e64 v106, -4, 0x7c, vcc_lo
; %bb.28547:                            ;   in Loop: Header=BB6_27928 Depth=3
	s_or_b32 exec_lo, exec_lo, s14
.LBB6_28548:                            ;   in Loop: Header=BB6_27928 Depth=3
	s_delay_alu instid0(SALU_CYCLE_1)
	s_or_b32 exec_lo, exec_lo, s13
	flat_load_i8 v0, v[8:9] offset:576 th:TH_LOAD_NT
	v_mov_b32_e32 v3, 0
	s_mov_b32 s13, exec_lo
	s_wait_loadcnt_dscnt 0x0
	s_wait_xcnt 0x0
	v_cmpx_ne_u16_e32 0, v0
	s_cbranch_execz .LBB6_28558
; %bb.28549:                            ;   in Loop: Header=BB6_27928 Depth=3
	v_bfrev_b32_e32 v3, 1
	s_mov_b32 s14, exec_lo
	v_cmpx_ne_u16_e32 0xff80, v0
	s_cbranch_execz .LBB6_28557
; %bb.28550:                            ;   in Loop: Header=BB6_27928 Depth=3
	v_and_b32_e32 v3, 0x7c, v0
	v_and_b32_e32 v1, 3, v0
	s_delay_alu instid0(VALU_DEP_2) | instskip(SKIP_1) | instid1(SALU_CYCLE_1)
	v_cmp_ne_u32_e32 vcc_lo, 0x7c, v3
                                        ; implicit-def: $vgpr3
	s_and_saveexec_b32 s15, vcc_lo
	s_xor_b32 s15, exec_lo, s15
	s_cbranch_execz .LBB6_28554
; %bb.28551:                            ;   in Loop: Header=BB6_27928 Depth=3
	v_and_b32_e32 v3, 0xff, v0
	s_mov_b32 s75, exec_lo
	s_delay_alu instid0(VALU_DEP_1) | instskip(NEXT) | instid1(VALU_DEP_1)
	v_bfe_u32 v3, v3, 2, 5
	v_cmpx_eq_u32_e32 0, v3
	s_cbranch_execz .LBB6_28553
; %bb.28552:                            ;   in Loop: Header=BB6_27928 Depth=3
	v_clz_i32_u32_e32 v1, v1
	s_delay_alu instid0(VALU_DEP_1) | instskip(SKIP_1) | instid1(VALU_DEP_2)
	v_min_u32_e32 v3, 32, v1
	v_mov_b32_e32 v1, v113
	v_subrev_nc_u32_e32 v4, 29, v3
	v_sub_nc_u32_e32 v3, 30, v3
	s_delay_alu instid0(VALU_DEP_2) | instskip(NEXT) | instid1(VALU_DEP_1)
	v_lshlrev_b64_e32 v[4:5], v4, v[0:1]
	v_and_b32_e32 v1, 3, v4
.LBB6_28553:                            ;   in Loop: Header=BB6_27928 Depth=3
	s_or_b32 exec_lo, exec_lo, s75
	v_bfe_i32 v0, v0, 0, 16
	s_delay_alu instid0(VALU_DEP_1) | instskip(NEXT) | instid1(VALU_DEP_1)
	v_and_b32_e32 v0, 0x80000000, v0
	v_lshl_add_u32 v0, v3, 23, v0
	s_delay_alu instid0(VALU_DEP_1) | instskip(NEXT) | instid1(VALU_DEP_1)
	v_lshl_or_b32 v0, v1, 21, v0
                                        ; implicit-def: $vgpr1
	v_add_nc_u32_e32 v3, 0x38000000, v0
                                        ; implicit-def: $vgpr0
.LBB6_28554:                            ;   in Loop: Header=BB6_27928 Depth=3
	s_and_not1_saveexec_b32 s15, s15
; %bb.28555:                            ;   in Loop: Header=BB6_27928 Depth=3
	v_cmp_lt_i16_e32 vcc_lo, -1, v0
	v_mov_b32_e32 v0, 0x7f800000
	s_delay_alu instid0(VALU_DEP_1) | instskip(SKIP_1) | instid1(VALU_DEP_2)
	v_cndmask_b32_e32 v0, 0xff800000, v0, vcc_lo
	v_cmp_eq_u32_e32 vcc_lo, 0, v1
	v_cndmask_b32_e32 v3, 0x7f800001, v0, vcc_lo
; %bb.28556:                            ;   in Loop: Header=BB6_27928 Depth=3
	s_or_b32 exec_lo, exec_lo, s15
.LBB6_28557:                            ;   in Loop: Header=BB6_27928 Depth=3
	s_delay_alu instid0(SALU_CYCLE_1)
	s_or_b32 exec_lo, exec_lo, s14
.LBB6_28558:                            ;   in Loop: Header=BB6_27928 Depth=3
	s_delay_alu instid0(SALU_CYCLE_1) | instskip(NEXT) | instid1(VALU_DEP_1)
	s_or_b32 exec_lo, exec_lo, s13
	v_dual_mul_f32 v4, s74, v3 :: v_dual_mov_b32 v1, v113
                                        ; implicit-def: $vgpr104
	s_delay_alu instid0(VALU_DEP_1) | instskip(NEXT) | instid1(VALU_DEP_1)
	v_and_b32_e32 v0, 0x7f800000, v4
	v_cmp_ne_u64_e32 vcc_lo, 0x7f800000, v[0:1]
	v_and_b32_e32 v0, 0x7fffff, v4
	s_and_saveexec_b32 s13, vcc_lo
	s_delay_alu instid0(SALU_CYCLE_1)
	s_xor_b32 s14, exec_lo, s13
	s_cbranch_execz .LBB6_28576
; %bb.28559:                            ;   in Loop: Header=BB6_27928 Depth=3
	v_dual_mov_b32 v7, v113 :: v_dual_lshrrev_b32 v3, 24, v4
	v_and_b32_e32 v6, 0x7fffffff, v4
                                        ; implicit-def: $vgpr104
	s_mov_b32 s13, exec_lo
	s_delay_alu instid0(VALU_DEP_2) | instskip(NEXT) | instid1(VALU_DEP_2)
	v_and_b32_e32 v3, 0x80, v3
	v_cmpx_gt_u64_e32 0x47600001, v[6:7]
	s_xor_b32 s15, exec_lo, s13
	s_cbranch_execz .LBB6_28573
; %bb.28560:                            ;   in Loop: Header=BB6_27928 Depth=3
	v_mov_b32_e32 v104, 0
	s_mov_b32 s75, exec_lo
	v_cmpx_ne_u32_e32 0, v4
	s_cbranch_execz .LBB6_28572
; %bb.28561:                            ;   in Loop: Header=BB6_27928 Depth=3
	v_bfe_u32 v6, v4, 23, 8
	v_or_b32_e32 v14, 0x800000, v0
	s_delay_alu instid0(VALU_DEP_2) | instskip(SKIP_1) | instid1(VALU_DEP_2)
	v_sub_nc_u32_e32 v4, 0x71, v6
	v_cmp_gt_u32_e32 vcc_lo, 0x72, v6
	v_cndmask_b32_e32 v4, 0, v4, vcc_lo
	v_cmp_eq_u32_e32 vcc_lo, 0, v6
	s_delay_alu instid0(VALU_DEP_2) | instskip(NEXT) | instid1(VALU_DEP_1)
	v_cndmask_b32_e64 v7, v4, 0x70, vcc_lo
	v_dual_cndmask_b32 v0, v14, v0, vcc_lo :: v_dual_add_nc_u32 v4, 21, v7
	v_add_nc_u32_e32 v15, 20, v7
	s_delay_alu instid0(VALU_DEP_2) | instskip(NEXT) | instid1(VALU_DEP_2)
	v_lshlrev_b64_e64 v[4:5], v4, -1
	v_lshlrev_b64_e64 v[14:15], v15, 1
	s_delay_alu instid0(VALU_DEP_2) | instskip(SKIP_1) | instid1(VALU_DEP_4)
	v_bfi_b32 v4, v4, 0, v0
	v_lshrrev_b64 v[0:1], v7, v[0:1]
	v_bfi_b32 v5, v5, 0, 0
	s_delay_alu instid0(VALU_DEP_1) | instskip(NEXT) | instid1(VALU_DEP_3)
	v_cmp_eq_u64_e64 s13, v[4:5], v[14:15]
	v_mov_b64_e32 v[4:5], v[0:1]
	s_and_saveexec_b32 s76, s13
; %bb.28562:                            ;   in Loop: Header=BB6_27928 Depth=3
	v_bfe_u32 v4, v0, 21, 1
	v_mov_b32_e32 v5, v113
	s_delay_alu instid0(VALU_DEP_1) | instskip(NEXT) | instid1(VALU_DEP_1)
	v_add_nc_u64_e32 v[4:5], v[0:1], v[4:5]
	v_add_nc_u64_e32 v[4:5], -1, v[4:5]
; %bb.28563:                            ;   in Loop: Header=BB6_27928 Depth=3
	s_or_b32 exec_lo, exec_lo, s76
	v_add_nc_u32_e32 v1, 0xffffff81, v6
	v_lshrrev_b32_e32 v5, 23, v0
	s_mov_b32 s13, exec_lo
	s_delay_alu instid0(VALU_DEP_2) | instskip(NEXT) | instid1(VALU_DEP_1)
	v_cndmask_b32_e64 v1, v1, 0xffffff82, vcc_lo
	v_add3_u32 v5, v7, v1, v5
	v_and_b32_e32 v1, 0x1fffff, v4
                                        ; implicit-def: $vgpr4
	s_delay_alu instid0(VALU_DEP_1) | instskip(SKIP_1) | instid1(VALU_DEP_2)
	v_dual_add_nc_u32 v6, 14, v5 :: v_dual_add_nc_u32 v0, v1, v0
	v_mov_b32_e32 v1, v113
	v_cmpx_ne_u32_e32 0, v6
	s_xor_b32 s13, exec_lo, s13
; %bb.28564:                            ;   in Loop: Header=BB6_27928 Depth=3
	s_delay_alu instid0(VALU_DEP_2) | instskip(SKIP_2) | instid1(VALU_DEP_2)
	v_cmp_lt_u64_e32 vcc_lo, 0xffffff, v[0:1]
	v_add_nc_u32_e32 v4, 15, v5
	v_cndmask_b32_e64 v5, 0, 1, vcc_lo
	v_cndmask_b32_e32 v4, v6, v4, vcc_lo
	s_delay_alu instid0(VALU_DEP_2)
	v_lshrrev_b64 v[0:1], v5, v[0:1]
; %bb.28565:                            ;   in Loop: Header=BB6_27928 Depth=3
	s_and_not1_saveexec_b32 s13, s13
; %bb.28566:                            ;   in Loop: Header=BB6_27928 Depth=3
	s_delay_alu instid0(VALU_DEP_1)
	v_bfe_u32 v4, v0, 23, 1
; %bb.28567:                            ;   in Loop: Header=BB6_27928 Depth=3
	s_or_b32 exec_lo, exec_lo, s13
	s_delay_alu instid0(VALU_DEP_2) | instskip(NEXT) | instid1(VALU_DEP_2)
	v_lshrrev_b64 v[0:1], 21, v[0:1]
	v_cmp_gt_i32_e32 vcc_lo, 32, v4
	v_cmp_ne_u32_e64 s13, 0, v4
                                        ; implicit-def: $vgpr104
	s_delay_alu instid0(VALU_DEP_3) | instskip(NEXT) | instid1(VALU_DEP_1)
	v_dual_cndmask_b32 v1, 0, v1 :: v_dual_cndmask_b32 v0, 3, v0
	v_cmp_ne_u64_e32 vcc_lo, 0, v[0:1]
	s_or_b32 s13, s13, vcc_lo
	s_delay_alu instid0(SALU_CYCLE_1) | instskip(NEXT) | instid1(SALU_CYCLE_1)
	s_and_saveexec_b32 s76, s13
	s_xor_b32 s13, exec_lo, s76
; %bb.28568:                            ;   in Loop: Header=BB6_27928 Depth=3
	v_min_i32_e32 v1, 31, v4
	s_delay_alu instid0(VALU_DEP_1) | instskip(NEXT) | instid1(VALU_DEP_1)
	v_lshl_or_b32 v1, v1, 2, v3
                                        ; implicit-def: $vgpr3
	v_and_or_b32 v104, v0, 3, v1
; %bb.28569:                            ;   in Loop: Header=BB6_27928 Depth=3
	s_and_not1_saveexec_b32 s13, s13
; %bb.28570:                            ;   in Loop: Header=BB6_27928 Depth=3
	v_mov_b32_e32 v104, v3
; %bb.28571:                            ;   in Loop: Header=BB6_27928 Depth=3
	s_or_b32 exec_lo, exec_lo, s13
.LBB6_28572:                            ;   in Loop: Header=BB6_27928 Depth=3
	s_delay_alu instid0(SALU_CYCLE_1)
	s_or_b32 exec_lo, exec_lo, s75
                                        ; implicit-def: $vgpr3
.LBB6_28573:                            ;   in Loop: Header=BB6_27928 Depth=3
	s_and_not1_saveexec_b32 s13, s15
; %bb.28574:                            ;   in Loop: Header=BB6_27928 Depth=3
	v_or_b32_e32 v104, 0x7b, v3
; %bb.28575:                            ;   in Loop: Header=BB6_27928 Depth=3
	s_or_b32 exec_lo, exec_lo, s13
                                        ; implicit-def: $vgpr4
                                        ; implicit-def: $vgpr0_vgpr1
.LBB6_28576:                            ;   in Loop: Header=BB6_27928 Depth=3
	s_and_not1_saveexec_b32 s13, s14
	s_cbranch_execz .LBB6_28582
; %bb.28577:                            ;   in Loop: Header=BB6_27928 Depth=3
	s_mov_b32 s14, exec_lo
                                        ; implicit-def: $vgpr104
	v_cmpx_ne_u64_e32 0, v[0:1]
	s_xor_b32 s14, exec_lo, s14
; %bb.28578:                            ;   in Loop: Header=BB6_27928 Depth=3
	v_lshrrev_b32_e32 v0, 24, v4
                                        ; implicit-def: $vgpr4
	s_delay_alu instid0(VALU_DEP_1)
	v_or_b32_e32 v104, 0x7f, v0
; %bb.28579:                            ;   in Loop: Header=BB6_27928 Depth=3
	s_and_not1_saveexec_b32 s14, s14
; %bb.28580:                            ;   in Loop: Header=BB6_27928 Depth=3
	v_cmp_lt_i32_e32 vcc_lo, -1, v4
	v_cndmask_b32_e64 v104, -4, 0x7c, vcc_lo
; %bb.28581:                            ;   in Loop: Header=BB6_27928 Depth=3
	s_or_b32 exec_lo, exec_lo, s14
.LBB6_28582:                            ;   in Loop: Header=BB6_27928 Depth=3
	s_delay_alu instid0(SALU_CYCLE_1)
	s_or_b32 exec_lo, exec_lo, s13
	flat_load_i8 v0, v[8:9] offset:608 th:TH_LOAD_NT
	v_mov_b32_e32 v3, 0
	s_mov_b32 s13, exec_lo
	s_wait_loadcnt_dscnt 0x0
	s_wait_xcnt 0x0
	v_cmpx_ne_u16_e32 0, v0
	s_cbranch_execz .LBB6_28592
; %bb.28583:                            ;   in Loop: Header=BB6_27928 Depth=3
	v_bfrev_b32_e32 v3, 1
	s_mov_b32 s14, exec_lo
	v_cmpx_ne_u16_e32 0xff80, v0
	s_cbranch_execz .LBB6_28591
; %bb.28584:                            ;   in Loop: Header=BB6_27928 Depth=3
	v_and_b32_e32 v3, 0x7c, v0
	v_and_b32_e32 v1, 3, v0
	s_delay_alu instid0(VALU_DEP_2) | instskip(SKIP_1) | instid1(SALU_CYCLE_1)
	v_cmp_ne_u32_e32 vcc_lo, 0x7c, v3
                                        ; implicit-def: $vgpr3
	s_and_saveexec_b32 s15, vcc_lo
	s_xor_b32 s15, exec_lo, s15
	s_cbranch_execz .LBB6_28588
; %bb.28585:                            ;   in Loop: Header=BB6_27928 Depth=3
	v_and_b32_e32 v3, 0xff, v0
	s_mov_b32 s75, exec_lo
	s_delay_alu instid0(VALU_DEP_1) | instskip(NEXT) | instid1(VALU_DEP_1)
	v_bfe_u32 v3, v3, 2, 5
	v_cmpx_eq_u32_e32 0, v3
	s_cbranch_execz .LBB6_28587
; %bb.28586:                            ;   in Loop: Header=BB6_27928 Depth=3
	v_clz_i32_u32_e32 v1, v1
	s_delay_alu instid0(VALU_DEP_1) | instskip(SKIP_1) | instid1(VALU_DEP_2)
	v_min_u32_e32 v3, 32, v1
	v_mov_b32_e32 v1, v113
	v_subrev_nc_u32_e32 v4, 29, v3
	v_sub_nc_u32_e32 v3, 30, v3
	s_delay_alu instid0(VALU_DEP_2) | instskip(NEXT) | instid1(VALU_DEP_1)
	v_lshlrev_b64_e32 v[4:5], v4, v[0:1]
	v_and_b32_e32 v1, 3, v4
.LBB6_28587:                            ;   in Loop: Header=BB6_27928 Depth=3
	s_or_b32 exec_lo, exec_lo, s75
	v_bfe_i32 v0, v0, 0, 16
	s_delay_alu instid0(VALU_DEP_1) | instskip(NEXT) | instid1(VALU_DEP_1)
	v_and_b32_e32 v0, 0x80000000, v0
	v_lshl_add_u32 v0, v3, 23, v0
	s_delay_alu instid0(VALU_DEP_1) | instskip(NEXT) | instid1(VALU_DEP_1)
	v_lshl_or_b32 v0, v1, 21, v0
                                        ; implicit-def: $vgpr1
	v_add_nc_u32_e32 v3, 0x38000000, v0
                                        ; implicit-def: $vgpr0
.LBB6_28588:                            ;   in Loop: Header=BB6_27928 Depth=3
	s_and_not1_saveexec_b32 s15, s15
; %bb.28589:                            ;   in Loop: Header=BB6_27928 Depth=3
	v_cmp_lt_i16_e32 vcc_lo, -1, v0
	v_mov_b32_e32 v0, 0x7f800000
	s_delay_alu instid0(VALU_DEP_1) | instskip(SKIP_1) | instid1(VALU_DEP_2)
	v_cndmask_b32_e32 v0, 0xff800000, v0, vcc_lo
	v_cmp_eq_u32_e32 vcc_lo, 0, v1
	v_cndmask_b32_e32 v3, 0x7f800001, v0, vcc_lo
; %bb.28590:                            ;   in Loop: Header=BB6_27928 Depth=3
	s_or_b32 exec_lo, exec_lo, s15
.LBB6_28591:                            ;   in Loop: Header=BB6_27928 Depth=3
	s_delay_alu instid0(SALU_CYCLE_1)
	s_or_b32 exec_lo, exec_lo, s14
.LBB6_28592:                            ;   in Loop: Header=BB6_27928 Depth=3
	s_delay_alu instid0(SALU_CYCLE_1) | instskip(NEXT) | instid1(VALU_DEP_1)
	s_or_b32 exec_lo, exec_lo, s13
	v_dual_mul_f32 v4, s74, v3 :: v_dual_mov_b32 v1, v113
                                        ; implicit-def: $vgpr92
	s_delay_alu instid0(VALU_DEP_1) | instskip(NEXT) | instid1(VALU_DEP_1)
	v_and_b32_e32 v0, 0x7f800000, v4
	v_cmp_ne_u64_e32 vcc_lo, 0x7f800000, v[0:1]
	v_and_b32_e32 v0, 0x7fffff, v4
	s_and_saveexec_b32 s13, vcc_lo
	s_delay_alu instid0(SALU_CYCLE_1)
	s_xor_b32 s14, exec_lo, s13
	s_cbranch_execz .LBB6_28610
; %bb.28593:                            ;   in Loop: Header=BB6_27928 Depth=3
	v_dual_mov_b32 v7, v113 :: v_dual_lshrrev_b32 v3, 24, v4
	v_and_b32_e32 v6, 0x7fffffff, v4
                                        ; implicit-def: $vgpr92
	s_mov_b32 s13, exec_lo
	s_delay_alu instid0(VALU_DEP_2) | instskip(NEXT) | instid1(VALU_DEP_2)
	v_and_b32_e32 v3, 0x80, v3
	v_cmpx_gt_u64_e32 0x47600001, v[6:7]
	s_xor_b32 s15, exec_lo, s13
	s_cbranch_execz .LBB6_28607
; %bb.28594:                            ;   in Loop: Header=BB6_27928 Depth=3
	v_mov_b32_e32 v92, 0
	s_mov_b32 s75, exec_lo
	v_cmpx_ne_u32_e32 0, v4
	s_cbranch_execz .LBB6_28606
; %bb.28595:                            ;   in Loop: Header=BB6_27928 Depth=3
	v_bfe_u32 v6, v4, 23, 8
	v_or_b32_e32 v14, 0x800000, v0
	s_delay_alu instid0(VALU_DEP_2) | instskip(SKIP_1) | instid1(VALU_DEP_2)
	v_sub_nc_u32_e32 v4, 0x71, v6
	v_cmp_gt_u32_e32 vcc_lo, 0x72, v6
	v_cndmask_b32_e32 v4, 0, v4, vcc_lo
	v_cmp_eq_u32_e32 vcc_lo, 0, v6
	s_delay_alu instid0(VALU_DEP_2) | instskip(NEXT) | instid1(VALU_DEP_1)
	v_cndmask_b32_e64 v7, v4, 0x70, vcc_lo
	v_dual_cndmask_b32 v0, v14, v0, vcc_lo :: v_dual_add_nc_u32 v4, 21, v7
	v_add_nc_u32_e32 v15, 20, v7
	s_delay_alu instid0(VALU_DEP_2) | instskip(NEXT) | instid1(VALU_DEP_2)
	v_lshlrev_b64_e64 v[4:5], v4, -1
	v_lshlrev_b64_e64 v[14:15], v15, 1
	s_delay_alu instid0(VALU_DEP_2) | instskip(SKIP_1) | instid1(VALU_DEP_4)
	v_bfi_b32 v4, v4, 0, v0
	v_lshrrev_b64 v[0:1], v7, v[0:1]
	v_bfi_b32 v5, v5, 0, 0
	s_delay_alu instid0(VALU_DEP_1) | instskip(NEXT) | instid1(VALU_DEP_3)
	v_cmp_eq_u64_e64 s13, v[4:5], v[14:15]
	v_mov_b64_e32 v[4:5], v[0:1]
	s_and_saveexec_b32 s76, s13
; %bb.28596:                            ;   in Loop: Header=BB6_27928 Depth=3
	v_bfe_u32 v4, v0, 21, 1
	v_mov_b32_e32 v5, v113
	s_delay_alu instid0(VALU_DEP_1) | instskip(NEXT) | instid1(VALU_DEP_1)
	v_add_nc_u64_e32 v[4:5], v[0:1], v[4:5]
	v_add_nc_u64_e32 v[4:5], -1, v[4:5]
; %bb.28597:                            ;   in Loop: Header=BB6_27928 Depth=3
	s_or_b32 exec_lo, exec_lo, s76
	v_add_nc_u32_e32 v1, 0xffffff81, v6
	v_lshrrev_b32_e32 v5, 23, v0
	s_mov_b32 s13, exec_lo
	s_delay_alu instid0(VALU_DEP_2) | instskip(NEXT) | instid1(VALU_DEP_1)
	v_cndmask_b32_e64 v1, v1, 0xffffff82, vcc_lo
	v_add3_u32 v5, v7, v1, v5
	v_and_b32_e32 v1, 0x1fffff, v4
                                        ; implicit-def: $vgpr4
	s_delay_alu instid0(VALU_DEP_1) | instskip(SKIP_1) | instid1(VALU_DEP_2)
	v_dual_add_nc_u32 v6, 14, v5 :: v_dual_add_nc_u32 v0, v1, v0
	v_mov_b32_e32 v1, v113
	v_cmpx_ne_u32_e32 0, v6
	s_xor_b32 s13, exec_lo, s13
; %bb.28598:                            ;   in Loop: Header=BB6_27928 Depth=3
	s_delay_alu instid0(VALU_DEP_2) | instskip(SKIP_2) | instid1(VALU_DEP_2)
	v_cmp_lt_u64_e32 vcc_lo, 0xffffff, v[0:1]
	v_add_nc_u32_e32 v4, 15, v5
	v_cndmask_b32_e64 v5, 0, 1, vcc_lo
	v_cndmask_b32_e32 v4, v6, v4, vcc_lo
	s_delay_alu instid0(VALU_DEP_2)
	v_lshrrev_b64 v[0:1], v5, v[0:1]
; %bb.28599:                            ;   in Loop: Header=BB6_27928 Depth=3
	s_and_not1_saveexec_b32 s13, s13
; %bb.28600:                            ;   in Loop: Header=BB6_27928 Depth=3
	s_delay_alu instid0(VALU_DEP_1)
	v_bfe_u32 v4, v0, 23, 1
; %bb.28601:                            ;   in Loop: Header=BB6_27928 Depth=3
	s_or_b32 exec_lo, exec_lo, s13
	s_delay_alu instid0(VALU_DEP_2) | instskip(NEXT) | instid1(VALU_DEP_2)
	v_lshrrev_b64 v[0:1], 21, v[0:1]
	v_cmp_gt_i32_e32 vcc_lo, 32, v4
	v_cmp_ne_u32_e64 s13, 0, v4
                                        ; implicit-def: $vgpr92
	s_delay_alu instid0(VALU_DEP_3) | instskip(NEXT) | instid1(VALU_DEP_1)
	v_dual_cndmask_b32 v1, 0, v1 :: v_dual_cndmask_b32 v0, 3, v0
	v_cmp_ne_u64_e32 vcc_lo, 0, v[0:1]
	s_or_b32 s13, s13, vcc_lo
	s_delay_alu instid0(SALU_CYCLE_1) | instskip(NEXT) | instid1(SALU_CYCLE_1)
	s_and_saveexec_b32 s76, s13
	s_xor_b32 s13, exec_lo, s76
; %bb.28602:                            ;   in Loop: Header=BB6_27928 Depth=3
	v_min_i32_e32 v1, 31, v4
	s_delay_alu instid0(VALU_DEP_1) | instskip(NEXT) | instid1(VALU_DEP_1)
	v_lshl_or_b32 v1, v1, 2, v3
                                        ; implicit-def: $vgpr3
	v_and_or_b32 v92, v0, 3, v1
; %bb.28603:                            ;   in Loop: Header=BB6_27928 Depth=3
	s_and_not1_saveexec_b32 s13, s13
; %bb.28604:                            ;   in Loop: Header=BB6_27928 Depth=3
	v_mov_b32_e32 v92, v3
; %bb.28605:                            ;   in Loop: Header=BB6_27928 Depth=3
	s_or_b32 exec_lo, exec_lo, s13
.LBB6_28606:                            ;   in Loop: Header=BB6_27928 Depth=3
	s_delay_alu instid0(SALU_CYCLE_1)
	s_or_b32 exec_lo, exec_lo, s75
                                        ; implicit-def: $vgpr3
.LBB6_28607:                            ;   in Loop: Header=BB6_27928 Depth=3
	s_and_not1_saveexec_b32 s13, s15
; %bb.28608:                            ;   in Loop: Header=BB6_27928 Depth=3
	v_or_b32_e32 v92, 0x7b, v3
; %bb.28609:                            ;   in Loop: Header=BB6_27928 Depth=3
	s_or_b32 exec_lo, exec_lo, s13
                                        ; implicit-def: $vgpr4
                                        ; implicit-def: $vgpr0_vgpr1
.LBB6_28610:                            ;   in Loop: Header=BB6_27928 Depth=3
	s_and_not1_saveexec_b32 s13, s14
	s_cbranch_execz .LBB6_28616
; %bb.28611:                            ;   in Loop: Header=BB6_27928 Depth=3
	s_mov_b32 s14, exec_lo
                                        ; implicit-def: $vgpr92
	v_cmpx_ne_u64_e32 0, v[0:1]
	s_xor_b32 s14, exec_lo, s14
; %bb.28612:                            ;   in Loop: Header=BB6_27928 Depth=3
	v_lshrrev_b32_e32 v0, 24, v4
                                        ; implicit-def: $vgpr4
	s_delay_alu instid0(VALU_DEP_1)
	v_or_b32_e32 v92, 0x7f, v0
; %bb.28613:                            ;   in Loop: Header=BB6_27928 Depth=3
	s_and_not1_saveexec_b32 s14, s14
; %bb.28614:                            ;   in Loop: Header=BB6_27928 Depth=3
	v_cmp_lt_i32_e32 vcc_lo, -1, v4
	v_cndmask_b32_e64 v92, -4, 0x7c, vcc_lo
; %bb.28615:                            ;   in Loop: Header=BB6_27928 Depth=3
	s_or_b32 exec_lo, exec_lo, s14
.LBB6_28616:                            ;   in Loop: Header=BB6_27928 Depth=3
	s_delay_alu instid0(SALU_CYCLE_1)
	s_or_b32 exec_lo, exec_lo, s13
	flat_load_i8 v0, v[8:9] offset:640 th:TH_LOAD_NT
	v_mov_b32_e32 v3, 0
	s_mov_b32 s13, exec_lo
	s_wait_loadcnt_dscnt 0x0
	s_wait_xcnt 0x0
	v_cmpx_ne_u16_e32 0, v0
	s_cbranch_execz .LBB6_28626
; %bb.28617:                            ;   in Loop: Header=BB6_27928 Depth=3
	v_bfrev_b32_e32 v3, 1
	s_mov_b32 s14, exec_lo
	v_cmpx_ne_u16_e32 0xff80, v0
	s_cbranch_execz .LBB6_28625
; %bb.28618:                            ;   in Loop: Header=BB6_27928 Depth=3
	v_and_b32_e32 v3, 0x7c, v0
	v_and_b32_e32 v1, 3, v0
	s_delay_alu instid0(VALU_DEP_2) | instskip(SKIP_1) | instid1(SALU_CYCLE_1)
	v_cmp_ne_u32_e32 vcc_lo, 0x7c, v3
                                        ; implicit-def: $vgpr3
	s_and_saveexec_b32 s15, vcc_lo
	s_xor_b32 s15, exec_lo, s15
	s_cbranch_execz .LBB6_28622
; %bb.28619:                            ;   in Loop: Header=BB6_27928 Depth=3
	v_and_b32_e32 v3, 0xff, v0
	s_mov_b32 s75, exec_lo
	s_delay_alu instid0(VALU_DEP_1) | instskip(NEXT) | instid1(VALU_DEP_1)
	v_bfe_u32 v3, v3, 2, 5
	v_cmpx_eq_u32_e32 0, v3
	s_cbranch_execz .LBB6_28621
; %bb.28620:                            ;   in Loop: Header=BB6_27928 Depth=3
	v_clz_i32_u32_e32 v1, v1
	s_delay_alu instid0(VALU_DEP_1) | instskip(SKIP_1) | instid1(VALU_DEP_2)
	v_min_u32_e32 v3, 32, v1
	v_mov_b32_e32 v1, v113
	v_subrev_nc_u32_e32 v4, 29, v3
	v_sub_nc_u32_e32 v3, 30, v3
	s_delay_alu instid0(VALU_DEP_2) | instskip(NEXT) | instid1(VALU_DEP_1)
	v_lshlrev_b64_e32 v[4:5], v4, v[0:1]
	v_and_b32_e32 v1, 3, v4
.LBB6_28621:                            ;   in Loop: Header=BB6_27928 Depth=3
	s_or_b32 exec_lo, exec_lo, s75
	v_bfe_i32 v0, v0, 0, 16
	s_delay_alu instid0(VALU_DEP_1) | instskip(NEXT) | instid1(VALU_DEP_1)
	v_and_b32_e32 v0, 0x80000000, v0
	v_lshl_add_u32 v0, v3, 23, v0
	s_delay_alu instid0(VALU_DEP_1) | instskip(NEXT) | instid1(VALU_DEP_1)
	v_lshl_or_b32 v0, v1, 21, v0
                                        ; implicit-def: $vgpr1
	v_add_nc_u32_e32 v3, 0x38000000, v0
                                        ; implicit-def: $vgpr0
.LBB6_28622:                            ;   in Loop: Header=BB6_27928 Depth=3
	s_and_not1_saveexec_b32 s15, s15
; %bb.28623:                            ;   in Loop: Header=BB6_27928 Depth=3
	v_cmp_lt_i16_e32 vcc_lo, -1, v0
	v_mov_b32_e32 v0, 0x7f800000
	s_delay_alu instid0(VALU_DEP_1) | instskip(SKIP_1) | instid1(VALU_DEP_2)
	v_cndmask_b32_e32 v0, 0xff800000, v0, vcc_lo
	v_cmp_eq_u32_e32 vcc_lo, 0, v1
	v_cndmask_b32_e32 v3, 0x7f800001, v0, vcc_lo
; %bb.28624:                            ;   in Loop: Header=BB6_27928 Depth=3
	s_or_b32 exec_lo, exec_lo, s15
.LBB6_28625:                            ;   in Loop: Header=BB6_27928 Depth=3
	s_delay_alu instid0(SALU_CYCLE_1)
	s_or_b32 exec_lo, exec_lo, s14
.LBB6_28626:                            ;   in Loop: Header=BB6_27928 Depth=3
	s_delay_alu instid0(SALU_CYCLE_1) | instskip(NEXT) | instid1(VALU_DEP_1)
	s_or_b32 exec_lo, exec_lo, s13
	v_dual_mul_f32 v4, s74, v3 :: v_dual_mov_b32 v1, v113
                                        ; implicit-def: $vgpr90
	s_delay_alu instid0(VALU_DEP_1) | instskip(NEXT) | instid1(VALU_DEP_1)
	v_and_b32_e32 v0, 0x7f800000, v4
	v_cmp_ne_u64_e32 vcc_lo, 0x7f800000, v[0:1]
	v_and_b32_e32 v0, 0x7fffff, v4
	s_and_saveexec_b32 s13, vcc_lo
	s_delay_alu instid0(SALU_CYCLE_1)
	s_xor_b32 s14, exec_lo, s13
	s_cbranch_execz .LBB6_28644
; %bb.28627:                            ;   in Loop: Header=BB6_27928 Depth=3
	v_dual_mov_b32 v7, v113 :: v_dual_lshrrev_b32 v3, 24, v4
	v_and_b32_e32 v6, 0x7fffffff, v4
                                        ; implicit-def: $vgpr90
	s_mov_b32 s13, exec_lo
	s_delay_alu instid0(VALU_DEP_2) | instskip(NEXT) | instid1(VALU_DEP_2)
	v_and_b32_e32 v3, 0x80, v3
	v_cmpx_gt_u64_e32 0x47600001, v[6:7]
	s_xor_b32 s15, exec_lo, s13
	s_cbranch_execz .LBB6_28641
; %bb.28628:                            ;   in Loop: Header=BB6_27928 Depth=3
	v_mov_b32_e32 v90, 0
	s_mov_b32 s75, exec_lo
	v_cmpx_ne_u32_e32 0, v4
	s_cbranch_execz .LBB6_28640
; %bb.28629:                            ;   in Loop: Header=BB6_27928 Depth=3
	v_bfe_u32 v6, v4, 23, 8
	v_or_b32_e32 v14, 0x800000, v0
	s_delay_alu instid0(VALU_DEP_2) | instskip(SKIP_1) | instid1(VALU_DEP_2)
	v_sub_nc_u32_e32 v4, 0x71, v6
	v_cmp_gt_u32_e32 vcc_lo, 0x72, v6
	v_cndmask_b32_e32 v4, 0, v4, vcc_lo
	v_cmp_eq_u32_e32 vcc_lo, 0, v6
	s_delay_alu instid0(VALU_DEP_2) | instskip(NEXT) | instid1(VALU_DEP_1)
	v_cndmask_b32_e64 v7, v4, 0x70, vcc_lo
	v_dual_cndmask_b32 v0, v14, v0, vcc_lo :: v_dual_add_nc_u32 v4, 21, v7
	v_add_nc_u32_e32 v15, 20, v7
	s_delay_alu instid0(VALU_DEP_2) | instskip(NEXT) | instid1(VALU_DEP_2)
	v_lshlrev_b64_e64 v[4:5], v4, -1
	v_lshlrev_b64_e64 v[14:15], v15, 1
	s_delay_alu instid0(VALU_DEP_2) | instskip(SKIP_1) | instid1(VALU_DEP_4)
	v_bfi_b32 v4, v4, 0, v0
	v_lshrrev_b64 v[0:1], v7, v[0:1]
	v_bfi_b32 v5, v5, 0, 0
	s_delay_alu instid0(VALU_DEP_1) | instskip(NEXT) | instid1(VALU_DEP_3)
	v_cmp_eq_u64_e64 s13, v[4:5], v[14:15]
	v_mov_b64_e32 v[4:5], v[0:1]
	s_and_saveexec_b32 s76, s13
; %bb.28630:                            ;   in Loop: Header=BB6_27928 Depth=3
	v_bfe_u32 v4, v0, 21, 1
	v_mov_b32_e32 v5, v113
	s_delay_alu instid0(VALU_DEP_1) | instskip(NEXT) | instid1(VALU_DEP_1)
	v_add_nc_u64_e32 v[4:5], v[0:1], v[4:5]
	v_add_nc_u64_e32 v[4:5], -1, v[4:5]
; %bb.28631:                            ;   in Loop: Header=BB6_27928 Depth=3
	s_or_b32 exec_lo, exec_lo, s76
	v_add_nc_u32_e32 v1, 0xffffff81, v6
	v_lshrrev_b32_e32 v5, 23, v0
	s_mov_b32 s13, exec_lo
	s_delay_alu instid0(VALU_DEP_2) | instskip(NEXT) | instid1(VALU_DEP_1)
	v_cndmask_b32_e64 v1, v1, 0xffffff82, vcc_lo
	v_add3_u32 v5, v7, v1, v5
	v_and_b32_e32 v1, 0x1fffff, v4
                                        ; implicit-def: $vgpr4
	s_delay_alu instid0(VALU_DEP_1) | instskip(SKIP_1) | instid1(VALU_DEP_2)
	v_dual_add_nc_u32 v6, 14, v5 :: v_dual_add_nc_u32 v0, v1, v0
	v_mov_b32_e32 v1, v113
	v_cmpx_ne_u32_e32 0, v6
	s_xor_b32 s13, exec_lo, s13
; %bb.28632:                            ;   in Loop: Header=BB6_27928 Depth=3
	s_delay_alu instid0(VALU_DEP_2) | instskip(SKIP_2) | instid1(VALU_DEP_2)
	v_cmp_lt_u64_e32 vcc_lo, 0xffffff, v[0:1]
	v_add_nc_u32_e32 v4, 15, v5
	v_cndmask_b32_e64 v5, 0, 1, vcc_lo
	v_cndmask_b32_e32 v4, v6, v4, vcc_lo
	s_delay_alu instid0(VALU_DEP_2)
	v_lshrrev_b64 v[0:1], v5, v[0:1]
; %bb.28633:                            ;   in Loop: Header=BB6_27928 Depth=3
	s_and_not1_saveexec_b32 s13, s13
; %bb.28634:                            ;   in Loop: Header=BB6_27928 Depth=3
	s_delay_alu instid0(VALU_DEP_1)
	v_bfe_u32 v4, v0, 23, 1
; %bb.28635:                            ;   in Loop: Header=BB6_27928 Depth=3
	s_or_b32 exec_lo, exec_lo, s13
	s_delay_alu instid0(VALU_DEP_2) | instskip(NEXT) | instid1(VALU_DEP_2)
	v_lshrrev_b64 v[0:1], 21, v[0:1]
	v_cmp_gt_i32_e32 vcc_lo, 32, v4
	v_cmp_ne_u32_e64 s13, 0, v4
                                        ; implicit-def: $vgpr90
	s_delay_alu instid0(VALU_DEP_3) | instskip(NEXT) | instid1(VALU_DEP_1)
	v_dual_cndmask_b32 v1, 0, v1 :: v_dual_cndmask_b32 v0, 3, v0
	v_cmp_ne_u64_e32 vcc_lo, 0, v[0:1]
	s_or_b32 s13, s13, vcc_lo
	s_delay_alu instid0(SALU_CYCLE_1) | instskip(NEXT) | instid1(SALU_CYCLE_1)
	s_and_saveexec_b32 s76, s13
	s_xor_b32 s13, exec_lo, s76
; %bb.28636:                            ;   in Loop: Header=BB6_27928 Depth=3
	v_min_i32_e32 v1, 31, v4
	s_delay_alu instid0(VALU_DEP_1) | instskip(NEXT) | instid1(VALU_DEP_1)
	v_lshl_or_b32 v1, v1, 2, v3
                                        ; implicit-def: $vgpr3
	v_and_or_b32 v90, v0, 3, v1
; %bb.28637:                            ;   in Loop: Header=BB6_27928 Depth=3
	s_and_not1_saveexec_b32 s13, s13
; %bb.28638:                            ;   in Loop: Header=BB6_27928 Depth=3
	v_mov_b32_e32 v90, v3
; %bb.28639:                            ;   in Loop: Header=BB6_27928 Depth=3
	s_or_b32 exec_lo, exec_lo, s13
.LBB6_28640:                            ;   in Loop: Header=BB6_27928 Depth=3
	s_delay_alu instid0(SALU_CYCLE_1)
	s_or_b32 exec_lo, exec_lo, s75
                                        ; implicit-def: $vgpr3
.LBB6_28641:                            ;   in Loop: Header=BB6_27928 Depth=3
	s_and_not1_saveexec_b32 s13, s15
; %bb.28642:                            ;   in Loop: Header=BB6_27928 Depth=3
	v_or_b32_e32 v90, 0x7b, v3
; %bb.28643:                            ;   in Loop: Header=BB6_27928 Depth=3
	s_or_b32 exec_lo, exec_lo, s13
                                        ; implicit-def: $vgpr4
                                        ; implicit-def: $vgpr0_vgpr1
.LBB6_28644:                            ;   in Loop: Header=BB6_27928 Depth=3
	s_and_not1_saveexec_b32 s13, s14
	s_cbranch_execz .LBB6_28650
; %bb.28645:                            ;   in Loop: Header=BB6_27928 Depth=3
	s_mov_b32 s14, exec_lo
                                        ; implicit-def: $vgpr90
	v_cmpx_ne_u64_e32 0, v[0:1]
	s_xor_b32 s14, exec_lo, s14
; %bb.28646:                            ;   in Loop: Header=BB6_27928 Depth=3
	v_lshrrev_b32_e32 v0, 24, v4
                                        ; implicit-def: $vgpr4
	s_delay_alu instid0(VALU_DEP_1)
	v_or_b32_e32 v90, 0x7f, v0
; %bb.28647:                            ;   in Loop: Header=BB6_27928 Depth=3
	s_and_not1_saveexec_b32 s14, s14
; %bb.28648:                            ;   in Loop: Header=BB6_27928 Depth=3
	v_cmp_lt_i32_e32 vcc_lo, -1, v4
	v_cndmask_b32_e64 v90, -4, 0x7c, vcc_lo
; %bb.28649:                            ;   in Loop: Header=BB6_27928 Depth=3
	s_or_b32 exec_lo, exec_lo, s14
.LBB6_28650:                            ;   in Loop: Header=BB6_27928 Depth=3
	s_delay_alu instid0(SALU_CYCLE_1)
	s_or_b32 exec_lo, exec_lo, s13
	flat_load_i8 v0, v[8:9] offset:672 th:TH_LOAD_NT
	v_mov_b32_e32 v3, 0
	s_mov_b32 s13, exec_lo
	s_wait_loadcnt_dscnt 0x0
	s_wait_xcnt 0x0
	v_cmpx_ne_u16_e32 0, v0
	s_cbranch_execz .LBB6_28660
; %bb.28651:                            ;   in Loop: Header=BB6_27928 Depth=3
	v_bfrev_b32_e32 v3, 1
	s_mov_b32 s14, exec_lo
	v_cmpx_ne_u16_e32 0xff80, v0
	s_cbranch_execz .LBB6_28659
; %bb.28652:                            ;   in Loop: Header=BB6_27928 Depth=3
	v_and_b32_e32 v3, 0x7c, v0
	v_and_b32_e32 v1, 3, v0
	s_delay_alu instid0(VALU_DEP_2) | instskip(SKIP_1) | instid1(SALU_CYCLE_1)
	v_cmp_ne_u32_e32 vcc_lo, 0x7c, v3
                                        ; implicit-def: $vgpr3
	s_and_saveexec_b32 s15, vcc_lo
	s_xor_b32 s15, exec_lo, s15
	s_cbranch_execz .LBB6_28656
; %bb.28653:                            ;   in Loop: Header=BB6_27928 Depth=3
	v_and_b32_e32 v3, 0xff, v0
	s_mov_b32 s75, exec_lo
	s_delay_alu instid0(VALU_DEP_1) | instskip(NEXT) | instid1(VALU_DEP_1)
	v_bfe_u32 v3, v3, 2, 5
	v_cmpx_eq_u32_e32 0, v3
	s_cbranch_execz .LBB6_28655
; %bb.28654:                            ;   in Loop: Header=BB6_27928 Depth=3
	v_clz_i32_u32_e32 v1, v1
	s_delay_alu instid0(VALU_DEP_1) | instskip(SKIP_1) | instid1(VALU_DEP_2)
	v_min_u32_e32 v3, 32, v1
	v_mov_b32_e32 v1, v113
	v_subrev_nc_u32_e32 v4, 29, v3
	v_sub_nc_u32_e32 v3, 30, v3
	s_delay_alu instid0(VALU_DEP_2) | instskip(NEXT) | instid1(VALU_DEP_1)
	v_lshlrev_b64_e32 v[4:5], v4, v[0:1]
	v_and_b32_e32 v1, 3, v4
.LBB6_28655:                            ;   in Loop: Header=BB6_27928 Depth=3
	s_or_b32 exec_lo, exec_lo, s75
	v_bfe_i32 v0, v0, 0, 16
	s_delay_alu instid0(VALU_DEP_1) | instskip(NEXT) | instid1(VALU_DEP_1)
	v_and_b32_e32 v0, 0x80000000, v0
	v_lshl_add_u32 v0, v3, 23, v0
	s_delay_alu instid0(VALU_DEP_1) | instskip(NEXT) | instid1(VALU_DEP_1)
	v_lshl_or_b32 v0, v1, 21, v0
                                        ; implicit-def: $vgpr1
	v_add_nc_u32_e32 v3, 0x38000000, v0
                                        ; implicit-def: $vgpr0
.LBB6_28656:                            ;   in Loop: Header=BB6_27928 Depth=3
	s_and_not1_saveexec_b32 s15, s15
; %bb.28657:                            ;   in Loop: Header=BB6_27928 Depth=3
	v_cmp_lt_i16_e32 vcc_lo, -1, v0
	v_mov_b32_e32 v0, 0x7f800000
	s_delay_alu instid0(VALU_DEP_1) | instskip(SKIP_1) | instid1(VALU_DEP_2)
	v_cndmask_b32_e32 v0, 0xff800000, v0, vcc_lo
	v_cmp_eq_u32_e32 vcc_lo, 0, v1
	v_cndmask_b32_e32 v3, 0x7f800001, v0, vcc_lo
; %bb.28658:                            ;   in Loop: Header=BB6_27928 Depth=3
	s_or_b32 exec_lo, exec_lo, s15
.LBB6_28659:                            ;   in Loop: Header=BB6_27928 Depth=3
	s_delay_alu instid0(SALU_CYCLE_1)
	s_or_b32 exec_lo, exec_lo, s14
.LBB6_28660:                            ;   in Loop: Header=BB6_27928 Depth=3
	s_delay_alu instid0(SALU_CYCLE_1) | instskip(NEXT) | instid1(VALU_DEP_1)
	s_or_b32 exec_lo, exec_lo, s13
	v_dual_mul_f32 v4, s74, v3 :: v_dual_mov_b32 v1, v113
                                        ; implicit-def: $vgpr88
	s_delay_alu instid0(VALU_DEP_1) | instskip(NEXT) | instid1(VALU_DEP_1)
	v_and_b32_e32 v0, 0x7f800000, v4
	v_cmp_ne_u64_e32 vcc_lo, 0x7f800000, v[0:1]
	v_and_b32_e32 v0, 0x7fffff, v4
	s_and_saveexec_b32 s13, vcc_lo
	s_delay_alu instid0(SALU_CYCLE_1)
	s_xor_b32 s14, exec_lo, s13
	s_cbranch_execz .LBB6_28678
; %bb.28661:                            ;   in Loop: Header=BB6_27928 Depth=3
	v_dual_mov_b32 v7, v113 :: v_dual_lshrrev_b32 v3, 24, v4
	v_and_b32_e32 v6, 0x7fffffff, v4
                                        ; implicit-def: $vgpr88
	s_mov_b32 s13, exec_lo
	s_delay_alu instid0(VALU_DEP_2) | instskip(NEXT) | instid1(VALU_DEP_2)
	v_and_b32_e32 v3, 0x80, v3
	v_cmpx_gt_u64_e32 0x47600001, v[6:7]
	s_xor_b32 s15, exec_lo, s13
	s_cbranch_execz .LBB6_28675
; %bb.28662:                            ;   in Loop: Header=BB6_27928 Depth=3
	v_mov_b32_e32 v88, 0
	s_mov_b32 s75, exec_lo
	v_cmpx_ne_u32_e32 0, v4
	s_cbranch_execz .LBB6_28674
; %bb.28663:                            ;   in Loop: Header=BB6_27928 Depth=3
	v_bfe_u32 v6, v4, 23, 8
	v_or_b32_e32 v14, 0x800000, v0
	s_delay_alu instid0(VALU_DEP_2) | instskip(SKIP_1) | instid1(VALU_DEP_2)
	v_sub_nc_u32_e32 v4, 0x71, v6
	v_cmp_gt_u32_e32 vcc_lo, 0x72, v6
	v_cndmask_b32_e32 v4, 0, v4, vcc_lo
	v_cmp_eq_u32_e32 vcc_lo, 0, v6
	s_delay_alu instid0(VALU_DEP_2) | instskip(NEXT) | instid1(VALU_DEP_1)
	v_cndmask_b32_e64 v7, v4, 0x70, vcc_lo
	v_dual_cndmask_b32 v0, v14, v0, vcc_lo :: v_dual_add_nc_u32 v4, 21, v7
	v_add_nc_u32_e32 v15, 20, v7
	s_delay_alu instid0(VALU_DEP_2) | instskip(NEXT) | instid1(VALU_DEP_2)
	v_lshlrev_b64_e64 v[4:5], v4, -1
	v_lshlrev_b64_e64 v[14:15], v15, 1
	s_delay_alu instid0(VALU_DEP_2) | instskip(SKIP_1) | instid1(VALU_DEP_4)
	v_bfi_b32 v4, v4, 0, v0
	v_lshrrev_b64 v[0:1], v7, v[0:1]
	v_bfi_b32 v5, v5, 0, 0
	s_delay_alu instid0(VALU_DEP_1) | instskip(NEXT) | instid1(VALU_DEP_3)
	v_cmp_eq_u64_e64 s13, v[4:5], v[14:15]
	v_mov_b64_e32 v[4:5], v[0:1]
	s_and_saveexec_b32 s76, s13
; %bb.28664:                            ;   in Loop: Header=BB6_27928 Depth=3
	v_bfe_u32 v4, v0, 21, 1
	v_mov_b32_e32 v5, v113
	s_delay_alu instid0(VALU_DEP_1) | instskip(NEXT) | instid1(VALU_DEP_1)
	v_add_nc_u64_e32 v[4:5], v[0:1], v[4:5]
	v_add_nc_u64_e32 v[4:5], -1, v[4:5]
; %bb.28665:                            ;   in Loop: Header=BB6_27928 Depth=3
	s_or_b32 exec_lo, exec_lo, s76
	v_add_nc_u32_e32 v1, 0xffffff81, v6
	v_lshrrev_b32_e32 v5, 23, v0
	s_mov_b32 s13, exec_lo
	s_delay_alu instid0(VALU_DEP_2) | instskip(NEXT) | instid1(VALU_DEP_1)
	v_cndmask_b32_e64 v1, v1, 0xffffff82, vcc_lo
	v_add3_u32 v5, v7, v1, v5
	v_and_b32_e32 v1, 0x1fffff, v4
                                        ; implicit-def: $vgpr4
	s_delay_alu instid0(VALU_DEP_1) | instskip(SKIP_1) | instid1(VALU_DEP_2)
	v_dual_add_nc_u32 v6, 14, v5 :: v_dual_add_nc_u32 v0, v1, v0
	v_mov_b32_e32 v1, v113
	v_cmpx_ne_u32_e32 0, v6
	s_xor_b32 s13, exec_lo, s13
; %bb.28666:                            ;   in Loop: Header=BB6_27928 Depth=3
	s_delay_alu instid0(VALU_DEP_2) | instskip(SKIP_2) | instid1(VALU_DEP_2)
	v_cmp_lt_u64_e32 vcc_lo, 0xffffff, v[0:1]
	v_add_nc_u32_e32 v4, 15, v5
	v_cndmask_b32_e64 v5, 0, 1, vcc_lo
	v_cndmask_b32_e32 v4, v6, v4, vcc_lo
	s_delay_alu instid0(VALU_DEP_2)
	v_lshrrev_b64 v[0:1], v5, v[0:1]
; %bb.28667:                            ;   in Loop: Header=BB6_27928 Depth=3
	s_and_not1_saveexec_b32 s13, s13
; %bb.28668:                            ;   in Loop: Header=BB6_27928 Depth=3
	s_delay_alu instid0(VALU_DEP_1)
	v_bfe_u32 v4, v0, 23, 1
; %bb.28669:                            ;   in Loop: Header=BB6_27928 Depth=3
	s_or_b32 exec_lo, exec_lo, s13
	s_delay_alu instid0(VALU_DEP_2) | instskip(NEXT) | instid1(VALU_DEP_2)
	v_lshrrev_b64 v[0:1], 21, v[0:1]
	v_cmp_gt_i32_e32 vcc_lo, 32, v4
	v_cmp_ne_u32_e64 s13, 0, v4
                                        ; implicit-def: $vgpr88
	s_delay_alu instid0(VALU_DEP_3) | instskip(NEXT) | instid1(VALU_DEP_1)
	v_dual_cndmask_b32 v1, 0, v1 :: v_dual_cndmask_b32 v0, 3, v0
	v_cmp_ne_u64_e32 vcc_lo, 0, v[0:1]
	s_or_b32 s13, s13, vcc_lo
	s_delay_alu instid0(SALU_CYCLE_1) | instskip(NEXT) | instid1(SALU_CYCLE_1)
	s_and_saveexec_b32 s76, s13
	s_xor_b32 s13, exec_lo, s76
; %bb.28670:                            ;   in Loop: Header=BB6_27928 Depth=3
	v_min_i32_e32 v1, 31, v4
	s_delay_alu instid0(VALU_DEP_1) | instskip(NEXT) | instid1(VALU_DEP_1)
	v_lshl_or_b32 v1, v1, 2, v3
                                        ; implicit-def: $vgpr3
	v_and_or_b32 v88, v0, 3, v1
; %bb.28671:                            ;   in Loop: Header=BB6_27928 Depth=3
	s_and_not1_saveexec_b32 s13, s13
; %bb.28672:                            ;   in Loop: Header=BB6_27928 Depth=3
	v_mov_b32_e32 v88, v3
; %bb.28673:                            ;   in Loop: Header=BB6_27928 Depth=3
	s_or_b32 exec_lo, exec_lo, s13
.LBB6_28674:                            ;   in Loop: Header=BB6_27928 Depth=3
	s_delay_alu instid0(SALU_CYCLE_1)
	s_or_b32 exec_lo, exec_lo, s75
                                        ; implicit-def: $vgpr3
.LBB6_28675:                            ;   in Loop: Header=BB6_27928 Depth=3
	s_and_not1_saveexec_b32 s13, s15
; %bb.28676:                            ;   in Loop: Header=BB6_27928 Depth=3
	v_or_b32_e32 v88, 0x7b, v3
; %bb.28677:                            ;   in Loop: Header=BB6_27928 Depth=3
	s_or_b32 exec_lo, exec_lo, s13
                                        ; implicit-def: $vgpr4
                                        ; implicit-def: $vgpr0_vgpr1
.LBB6_28678:                            ;   in Loop: Header=BB6_27928 Depth=3
	s_and_not1_saveexec_b32 s13, s14
	s_cbranch_execz .LBB6_28684
; %bb.28679:                            ;   in Loop: Header=BB6_27928 Depth=3
	s_mov_b32 s14, exec_lo
                                        ; implicit-def: $vgpr88
	v_cmpx_ne_u64_e32 0, v[0:1]
	s_xor_b32 s14, exec_lo, s14
; %bb.28680:                            ;   in Loop: Header=BB6_27928 Depth=3
	v_lshrrev_b32_e32 v0, 24, v4
                                        ; implicit-def: $vgpr4
	s_delay_alu instid0(VALU_DEP_1)
	v_or_b32_e32 v88, 0x7f, v0
; %bb.28681:                            ;   in Loop: Header=BB6_27928 Depth=3
	s_and_not1_saveexec_b32 s14, s14
; %bb.28682:                            ;   in Loop: Header=BB6_27928 Depth=3
	v_cmp_lt_i32_e32 vcc_lo, -1, v4
	v_cndmask_b32_e64 v88, -4, 0x7c, vcc_lo
; %bb.28683:                            ;   in Loop: Header=BB6_27928 Depth=3
	s_or_b32 exec_lo, exec_lo, s14
.LBB6_28684:                            ;   in Loop: Header=BB6_27928 Depth=3
	s_delay_alu instid0(SALU_CYCLE_1)
	s_or_b32 exec_lo, exec_lo, s13
	flat_load_i8 v0, v[8:9] offset:704 th:TH_LOAD_NT
	v_mov_b32_e32 v3, 0
	s_mov_b32 s13, exec_lo
	s_wait_loadcnt_dscnt 0x0
	s_wait_xcnt 0x0
	v_cmpx_ne_u16_e32 0, v0
	s_cbranch_execz .LBB6_28694
; %bb.28685:                            ;   in Loop: Header=BB6_27928 Depth=3
	v_bfrev_b32_e32 v3, 1
	s_mov_b32 s14, exec_lo
	v_cmpx_ne_u16_e32 0xff80, v0
	s_cbranch_execz .LBB6_28693
; %bb.28686:                            ;   in Loop: Header=BB6_27928 Depth=3
	v_and_b32_e32 v3, 0x7c, v0
	v_and_b32_e32 v1, 3, v0
	s_delay_alu instid0(VALU_DEP_2) | instskip(SKIP_1) | instid1(SALU_CYCLE_1)
	v_cmp_ne_u32_e32 vcc_lo, 0x7c, v3
                                        ; implicit-def: $vgpr3
	s_and_saveexec_b32 s15, vcc_lo
	s_xor_b32 s15, exec_lo, s15
	s_cbranch_execz .LBB6_28690
; %bb.28687:                            ;   in Loop: Header=BB6_27928 Depth=3
	v_and_b32_e32 v3, 0xff, v0
	s_mov_b32 s75, exec_lo
	s_delay_alu instid0(VALU_DEP_1) | instskip(NEXT) | instid1(VALU_DEP_1)
	v_bfe_u32 v3, v3, 2, 5
	v_cmpx_eq_u32_e32 0, v3
	s_cbranch_execz .LBB6_28689
; %bb.28688:                            ;   in Loop: Header=BB6_27928 Depth=3
	v_clz_i32_u32_e32 v1, v1
	s_delay_alu instid0(VALU_DEP_1) | instskip(SKIP_1) | instid1(VALU_DEP_2)
	v_min_u32_e32 v3, 32, v1
	v_mov_b32_e32 v1, v113
	v_subrev_nc_u32_e32 v4, 29, v3
	v_sub_nc_u32_e32 v3, 30, v3
	s_delay_alu instid0(VALU_DEP_2) | instskip(NEXT) | instid1(VALU_DEP_1)
	v_lshlrev_b64_e32 v[4:5], v4, v[0:1]
	v_and_b32_e32 v1, 3, v4
.LBB6_28689:                            ;   in Loop: Header=BB6_27928 Depth=3
	s_or_b32 exec_lo, exec_lo, s75
	v_bfe_i32 v0, v0, 0, 16
	s_delay_alu instid0(VALU_DEP_1) | instskip(NEXT) | instid1(VALU_DEP_1)
	v_and_b32_e32 v0, 0x80000000, v0
	v_lshl_add_u32 v0, v3, 23, v0
	s_delay_alu instid0(VALU_DEP_1) | instskip(NEXT) | instid1(VALU_DEP_1)
	v_lshl_or_b32 v0, v1, 21, v0
                                        ; implicit-def: $vgpr1
	v_add_nc_u32_e32 v3, 0x38000000, v0
                                        ; implicit-def: $vgpr0
.LBB6_28690:                            ;   in Loop: Header=BB6_27928 Depth=3
	s_and_not1_saveexec_b32 s15, s15
; %bb.28691:                            ;   in Loop: Header=BB6_27928 Depth=3
	v_cmp_lt_i16_e32 vcc_lo, -1, v0
	v_mov_b32_e32 v0, 0x7f800000
	s_delay_alu instid0(VALU_DEP_1) | instskip(SKIP_1) | instid1(VALU_DEP_2)
	v_cndmask_b32_e32 v0, 0xff800000, v0, vcc_lo
	v_cmp_eq_u32_e32 vcc_lo, 0, v1
	v_cndmask_b32_e32 v3, 0x7f800001, v0, vcc_lo
; %bb.28692:                            ;   in Loop: Header=BB6_27928 Depth=3
	s_or_b32 exec_lo, exec_lo, s15
.LBB6_28693:                            ;   in Loop: Header=BB6_27928 Depth=3
	s_delay_alu instid0(SALU_CYCLE_1)
	s_or_b32 exec_lo, exec_lo, s14
.LBB6_28694:                            ;   in Loop: Header=BB6_27928 Depth=3
	s_delay_alu instid0(SALU_CYCLE_1) | instskip(NEXT) | instid1(VALU_DEP_1)
	s_or_b32 exec_lo, exec_lo, s13
	v_dual_mul_f32 v4, s74, v3 :: v_dual_mov_b32 v1, v113
                                        ; implicit-def: $vgpr78
	s_delay_alu instid0(VALU_DEP_1) | instskip(NEXT) | instid1(VALU_DEP_1)
	v_and_b32_e32 v0, 0x7f800000, v4
	v_cmp_ne_u64_e32 vcc_lo, 0x7f800000, v[0:1]
	v_and_b32_e32 v0, 0x7fffff, v4
	s_and_saveexec_b32 s13, vcc_lo
	s_delay_alu instid0(SALU_CYCLE_1)
	s_xor_b32 s14, exec_lo, s13
	s_cbranch_execz .LBB6_28712
; %bb.28695:                            ;   in Loop: Header=BB6_27928 Depth=3
	v_dual_mov_b32 v7, v113 :: v_dual_lshrrev_b32 v3, 24, v4
	v_and_b32_e32 v6, 0x7fffffff, v4
                                        ; implicit-def: $vgpr78
	s_mov_b32 s13, exec_lo
	s_delay_alu instid0(VALU_DEP_2) | instskip(NEXT) | instid1(VALU_DEP_2)
	v_and_b32_e32 v3, 0x80, v3
	v_cmpx_gt_u64_e32 0x47600001, v[6:7]
	s_xor_b32 s15, exec_lo, s13
	s_cbranch_execz .LBB6_28709
; %bb.28696:                            ;   in Loop: Header=BB6_27928 Depth=3
	v_mov_b32_e32 v78, 0
	s_mov_b32 s75, exec_lo
	v_cmpx_ne_u32_e32 0, v4
	s_cbranch_execz .LBB6_28708
; %bb.28697:                            ;   in Loop: Header=BB6_27928 Depth=3
	v_bfe_u32 v6, v4, 23, 8
	v_or_b32_e32 v14, 0x800000, v0
	s_delay_alu instid0(VALU_DEP_2) | instskip(SKIP_1) | instid1(VALU_DEP_2)
	v_sub_nc_u32_e32 v4, 0x71, v6
	v_cmp_gt_u32_e32 vcc_lo, 0x72, v6
	v_cndmask_b32_e32 v4, 0, v4, vcc_lo
	v_cmp_eq_u32_e32 vcc_lo, 0, v6
	s_delay_alu instid0(VALU_DEP_2) | instskip(NEXT) | instid1(VALU_DEP_1)
	v_cndmask_b32_e64 v7, v4, 0x70, vcc_lo
	v_dual_cndmask_b32 v0, v14, v0, vcc_lo :: v_dual_add_nc_u32 v4, 21, v7
	v_add_nc_u32_e32 v15, 20, v7
	s_delay_alu instid0(VALU_DEP_2) | instskip(NEXT) | instid1(VALU_DEP_2)
	v_lshlrev_b64_e64 v[4:5], v4, -1
	v_lshlrev_b64_e64 v[14:15], v15, 1
	s_delay_alu instid0(VALU_DEP_2) | instskip(SKIP_1) | instid1(VALU_DEP_4)
	v_bfi_b32 v4, v4, 0, v0
	v_lshrrev_b64 v[0:1], v7, v[0:1]
	v_bfi_b32 v5, v5, 0, 0
	s_delay_alu instid0(VALU_DEP_1) | instskip(NEXT) | instid1(VALU_DEP_3)
	v_cmp_eq_u64_e64 s13, v[4:5], v[14:15]
	v_mov_b64_e32 v[4:5], v[0:1]
	s_and_saveexec_b32 s76, s13
; %bb.28698:                            ;   in Loop: Header=BB6_27928 Depth=3
	v_bfe_u32 v4, v0, 21, 1
	v_mov_b32_e32 v5, v113
	s_delay_alu instid0(VALU_DEP_1) | instskip(NEXT) | instid1(VALU_DEP_1)
	v_add_nc_u64_e32 v[4:5], v[0:1], v[4:5]
	v_add_nc_u64_e32 v[4:5], -1, v[4:5]
; %bb.28699:                            ;   in Loop: Header=BB6_27928 Depth=3
	s_or_b32 exec_lo, exec_lo, s76
	v_add_nc_u32_e32 v1, 0xffffff81, v6
	v_lshrrev_b32_e32 v5, 23, v0
	s_mov_b32 s13, exec_lo
	s_delay_alu instid0(VALU_DEP_2) | instskip(NEXT) | instid1(VALU_DEP_1)
	v_cndmask_b32_e64 v1, v1, 0xffffff82, vcc_lo
	v_add3_u32 v5, v7, v1, v5
	v_and_b32_e32 v1, 0x1fffff, v4
                                        ; implicit-def: $vgpr4
	s_delay_alu instid0(VALU_DEP_1) | instskip(SKIP_1) | instid1(VALU_DEP_2)
	v_dual_add_nc_u32 v6, 14, v5 :: v_dual_add_nc_u32 v0, v1, v0
	v_mov_b32_e32 v1, v113
	v_cmpx_ne_u32_e32 0, v6
	s_xor_b32 s13, exec_lo, s13
; %bb.28700:                            ;   in Loop: Header=BB6_27928 Depth=3
	s_delay_alu instid0(VALU_DEP_2) | instskip(SKIP_2) | instid1(VALU_DEP_2)
	v_cmp_lt_u64_e32 vcc_lo, 0xffffff, v[0:1]
	v_add_nc_u32_e32 v4, 15, v5
	v_cndmask_b32_e64 v5, 0, 1, vcc_lo
	v_cndmask_b32_e32 v4, v6, v4, vcc_lo
	s_delay_alu instid0(VALU_DEP_2)
	v_lshrrev_b64 v[0:1], v5, v[0:1]
; %bb.28701:                            ;   in Loop: Header=BB6_27928 Depth=3
	s_and_not1_saveexec_b32 s13, s13
; %bb.28702:                            ;   in Loop: Header=BB6_27928 Depth=3
	s_delay_alu instid0(VALU_DEP_1)
	v_bfe_u32 v4, v0, 23, 1
; %bb.28703:                            ;   in Loop: Header=BB6_27928 Depth=3
	s_or_b32 exec_lo, exec_lo, s13
	s_delay_alu instid0(VALU_DEP_2) | instskip(NEXT) | instid1(VALU_DEP_2)
	v_lshrrev_b64 v[0:1], 21, v[0:1]
	v_cmp_gt_i32_e32 vcc_lo, 32, v4
	v_cmp_ne_u32_e64 s13, 0, v4
                                        ; implicit-def: $vgpr78
	s_delay_alu instid0(VALU_DEP_3) | instskip(NEXT) | instid1(VALU_DEP_1)
	v_dual_cndmask_b32 v1, 0, v1 :: v_dual_cndmask_b32 v0, 3, v0
	v_cmp_ne_u64_e32 vcc_lo, 0, v[0:1]
	s_or_b32 s13, s13, vcc_lo
	s_delay_alu instid0(SALU_CYCLE_1) | instskip(NEXT) | instid1(SALU_CYCLE_1)
	s_and_saveexec_b32 s76, s13
	s_xor_b32 s13, exec_lo, s76
; %bb.28704:                            ;   in Loop: Header=BB6_27928 Depth=3
	v_min_i32_e32 v1, 31, v4
	s_delay_alu instid0(VALU_DEP_1) | instskip(NEXT) | instid1(VALU_DEP_1)
	v_lshl_or_b32 v1, v1, 2, v3
                                        ; implicit-def: $vgpr3
	v_and_or_b32 v78, v0, 3, v1
; %bb.28705:                            ;   in Loop: Header=BB6_27928 Depth=3
	s_and_not1_saveexec_b32 s13, s13
; %bb.28706:                            ;   in Loop: Header=BB6_27928 Depth=3
	v_mov_b32_e32 v78, v3
; %bb.28707:                            ;   in Loop: Header=BB6_27928 Depth=3
	s_or_b32 exec_lo, exec_lo, s13
.LBB6_28708:                            ;   in Loop: Header=BB6_27928 Depth=3
	s_delay_alu instid0(SALU_CYCLE_1)
	s_or_b32 exec_lo, exec_lo, s75
                                        ; implicit-def: $vgpr3
.LBB6_28709:                            ;   in Loop: Header=BB6_27928 Depth=3
	s_and_not1_saveexec_b32 s13, s15
; %bb.28710:                            ;   in Loop: Header=BB6_27928 Depth=3
	v_or_b32_e32 v78, 0x7b, v3
; %bb.28711:                            ;   in Loop: Header=BB6_27928 Depth=3
	s_or_b32 exec_lo, exec_lo, s13
                                        ; implicit-def: $vgpr4
                                        ; implicit-def: $vgpr0_vgpr1
.LBB6_28712:                            ;   in Loop: Header=BB6_27928 Depth=3
	s_and_not1_saveexec_b32 s13, s14
	s_cbranch_execz .LBB6_28718
; %bb.28713:                            ;   in Loop: Header=BB6_27928 Depth=3
	s_mov_b32 s14, exec_lo
                                        ; implicit-def: $vgpr78
	v_cmpx_ne_u64_e32 0, v[0:1]
	s_xor_b32 s14, exec_lo, s14
; %bb.28714:                            ;   in Loop: Header=BB6_27928 Depth=3
	v_lshrrev_b32_e32 v0, 24, v4
                                        ; implicit-def: $vgpr4
	s_delay_alu instid0(VALU_DEP_1)
	v_or_b32_e32 v78, 0x7f, v0
; %bb.28715:                            ;   in Loop: Header=BB6_27928 Depth=3
	s_and_not1_saveexec_b32 s14, s14
; %bb.28716:                            ;   in Loop: Header=BB6_27928 Depth=3
	v_cmp_lt_i32_e32 vcc_lo, -1, v4
	v_cndmask_b32_e64 v78, -4, 0x7c, vcc_lo
; %bb.28717:                            ;   in Loop: Header=BB6_27928 Depth=3
	s_or_b32 exec_lo, exec_lo, s14
.LBB6_28718:                            ;   in Loop: Header=BB6_27928 Depth=3
	s_delay_alu instid0(SALU_CYCLE_1)
	s_or_b32 exec_lo, exec_lo, s13
	flat_load_i8 v0, v[8:9] offset:736 th:TH_LOAD_NT
	v_mov_b32_e32 v3, 0
	s_mov_b32 s13, exec_lo
	s_wait_loadcnt_dscnt 0x0
	s_wait_xcnt 0x0
	v_cmpx_ne_u16_e32 0, v0
	s_cbranch_execz .LBB6_28728
; %bb.28719:                            ;   in Loop: Header=BB6_27928 Depth=3
	v_bfrev_b32_e32 v3, 1
	s_mov_b32 s14, exec_lo
	v_cmpx_ne_u16_e32 0xff80, v0
	s_cbranch_execz .LBB6_28727
; %bb.28720:                            ;   in Loop: Header=BB6_27928 Depth=3
	v_and_b32_e32 v3, 0x7c, v0
	v_and_b32_e32 v1, 3, v0
	s_delay_alu instid0(VALU_DEP_2) | instskip(SKIP_1) | instid1(SALU_CYCLE_1)
	v_cmp_ne_u32_e32 vcc_lo, 0x7c, v3
                                        ; implicit-def: $vgpr3
	s_and_saveexec_b32 s15, vcc_lo
	s_xor_b32 s15, exec_lo, s15
	s_cbranch_execz .LBB6_28724
; %bb.28721:                            ;   in Loop: Header=BB6_27928 Depth=3
	v_and_b32_e32 v3, 0xff, v0
	s_mov_b32 s75, exec_lo
	s_delay_alu instid0(VALU_DEP_1) | instskip(NEXT) | instid1(VALU_DEP_1)
	v_bfe_u32 v3, v3, 2, 5
	v_cmpx_eq_u32_e32 0, v3
	s_cbranch_execz .LBB6_28723
; %bb.28722:                            ;   in Loop: Header=BB6_27928 Depth=3
	v_clz_i32_u32_e32 v1, v1
	s_delay_alu instid0(VALU_DEP_1) | instskip(SKIP_1) | instid1(VALU_DEP_2)
	v_min_u32_e32 v3, 32, v1
	v_mov_b32_e32 v1, v113
	v_subrev_nc_u32_e32 v4, 29, v3
	v_sub_nc_u32_e32 v3, 30, v3
	s_delay_alu instid0(VALU_DEP_2) | instskip(NEXT) | instid1(VALU_DEP_1)
	v_lshlrev_b64_e32 v[4:5], v4, v[0:1]
	v_and_b32_e32 v1, 3, v4
.LBB6_28723:                            ;   in Loop: Header=BB6_27928 Depth=3
	s_or_b32 exec_lo, exec_lo, s75
	v_bfe_i32 v0, v0, 0, 16
	s_delay_alu instid0(VALU_DEP_1) | instskip(NEXT) | instid1(VALU_DEP_1)
	v_and_b32_e32 v0, 0x80000000, v0
	v_lshl_add_u32 v0, v3, 23, v0
	s_delay_alu instid0(VALU_DEP_1) | instskip(NEXT) | instid1(VALU_DEP_1)
	v_lshl_or_b32 v0, v1, 21, v0
                                        ; implicit-def: $vgpr1
	v_add_nc_u32_e32 v3, 0x38000000, v0
                                        ; implicit-def: $vgpr0
.LBB6_28724:                            ;   in Loop: Header=BB6_27928 Depth=3
	s_and_not1_saveexec_b32 s15, s15
; %bb.28725:                            ;   in Loop: Header=BB6_27928 Depth=3
	v_cmp_lt_i16_e32 vcc_lo, -1, v0
	v_mov_b32_e32 v0, 0x7f800000
	s_delay_alu instid0(VALU_DEP_1) | instskip(SKIP_1) | instid1(VALU_DEP_2)
	v_cndmask_b32_e32 v0, 0xff800000, v0, vcc_lo
	v_cmp_eq_u32_e32 vcc_lo, 0, v1
	v_cndmask_b32_e32 v3, 0x7f800001, v0, vcc_lo
; %bb.28726:                            ;   in Loop: Header=BB6_27928 Depth=3
	s_or_b32 exec_lo, exec_lo, s15
.LBB6_28727:                            ;   in Loop: Header=BB6_27928 Depth=3
	s_delay_alu instid0(SALU_CYCLE_1)
	s_or_b32 exec_lo, exec_lo, s14
.LBB6_28728:                            ;   in Loop: Header=BB6_27928 Depth=3
	s_delay_alu instid0(SALU_CYCLE_1) | instskip(NEXT) | instid1(VALU_DEP_1)
	s_or_b32 exec_lo, exec_lo, s13
	v_dual_mul_f32 v4, s74, v3 :: v_dual_mov_b32 v1, v113
                                        ; implicit-def: $vgpr74
	s_delay_alu instid0(VALU_DEP_1) | instskip(NEXT) | instid1(VALU_DEP_1)
	v_and_b32_e32 v0, 0x7f800000, v4
	v_cmp_ne_u64_e32 vcc_lo, 0x7f800000, v[0:1]
	v_and_b32_e32 v0, 0x7fffff, v4
	s_and_saveexec_b32 s13, vcc_lo
	s_delay_alu instid0(SALU_CYCLE_1)
	s_xor_b32 s14, exec_lo, s13
	s_cbranch_execz .LBB6_28746
; %bb.28729:                            ;   in Loop: Header=BB6_27928 Depth=3
	v_dual_mov_b32 v7, v113 :: v_dual_lshrrev_b32 v3, 24, v4
	v_and_b32_e32 v6, 0x7fffffff, v4
                                        ; implicit-def: $vgpr74
	s_mov_b32 s13, exec_lo
	s_delay_alu instid0(VALU_DEP_2) | instskip(NEXT) | instid1(VALU_DEP_2)
	v_and_b32_e32 v3, 0x80, v3
	v_cmpx_gt_u64_e32 0x47600001, v[6:7]
	s_xor_b32 s15, exec_lo, s13
	s_cbranch_execz .LBB6_28743
; %bb.28730:                            ;   in Loop: Header=BB6_27928 Depth=3
	v_mov_b32_e32 v74, 0
	s_mov_b32 s75, exec_lo
	v_cmpx_ne_u32_e32 0, v4
	s_cbranch_execz .LBB6_28742
; %bb.28731:                            ;   in Loop: Header=BB6_27928 Depth=3
	v_bfe_u32 v6, v4, 23, 8
	v_or_b32_e32 v14, 0x800000, v0
	s_delay_alu instid0(VALU_DEP_2) | instskip(SKIP_1) | instid1(VALU_DEP_2)
	v_sub_nc_u32_e32 v4, 0x71, v6
	v_cmp_gt_u32_e32 vcc_lo, 0x72, v6
	v_cndmask_b32_e32 v4, 0, v4, vcc_lo
	v_cmp_eq_u32_e32 vcc_lo, 0, v6
	s_delay_alu instid0(VALU_DEP_2) | instskip(NEXT) | instid1(VALU_DEP_1)
	v_cndmask_b32_e64 v7, v4, 0x70, vcc_lo
	v_dual_cndmask_b32 v0, v14, v0, vcc_lo :: v_dual_add_nc_u32 v4, 21, v7
	v_add_nc_u32_e32 v15, 20, v7
	s_delay_alu instid0(VALU_DEP_2) | instskip(NEXT) | instid1(VALU_DEP_2)
	v_lshlrev_b64_e64 v[4:5], v4, -1
	v_lshlrev_b64_e64 v[14:15], v15, 1
	s_delay_alu instid0(VALU_DEP_2) | instskip(SKIP_1) | instid1(VALU_DEP_4)
	v_bfi_b32 v4, v4, 0, v0
	v_lshrrev_b64 v[0:1], v7, v[0:1]
	v_bfi_b32 v5, v5, 0, 0
	s_delay_alu instid0(VALU_DEP_1) | instskip(NEXT) | instid1(VALU_DEP_3)
	v_cmp_eq_u64_e64 s13, v[4:5], v[14:15]
	v_mov_b64_e32 v[4:5], v[0:1]
	s_and_saveexec_b32 s76, s13
; %bb.28732:                            ;   in Loop: Header=BB6_27928 Depth=3
	v_bfe_u32 v4, v0, 21, 1
	v_mov_b32_e32 v5, v113
	s_delay_alu instid0(VALU_DEP_1) | instskip(NEXT) | instid1(VALU_DEP_1)
	v_add_nc_u64_e32 v[4:5], v[0:1], v[4:5]
	v_add_nc_u64_e32 v[4:5], -1, v[4:5]
; %bb.28733:                            ;   in Loop: Header=BB6_27928 Depth=3
	s_or_b32 exec_lo, exec_lo, s76
	v_add_nc_u32_e32 v1, 0xffffff81, v6
	v_lshrrev_b32_e32 v5, 23, v0
	s_mov_b32 s13, exec_lo
	s_delay_alu instid0(VALU_DEP_2) | instskip(NEXT) | instid1(VALU_DEP_1)
	v_cndmask_b32_e64 v1, v1, 0xffffff82, vcc_lo
	v_add3_u32 v5, v7, v1, v5
	v_and_b32_e32 v1, 0x1fffff, v4
                                        ; implicit-def: $vgpr4
	s_delay_alu instid0(VALU_DEP_1) | instskip(SKIP_1) | instid1(VALU_DEP_2)
	v_dual_add_nc_u32 v6, 14, v5 :: v_dual_add_nc_u32 v0, v1, v0
	v_mov_b32_e32 v1, v113
	v_cmpx_ne_u32_e32 0, v6
	s_xor_b32 s13, exec_lo, s13
; %bb.28734:                            ;   in Loop: Header=BB6_27928 Depth=3
	s_delay_alu instid0(VALU_DEP_2) | instskip(SKIP_2) | instid1(VALU_DEP_2)
	v_cmp_lt_u64_e32 vcc_lo, 0xffffff, v[0:1]
	v_add_nc_u32_e32 v4, 15, v5
	v_cndmask_b32_e64 v5, 0, 1, vcc_lo
	v_cndmask_b32_e32 v4, v6, v4, vcc_lo
	s_delay_alu instid0(VALU_DEP_2)
	v_lshrrev_b64 v[0:1], v5, v[0:1]
; %bb.28735:                            ;   in Loop: Header=BB6_27928 Depth=3
	s_and_not1_saveexec_b32 s13, s13
; %bb.28736:                            ;   in Loop: Header=BB6_27928 Depth=3
	s_delay_alu instid0(VALU_DEP_1)
	v_bfe_u32 v4, v0, 23, 1
; %bb.28737:                            ;   in Loop: Header=BB6_27928 Depth=3
	s_or_b32 exec_lo, exec_lo, s13
	s_delay_alu instid0(VALU_DEP_2) | instskip(NEXT) | instid1(VALU_DEP_2)
	v_lshrrev_b64 v[0:1], 21, v[0:1]
	v_cmp_gt_i32_e32 vcc_lo, 32, v4
	v_cmp_ne_u32_e64 s13, 0, v4
                                        ; implicit-def: $vgpr74
	s_delay_alu instid0(VALU_DEP_3) | instskip(NEXT) | instid1(VALU_DEP_1)
	v_dual_cndmask_b32 v1, 0, v1 :: v_dual_cndmask_b32 v0, 3, v0
	v_cmp_ne_u64_e32 vcc_lo, 0, v[0:1]
	s_or_b32 s13, s13, vcc_lo
	s_delay_alu instid0(SALU_CYCLE_1) | instskip(NEXT) | instid1(SALU_CYCLE_1)
	s_and_saveexec_b32 s76, s13
	s_xor_b32 s13, exec_lo, s76
; %bb.28738:                            ;   in Loop: Header=BB6_27928 Depth=3
	v_min_i32_e32 v1, 31, v4
	s_delay_alu instid0(VALU_DEP_1) | instskip(NEXT) | instid1(VALU_DEP_1)
	v_lshl_or_b32 v1, v1, 2, v3
                                        ; implicit-def: $vgpr3
	v_and_or_b32 v74, v0, 3, v1
; %bb.28739:                            ;   in Loop: Header=BB6_27928 Depth=3
	s_and_not1_saveexec_b32 s13, s13
; %bb.28740:                            ;   in Loop: Header=BB6_27928 Depth=3
	v_mov_b32_e32 v74, v3
; %bb.28741:                            ;   in Loop: Header=BB6_27928 Depth=3
	s_or_b32 exec_lo, exec_lo, s13
.LBB6_28742:                            ;   in Loop: Header=BB6_27928 Depth=3
	s_delay_alu instid0(SALU_CYCLE_1)
	s_or_b32 exec_lo, exec_lo, s75
                                        ; implicit-def: $vgpr3
.LBB6_28743:                            ;   in Loop: Header=BB6_27928 Depth=3
	s_and_not1_saveexec_b32 s13, s15
; %bb.28744:                            ;   in Loop: Header=BB6_27928 Depth=3
	v_or_b32_e32 v74, 0x7b, v3
; %bb.28745:                            ;   in Loop: Header=BB6_27928 Depth=3
	s_or_b32 exec_lo, exec_lo, s13
                                        ; implicit-def: $vgpr4
                                        ; implicit-def: $vgpr0_vgpr1
.LBB6_28746:                            ;   in Loop: Header=BB6_27928 Depth=3
	s_and_not1_saveexec_b32 s13, s14
	s_cbranch_execz .LBB6_28752
; %bb.28747:                            ;   in Loop: Header=BB6_27928 Depth=3
	s_mov_b32 s14, exec_lo
                                        ; implicit-def: $vgpr74
	v_cmpx_ne_u64_e32 0, v[0:1]
	s_xor_b32 s14, exec_lo, s14
; %bb.28748:                            ;   in Loop: Header=BB6_27928 Depth=3
	v_lshrrev_b32_e32 v0, 24, v4
                                        ; implicit-def: $vgpr4
	s_delay_alu instid0(VALU_DEP_1)
	v_or_b32_e32 v74, 0x7f, v0
; %bb.28749:                            ;   in Loop: Header=BB6_27928 Depth=3
	s_and_not1_saveexec_b32 s14, s14
; %bb.28750:                            ;   in Loop: Header=BB6_27928 Depth=3
	v_cmp_lt_i32_e32 vcc_lo, -1, v4
	v_cndmask_b32_e64 v74, -4, 0x7c, vcc_lo
; %bb.28751:                            ;   in Loop: Header=BB6_27928 Depth=3
	s_or_b32 exec_lo, exec_lo, s14
.LBB6_28752:                            ;   in Loop: Header=BB6_27928 Depth=3
	s_delay_alu instid0(SALU_CYCLE_1)
	s_or_b32 exec_lo, exec_lo, s13
	flat_load_i8 v0, v[8:9] offset:768 th:TH_LOAD_NT
	v_mov_b32_e32 v3, 0
	s_mov_b32 s13, exec_lo
	s_wait_loadcnt_dscnt 0x0
	s_wait_xcnt 0x0
	v_cmpx_ne_u16_e32 0, v0
	s_cbranch_execz .LBB6_28762
; %bb.28753:                            ;   in Loop: Header=BB6_27928 Depth=3
	v_bfrev_b32_e32 v3, 1
	s_mov_b32 s14, exec_lo
	v_cmpx_ne_u16_e32 0xff80, v0
	s_cbranch_execz .LBB6_28761
; %bb.28754:                            ;   in Loop: Header=BB6_27928 Depth=3
	v_and_b32_e32 v3, 0x7c, v0
	v_and_b32_e32 v1, 3, v0
	s_delay_alu instid0(VALU_DEP_2) | instskip(SKIP_1) | instid1(SALU_CYCLE_1)
	v_cmp_ne_u32_e32 vcc_lo, 0x7c, v3
                                        ; implicit-def: $vgpr3
	s_and_saveexec_b32 s15, vcc_lo
	s_xor_b32 s15, exec_lo, s15
	s_cbranch_execz .LBB6_28758
; %bb.28755:                            ;   in Loop: Header=BB6_27928 Depth=3
	v_and_b32_e32 v3, 0xff, v0
	s_mov_b32 s75, exec_lo
	s_delay_alu instid0(VALU_DEP_1) | instskip(NEXT) | instid1(VALU_DEP_1)
	v_bfe_u32 v3, v3, 2, 5
	v_cmpx_eq_u32_e32 0, v3
	s_cbranch_execz .LBB6_28757
; %bb.28756:                            ;   in Loop: Header=BB6_27928 Depth=3
	v_clz_i32_u32_e32 v1, v1
	s_delay_alu instid0(VALU_DEP_1) | instskip(SKIP_1) | instid1(VALU_DEP_2)
	v_min_u32_e32 v3, 32, v1
	v_mov_b32_e32 v1, v113
	v_subrev_nc_u32_e32 v4, 29, v3
	v_sub_nc_u32_e32 v3, 30, v3
	s_delay_alu instid0(VALU_DEP_2) | instskip(NEXT) | instid1(VALU_DEP_1)
	v_lshlrev_b64_e32 v[4:5], v4, v[0:1]
	v_and_b32_e32 v1, 3, v4
.LBB6_28757:                            ;   in Loop: Header=BB6_27928 Depth=3
	s_or_b32 exec_lo, exec_lo, s75
	v_bfe_i32 v0, v0, 0, 16
	s_delay_alu instid0(VALU_DEP_1) | instskip(NEXT) | instid1(VALU_DEP_1)
	v_and_b32_e32 v0, 0x80000000, v0
	v_lshl_add_u32 v0, v3, 23, v0
	s_delay_alu instid0(VALU_DEP_1) | instskip(NEXT) | instid1(VALU_DEP_1)
	v_lshl_or_b32 v0, v1, 21, v0
                                        ; implicit-def: $vgpr1
	v_add_nc_u32_e32 v3, 0x38000000, v0
                                        ; implicit-def: $vgpr0
.LBB6_28758:                            ;   in Loop: Header=BB6_27928 Depth=3
	s_and_not1_saveexec_b32 s15, s15
; %bb.28759:                            ;   in Loop: Header=BB6_27928 Depth=3
	v_cmp_lt_i16_e32 vcc_lo, -1, v0
	v_mov_b32_e32 v0, 0x7f800000
	s_delay_alu instid0(VALU_DEP_1) | instskip(SKIP_1) | instid1(VALU_DEP_2)
	v_cndmask_b32_e32 v0, 0xff800000, v0, vcc_lo
	v_cmp_eq_u32_e32 vcc_lo, 0, v1
	v_cndmask_b32_e32 v3, 0x7f800001, v0, vcc_lo
; %bb.28760:                            ;   in Loop: Header=BB6_27928 Depth=3
	s_or_b32 exec_lo, exec_lo, s15
.LBB6_28761:                            ;   in Loop: Header=BB6_27928 Depth=3
	s_delay_alu instid0(SALU_CYCLE_1)
	s_or_b32 exec_lo, exec_lo, s14
.LBB6_28762:                            ;   in Loop: Header=BB6_27928 Depth=3
	s_delay_alu instid0(SALU_CYCLE_1) | instskip(NEXT) | instid1(VALU_DEP_1)
	s_or_b32 exec_lo, exec_lo, s13
	v_dual_mul_f32 v4, s74, v3 :: v_dual_mov_b32 v1, v113
                                        ; implicit-def: $vgpr72
	s_delay_alu instid0(VALU_DEP_1) | instskip(NEXT) | instid1(VALU_DEP_1)
	v_and_b32_e32 v0, 0x7f800000, v4
	v_cmp_ne_u64_e32 vcc_lo, 0x7f800000, v[0:1]
	v_and_b32_e32 v0, 0x7fffff, v4
	s_and_saveexec_b32 s13, vcc_lo
	s_delay_alu instid0(SALU_CYCLE_1)
	s_xor_b32 s14, exec_lo, s13
	s_cbranch_execz .LBB6_28780
; %bb.28763:                            ;   in Loop: Header=BB6_27928 Depth=3
	v_dual_mov_b32 v7, v113 :: v_dual_lshrrev_b32 v3, 24, v4
	v_and_b32_e32 v6, 0x7fffffff, v4
                                        ; implicit-def: $vgpr72
	s_mov_b32 s13, exec_lo
	s_delay_alu instid0(VALU_DEP_2) | instskip(NEXT) | instid1(VALU_DEP_2)
	v_and_b32_e32 v3, 0x80, v3
	v_cmpx_gt_u64_e32 0x47600001, v[6:7]
	s_xor_b32 s15, exec_lo, s13
	s_cbranch_execz .LBB6_28777
; %bb.28764:                            ;   in Loop: Header=BB6_27928 Depth=3
	v_mov_b32_e32 v72, 0
	s_mov_b32 s75, exec_lo
	v_cmpx_ne_u32_e32 0, v4
	s_cbranch_execz .LBB6_28776
; %bb.28765:                            ;   in Loop: Header=BB6_27928 Depth=3
	v_bfe_u32 v6, v4, 23, 8
	v_or_b32_e32 v14, 0x800000, v0
	s_delay_alu instid0(VALU_DEP_2) | instskip(SKIP_1) | instid1(VALU_DEP_2)
	v_sub_nc_u32_e32 v4, 0x71, v6
	v_cmp_gt_u32_e32 vcc_lo, 0x72, v6
	v_cndmask_b32_e32 v4, 0, v4, vcc_lo
	v_cmp_eq_u32_e32 vcc_lo, 0, v6
	s_delay_alu instid0(VALU_DEP_2) | instskip(NEXT) | instid1(VALU_DEP_1)
	v_cndmask_b32_e64 v7, v4, 0x70, vcc_lo
	v_dual_cndmask_b32 v0, v14, v0, vcc_lo :: v_dual_add_nc_u32 v4, 21, v7
	v_add_nc_u32_e32 v15, 20, v7
	s_delay_alu instid0(VALU_DEP_2) | instskip(NEXT) | instid1(VALU_DEP_2)
	v_lshlrev_b64_e64 v[4:5], v4, -1
	v_lshlrev_b64_e64 v[14:15], v15, 1
	s_delay_alu instid0(VALU_DEP_2) | instskip(SKIP_1) | instid1(VALU_DEP_4)
	v_bfi_b32 v4, v4, 0, v0
	v_lshrrev_b64 v[0:1], v7, v[0:1]
	v_bfi_b32 v5, v5, 0, 0
	s_delay_alu instid0(VALU_DEP_1) | instskip(NEXT) | instid1(VALU_DEP_3)
	v_cmp_eq_u64_e64 s13, v[4:5], v[14:15]
	v_mov_b64_e32 v[4:5], v[0:1]
	s_and_saveexec_b32 s76, s13
; %bb.28766:                            ;   in Loop: Header=BB6_27928 Depth=3
	v_bfe_u32 v4, v0, 21, 1
	v_mov_b32_e32 v5, v113
	s_delay_alu instid0(VALU_DEP_1) | instskip(NEXT) | instid1(VALU_DEP_1)
	v_add_nc_u64_e32 v[4:5], v[0:1], v[4:5]
	v_add_nc_u64_e32 v[4:5], -1, v[4:5]
; %bb.28767:                            ;   in Loop: Header=BB6_27928 Depth=3
	s_or_b32 exec_lo, exec_lo, s76
	v_add_nc_u32_e32 v1, 0xffffff81, v6
	v_lshrrev_b32_e32 v5, 23, v0
	s_mov_b32 s13, exec_lo
	s_delay_alu instid0(VALU_DEP_2) | instskip(NEXT) | instid1(VALU_DEP_1)
	v_cndmask_b32_e64 v1, v1, 0xffffff82, vcc_lo
	v_add3_u32 v5, v7, v1, v5
	v_and_b32_e32 v1, 0x1fffff, v4
                                        ; implicit-def: $vgpr4
	s_delay_alu instid0(VALU_DEP_1) | instskip(SKIP_1) | instid1(VALU_DEP_2)
	v_dual_add_nc_u32 v6, 14, v5 :: v_dual_add_nc_u32 v0, v1, v0
	v_mov_b32_e32 v1, v113
	v_cmpx_ne_u32_e32 0, v6
	s_xor_b32 s13, exec_lo, s13
; %bb.28768:                            ;   in Loop: Header=BB6_27928 Depth=3
	s_delay_alu instid0(VALU_DEP_2) | instskip(SKIP_2) | instid1(VALU_DEP_2)
	v_cmp_lt_u64_e32 vcc_lo, 0xffffff, v[0:1]
	v_add_nc_u32_e32 v4, 15, v5
	v_cndmask_b32_e64 v5, 0, 1, vcc_lo
	v_cndmask_b32_e32 v4, v6, v4, vcc_lo
	s_delay_alu instid0(VALU_DEP_2)
	v_lshrrev_b64 v[0:1], v5, v[0:1]
; %bb.28769:                            ;   in Loop: Header=BB6_27928 Depth=3
	s_and_not1_saveexec_b32 s13, s13
; %bb.28770:                            ;   in Loop: Header=BB6_27928 Depth=3
	s_delay_alu instid0(VALU_DEP_1)
	v_bfe_u32 v4, v0, 23, 1
; %bb.28771:                            ;   in Loop: Header=BB6_27928 Depth=3
	s_or_b32 exec_lo, exec_lo, s13
	s_delay_alu instid0(VALU_DEP_2) | instskip(NEXT) | instid1(VALU_DEP_2)
	v_lshrrev_b64 v[0:1], 21, v[0:1]
	v_cmp_gt_i32_e32 vcc_lo, 32, v4
	v_cmp_ne_u32_e64 s13, 0, v4
                                        ; implicit-def: $vgpr72
	s_delay_alu instid0(VALU_DEP_3) | instskip(NEXT) | instid1(VALU_DEP_1)
	v_dual_cndmask_b32 v1, 0, v1 :: v_dual_cndmask_b32 v0, 3, v0
	v_cmp_ne_u64_e32 vcc_lo, 0, v[0:1]
	s_or_b32 s13, s13, vcc_lo
	s_delay_alu instid0(SALU_CYCLE_1) | instskip(NEXT) | instid1(SALU_CYCLE_1)
	s_and_saveexec_b32 s76, s13
	s_xor_b32 s13, exec_lo, s76
; %bb.28772:                            ;   in Loop: Header=BB6_27928 Depth=3
	v_min_i32_e32 v1, 31, v4
	s_delay_alu instid0(VALU_DEP_1) | instskip(NEXT) | instid1(VALU_DEP_1)
	v_lshl_or_b32 v1, v1, 2, v3
                                        ; implicit-def: $vgpr3
	v_and_or_b32 v72, v0, 3, v1
; %bb.28773:                            ;   in Loop: Header=BB6_27928 Depth=3
	s_and_not1_saveexec_b32 s13, s13
; %bb.28774:                            ;   in Loop: Header=BB6_27928 Depth=3
	v_mov_b32_e32 v72, v3
; %bb.28775:                            ;   in Loop: Header=BB6_27928 Depth=3
	s_or_b32 exec_lo, exec_lo, s13
.LBB6_28776:                            ;   in Loop: Header=BB6_27928 Depth=3
	s_delay_alu instid0(SALU_CYCLE_1)
	s_or_b32 exec_lo, exec_lo, s75
                                        ; implicit-def: $vgpr3
.LBB6_28777:                            ;   in Loop: Header=BB6_27928 Depth=3
	s_and_not1_saveexec_b32 s13, s15
; %bb.28778:                            ;   in Loop: Header=BB6_27928 Depth=3
	v_or_b32_e32 v72, 0x7b, v3
; %bb.28779:                            ;   in Loop: Header=BB6_27928 Depth=3
	s_or_b32 exec_lo, exec_lo, s13
                                        ; implicit-def: $vgpr4
                                        ; implicit-def: $vgpr0_vgpr1
.LBB6_28780:                            ;   in Loop: Header=BB6_27928 Depth=3
	s_and_not1_saveexec_b32 s13, s14
	s_cbranch_execz .LBB6_28786
; %bb.28781:                            ;   in Loop: Header=BB6_27928 Depth=3
	s_mov_b32 s14, exec_lo
                                        ; implicit-def: $vgpr72
	v_cmpx_ne_u64_e32 0, v[0:1]
	s_xor_b32 s14, exec_lo, s14
; %bb.28782:                            ;   in Loop: Header=BB6_27928 Depth=3
	v_lshrrev_b32_e32 v0, 24, v4
                                        ; implicit-def: $vgpr4
	s_delay_alu instid0(VALU_DEP_1)
	v_or_b32_e32 v72, 0x7f, v0
; %bb.28783:                            ;   in Loop: Header=BB6_27928 Depth=3
	s_and_not1_saveexec_b32 s14, s14
; %bb.28784:                            ;   in Loop: Header=BB6_27928 Depth=3
	v_cmp_lt_i32_e32 vcc_lo, -1, v4
	v_cndmask_b32_e64 v72, -4, 0x7c, vcc_lo
; %bb.28785:                            ;   in Loop: Header=BB6_27928 Depth=3
	s_or_b32 exec_lo, exec_lo, s14
.LBB6_28786:                            ;   in Loop: Header=BB6_27928 Depth=3
	s_delay_alu instid0(SALU_CYCLE_1)
	s_or_b32 exec_lo, exec_lo, s13
	flat_load_i8 v0, v[8:9] offset:800 th:TH_LOAD_NT
	v_mov_b32_e32 v3, 0
	s_mov_b32 s13, exec_lo
	s_wait_loadcnt_dscnt 0x0
	s_wait_xcnt 0x0
	v_cmpx_ne_u16_e32 0, v0
	s_cbranch_execz .LBB6_28796
; %bb.28787:                            ;   in Loop: Header=BB6_27928 Depth=3
	v_bfrev_b32_e32 v3, 1
	s_mov_b32 s14, exec_lo
	v_cmpx_ne_u16_e32 0xff80, v0
	s_cbranch_execz .LBB6_28795
; %bb.28788:                            ;   in Loop: Header=BB6_27928 Depth=3
	v_and_b32_e32 v3, 0x7c, v0
	v_and_b32_e32 v1, 3, v0
	s_delay_alu instid0(VALU_DEP_2) | instskip(SKIP_1) | instid1(SALU_CYCLE_1)
	v_cmp_ne_u32_e32 vcc_lo, 0x7c, v3
                                        ; implicit-def: $vgpr3
	s_and_saveexec_b32 s15, vcc_lo
	s_xor_b32 s15, exec_lo, s15
	s_cbranch_execz .LBB6_28792
; %bb.28789:                            ;   in Loop: Header=BB6_27928 Depth=3
	v_and_b32_e32 v3, 0xff, v0
	s_mov_b32 s75, exec_lo
	s_delay_alu instid0(VALU_DEP_1) | instskip(NEXT) | instid1(VALU_DEP_1)
	v_bfe_u32 v3, v3, 2, 5
	v_cmpx_eq_u32_e32 0, v3
	s_cbranch_execz .LBB6_28791
; %bb.28790:                            ;   in Loop: Header=BB6_27928 Depth=3
	v_clz_i32_u32_e32 v1, v1
	s_delay_alu instid0(VALU_DEP_1) | instskip(SKIP_1) | instid1(VALU_DEP_2)
	v_min_u32_e32 v3, 32, v1
	v_mov_b32_e32 v1, v113
	v_subrev_nc_u32_e32 v4, 29, v3
	v_sub_nc_u32_e32 v3, 30, v3
	s_delay_alu instid0(VALU_DEP_2) | instskip(NEXT) | instid1(VALU_DEP_1)
	v_lshlrev_b64_e32 v[4:5], v4, v[0:1]
	v_and_b32_e32 v1, 3, v4
.LBB6_28791:                            ;   in Loop: Header=BB6_27928 Depth=3
	s_or_b32 exec_lo, exec_lo, s75
	v_bfe_i32 v0, v0, 0, 16
	s_delay_alu instid0(VALU_DEP_1) | instskip(NEXT) | instid1(VALU_DEP_1)
	v_and_b32_e32 v0, 0x80000000, v0
	v_lshl_add_u32 v0, v3, 23, v0
	s_delay_alu instid0(VALU_DEP_1) | instskip(NEXT) | instid1(VALU_DEP_1)
	v_lshl_or_b32 v0, v1, 21, v0
                                        ; implicit-def: $vgpr1
	v_add_nc_u32_e32 v3, 0x38000000, v0
                                        ; implicit-def: $vgpr0
.LBB6_28792:                            ;   in Loop: Header=BB6_27928 Depth=3
	s_and_not1_saveexec_b32 s15, s15
; %bb.28793:                            ;   in Loop: Header=BB6_27928 Depth=3
	v_cmp_lt_i16_e32 vcc_lo, -1, v0
	v_mov_b32_e32 v0, 0x7f800000
	s_delay_alu instid0(VALU_DEP_1) | instskip(SKIP_1) | instid1(VALU_DEP_2)
	v_cndmask_b32_e32 v0, 0xff800000, v0, vcc_lo
	v_cmp_eq_u32_e32 vcc_lo, 0, v1
	v_cndmask_b32_e32 v3, 0x7f800001, v0, vcc_lo
; %bb.28794:                            ;   in Loop: Header=BB6_27928 Depth=3
	s_or_b32 exec_lo, exec_lo, s15
.LBB6_28795:                            ;   in Loop: Header=BB6_27928 Depth=3
	s_delay_alu instid0(SALU_CYCLE_1)
	s_or_b32 exec_lo, exec_lo, s14
.LBB6_28796:                            ;   in Loop: Header=BB6_27928 Depth=3
	s_delay_alu instid0(SALU_CYCLE_1) | instskip(NEXT) | instid1(VALU_DEP_1)
	s_or_b32 exec_lo, exec_lo, s13
	v_dual_mul_f32 v4, s74, v3 :: v_dual_mov_b32 v1, v113
                                        ; implicit-def: $vgpr6
	scratch_store_b64 off, v[6:7], s33 offset:256 ; 8-byte Folded Spill
	v_and_b32_e32 v0, 0x7f800000, v4
	s_delay_alu instid0(VALU_DEP_1) | instskip(SKIP_3) | instid1(SALU_CYCLE_1)
	v_cmp_ne_u64_e32 vcc_lo, 0x7f800000, v[0:1]
	v_and_b32_e32 v0, 0x7fffff, v4
	s_wait_xcnt 0x0
	s_and_saveexec_b32 s13, vcc_lo
	s_xor_b32 s14, exec_lo, s13
	s_cbranch_execz .LBB6_28814
; %bb.28797:                            ;   in Loop: Header=BB6_27928 Depth=3
	v_and_b32_e32 v6, 0x7fffffff, v4
	v_dual_mov_b32 v7, v113 :: v_dual_lshrrev_b32 v3, 24, v4
	s_delay_alu instid0(VALU_DEP_1) | instskip(NEXT) | instid1(VALU_DEP_2)
	v_cmp_gt_u64_e32 vcc_lo, 0x47600001, v[6:7]
	v_and_b32_e32 v3, 0x80, v3
                                        ; implicit-def: $vgpr6
	scratch_store_b64 off, v[6:7], s33 offset:256 ; 8-byte Folded Spill
	s_wait_xcnt 0x0
	s_and_saveexec_b32 s13, vcc_lo
	s_delay_alu instid0(SALU_CYCLE_1)
	s_xor_b32 s15, exec_lo, s13
	s_cbranch_execz .LBB6_28811
; %bb.28798:                            ;   in Loop: Header=BB6_27928 Depth=3
	v_mov_b32_e32 v6, 0
	s_mov_b32 s75, exec_lo
	scratch_store_b64 off, v[6:7], s33 offset:256 ; 8-byte Folded Spill
	s_wait_xcnt 0x0
	v_cmpx_ne_u32_e32 0, v4
	s_cbranch_execz .LBB6_28810
; %bb.28799:                            ;   in Loop: Header=BB6_27928 Depth=3
	v_bfe_u32 v6, v4, 23, 8
	v_or_b32_e32 v14, 0x800000, v0
	s_delay_alu instid0(VALU_DEP_2) | instskip(SKIP_1) | instid1(VALU_DEP_2)
	v_sub_nc_u32_e32 v4, 0x71, v6
	v_cmp_gt_u32_e32 vcc_lo, 0x72, v6
	v_cndmask_b32_e32 v4, 0, v4, vcc_lo
	v_cmp_eq_u32_e32 vcc_lo, 0, v6
	s_delay_alu instid0(VALU_DEP_2) | instskip(NEXT) | instid1(VALU_DEP_1)
	v_cndmask_b32_e64 v7, v4, 0x70, vcc_lo
	v_dual_cndmask_b32 v0, v14, v0, vcc_lo :: v_dual_add_nc_u32 v4, 21, v7
	v_add_nc_u32_e32 v15, 20, v7
	s_delay_alu instid0(VALU_DEP_2) | instskip(NEXT) | instid1(VALU_DEP_2)
	v_lshlrev_b64_e64 v[4:5], v4, -1
	v_lshlrev_b64_e64 v[14:15], v15, 1
	s_delay_alu instid0(VALU_DEP_2) | instskip(SKIP_1) | instid1(VALU_DEP_4)
	v_bfi_b32 v4, v4, 0, v0
	v_lshrrev_b64 v[0:1], v7, v[0:1]
	v_bfi_b32 v5, v5, 0, 0
	s_delay_alu instid0(VALU_DEP_1) | instskip(NEXT) | instid1(VALU_DEP_3)
	v_cmp_eq_u64_e64 s13, v[4:5], v[14:15]
	v_mov_b64_e32 v[4:5], v[0:1]
	s_and_saveexec_b32 s76, s13
; %bb.28800:                            ;   in Loop: Header=BB6_27928 Depth=3
	v_bfe_u32 v4, v0, 21, 1
	v_mov_b32_e32 v5, v113
	s_delay_alu instid0(VALU_DEP_1) | instskip(NEXT) | instid1(VALU_DEP_1)
	v_add_nc_u64_e32 v[4:5], v[0:1], v[4:5]
	v_add_nc_u64_e32 v[4:5], -1, v[4:5]
; %bb.28801:                            ;   in Loop: Header=BB6_27928 Depth=3
	s_or_b32 exec_lo, exec_lo, s76
	v_add_nc_u32_e32 v1, 0xffffff81, v6
	v_lshrrev_b32_e32 v5, 23, v0
	s_mov_b32 s13, exec_lo
	s_delay_alu instid0(VALU_DEP_2) | instskip(NEXT) | instid1(VALU_DEP_1)
	v_cndmask_b32_e64 v1, v1, 0xffffff82, vcc_lo
	v_add3_u32 v5, v7, v1, v5
	v_and_b32_e32 v1, 0x1fffff, v4
                                        ; implicit-def: $vgpr4
	s_delay_alu instid0(VALU_DEP_1) | instskip(SKIP_1) | instid1(VALU_DEP_2)
	v_dual_add_nc_u32 v6, 14, v5 :: v_dual_add_nc_u32 v0, v1, v0
	v_mov_b32_e32 v1, v113
	v_cmpx_ne_u32_e32 0, v6
	s_xor_b32 s13, exec_lo, s13
; %bb.28802:                            ;   in Loop: Header=BB6_27928 Depth=3
	s_delay_alu instid0(VALU_DEP_2) | instskip(SKIP_2) | instid1(VALU_DEP_2)
	v_cmp_lt_u64_e32 vcc_lo, 0xffffff, v[0:1]
	v_add_nc_u32_e32 v4, 15, v5
	v_cndmask_b32_e64 v5, 0, 1, vcc_lo
	v_cndmask_b32_e32 v4, v6, v4, vcc_lo
	s_delay_alu instid0(VALU_DEP_2)
	v_lshrrev_b64 v[0:1], v5, v[0:1]
; %bb.28803:                            ;   in Loop: Header=BB6_27928 Depth=3
	s_and_not1_saveexec_b32 s13, s13
; %bb.28804:                            ;   in Loop: Header=BB6_27928 Depth=3
	s_delay_alu instid0(VALU_DEP_1)
	v_bfe_u32 v4, v0, 23, 1
; %bb.28805:                            ;   in Loop: Header=BB6_27928 Depth=3
	s_or_b32 exec_lo, exec_lo, s13
	s_delay_alu instid0(VALU_DEP_2) | instskip(NEXT) | instid1(VALU_DEP_2)
	v_lshrrev_b64 v[0:1], 21, v[0:1]
	v_cmp_gt_i32_e32 vcc_lo, 32, v4
	v_cmp_ne_u32_e64 s13, 0, v4
                                        ; implicit-def: $vgpr6
	scratch_store_b64 off, v[6:7], s33 offset:256 ; 8-byte Folded Spill
	v_dual_cndmask_b32 v1, 0, v1 :: v_dual_cndmask_b32 v0, 3, v0
	s_delay_alu instid0(VALU_DEP_1) | instskip(SKIP_3) | instid1(SALU_CYCLE_1)
	v_cmp_ne_u64_e32 vcc_lo, 0, v[0:1]
	s_or_b32 s13, s13, vcc_lo
	s_wait_xcnt 0x0
	s_and_saveexec_b32 s76, s13
	s_xor_b32 s13, exec_lo, s76
	s_cbranch_execz .LBB6_28807
; %bb.28806:                            ;   in Loop: Header=BB6_27928 Depth=3
	v_min_i32_e32 v1, 31, v4
	s_delay_alu instid0(VALU_DEP_1) | instskip(NEXT) | instid1(VALU_DEP_1)
	v_lshl_or_b32 v1, v1, 2, v3
                                        ; implicit-def: $vgpr3
	v_and_or_b32 v0, v0, 3, v1
	scratch_store_b64 off, v[0:1], s33 offset:256 ; 8-byte Folded Spill
.LBB6_28807:                            ;   in Loop: Header=BB6_27928 Depth=3
	s_wait_xcnt 0x0
	s_and_not1_saveexec_b32 s13, s13
	s_cbranch_execz .LBB6_28809
; %bb.28808:                            ;   in Loop: Header=BB6_27928 Depth=3
	v_mov_b32_e32 v0, v3
	scratch_store_b64 off, v[0:1], s33 offset:256 ; 8-byte Folded Spill
.LBB6_28809:                            ;   in Loop: Header=BB6_27928 Depth=3
	s_wait_xcnt 0x0
	s_or_b32 exec_lo, exec_lo, s13
.LBB6_28810:                            ;   in Loop: Header=BB6_27928 Depth=3
	s_delay_alu instid0(SALU_CYCLE_1)
	s_or_b32 exec_lo, exec_lo, s75
                                        ; implicit-def: $vgpr3
.LBB6_28811:                            ;   in Loop: Header=BB6_27928 Depth=3
	s_and_not1_saveexec_b32 s13, s15
	s_cbranch_execz .LBB6_28813
; %bb.28812:                            ;   in Loop: Header=BB6_27928 Depth=3
	v_or_b32_e32 v0, 0x7b, v3
	scratch_store_b64 off, v[0:1], s33 offset:256 ; 8-byte Folded Spill
.LBB6_28813:                            ;   in Loop: Header=BB6_27928 Depth=3
	s_wait_xcnt 0x0
	s_or_b32 exec_lo, exec_lo, s13
                                        ; implicit-def: $vgpr4
                                        ; implicit-def: $vgpr0_vgpr1
.LBB6_28814:                            ;   in Loop: Header=BB6_27928 Depth=3
	s_and_not1_saveexec_b32 s13, s14
	s_cbranch_execz .LBB6_28820
; %bb.28815:                            ;   in Loop: Header=BB6_27928 Depth=3
	v_cmp_ne_u64_e32 vcc_lo, 0, v[0:1]
                                        ; implicit-def: $vgpr0
	scratch_store_b64 off, v[0:1], s33 offset:256 ; 8-byte Folded Spill
	s_wait_xcnt 0x0
	s_and_saveexec_b32 s14, vcc_lo
	s_delay_alu instid0(SALU_CYCLE_1)
	s_xor_b32 s14, exec_lo, s14
	s_cbranch_execz .LBB6_28817
; %bb.28816:                            ;   in Loop: Header=BB6_27928 Depth=3
	v_lshrrev_b32_e32 v0, 24, v4
                                        ; implicit-def: $vgpr4
	s_delay_alu instid0(VALU_DEP_1)
	v_or_b32_e32 v0, 0x7f, v0
	scratch_store_b64 off, v[0:1], s33 offset:256 ; 8-byte Folded Spill
.LBB6_28817:                            ;   in Loop: Header=BB6_27928 Depth=3
	s_wait_xcnt 0x0
	s_and_not1_saveexec_b32 s14, s14
	s_cbranch_execz .LBB6_28819
; %bb.28818:                            ;   in Loop: Header=BB6_27928 Depth=3
	v_cmp_lt_i32_e32 vcc_lo, -1, v4
	v_cndmask_b32_e64 v0, -4, 0x7c, vcc_lo
	scratch_store_b64 off, v[0:1], s33 offset:256 ; 8-byte Folded Spill
.LBB6_28819:                            ;   in Loop: Header=BB6_27928 Depth=3
	s_wait_xcnt 0x0
	s_or_b32 exec_lo, exec_lo, s14
.LBB6_28820:                            ;   in Loop: Header=BB6_27928 Depth=3
	s_delay_alu instid0(SALU_CYCLE_1)
	s_or_b32 exec_lo, exec_lo, s13
	flat_load_i8 v0, v[8:9] offset:832 th:TH_LOAD_NT
	v_mov_b32_e32 v3, 0
	s_mov_b32 s13, exec_lo
	s_wait_loadcnt_dscnt 0x0
	s_wait_xcnt 0x0
	v_cmpx_ne_u16_e32 0, v0
	s_cbranch_execz .LBB6_28830
; %bb.28821:                            ;   in Loop: Header=BB6_27928 Depth=3
	v_bfrev_b32_e32 v3, 1
	s_mov_b32 s14, exec_lo
	v_cmpx_ne_u16_e32 0xff80, v0
	s_cbranch_execz .LBB6_28829
; %bb.28822:                            ;   in Loop: Header=BB6_27928 Depth=3
	v_and_b32_e32 v3, 0x7c, v0
	v_and_b32_e32 v1, 3, v0
	s_delay_alu instid0(VALU_DEP_2) | instskip(SKIP_1) | instid1(SALU_CYCLE_1)
	v_cmp_ne_u32_e32 vcc_lo, 0x7c, v3
                                        ; implicit-def: $vgpr3
	s_and_saveexec_b32 s15, vcc_lo
	s_xor_b32 s15, exec_lo, s15
	s_cbranch_execz .LBB6_28826
; %bb.28823:                            ;   in Loop: Header=BB6_27928 Depth=3
	v_and_b32_e32 v3, 0xff, v0
	s_mov_b32 s75, exec_lo
	s_delay_alu instid0(VALU_DEP_1) | instskip(NEXT) | instid1(VALU_DEP_1)
	v_bfe_u32 v3, v3, 2, 5
	v_cmpx_eq_u32_e32 0, v3
	s_cbranch_execz .LBB6_28825
; %bb.28824:                            ;   in Loop: Header=BB6_27928 Depth=3
	v_clz_i32_u32_e32 v1, v1
	s_delay_alu instid0(VALU_DEP_1) | instskip(SKIP_1) | instid1(VALU_DEP_2)
	v_min_u32_e32 v3, 32, v1
	v_mov_b32_e32 v1, v113
	v_subrev_nc_u32_e32 v4, 29, v3
	v_sub_nc_u32_e32 v3, 30, v3
	s_delay_alu instid0(VALU_DEP_2) | instskip(NEXT) | instid1(VALU_DEP_1)
	v_lshlrev_b64_e32 v[4:5], v4, v[0:1]
	v_and_b32_e32 v1, 3, v4
.LBB6_28825:                            ;   in Loop: Header=BB6_27928 Depth=3
	s_or_b32 exec_lo, exec_lo, s75
	v_bfe_i32 v0, v0, 0, 16
	s_delay_alu instid0(VALU_DEP_1) | instskip(NEXT) | instid1(VALU_DEP_1)
	v_and_b32_e32 v0, 0x80000000, v0
	v_lshl_add_u32 v0, v3, 23, v0
	s_delay_alu instid0(VALU_DEP_1) | instskip(NEXT) | instid1(VALU_DEP_1)
	v_lshl_or_b32 v0, v1, 21, v0
                                        ; implicit-def: $vgpr1
	v_add_nc_u32_e32 v3, 0x38000000, v0
                                        ; implicit-def: $vgpr0
.LBB6_28826:                            ;   in Loop: Header=BB6_27928 Depth=3
	s_and_not1_saveexec_b32 s15, s15
; %bb.28827:                            ;   in Loop: Header=BB6_27928 Depth=3
	v_cmp_lt_i16_e32 vcc_lo, -1, v0
	v_mov_b32_e32 v0, 0x7f800000
	s_delay_alu instid0(VALU_DEP_1) | instskip(SKIP_1) | instid1(VALU_DEP_2)
	v_cndmask_b32_e32 v0, 0xff800000, v0, vcc_lo
	v_cmp_eq_u32_e32 vcc_lo, 0, v1
	v_cndmask_b32_e32 v3, 0x7f800001, v0, vcc_lo
; %bb.28828:                            ;   in Loop: Header=BB6_27928 Depth=3
	s_or_b32 exec_lo, exec_lo, s15
.LBB6_28829:                            ;   in Loop: Header=BB6_27928 Depth=3
	s_delay_alu instid0(SALU_CYCLE_1)
	s_or_b32 exec_lo, exec_lo, s14
.LBB6_28830:                            ;   in Loop: Header=BB6_27928 Depth=3
	s_delay_alu instid0(SALU_CYCLE_1) | instskip(NEXT) | instid1(VALU_DEP_1)
	s_or_b32 exec_lo, exec_lo, s13
	v_dual_mul_f32 v4, s74, v3 :: v_dual_mov_b32 v1, v113
                                        ; implicit-def: $vgpr6
	scratch_store_b64 off, v[6:7], s33 offset:248 ; 8-byte Folded Spill
	v_and_b32_e32 v0, 0x7f800000, v4
	s_delay_alu instid0(VALU_DEP_1) | instskip(SKIP_3) | instid1(SALU_CYCLE_1)
	v_cmp_ne_u64_e32 vcc_lo, 0x7f800000, v[0:1]
	v_and_b32_e32 v0, 0x7fffff, v4
	s_wait_xcnt 0x0
	s_and_saveexec_b32 s13, vcc_lo
	s_xor_b32 s14, exec_lo, s13
	s_cbranch_execz .LBB6_28848
; %bb.28831:                            ;   in Loop: Header=BB6_27928 Depth=3
	v_and_b32_e32 v6, 0x7fffffff, v4
	v_dual_mov_b32 v7, v113 :: v_dual_lshrrev_b32 v3, 24, v4
	s_delay_alu instid0(VALU_DEP_1) | instskip(NEXT) | instid1(VALU_DEP_2)
	v_cmp_gt_u64_e32 vcc_lo, 0x47600001, v[6:7]
	v_and_b32_e32 v3, 0x80, v3
                                        ; implicit-def: $vgpr6
	scratch_store_b64 off, v[6:7], s33 offset:248 ; 8-byte Folded Spill
	s_wait_xcnt 0x0
	s_and_saveexec_b32 s13, vcc_lo
	s_delay_alu instid0(SALU_CYCLE_1)
	s_xor_b32 s15, exec_lo, s13
	s_cbranch_execz .LBB6_28845
; %bb.28832:                            ;   in Loop: Header=BB6_27928 Depth=3
	v_mov_b32_e32 v6, 0
	s_mov_b32 s75, exec_lo
	scratch_store_b64 off, v[6:7], s33 offset:248 ; 8-byte Folded Spill
	s_wait_xcnt 0x0
	v_cmpx_ne_u32_e32 0, v4
	s_cbranch_execz .LBB6_28844
; %bb.28833:                            ;   in Loop: Header=BB6_27928 Depth=3
	v_bfe_u32 v6, v4, 23, 8
	v_or_b32_e32 v5, 0x800000, v0
	s_delay_alu instid0(VALU_DEP_2) | instskip(SKIP_2) | instid1(VALU_DEP_2)
	v_cmp_gt_u32_e64 s13, 0x72, v6
	v_sub_nc_u32_e32 v4, 0x71, v6
	v_cmp_eq_u32_e32 vcc_lo, 0, v6
	v_cndmask_b32_e64 v4, 0, v4, s13
	s_delay_alu instid0(VALU_DEP_1) | instskip(NEXT) | instid1(VALU_DEP_1)
	v_cndmask_b32_e64 v7, v4, 0x70, vcc_lo
	v_dual_cndmask_b32 v0, v5, v0, vcc_lo :: v_dual_add_nc_u32 v4, 21, v7
	v_add_nc_u32_e32 v14, 20, v7
	s_delay_alu instid0(VALU_DEP_2) | instskip(NEXT) | instid1(VALU_DEP_2)
	v_lshlrev_b64_e64 v[4:5], v4, -1
	v_lshlrev_b64_e64 v[14:15], v14, 1
	s_delay_alu instid0(VALU_DEP_2) | instskip(SKIP_1) | instid1(VALU_DEP_4)
	v_bfi_b32 v4, v4, 0, v0
	v_lshrrev_b64 v[0:1], v7, v[0:1]
	v_bfi_b32 v5, v5, 0, 0
	s_delay_alu instid0(VALU_DEP_1) | instskip(NEXT) | instid1(VALU_DEP_3)
	v_cmp_eq_u64_e64 s13, v[4:5], v[14:15]
	v_mov_b64_e32 v[4:5], v[0:1]
	s_and_saveexec_b32 s76, s13
; %bb.28834:                            ;   in Loop: Header=BB6_27928 Depth=3
	v_bfe_u32 v4, v0, 21, 1
	v_mov_b32_e32 v5, v113
	s_delay_alu instid0(VALU_DEP_1) | instskip(NEXT) | instid1(VALU_DEP_1)
	v_add_nc_u64_e32 v[4:5], v[0:1], v[4:5]
	v_add_nc_u64_e32 v[4:5], -1, v[4:5]
; %bb.28835:                            ;   in Loop: Header=BB6_27928 Depth=3
	s_or_b32 exec_lo, exec_lo, s76
	v_add_nc_u32_e32 v1, 0xffffff81, v6
	v_lshrrev_b32_e32 v5, 23, v0
	s_mov_b32 s13, exec_lo
	s_delay_alu instid0(VALU_DEP_2) | instskip(NEXT) | instid1(VALU_DEP_1)
	v_cndmask_b32_e64 v1, v1, 0xffffff82, vcc_lo
	v_add3_u32 v5, v7, v1, v5
	v_and_b32_e32 v1, 0x1fffff, v4
                                        ; implicit-def: $vgpr4
	s_delay_alu instid0(VALU_DEP_1) | instskip(SKIP_1) | instid1(VALU_DEP_2)
	v_dual_add_nc_u32 v6, 14, v5 :: v_dual_add_nc_u32 v0, v1, v0
	v_mov_b32_e32 v1, v113
	v_cmpx_ne_u32_e32 0, v6
	s_xor_b32 s13, exec_lo, s13
; %bb.28836:                            ;   in Loop: Header=BB6_27928 Depth=3
	s_delay_alu instid0(VALU_DEP_2) | instskip(SKIP_2) | instid1(VALU_DEP_2)
	v_cmp_lt_u64_e32 vcc_lo, 0xffffff, v[0:1]
	v_add_nc_u32_e32 v4, 15, v5
	v_cndmask_b32_e64 v5, 0, 1, vcc_lo
	v_cndmask_b32_e32 v4, v6, v4, vcc_lo
	s_delay_alu instid0(VALU_DEP_2)
	v_lshrrev_b64 v[0:1], v5, v[0:1]
; %bb.28837:                            ;   in Loop: Header=BB6_27928 Depth=3
	s_and_not1_saveexec_b32 s13, s13
; %bb.28838:                            ;   in Loop: Header=BB6_27928 Depth=3
	s_delay_alu instid0(VALU_DEP_1)
	v_bfe_u32 v4, v0, 23, 1
; %bb.28839:                            ;   in Loop: Header=BB6_27928 Depth=3
	s_or_b32 exec_lo, exec_lo, s13
	s_delay_alu instid0(VALU_DEP_2) | instskip(NEXT) | instid1(VALU_DEP_2)
	v_lshrrev_b64 v[0:1], 21, v[0:1]
	v_cmp_gt_i32_e32 vcc_lo, 32, v4
	v_cmp_ne_u32_e64 s13, 0, v4
                                        ; implicit-def: $vgpr6
	scratch_store_b64 off, v[6:7], s33 offset:248 ; 8-byte Folded Spill
	v_dual_cndmask_b32 v1, 0, v1 :: v_dual_cndmask_b32 v0, 3, v0
	s_delay_alu instid0(VALU_DEP_1) | instskip(SKIP_3) | instid1(SALU_CYCLE_1)
	v_cmp_ne_u64_e32 vcc_lo, 0, v[0:1]
	s_or_b32 s13, s13, vcc_lo
	s_wait_xcnt 0x0
	s_and_saveexec_b32 s76, s13
	s_xor_b32 s13, exec_lo, s76
	s_cbranch_execz .LBB6_28841
; %bb.28840:                            ;   in Loop: Header=BB6_27928 Depth=3
	v_min_i32_e32 v1, 31, v4
	s_delay_alu instid0(VALU_DEP_1) | instskip(NEXT) | instid1(VALU_DEP_1)
	v_lshl_or_b32 v1, v1, 2, v3
                                        ; implicit-def: $vgpr3
	v_and_or_b32 v0, v0, 3, v1
	scratch_store_b64 off, v[0:1], s33 offset:248 ; 8-byte Folded Spill
.LBB6_28841:                            ;   in Loop: Header=BB6_27928 Depth=3
	s_wait_xcnt 0x0
	s_and_not1_saveexec_b32 s13, s13
	s_cbranch_execz .LBB6_28843
; %bb.28842:                            ;   in Loop: Header=BB6_27928 Depth=3
	v_mov_b32_e32 v0, v3
	scratch_store_b64 off, v[0:1], s33 offset:248 ; 8-byte Folded Spill
.LBB6_28843:                            ;   in Loop: Header=BB6_27928 Depth=3
	s_wait_xcnt 0x0
	s_or_b32 exec_lo, exec_lo, s13
.LBB6_28844:                            ;   in Loop: Header=BB6_27928 Depth=3
	s_delay_alu instid0(SALU_CYCLE_1)
	s_or_b32 exec_lo, exec_lo, s75
                                        ; implicit-def: $vgpr3
.LBB6_28845:                            ;   in Loop: Header=BB6_27928 Depth=3
	s_and_not1_saveexec_b32 s13, s15
	s_cbranch_execz .LBB6_28847
; %bb.28846:                            ;   in Loop: Header=BB6_27928 Depth=3
	v_or_b32_e32 v0, 0x7b, v3
	scratch_store_b64 off, v[0:1], s33 offset:248 ; 8-byte Folded Spill
.LBB6_28847:                            ;   in Loop: Header=BB6_27928 Depth=3
	s_wait_xcnt 0x0
	s_or_b32 exec_lo, exec_lo, s13
                                        ; implicit-def: $vgpr4
                                        ; implicit-def: $vgpr0_vgpr1
.LBB6_28848:                            ;   in Loop: Header=BB6_27928 Depth=3
	s_and_not1_saveexec_b32 s13, s14
	s_cbranch_execz .LBB6_28854
; %bb.28849:                            ;   in Loop: Header=BB6_27928 Depth=3
	v_cmp_ne_u64_e32 vcc_lo, 0, v[0:1]
                                        ; implicit-def: $vgpr0
	scratch_store_b64 off, v[0:1], s33 offset:248 ; 8-byte Folded Spill
	s_wait_xcnt 0x0
	s_and_saveexec_b32 s14, vcc_lo
	s_delay_alu instid0(SALU_CYCLE_1)
	s_xor_b32 s14, exec_lo, s14
	s_cbranch_execz .LBB6_28851
; %bb.28850:                            ;   in Loop: Header=BB6_27928 Depth=3
	v_lshrrev_b32_e32 v0, 24, v4
                                        ; implicit-def: $vgpr4
	s_delay_alu instid0(VALU_DEP_1)
	v_or_b32_e32 v0, 0x7f, v0
	scratch_store_b64 off, v[0:1], s33 offset:248 ; 8-byte Folded Spill
.LBB6_28851:                            ;   in Loop: Header=BB6_27928 Depth=3
	s_wait_xcnt 0x0
	s_and_not1_saveexec_b32 s14, s14
	s_cbranch_execz .LBB6_28853
; %bb.28852:                            ;   in Loop: Header=BB6_27928 Depth=3
	v_cmp_lt_i32_e32 vcc_lo, -1, v4
	v_cndmask_b32_e64 v0, -4, 0x7c, vcc_lo
	scratch_store_b64 off, v[0:1], s33 offset:248 ; 8-byte Folded Spill
.LBB6_28853:                            ;   in Loop: Header=BB6_27928 Depth=3
	s_wait_xcnt 0x0
	s_or_b32 exec_lo, exec_lo, s14
.LBB6_28854:                            ;   in Loop: Header=BB6_27928 Depth=3
	s_delay_alu instid0(SALU_CYCLE_1)
	s_or_b32 exec_lo, exec_lo, s13
	flat_load_i8 v0, v[8:9] offset:864 th:TH_LOAD_NT
	v_mov_b32_e32 v3, 0
	s_mov_b32 s13, exec_lo
	s_wait_loadcnt_dscnt 0x0
	s_wait_xcnt 0x0
	v_cmpx_ne_u16_e32 0, v0
	s_cbranch_execz .LBB6_28864
; %bb.28855:                            ;   in Loop: Header=BB6_27928 Depth=3
	v_bfrev_b32_e32 v3, 1
	s_mov_b32 s14, exec_lo
	v_cmpx_ne_u16_e32 0xff80, v0
	s_cbranch_execz .LBB6_28863
; %bb.28856:                            ;   in Loop: Header=BB6_27928 Depth=3
	v_and_b32_e32 v3, 0x7c, v0
	v_and_b32_e32 v1, 3, v0
	s_delay_alu instid0(VALU_DEP_2) | instskip(SKIP_1) | instid1(SALU_CYCLE_1)
	v_cmp_ne_u32_e32 vcc_lo, 0x7c, v3
                                        ; implicit-def: $vgpr3
	s_and_saveexec_b32 s15, vcc_lo
	s_xor_b32 s15, exec_lo, s15
	s_cbranch_execz .LBB6_28860
; %bb.28857:                            ;   in Loop: Header=BB6_27928 Depth=3
	v_and_b32_e32 v3, 0xff, v0
	s_mov_b32 s75, exec_lo
	s_delay_alu instid0(VALU_DEP_1) | instskip(NEXT) | instid1(VALU_DEP_1)
	v_bfe_u32 v3, v3, 2, 5
	v_cmpx_eq_u32_e32 0, v3
	s_cbranch_execz .LBB6_28859
; %bb.28858:                            ;   in Loop: Header=BB6_27928 Depth=3
	v_clz_i32_u32_e32 v1, v1
	s_delay_alu instid0(VALU_DEP_1) | instskip(SKIP_1) | instid1(VALU_DEP_2)
	v_min_u32_e32 v3, 32, v1
	v_mov_b32_e32 v1, v113
	v_subrev_nc_u32_e32 v4, 29, v3
	v_sub_nc_u32_e32 v3, 30, v3
	s_delay_alu instid0(VALU_DEP_2) | instskip(NEXT) | instid1(VALU_DEP_1)
	v_lshlrev_b64_e32 v[4:5], v4, v[0:1]
	v_and_b32_e32 v1, 3, v4
.LBB6_28859:                            ;   in Loop: Header=BB6_27928 Depth=3
	s_or_b32 exec_lo, exec_lo, s75
	v_bfe_i32 v0, v0, 0, 16
	s_delay_alu instid0(VALU_DEP_1) | instskip(NEXT) | instid1(VALU_DEP_1)
	v_and_b32_e32 v0, 0x80000000, v0
	v_lshl_add_u32 v0, v3, 23, v0
	s_delay_alu instid0(VALU_DEP_1) | instskip(NEXT) | instid1(VALU_DEP_1)
	v_lshl_or_b32 v0, v1, 21, v0
                                        ; implicit-def: $vgpr1
	v_add_nc_u32_e32 v3, 0x38000000, v0
                                        ; implicit-def: $vgpr0
.LBB6_28860:                            ;   in Loop: Header=BB6_27928 Depth=3
	s_and_not1_saveexec_b32 s15, s15
; %bb.28861:                            ;   in Loop: Header=BB6_27928 Depth=3
	v_cmp_lt_i16_e32 vcc_lo, -1, v0
	v_mov_b32_e32 v0, 0x7f800000
	s_delay_alu instid0(VALU_DEP_1) | instskip(SKIP_1) | instid1(VALU_DEP_2)
	v_cndmask_b32_e32 v0, 0xff800000, v0, vcc_lo
	v_cmp_eq_u32_e32 vcc_lo, 0, v1
	v_cndmask_b32_e32 v3, 0x7f800001, v0, vcc_lo
; %bb.28862:                            ;   in Loop: Header=BB6_27928 Depth=3
	s_or_b32 exec_lo, exec_lo, s15
.LBB6_28863:                            ;   in Loop: Header=BB6_27928 Depth=3
	s_delay_alu instid0(SALU_CYCLE_1)
	s_or_b32 exec_lo, exec_lo, s14
.LBB6_28864:                            ;   in Loop: Header=BB6_27928 Depth=3
	s_delay_alu instid0(SALU_CYCLE_1) | instskip(NEXT) | instid1(VALU_DEP_1)
	s_or_b32 exec_lo, exec_lo, s13
	v_dual_mul_f32 v4, s74, v3 :: v_dual_mov_b32 v1, v113
                                        ; implicit-def: $vgpr6
	scratch_store_b64 off, v[6:7], s33 offset:240 ; 8-byte Folded Spill
	v_and_b32_e32 v0, 0x7f800000, v4
	s_delay_alu instid0(VALU_DEP_1) | instskip(SKIP_3) | instid1(SALU_CYCLE_1)
	v_cmp_ne_u64_e32 vcc_lo, 0x7f800000, v[0:1]
	v_and_b32_e32 v0, 0x7fffff, v4
	s_wait_xcnt 0x0
	s_and_saveexec_b32 s13, vcc_lo
	s_xor_b32 s14, exec_lo, s13
	s_cbranch_execz .LBB6_28882
; %bb.28865:                            ;   in Loop: Header=BB6_27928 Depth=3
	v_and_b32_e32 v6, 0x7fffffff, v4
	v_dual_mov_b32 v7, v113 :: v_dual_lshrrev_b32 v3, 24, v4
	s_delay_alu instid0(VALU_DEP_1) | instskip(NEXT) | instid1(VALU_DEP_2)
	v_cmp_gt_u64_e32 vcc_lo, 0x47600001, v[6:7]
	v_and_b32_e32 v3, 0x80, v3
                                        ; implicit-def: $vgpr6
	scratch_store_b64 off, v[6:7], s33 offset:240 ; 8-byte Folded Spill
	s_wait_xcnt 0x0
	s_and_saveexec_b32 s13, vcc_lo
	s_delay_alu instid0(SALU_CYCLE_1)
	s_xor_b32 s15, exec_lo, s13
	s_cbranch_execz .LBB6_28879
; %bb.28866:                            ;   in Loop: Header=BB6_27928 Depth=3
	v_mov_b32_e32 v6, 0
	s_mov_b32 s75, exec_lo
	scratch_store_b64 off, v[6:7], s33 offset:240 ; 8-byte Folded Spill
	s_wait_xcnt 0x0
	v_cmpx_ne_u32_e32 0, v4
	s_cbranch_execz .LBB6_28878
; %bb.28867:                            ;   in Loop: Header=BB6_27928 Depth=3
	v_bfe_u32 v6, v4, 23, 8
	v_or_b32_e32 v5, 0x800000, v0
	s_delay_alu instid0(VALU_DEP_2) | instskip(SKIP_2) | instid1(VALU_DEP_2)
	v_cmp_gt_u32_e64 s13, 0x72, v6
	v_sub_nc_u32_e32 v4, 0x71, v6
	v_cmp_eq_u32_e32 vcc_lo, 0, v6
	v_cndmask_b32_e64 v4, 0, v4, s13
	s_delay_alu instid0(VALU_DEP_1) | instskip(NEXT) | instid1(VALU_DEP_1)
	v_cndmask_b32_e64 v7, v4, 0x70, vcc_lo
	v_dual_cndmask_b32 v0, v5, v0, vcc_lo :: v_dual_add_nc_u32 v4, 21, v7
	v_add_nc_u32_e32 v14, 20, v7
	s_delay_alu instid0(VALU_DEP_2) | instskip(NEXT) | instid1(VALU_DEP_2)
	v_lshlrev_b64_e64 v[4:5], v4, -1
	v_lshlrev_b64_e64 v[14:15], v14, 1
	s_delay_alu instid0(VALU_DEP_2) | instskip(SKIP_1) | instid1(VALU_DEP_4)
	v_bfi_b32 v4, v4, 0, v0
	v_lshrrev_b64 v[0:1], v7, v[0:1]
	v_bfi_b32 v5, v5, 0, 0
	s_delay_alu instid0(VALU_DEP_1) | instskip(NEXT) | instid1(VALU_DEP_3)
	v_cmp_eq_u64_e64 s13, v[4:5], v[14:15]
	v_mov_b64_e32 v[4:5], v[0:1]
	s_and_saveexec_b32 s76, s13
; %bb.28868:                            ;   in Loop: Header=BB6_27928 Depth=3
	v_bfe_u32 v4, v0, 21, 1
	v_mov_b32_e32 v5, v113
	s_delay_alu instid0(VALU_DEP_1) | instskip(NEXT) | instid1(VALU_DEP_1)
	v_add_nc_u64_e32 v[4:5], v[0:1], v[4:5]
	v_add_nc_u64_e32 v[4:5], -1, v[4:5]
; %bb.28869:                            ;   in Loop: Header=BB6_27928 Depth=3
	s_or_b32 exec_lo, exec_lo, s76
	v_add_nc_u32_e32 v1, 0xffffff81, v6
	v_lshrrev_b32_e32 v5, 23, v0
	s_mov_b32 s13, exec_lo
	s_delay_alu instid0(VALU_DEP_2) | instskip(NEXT) | instid1(VALU_DEP_1)
	v_cndmask_b32_e64 v1, v1, 0xffffff82, vcc_lo
	v_add3_u32 v5, v7, v1, v5
	v_and_b32_e32 v1, 0x1fffff, v4
                                        ; implicit-def: $vgpr4
	s_delay_alu instid0(VALU_DEP_1) | instskip(SKIP_1) | instid1(VALU_DEP_2)
	v_dual_add_nc_u32 v6, 14, v5 :: v_dual_add_nc_u32 v0, v1, v0
	v_mov_b32_e32 v1, v113
	v_cmpx_ne_u32_e32 0, v6
	s_xor_b32 s13, exec_lo, s13
; %bb.28870:                            ;   in Loop: Header=BB6_27928 Depth=3
	s_delay_alu instid0(VALU_DEP_2) | instskip(SKIP_2) | instid1(VALU_DEP_2)
	v_cmp_lt_u64_e32 vcc_lo, 0xffffff, v[0:1]
	v_add_nc_u32_e32 v4, 15, v5
	v_cndmask_b32_e64 v5, 0, 1, vcc_lo
	v_cndmask_b32_e32 v4, v6, v4, vcc_lo
	s_delay_alu instid0(VALU_DEP_2)
	v_lshrrev_b64 v[0:1], v5, v[0:1]
; %bb.28871:                            ;   in Loop: Header=BB6_27928 Depth=3
	s_and_not1_saveexec_b32 s13, s13
; %bb.28872:                            ;   in Loop: Header=BB6_27928 Depth=3
	s_delay_alu instid0(VALU_DEP_1)
	v_bfe_u32 v4, v0, 23, 1
; %bb.28873:                            ;   in Loop: Header=BB6_27928 Depth=3
	s_or_b32 exec_lo, exec_lo, s13
	s_delay_alu instid0(VALU_DEP_2) | instskip(NEXT) | instid1(VALU_DEP_2)
	v_lshrrev_b64 v[0:1], 21, v[0:1]
	v_cmp_gt_i32_e32 vcc_lo, 32, v4
	v_cmp_ne_u32_e64 s13, 0, v4
                                        ; implicit-def: $vgpr6
	scratch_store_b64 off, v[6:7], s33 offset:240 ; 8-byte Folded Spill
	v_dual_cndmask_b32 v1, 0, v1 :: v_dual_cndmask_b32 v0, 3, v0
	s_delay_alu instid0(VALU_DEP_1) | instskip(SKIP_3) | instid1(SALU_CYCLE_1)
	v_cmp_ne_u64_e32 vcc_lo, 0, v[0:1]
	s_or_b32 s13, s13, vcc_lo
	s_wait_xcnt 0x0
	s_and_saveexec_b32 s76, s13
	s_xor_b32 s13, exec_lo, s76
	s_cbranch_execz .LBB6_28875
; %bb.28874:                            ;   in Loop: Header=BB6_27928 Depth=3
	v_min_i32_e32 v1, 31, v4
	s_delay_alu instid0(VALU_DEP_1) | instskip(NEXT) | instid1(VALU_DEP_1)
	v_lshl_or_b32 v1, v1, 2, v3
                                        ; implicit-def: $vgpr3
	v_and_or_b32 v0, v0, 3, v1
	scratch_store_b64 off, v[0:1], s33 offset:240 ; 8-byte Folded Spill
.LBB6_28875:                            ;   in Loop: Header=BB6_27928 Depth=3
	s_wait_xcnt 0x0
	s_and_not1_saveexec_b32 s13, s13
	s_cbranch_execz .LBB6_28877
; %bb.28876:                            ;   in Loop: Header=BB6_27928 Depth=3
	v_mov_b32_e32 v0, v3
	scratch_store_b64 off, v[0:1], s33 offset:240 ; 8-byte Folded Spill
.LBB6_28877:                            ;   in Loop: Header=BB6_27928 Depth=3
	s_wait_xcnt 0x0
	s_or_b32 exec_lo, exec_lo, s13
.LBB6_28878:                            ;   in Loop: Header=BB6_27928 Depth=3
	s_delay_alu instid0(SALU_CYCLE_1)
	s_or_b32 exec_lo, exec_lo, s75
                                        ; implicit-def: $vgpr3
.LBB6_28879:                            ;   in Loop: Header=BB6_27928 Depth=3
	s_and_not1_saveexec_b32 s13, s15
	s_cbranch_execz .LBB6_28881
; %bb.28880:                            ;   in Loop: Header=BB6_27928 Depth=3
	v_or_b32_e32 v0, 0x7b, v3
	scratch_store_b64 off, v[0:1], s33 offset:240 ; 8-byte Folded Spill
.LBB6_28881:                            ;   in Loop: Header=BB6_27928 Depth=3
	s_wait_xcnt 0x0
	s_or_b32 exec_lo, exec_lo, s13
                                        ; implicit-def: $vgpr4
                                        ; implicit-def: $vgpr0_vgpr1
.LBB6_28882:                            ;   in Loop: Header=BB6_27928 Depth=3
	s_and_not1_saveexec_b32 s13, s14
	s_cbranch_execz .LBB6_28888
; %bb.28883:                            ;   in Loop: Header=BB6_27928 Depth=3
	v_cmp_ne_u64_e32 vcc_lo, 0, v[0:1]
                                        ; implicit-def: $vgpr0
	scratch_store_b64 off, v[0:1], s33 offset:240 ; 8-byte Folded Spill
	s_wait_xcnt 0x0
	s_and_saveexec_b32 s14, vcc_lo
	s_delay_alu instid0(SALU_CYCLE_1)
	s_xor_b32 s14, exec_lo, s14
	s_cbranch_execz .LBB6_28885
; %bb.28884:                            ;   in Loop: Header=BB6_27928 Depth=3
	v_lshrrev_b32_e32 v0, 24, v4
                                        ; implicit-def: $vgpr4
	s_delay_alu instid0(VALU_DEP_1)
	v_or_b32_e32 v0, 0x7f, v0
	scratch_store_b64 off, v[0:1], s33 offset:240 ; 8-byte Folded Spill
.LBB6_28885:                            ;   in Loop: Header=BB6_27928 Depth=3
	s_wait_xcnt 0x0
	s_and_not1_saveexec_b32 s14, s14
	s_cbranch_execz .LBB6_28887
; %bb.28886:                            ;   in Loop: Header=BB6_27928 Depth=3
	v_cmp_lt_i32_e32 vcc_lo, -1, v4
	v_cndmask_b32_e64 v0, -4, 0x7c, vcc_lo
	scratch_store_b64 off, v[0:1], s33 offset:240 ; 8-byte Folded Spill
.LBB6_28887:                            ;   in Loop: Header=BB6_27928 Depth=3
	s_wait_xcnt 0x0
	s_or_b32 exec_lo, exec_lo, s14
.LBB6_28888:                            ;   in Loop: Header=BB6_27928 Depth=3
	s_delay_alu instid0(SALU_CYCLE_1)
	s_or_b32 exec_lo, exec_lo, s13
	flat_load_i8 v0, v[8:9] offset:896 th:TH_LOAD_NT
	v_mov_b32_e32 v3, 0
	s_mov_b32 s13, exec_lo
	s_wait_loadcnt_dscnt 0x0
	s_wait_xcnt 0x0
	v_cmpx_ne_u16_e32 0, v0
	s_cbranch_execz .LBB6_28898
; %bb.28889:                            ;   in Loop: Header=BB6_27928 Depth=3
	v_bfrev_b32_e32 v3, 1
	s_mov_b32 s14, exec_lo
	v_cmpx_ne_u16_e32 0xff80, v0
	s_cbranch_execz .LBB6_28897
; %bb.28890:                            ;   in Loop: Header=BB6_27928 Depth=3
	v_and_b32_e32 v3, 0x7c, v0
	v_and_b32_e32 v1, 3, v0
	s_delay_alu instid0(VALU_DEP_2) | instskip(SKIP_1) | instid1(SALU_CYCLE_1)
	v_cmp_ne_u32_e32 vcc_lo, 0x7c, v3
                                        ; implicit-def: $vgpr3
	s_and_saveexec_b32 s15, vcc_lo
	s_xor_b32 s15, exec_lo, s15
	s_cbranch_execz .LBB6_28894
; %bb.28891:                            ;   in Loop: Header=BB6_27928 Depth=3
	v_and_b32_e32 v3, 0xff, v0
	s_mov_b32 s75, exec_lo
	s_delay_alu instid0(VALU_DEP_1) | instskip(NEXT) | instid1(VALU_DEP_1)
	v_bfe_u32 v3, v3, 2, 5
	v_cmpx_eq_u32_e32 0, v3
	s_cbranch_execz .LBB6_28893
; %bb.28892:                            ;   in Loop: Header=BB6_27928 Depth=3
	v_clz_i32_u32_e32 v1, v1
	s_delay_alu instid0(VALU_DEP_1) | instskip(SKIP_1) | instid1(VALU_DEP_2)
	v_min_u32_e32 v3, 32, v1
	v_mov_b32_e32 v1, v113
	v_subrev_nc_u32_e32 v4, 29, v3
	v_sub_nc_u32_e32 v3, 30, v3
	s_delay_alu instid0(VALU_DEP_2) | instskip(NEXT) | instid1(VALU_DEP_1)
	v_lshlrev_b64_e32 v[4:5], v4, v[0:1]
	v_and_b32_e32 v1, 3, v4
.LBB6_28893:                            ;   in Loop: Header=BB6_27928 Depth=3
	s_or_b32 exec_lo, exec_lo, s75
	v_bfe_i32 v0, v0, 0, 16
	s_delay_alu instid0(VALU_DEP_1) | instskip(NEXT) | instid1(VALU_DEP_1)
	v_and_b32_e32 v0, 0x80000000, v0
	v_lshl_add_u32 v0, v3, 23, v0
	s_delay_alu instid0(VALU_DEP_1) | instskip(NEXT) | instid1(VALU_DEP_1)
	v_lshl_or_b32 v0, v1, 21, v0
                                        ; implicit-def: $vgpr1
	v_add_nc_u32_e32 v3, 0x38000000, v0
                                        ; implicit-def: $vgpr0
.LBB6_28894:                            ;   in Loop: Header=BB6_27928 Depth=3
	s_and_not1_saveexec_b32 s15, s15
; %bb.28895:                            ;   in Loop: Header=BB6_27928 Depth=3
	v_cmp_lt_i16_e32 vcc_lo, -1, v0
	v_mov_b32_e32 v0, 0x7f800000
	s_delay_alu instid0(VALU_DEP_1) | instskip(SKIP_1) | instid1(VALU_DEP_2)
	v_cndmask_b32_e32 v0, 0xff800000, v0, vcc_lo
	v_cmp_eq_u32_e32 vcc_lo, 0, v1
	v_cndmask_b32_e32 v3, 0x7f800001, v0, vcc_lo
; %bb.28896:                            ;   in Loop: Header=BB6_27928 Depth=3
	s_or_b32 exec_lo, exec_lo, s15
.LBB6_28897:                            ;   in Loop: Header=BB6_27928 Depth=3
	s_delay_alu instid0(SALU_CYCLE_1)
	s_or_b32 exec_lo, exec_lo, s14
.LBB6_28898:                            ;   in Loop: Header=BB6_27928 Depth=3
	s_delay_alu instid0(SALU_CYCLE_1) | instskip(NEXT) | instid1(VALU_DEP_1)
	s_or_b32 exec_lo, exec_lo, s13
	v_dual_mul_f32 v4, s74, v3 :: v_dual_mov_b32 v1, v113
                                        ; implicit-def: $vgpr6
	scratch_store_b64 off, v[6:7], s33 offset:232 ; 8-byte Folded Spill
	v_and_b32_e32 v0, 0x7f800000, v4
	s_delay_alu instid0(VALU_DEP_1) | instskip(SKIP_3) | instid1(SALU_CYCLE_1)
	v_cmp_ne_u64_e32 vcc_lo, 0x7f800000, v[0:1]
	v_and_b32_e32 v0, 0x7fffff, v4
	s_wait_xcnt 0x0
	s_and_saveexec_b32 s13, vcc_lo
	s_xor_b32 s14, exec_lo, s13
	s_cbranch_execz .LBB6_28916
; %bb.28899:                            ;   in Loop: Header=BB6_27928 Depth=3
	v_and_b32_e32 v6, 0x7fffffff, v4
	v_dual_mov_b32 v7, v113 :: v_dual_lshrrev_b32 v3, 24, v4
	s_delay_alu instid0(VALU_DEP_1) | instskip(NEXT) | instid1(VALU_DEP_2)
	v_cmp_gt_u64_e32 vcc_lo, 0x47600001, v[6:7]
	v_and_b32_e32 v3, 0x80, v3
                                        ; implicit-def: $vgpr6
	scratch_store_b64 off, v[6:7], s33 offset:232 ; 8-byte Folded Spill
	s_wait_xcnt 0x0
	s_and_saveexec_b32 s13, vcc_lo
	s_delay_alu instid0(SALU_CYCLE_1)
	s_xor_b32 s15, exec_lo, s13
	s_cbranch_execz .LBB6_28913
; %bb.28900:                            ;   in Loop: Header=BB6_27928 Depth=3
	v_mov_b32_e32 v6, 0
	s_mov_b32 s75, exec_lo
	scratch_store_b64 off, v[6:7], s33 offset:232 ; 8-byte Folded Spill
	s_wait_xcnt 0x0
	v_cmpx_ne_u32_e32 0, v4
	s_cbranch_execz .LBB6_28912
; %bb.28901:                            ;   in Loop: Header=BB6_27928 Depth=3
	v_bfe_u32 v6, v4, 23, 8
	v_or_b32_e32 v5, 0x800000, v0
	s_delay_alu instid0(VALU_DEP_2) | instskip(SKIP_2) | instid1(VALU_DEP_2)
	v_cmp_gt_u32_e64 s13, 0x72, v6
	v_sub_nc_u32_e32 v4, 0x71, v6
	v_cmp_eq_u32_e32 vcc_lo, 0, v6
	v_cndmask_b32_e64 v4, 0, v4, s13
	s_delay_alu instid0(VALU_DEP_1) | instskip(NEXT) | instid1(VALU_DEP_1)
	v_cndmask_b32_e64 v7, v4, 0x70, vcc_lo
	v_dual_cndmask_b32 v0, v5, v0, vcc_lo :: v_dual_add_nc_u32 v4, 21, v7
	v_add_nc_u32_e32 v14, 20, v7
	s_delay_alu instid0(VALU_DEP_2) | instskip(NEXT) | instid1(VALU_DEP_2)
	v_lshlrev_b64_e64 v[4:5], v4, -1
	v_lshlrev_b64_e64 v[14:15], v14, 1
	s_delay_alu instid0(VALU_DEP_2) | instskip(SKIP_1) | instid1(VALU_DEP_4)
	v_bfi_b32 v4, v4, 0, v0
	v_lshrrev_b64 v[0:1], v7, v[0:1]
	v_bfi_b32 v5, v5, 0, 0
	s_delay_alu instid0(VALU_DEP_1) | instskip(NEXT) | instid1(VALU_DEP_3)
	v_cmp_eq_u64_e64 s13, v[4:5], v[14:15]
	v_mov_b64_e32 v[4:5], v[0:1]
	s_and_saveexec_b32 s76, s13
; %bb.28902:                            ;   in Loop: Header=BB6_27928 Depth=3
	v_bfe_u32 v4, v0, 21, 1
	v_mov_b32_e32 v5, v113
	s_delay_alu instid0(VALU_DEP_1) | instskip(NEXT) | instid1(VALU_DEP_1)
	v_add_nc_u64_e32 v[4:5], v[0:1], v[4:5]
	v_add_nc_u64_e32 v[4:5], -1, v[4:5]
; %bb.28903:                            ;   in Loop: Header=BB6_27928 Depth=3
	s_or_b32 exec_lo, exec_lo, s76
	v_add_nc_u32_e32 v1, 0xffffff81, v6
	v_lshrrev_b32_e32 v5, 23, v0
	s_mov_b32 s13, exec_lo
	s_delay_alu instid0(VALU_DEP_2) | instskip(NEXT) | instid1(VALU_DEP_1)
	v_cndmask_b32_e64 v1, v1, 0xffffff82, vcc_lo
	v_add3_u32 v5, v7, v1, v5
	v_and_b32_e32 v1, 0x1fffff, v4
                                        ; implicit-def: $vgpr4
	s_delay_alu instid0(VALU_DEP_1) | instskip(SKIP_1) | instid1(VALU_DEP_2)
	v_dual_add_nc_u32 v6, 14, v5 :: v_dual_add_nc_u32 v0, v1, v0
	v_mov_b32_e32 v1, v113
	v_cmpx_ne_u32_e32 0, v6
	s_xor_b32 s13, exec_lo, s13
; %bb.28904:                            ;   in Loop: Header=BB6_27928 Depth=3
	s_delay_alu instid0(VALU_DEP_2) | instskip(SKIP_2) | instid1(VALU_DEP_2)
	v_cmp_lt_u64_e32 vcc_lo, 0xffffff, v[0:1]
	v_add_nc_u32_e32 v4, 15, v5
	v_cndmask_b32_e64 v5, 0, 1, vcc_lo
	v_cndmask_b32_e32 v4, v6, v4, vcc_lo
	s_delay_alu instid0(VALU_DEP_2)
	v_lshrrev_b64 v[0:1], v5, v[0:1]
; %bb.28905:                            ;   in Loop: Header=BB6_27928 Depth=3
	s_and_not1_saveexec_b32 s13, s13
; %bb.28906:                            ;   in Loop: Header=BB6_27928 Depth=3
	s_delay_alu instid0(VALU_DEP_1)
	v_bfe_u32 v4, v0, 23, 1
; %bb.28907:                            ;   in Loop: Header=BB6_27928 Depth=3
	s_or_b32 exec_lo, exec_lo, s13
	s_delay_alu instid0(VALU_DEP_2) | instskip(NEXT) | instid1(VALU_DEP_2)
	v_lshrrev_b64 v[0:1], 21, v[0:1]
	v_cmp_gt_i32_e32 vcc_lo, 32, v4
	v_cmp_ne_u32_e64 s13, 0, v4
                                        ; implicit-def: $vgpr6
	scratch_store_b64 off, v[6:7], s33 offset:232 ; 8-byte Folded Spill
	v_dual_cndmask_b32 v1, 0, v1 :: v_dual_cndmask_b32 v0, 3, v0
	s_delay_alu instid0(VALU_DEP_1) | instskip(SKIP_3) | instid1(SALU_CYCLE_1)
	v_cmp_ne_u64_e32 vcc_lo, 0, v[0:1]
	s_or_b32 s13, s13, vcc_lo
	s_wait_xcnt 0x0
	s_and_saveexec_b32 s76, s13
	s_xor_b32 s13, exec_lo, s76
	s_cbranch_execz .LBB6_28909
; %bb.28908:                            ;   in Loop: Header=BB6_27928 Depth=3
	v_min_i32_e32 v1, 31, v4
	s_delay_alu instid0(VALU_DEP_1) | instskip(NEXT) | instid1(VALU_DEP_1)
	v_lshl_or_b32 v1, v1, 2, v3
                                        ; implicit-def: $vgpr3
	v_and_or_b32 v0, v0, 3, v1
	scratch_store_b64 off, v[0:1], s33 offset:232 ; 8-byte Folded Spill
.LBB6_28909:                            ;   in Loop: Header=BB6_27928 Depth=3
	s_wait_xcnt 0x0
	s_and_not1_saveexec_b32 s13, s13
	s_cbranch_execz .LBB6_28911
; %bb.28910:                            ;   in Loop: Header=BB6_27928 Depth=3
	v_mov_b32_e32 v0, v3
	scratch_store_b64 off, v[0:1], s33 offset:232 ; 8-byte Folded Spill
.LBB6_28911:                            ;   in Loop: Header=BB6_27928 Depth=3
	s_wait_xcnt 0x0
	s_or_b32 exec_lo, exec_lo, s13
.LBB6_28912:                            ;   in Loop: Header=BB6_27928 Depth=3
	s_delay_alu instid0(SALU_CYCLE_1)
	s_or_b32 exec_lo, exec_lo, s75
                                        ; implicit-def: $vgpr3
.LBB6_28913:                            ;   in Loop: Header=BB6_27928 Depth=3
	s_and_not1_saveexec_b32 s13, s15
	s_cbranch_execz .LBB6_28915
; %bb.28914:                            ;   in Loop: Header=BB6_27928 Depth=3
	v_or_b32_e32 v0, 0x7b, v3
	scratch_store_b64 off, v[0:1], s33 offset:232 ; 8-byte Folded Spill
.LBB6_28915:                            ;   in Loop: Header=BB6_27928 Depth=3
	s_wait_xcnt 0x0
	s_or_b32 exec_lo, exec_lo, s13
                                        ; implicit-def: $vgpr4
                                        ; implicit-def: $vgpr0_vgpr1
.LBB6_28916:                            ;   in Loop: Header=BB6_27928 Depth=3
	s_and_not1_saveexec_b32 s13, s14
	s_cbranch_execz .LBB6_28922
; %bb.28917:                            ;   in Loop: Header=BB6_27928 Depth=3
	v_cmp_ne_u64_e32 vcc_lo, 0, v[0:1]
                                        ; implicit-def: $vgpr0
	scratch_store_b64 off, v[0:1], s33 offset:232 ; 8-byte Folded Spill
	s_wait_xcnt 0x0
	s_and_saveexec_b32 s14, vcc_lo
	s_delay_alu instid0(SALU_CYCLE_1)
	s_xor_b32 s14, exec_lo, s14
	s_cbranch_execz .LBB6_28919
; %bb.28918:                            ;   in Loop: Header=BB6_27928 Depth=3
	v_lshrrev_b32_e32 v0, 24, v4
                                        ; implicit-def: $vgpr4
	s_delay_alu instid0(VALU_DEP_1)
	v_or_b32_e32 v0, 0x7f, v0
	scratch_store_b64 off, v[0:1], s33 offset:232 ; 8-byte Folded Spill
.LBB6_28919:                            ;   in Loop: Header=BB6_27928 Depth=3
	s_wait_xcnt 0x0
	s_and_not1_saveexec_b32 s14, s14
	s_cbranch_execz .LBB6_28921
; %bb.28920:                            ;   in Loop: Header=BB6_27928 Depth=3
	v_cmp_lt_i32_e32 vcc_lo, -1, v4
	v_cndmask_b32_e64 v0, -4, 0x7c, vcc_lo
	scratch_store_b64 off, v[0:1], s33 offset:232 ; 8-byte Folded Spill
.LBB6_28921:                            ;   in Loop: Header=BB6_27928 Depth=3
	s_wait_xcnt 0x0
	s_or_b32 exec_lo, exec_lo, s14
.LBB6_28922:                            ;   in Loop: Header=BB6_27928 Depth=3
	s_delay_alu instid0(SALU_CYCLE_1)
	s_or_b32 exec_lo, exec_lo, s13
	flat_load_i8 v0, v[8:9] offset:928 th:TH_LOAD_NT
	v_mov_b32_e32 v3, 0
	s_mov_b32 s13, exec_lo
	s_wait_loadcnt_dscnt 0x0
	s_wait_xcnt 0x0
	v_cmpx_ne_u16_e32 0, v0
	s_cbranch_execz .LBB6_28932
; %bb.28923:                            ;   in Loop: Header=BB6_27928 Depth=3
	v_bfrev_b32_e32 v3, 1
	s_mov_b32 s14, exec_lo
	v_cmpx_ne_u16_e32 0xff80, v0
	s_cbranch_execz .LBB6_28931
; %bb.28924:                            ;   in Loop: Header=BB6_27928 Depth=3
	v_and_b32_e32 v3, 0x7c, v0
	v_and_b32_e32 v1, 3, v0
	s_delay_alu instid0(VALU_DEP_2) | instskip(SKIP_1) | instid1(SALU_CYCLE_1)
	v_cmp_ne_u32_e32 vcc_lo, 0x7c, v3
                                        ; implicit-def: $vgpr3
	s_and_saveexec_b32 s15, vcc_lo
	s_xor_b32 s15, exec_lo, s15
	s_cbranch_execz .LBB6_28928
; %bb.28925:                            ;   in Loop: Header=BB6_27928 Depth=3
	v_and_b32_e32 v3, 0xff, v0
	s_mov_b32 s75, exec_lo
	s_delay_alu instid0(VALU_DEP_1) | instskip(NEXT) | instid1(VALU_DEP_1)
	v_bfe_u32 v3, v3, 2, 5
	v_cmpx_eq_u32_e32 0, v3
	s_cbranch_execz .LBB6_28927
; %bb.28926:                            ;   in Loop: Header=BB6_27928 Depth=3
	v_clz_i32_u32_e32 v1, v1
	s_delay_alu instid0(VALU_DEP_1) | instskip(SKIP_1) | instid1(VALU_DEP_2)
	v_min_u32_e32 v3, 32, v1
	v_mov_b32_e32 v1, v113
	v_subrev_nc_u32_e32 v4, 29, v3
	v_sub_nc_u32_e32 v3, 30, v3
	s_delay_alu instid0(VALU_DEP_2) | instskip(NEXT) | instid1(VALU_DEP_1)
	v_lshlrev_b64_e32 v[4:5], v4, v[0:1]
	v_and_b32_e32 v1, 3, v4
.LBB6_28927:                            ;   in Loop: Header=BB6_27928 Depth=3
	s_or_b32 exec_lo, exec_lo, s75
	v_bfe_i32 v0, v0, 0, 16
	s_delay_alu instid0(VALU_DEP_1) | instskip(NEXT) | instid1(VALU_DEP_1)
	v_and_b32_e32 v0, 0x80000000, v0
	v_lshl_add_u32 v0, v3, 23, v0
	s_delay_alu instid0(VALU_DEP_1) | instskip(NEXT) | instid1(VALU_DEP_1)
	v_lshl_or_b32 v0, v1, 21, v0
                                        ; implicit-def: $vgpr1
	v_add_nc_u32_e32 v3, 0x38000000, v0
                                        ; implicit-def: $vgpr0
.LBB6_28928:                            ;   in Loop: Header=BB6_27928 Depth=3
	s_and_not1_saveexec_b32 s15, s15
; %bb.28929:                            ;   in Loop: Header=BB6_27928 Depth=3
	v_cmp_lt_i16_e32 vcc_lo, -1, v0
	v_mov_b32_e32 v0, 0x7f800000
	s_delay_alu instid0(VALU_DEP_1) | instskip(SKIP_1) | instid1(VALU_DEP_2)
	v_cndmask_b32_e32 v0, 0xff800000, v0, vcc_lo
	v_cmp_eq_u32_e32 vcc_lo, 0, v1
	v_cndmask_b32_e32 v3, 0x7f800001, v0, vcc_lo
; %bb.28930:                            ;   in Loop: Header=BB6_27928 Depth=3
	s_or_b32 exec_lo, exec_lo, s15
.LBB6_28931:                            ;   in Loop: Header=BB6_27928 Depth=3
	s_delay_alu instid0(SALU_CYCLE_1)
	s_or_b32 exec_lo, exec_lo, s14
.LBB6_28932:                            ;   in Loop: Header=BB6_27928 Depth=3
	s_delay_alu instid0(SALU_CYCLE_1) | instskip(NEXT) | instid1(VALU_DEP_1)
	s_or_b32 exec_lo, exec_lo, s13
	v_dual_mul_f32 v4, s74, v3 :: v_dual_mov_b32 v1, v113
                                        ; implicit-def: $vgpr6
	scratch_store_b64 off, v[6:7], s33 offset:224 ; 8-byte Folded Spill
	v_and_b32_e32 v0, 0x7f800000, v4
	s_delay_alu instid0(VALU_DEP_1) | instskip(SKIP_3) | instid1(SALU_CYCLE_1)
	v_cmp_ne_u64_e32 vcc_lo, 0x7f800000, v[0:1]
	v_and_b32_e32 v0, 0x7fffff, v4
	s_wait_xcnt 0x0
	s_and_saveexec_b32 s13, vcc_lo
	s_xor_b32 s14, exec_lo, s13
	s_cbranch_execz .LBB6_28950
; %bb.28933:                            ;   in Loop: Header=BB6_27928 Depth=3
	v_and_b32_e32 v6, 0x7fffffff, v4
	v_dual_mov_b32 v7, v113 :: v_dual_lshrrev_b32 v3, 24, v4
	s_delay_alu instid0(VALU_DEP_1) | instskip(NEXT) | instid1(VALU_DEP_2)
	v_cmp_gt_u64_e32 vcc_lo, 0x47600001, v[6:7]
	v_and_b32_e32 v3, 0x80, v3
                                        ; implicit-def: $vgpr6
	scratch_store_b64 off, v[6:7], s33 offset:224 ; 8-byte Folded Spill
	s_wait_xcnt 0x0
	s_and_saveexec_b32 s13, vcc_lo
	s_delay_alu instid0(SALU_CYCLE_1)
	s_xor_b32 s15, exec_lo, s13
	s_cbranch_execz .LBB6_28947
; %bb.28934:                            ;   in Loop: Header=BB6_27928 Depth=3
	v_mov_b32_e32 v6, 0
	s_mov_b32 s75, exec_lo
	scratch_store_b64 off, v[6:7], s33 offset:224 ; 8-byte Folded Spill
	s_wait_xcnt 0x0
	v_cmpx_ne_u32_e32 0, v4
	s_cbranch_execz .LBB6_28946
; %bb.28935:                            ;   in Loop: Header=BB6_27928 Depth=3
	v_bfe_u32 v6, v4, 23, 8
	v_or_b32_e32 v5, 0x800000, v0
	s_delay_alu instid0(VALU_DEP_2) | instskip(SKIP_2) | instid1(VALU_DEP_2)
	v_cmp_gt_u32_e64 s13, 0x72, v6
	v_sub_nc_u32_e32 v4, 0x71, v6
	v_cmp_eq_u32_e32 vcc_lo, 0, v6
	v_cndmask_b32_e64 v4, 0, v4, s13
	s_delay_alu instid0(VALU_DEP_1) | instskip(NEXT) | instid1(VALU_DEP_1)
	v_cndmask_b32_e64 v7, v4, 0x70, vcc_lo
	v_dual_cndmask_b32 v0, v5, v0, vcc_lo :: v_dual_add_nc_u32 v4, 21, v7
	v_add_nc_u32_e32 v14, 20, v7
	s_delay_alu instid0(VALU_DEP_2) | instskip(NEXT) | instid1(VALU_DEP_2)
	v_lshlrev_b64_e64 v[4:5], v4, -1
	v_lshlrev_b64_e64 v[14:15], v14, 1
	s_delay_alu instid0(VALU_DEP_2) | instskip(SKIP_1) | instid1(VALU_DEP_4)
	v_bfi_b32 v4, v4, 0, v0
	v_lshrrev_b64 v[0:1], v7, v[0:1]
	v_bfi_b32 v5, v5, 0, 0
	s_delay_alu instid0(VALU_DEP_1) | instskip(NEXT) | instid1(VALU_DEP_3)
	v_cmp_eq_u64_e64 s13, v[4:5], v[14:15]
	v_mov_b64_e32 v[4:5], v[0:1]
	s_and_saveexec_b32 s76, s13
; %bb.28936:                            ;   in Loop: Header=BB6_27928 Depth=3
	v_bfe_u32 v4, v0, 21, 1
	v_mov_b32_e32 v5, v113
	s_delay_alu instid0(VALU_DEP_1) | instskip(NEXT) | instid1(VALU_DEP_1)
	v_add_nc_u64_e32 v[4:5], v[0:1], v[4:5]
	v_add_nc_u64_e32 v[4:5], -1, v[4:5]
; %bb.28937:                            ;   in Loop: Header=BB6_27928 Depth=3
	s_or_b32 exec_lo, exec_lo, s76
	v_add_nc_u32_e32 v1, 0xffffff81, v6
	v_lshrrev_b32_e32 v5, 23, v0
	s_mov_b32 s13, exec_lo
	s_delay_alu instid0(VALU_DEP_2) | instskip(NEXT) | instid1(VALU_DEP_1)
	v_cndmask_b32_e64 v1, v1, 0xffffff82, vcc_lo
	v_add3_u32 v5, v7, v1, v5
	v_and_b32_e32 v1, 0x1fffff, v4
                                        ; implicit-def: $vgpr4
	s_delay_alu instid0(VALU_DEP_1) | instskip(SKIP_1) | instid1(VALU_DEP_2)
	v_dual_add_nc_u32 v6, 14, v5 :: v_dual_add_nc_u32 v0, v1, v0
	v_mov_b32_e32 v1, v113
	v_cmpx_ne_u32_e32 0, v6
	s_xor_b32 s13, exec_lo, s13
; %bb.28938:                            ;   in Loop: Header=BB6_27928 Depth=3
	s_delay_alu instid0(VALU_DEP_2) | instskip(SKIP_2) | instid1(VALU_DEP_2)
	v_cmp_lt_u64_e32 vcc_lo, 0xffffff, v[0:1]
	v_add_nc_u32_e32 v4, 15, v5
	v_cndmask_b32_e64 v5, 0, 1, vcc_lo
	v_cndmask_b32_e32 v4, v6, v4, vcc_lo
	s_delay_alu instid0(VALU_DEP_2)
	v_lshrrev_b64 v[0:1], v5, v[0:1]
; %bb.28939:                            ;   in Loop: Header=BB6_27928 Depth=3
	s_and_not1_saveexec_b32 s13, s13
; %bb.28940:                            ;   in Loop: Header=BB6_27928 Depth=3
	s_delay_alu instid0(VALU_DEP_1)
	v_bfe_u32 v4, v0, 23, 1
; %bb.28941:                            ;   in Loop: Header=BB6_27928 Depth=3
	s_or_b32 exec_lo, exec_lo, s13
	s_delay_alu instid0(VALU_DEP_2) | instskip(NEXT) | instid1(VALU_DEP_2)
	v_lshrrev_b64 v[0:1], 21, v[0:1]
	v_cmp_gt_i32_e32 vcc_lo, 32, v4
	v_cmp_ne_u32_e64 s13, 0, v4
                                        ; implicit-def: $vgpr6
	scratch_store_b64 off, v[6:7], s33 offset:224 ; 8-byte Folded Spill
	v_dual_cndmask_b32 v1, 0, v1 :: v_dual_cndmask_b32 v0, 3, v0
	s_delay_alu instid0(VALU_DEP_1) | instskip(SKIP_3) | instid1(SALU_CYCLE_1)
	v_cmp_ne_u64_e32 vcc_lo, 0, v[0:1]
	s_or_b32 s13, s13, vcc_lo
	s_wait_xcnt 0x0
	s_and_saveexec_b32 s76, s13
	s_xor_b32 s13, exec_lo, s76
	s_cbranch_execz .LBB6_28943
; %bb.28942:                            ;   in Loop: Header=BB6_27928 Depth=3
	v_min_i32_e32 v1, 31, v4
	s_delay_alu instid0(VALU_DEP_1) | instskip(NEXT) | instid1(VALU_DEP_1)
	v_lshl_or_b32 v1, v1, 2, v3
                                        ; implicit-def: $vgpr3
	v_and_or_b32 v0, v0, 3, v1
	scratch_store_b64 off, v[0:1], s33 offset:224 ; 8-byte Folded Spill
.LBB6_28943:                            ;   in Loop: Header=BB6_27928 Depth=3
	s_wait_xcnt 0x0
	s_and_not1_saveexec_b32 s13, s13
	s_cbranch_execz .LBB6_28945
; %bb.28944:                            ;   in Loop: Header=BB6_27928 Depth=3
	v_mov_b32_e32 v0, v3
	scratch_store_b64 off, v[0:1], s33 offset:224 ; 8-byte Folded Spill
.LBB6_28945:                            ;   in Loop: Header=BB6_27928 Depth=3
	s_wait_xcnt 0x0
	s_or_b32 exec_lo, exec_lo, s13
.LBB6_28946:                            ;   in Loop: Header=BB6_27928 Depth=3
	s_delay_alu instid0(SALU_CYCLE_1)
	s_or_b32 exec_lo, exec_lo, s75
                                        ; implicit-def: $vgpr3
.LBB6_28947:                            ;   in Loop: Header=BB6_27928 Depth=3
	s_and_not1_saveexec_b32 s13, s15
	s_cbranch_execz .LBB6_28949
; %bb.28948:                            ;   in Loop: Header=BB6_27928 Depth=3
	v_or_b32_e32 v0, 0x7b, v3
	scratch_store_b64 off, v[0:1], s33 offset:224 ; 8-byte Folded Spill
.LBB6_28949:                            ;   in Loop: Header=BB6_27928 Depth=3
	s_wait_xcnt 0x0
	s_or_b32 exec_lo, exec_lo, s13
                                        ; implicit-def: $vgpr4
                                        ; implicit-def: $vgpr0_vgpr1
.LBB6_28950:                            ;   in Loop: Header=BB6_27928 Depth=3
	s_and_not1_saveexec_b32 s13, s14
	s_cbranch_execz .LBB6_28956
; %bb.28951:                            ;   in Loop: Header=BB6_27928 Depth=3
	v_cmp_ne_u64_e32 vcc_lo, 0, v[0:1]
                                        ; implicit-def: $vgpr0
	scratch_store_b64 off, v[0:1], s33 offset:224 ; 8-byte Folded Spill
	s_wait_xcnt 0x0
	s_and_saveexec_b32 s14, vcc_lo
	s_delay_alu instid0(SALU_CYCLE_1)
	s_xor_b32 s14, exec_lo, s14
	s_cbranch_execz .LBB6_28953
; %bb.28952:                            ;   in Loop: Header=BB6_27928 Depth=3
	v_lshrrev_b32_e32 v0, 24, v4
                                        ; implicit-def: $vgpr4
	s_delay_alu instid0(VALU_DEP_1)
	v_or_b32_e32 v0, 0x7f, v0
	scratch_store_b64 off, v[0:1], s33 offset:224 ; 8-byte Folded Spill
.LBB6_28953:                            ;   in Loop: Header=BB6_27928 Depth=3
	s_wait_xcnt 0x0
	s_and_not1_saveexec_b32 s14, s14
	s_cbranch_execz .LBB6_28955
; %bb.28954:                            ;   in Loop: Header=BB6_27928 Depth=3
	v_cmp_lt_i32_e32 vcc_lo, -1, v4
	v_cndmask_b32_e64 v0, -4, 0x7c, vcc_lo
	scratch_store_b64 off, v[0:1], s33 offset:224 ; 8-byte Folded Spill
.LBB6_28955:                            ;   in Loop: Header=BB6_27928 Depth=3
	s_wait_xcnt 0x0
	s_or_b32 exec_lo, exec_lo, s14
.LBB6_28956:                            ;   in Loop: Header=BB6_27928 Depth=3
	s_delay_alu instid0(SALU_CYCLE_1)
	s_or_b32 exec_lo, exec_lo, s13
	flat_load_i8 v0, v[8:9] offset:960 th:TH_LOAD_NT
	v_mov_b32_e32 v3, 0
	s_mov_b32 s13, exec_lo
	s_wait_loadcnt_dscnt 0x0
	s_wait_xcnt 0x0
	v_cmpx_ne_u16_e32 0, v0
	s_cbranch_execz .LBB6_28966
; %bb.28957:                            ;   in Loop: Header=BB6_27928 Depth=3
	v_bfrev_b32_e32 v3, 1
	s_mov_b32 s14, exec_lo
	v_cmpx_ne_u16_e32 0xff80, v0
	s_cbranch_execz .LBB6_28965
; %bb.28958:                            ;   in Loop: Header=BB6_27928 Depth=3
	v_and_b32_e32 v3, 0x7c, v0
	v_and_b32_e32 v1, 3, v0
	s_delay_alu instid0(VALU_DEP_2) | instskip(SKIP_1) | instid1(SALU_CYCLE_1)
	v_cmp_ne_u32_e32 vcc_lo, 0x7c, v3
                                        ; implicit-def: $vgpr3
	s_and_saveexec_b32 s15, vcc_lo
	s_xor_b32 s15, exec_lo, s15
	s_cbranch_execz .LBB6_28962
; %bb.28959:                            ;   in Loop: Header=BB6_27928 Depth=3
	v_and_b32_e32 v3, 0xff, v0
	s_mov_b32 s75, exec_lo
	s_delay_alu instid0(VALU_DEP_1) | instskip(NEXT) | instid1(VALU_DEP_1)
	v_bfe_u32 v3, v3, 2, 5
	v_cmpx_eq_u32_e32 0, v3
	s_cbranch_execz .LBB6_28961
; %bb.28960:                            ;   in Loop: Header=BB6_27928 Depth=3
	v_clz_i32_u32_e32 v1, v1
	s_delay_alu instid0(VALU_DEP_1) | instskip(SKIP_1) | instid1(VALU_DEP_2)
	v_min_u32_e32 v3, 32, v1
	v_mov_b32_e32 v1, v113
	v_subrev_nc_u32_e32 v4, 29, v3
	v_sub_nc_u32_e32 v3, 30, v3
	s_delay_alu instid0(VALU_DEP_2) | instskip(NEXT) | instid1(VALU_DEP_1)
	v_lshlrev_b64_e32 v[4:5], v4, v[0:1]
	v_and_b32_e32 v1, 3, v4
.LBB6_28961:                            ;   in Loop: Header=BB6_27928 Depth=3
	s_or_b32 exec_lo, exec_lo, s75
	v_bfe_i32 v0, v0, 0, 16
	s_delay_alu instid0(VALU_DEP_1) | instskip(NEXT) | instid1(VALU_DEP_1)
	v_and_b32_e32 v0, 0x80000000, v0
	v_lshl_add_u32 v0, v3, 23, v0
	s_delay_alu instid0(VALU_DEP_1) | instskip(NEXT) | instid1(VALU_DEP_1)
	v_lshl_or_b32 v0, v1, 21, v0
                                        ; implicit-def: $vgpr1
	v_add_nc_u32_e32 v3, 0x38000000, v0
                                        ; implicit-def: $vgpr0
.LBB6_28962:                            ;   in Loop: Header=BB6_27928 Depth=3
	s_and_not1_saveexec_b32 s15, s15
; %bb.28963:                            ;   in Loop: Header=BB6_27928 Depth=3
	v_cmp_lt_i16_e32 vcc_lo, -1, v0
	v_mov_b32_e32 v0, 0x7f800000
	s_delay_alu instid0(VALU_DEP_1) | instskip(SKIP_1) | instid1(VALU_DEP_2)
	v_cndmask_b32_e32 v0, 0xff800000, v0, vcc_lo
	v_cmp_eq_u32_e32 vcc_lo, 0, v1
	v_cndmask_b32_e32 v3, 0x7f800001, v0, vcc_lo
; %bb.28964:                            ;   in Loop: Header=BB6_27928 Depth=3
	s_or_b32 exec_lo, exec_lo, s15
.LBB6_28965:                            ;   in Loop: Header=BB6_27928 Depth=3
	s_delay_alu instid0(SALU_CYCLE_1)
	s_or_b32 exec_lo, exec_lo, s14
.LBB6_28966:                            ;   in Loop: Header=BB6_27928 Depth=3
	s_delay_alu instid0(SALU_CYCLE_1) | instskip(NEXT) | instid1(VALU_DEP_1)
	s_or_b32 exec_lo, exec_lo, s13
	v_dual_mul_f32 v4, s74, v3 :: v_dual_mov_b32 v1, v113
                                        ; implicit-def: $vgpr6
	scratch_store_b64 off, v[6:7], s33 offset:216 ; 8-byte Folded Spill
	v_and_b32_e32 v0, 0x7f800000, v4
	s_delay_alu instid0(VALU_DEP_1) | instskip(SKIP_3) | instid1(SALU_CYCLE_1)
	v_cmp_ne_u64_e32 vcc_lo, 0x7f800000, v[0:1]
	v_and_b32_e32 v0, 0x7fffff, v4
	s_wait_xcnt 0x0
	s_and_saveexec_b32 s13, vcc_lo
	s_xor_b32 s14, exec_lo, s13
	s_cbranch_execz .LBB6_28984
; %bb.28967:                            ;   in Loop: Header=BB6_27928 Depth=3
	v_and_b32_e32 v6, 0x7fffffff, v4
	v_dual_mov_b32 v7, v113 :: v_dual_lshrrev_b32 v3, 24, v4
	s_delay_alu instid0(VALU_DEP_1) | instskip(NEXT) | instid1(VALU_DEP_2)
	v_cmp_gt_u64_e32 vcc_lo, 0x47600001, v[6:7]
	v_and_b32_e32 v3, 0x80, v3
                                        ; implicit-def: $vgpr6
	scratch_store_b64 off, v[6:7], s33 offset:216 ; 8-byte Folded Spill
	s_wait_xcnt 0x0
	s_and_saveexec_b32 s13, vcc_lo
	s_delay_alu instid0(SALU_CYCLE_1)
	s_xor_b32 s15, exec_lo, s13
	s_cbranch_execz .LBB6_28981
; %bb.28968:                            ;   in Loop: Header=BB6_27928 Depth=3
	v_mov_b32_e32 v6, 0
	s_mov_b32 s75, exec_lo
	scratch_store_b64 off, v[6:7], s33 offset:216 ; 8-byte Folded Spill
	s_wait_xcnt 0x0
	v_cmpx_ne_u32_e32 0, v4
	s_cbranch_execz .LBB6_28980
; %bb.28969:                            ;   in Loop: Header=BB6_27928 Depth=3
	v_bfe_u32 v6, v4, 23, 8
	v_or_b32_e32 v5, 0x800000, v0
	s_delay_alu instid0(VALU_DEP_2) | instskip(SKIP_2) | instid1(VALU_DEP_2)
	v_cmp_gt_u32_e64 s13, 0x72, v6
	v_sub_nc_u32_e32 v4, 0x71, v6
	v_cmp_eq_u32_e32 vcc_lo, 0, v6
	v_cndmask_b32_e64 v4, 0, v4, s13
	s_delay_alu instid0(VALU_DEP_1) | instskip(NEXT) | instid1(VALU_DEP_1)
	v_cndmask_b32_e64 v7, v4, 0x70, vcc_lo
	v_dual_cndmask_b32 v0, v5, v0, vcc_lo :: v_dual_add_nc_u32 v4, 21, v7
	v_add_nc_u32_e32 v14, 20, v7
	s_delay_alu instid0(VALU_DEP_2) | instskip(NEXT) | instid1(VALU_DEP_2)
	v_lshlrev_b64_e64 v[4:5], v4, -1
	v_lshlrev_b64_e64 v[14:15], v14, 1
	s_delay_alu instid0(VALU_DEP_2) | instskip(SKIP_1) | instid1(VALU_DEP_4)
	v_bfi_b32 v4, v4, 0, v0
	v_lshrrev_b64 v[0:1], v7, v[0:1]
	v_bfi_b32 v5, v5, 0, 0
	s_delay_alu instid0(VALU_DEP_1) | instskip(NEXT) | instid1(VALU_DEP_3)
	v_cmp_eq_u64_e64 s13, v[4:5], v[14:15]
	v_mov_b64_e32 v[4:5], v[0:1]
	s_and_saveexec_b32 s76, s13
; %bb.28970:                            ;   in Loop: Header=BB6_27928 Depth=3
	v_bfe_u32 v4, v0, 21, 1
	v_mov_b32_e32 v5, v113
	s_delay_alu instid0(VALU_DEP_1) | instskip(NEXT) | instid1(VALU_DEP_1)
	v_add_nc_u64_e32 v[4:5], v[0:1], v[4:5]
	v_add_nc_u64_e32 v[4:5], -1, v[4:5]
; %bb.28971:                            ;   in Loop: Header=BB6_27928 Depth=3
	s_or_b32 exec_lo, exec_lo, s76
	v_add_nc_u32_e32 v1, 0xffffff81, v6
	v_lshrrev_b32_e32 v5, 23, v0
	s_mov_b32 s13, exec_lo
	s_delay_alu instid0(VALU_DEP_2) | instskip(NEXT) | instid1(VALU_DEP_1)
	v_cndmask_b32_e64 v1, v1, 0xffffff82, vcc_lo
	v_add3_u32 v5, v7, v1, v5
	v_and_b32_e32 v1, 0x1fffff, v4
                                        ; implicit-def: $vgpr4
	s_delay_alu instid0(VALU_DEP_1) | instskip(SKIP_1) | instid1(VALU_DEP_2)
	v_dual_add_nc_u32 v6, 14, v5 :: v_dual_add_nc_u32 v0, v1, v0
	v_mov_b32_e32 v1, v113
	v_cmpx_ne_u32_e32 0, v6
	s_xor_b32 s13, exec_lo, s13
; %bb.28972:                            ;   in Loop: Header=BB6_27928 Depth=3
	s_delay_alu instid0(VALU_DEP_2) | instskip(SKIP_2) | instid1(VALU_DEP_2)
	v_cmp_lt_u64_e32 vcc_lo, 0xffffff, v[0:1]
	v_add_nc_u32_e32 v4, 15, v5
	v_cndmask_b32_e64 v5, 0, 1, vcc_lo
	v_cndmask_b32_e32 v4, v6, v4, vcc_lo
	s_delay_alu instid0(VALU_DEP_2)
	v_lshrrev_b64 v[0:1], v5, v[0:1]
; %bb.28973:                            ;   in Loop: Header=BB6_27928 Depth=3
	s_and_not1_saveexec_b32 s13, s13
; %bb.28974:                            ;   in Loop: Header=BB6_27928 Depth=3
	s_delay_alu instid0(VALU_DEP_1)
	v_bfe_u32 v4, v0, 23, 1
; %bb.28975:                            ;   in Loop: Header=BB6_27928 Depth=3
	s_or_b32 exec_lo, exec_lo, s13
	s_delay_alu instid0(VALU_DEP_2) | instskip(NEXT) | instid1(VALU_DEP_2)
	v_lshrrev_b64 v[0:1], 21, v[0:1]
	v_cmp_gt_i32_e32 vcc_lo, 32, v4
	v_cmp_ne_u32_e64 s13, 0, v4
                                        ; implicit-def: $vgpr6
	scratch_store_b64 off, v[6:7], s33 offset:216 ; 8-byte Folded Spill
	v_dual_cndmask_b32 v1, 0, v1 :: v_dual_cndmask_b32 v0, 3, v0
	s_delay_alu instid0(VALU_DEP_1) | instskip(SKIP_3) | instid1(SALU_CYCLE_1)
	v_cmp_ne_u64_e32 vcc_lo, 0, v[0:1]
	s_or_b32 s13, s13, vcc_lo
	s_wait_xcnt 0x0
	s_and_saveexec_b32 s76, s13
	s_xor_b32 s13, exec_lo, s76
	s_cbranch_execz .LBB6_28977
; %bb.28976:                            ;   in Loop: Header=BB6_27928 Depth=3
	v_min_i32_e32 v1, 31, v4
	s_delay_alu instid0(VALU_DEP_1) | instskip(NEXT) | instid1(VALU_DEP_1)
	v_lshl_or_b32 v1, v1, 2, v3
                                        ; implicit-def: $vgpr3
	v_and_or_b32 v0, v0, 3, v1
	scratch_store_b64 off, v[0:1], s33 offset:216 ; 8-byte Folded Spill
.LBB6_28977:                            ;   in Loop: Header=BB6_27928 Depth=3
	s_wait_xcnt 0x0
	s_and_not1_saveexec_b32 s13, s13
	s_cbranch_execz .LBB6_28979
; %bb.28978:                            ;   in Loop: Header=BB6_27928 Depth=3
	v_mov_b32_e32 v0, v3
	scratch_store_b64 off, v[0:1], s33 offset:216 ; 8-byte Folded Spill
.LBB6_28979:                            ;   in Loop: Header=BB6_27928 Depth=3
	s_wait_xcnt 0x0
	s_or_b32 exec_lo, exec_lo, s13
.LBB6_28980:                            ;   in Loop: Header=BB6_27928 Depth=3
	s_delay_alu instid0(SALU_CYCLE_1)
	s_or_b32 exec_lo, exec_lo, s75
                                        ; implicit-def: $vgpr3
.LBB6_28981:                            ;   in Loop: Header=BB6_27928 Depth=3
	s_and_not1_saveexec_b32 s13, s15
	s_cbranch_execz .LBB6_28983
; %bb.28982:                            ;   in Loop: Header=BB6_27928 Depth=3
	v_or_b32_e32 v0, 0x7b, v3
	scratch_store_b64 off, v[0:1], s33 offset:216 ; 8-byte Folded Spill
.LBB6_28983:                            ;   in Loop: Header=BB6_27928 Depth=3
	s_wait_xcnt 0x0
	s_or_b32 exec_lo, exec_lo, s13
                                        ; implicit-def: $vgpr4
                                        ; implicit-def: $vgpr0_vgpr1
.LBB6_28984:                            ;   in Loop: Header=BB6_27928 Depth=3
	s_and_not1_saveexec_b32 s13, s14
	s_cbranch_execz .LBB6_28990
; %bb.28985:                            ;   in Loop: Header=BB6_27928 Depth=3
	v_cmp_ne_u64_e32 vcc_lo, 0, v[0:1]
                                        ; implicit-def: $vgpr0
	scratch_store_b64 off, v[0:1], s33 offset:216 ; 8-byte Folded Spill
	s_wait_xcnt 0x0
	s_and_saveexec_b32 s14, vcc_lo
	s_delay_alu instid0(SALU_CYCLE_1)
	s_xor_b32 s14, exec_lo, s14
	s_cbranch_execz .LBB6_28987
; %bb.28986:                            ;   in Loop: Header=BB6_27928 Depth=3
	v_lshrrev_b32_e32 v0, 24, v4
                                        ; implicit-def: $vgpr4
	s_delay_alu instid0(VALU_DEP_1)
	v_or_b32_e32 v0, 0x7f, v0
	scratch_store_b64 off, v[0:1], s33 offset:216 ; 8-byte Folded Spill
.LBB6_28987:                            ;   in Loop: Header=BB6_27928 Depth=3
	s_wait_xcnt 0x0
	s_and_not1_saveexec_b32 s14, s14
	s_cbranch_execz .LBB6_28989
; %bb.28988:                            ;   in Loop: Header=BB6_27928 Depth=3
	v_cmp_lt_i32_e32 vcc_lo, -1, v4
	v_cndmask_b32_e64 v0, -4, 0x7c, vcc_lo
	scratch_store_b64 off, v[0:1], s33 offset:216 ; 8-byte Folded Spill
.LBB6_28989:                            ;   in Loop: Header=BB6_27928 Depth=3
	s_wait_xcnt 0x0
	s_or_b32 exec_lo, exec_lo, s14
.LBB6_28990:                            ;   in Loop: Header=BB6_27928 Depth=3
	s_delay_alu instid0(SALU_CYCLE_1)
	s_or_b32 exec_lo, exec_lo, s13
	flat_load_i8 v0, v[8:9] offset:992 th:TH_LOAD_NT
	v_mov_b32_e32 v3, 0
	s_mov_b32 s13, exec_lo
	s_wait_loadcnt_dscnt 0x0
	s_wait_xcnt 0x0
	v_cmpx_ne_u16_e32 0, v0
	s_cbranch_execz .LBB6_29000
; %bb.28991:                            ;   in Loop: Header=BB6_27928 Depth=3
	v_bfrev_b32_e32 v3, 1
	s_mov_b32 s14, exec_lo
	v_cmpx_ne_u16_e32 0xff80, v0
	s_cbranch_execz .LBB6_28999
; %bb.28992:                            ;   in Loop: Header=BB6_27928 Depth=3
	v_and_b32_e32 v3, 0x7c, v0
	v_and_b32_e32 v1, 3, v0
	s_delay_alu instid0(VALU_DEP_2) | instskip(SKIP_1) | instid1(SALU_CYCLE_1)
	v_cmp_ne_u32_e32 vcc_lo, 0x7c, v3
                                        ; implicit-def: $vgpr3
	s_and_saveexec_b32 s15, vcc_lo
	s_xor_b32 s15, exec_lo, s15
	s_cbranch_execz .LBB6_28996
; %bb.28993:                            ;   in Loop: Header=BB6_27928 Depth=3
	v_and_b32_e32 v3, 0xff, v0
	s_mov_b32 s75, exec_lo
	s_delay_alu instid0(VALU_DEP_1) | instskip(NEXT) | instid1(VALU_DEP_1)
	v_bfe_u32 v3, v3, 2, 5
	v_cmpx_eq_u32_e32 0, v3
	s_cbranch_execz .LBB6_28995
; %bb.28994:                            ;   in Loop: Header=BB6_27928 Depth=3
	v_clz_i32_u32_e32 v1, v1
	s_delay_alu instid0(VALU_DEP_1) | instskip(SKIP_1) | instid1(VALU_DEP_2)
	v_min_u32_e32 v3, 32, v1
	v_mov_b32_e32 v1, v113
	v_subrev_nc_u32_e32 v4, 29, v3
	v_sub_nc_u32_e32 v3, 30, v3
	s_delay_alu instid0(VALU_DEP_2) | instskip(NEXT) | instid1(VALU_DEP_1)
	v_lshlrev_b64_e32 v[4:5], v4, v[0:1]
	v_and_b32_e32 v1, 3, v4
.LBB6_28995:                            ;   in Loop: Header=BB6_27928 Depth=3
	s_or_b32 exec_lo, exec_lo, s75
	v_bfe_i32 v0, v0, 0, 16
	s_delay_alu instid0(VALU_DEP_1) | instskip(NEXT) | instid1(VALU_DEP_1)
	v_and_b32_e32 v0, 0x80000000, v0
	v_lshl_add_u32 v0, v3, 23, v0
	s_delay_alu instid0(VALU_DEP_1) | instskip(NEXT) | instid1(VALU_DEP_1)
	v_lshl_or_b32 v0, v1, 21, v0
                                        ; implicit-def: $vgpr1
	v_add_nc_u32_e32 v3, 0x38000000, v0
                                        ; implicit-def: $vgpr0
.LBB6_28996:                            ;   in Loop: Header=BB6_27928 Depth=3
	s_and_not1_saveexec_b32 s15, s15
; %bb.28997:                            ;   in Loop: Header=BB6_27928 Depth=3
	v_cmp_lt_i16_e32 vcc_lo, -1, v0
	v_mov_b32_e32 v0, 0x7f800000
	s_delay_alu instid0(VALU_DEP_1) | instskip(SKIP_1) | instid1(VALU_DEP_2)
	v_cndmask_b32_e32 v0, 0xff800000, v0, vcc_lo
	v_cmp_eq_u32_e32 vcc_lo, 0, v1
	v_cndmask_b32_e32 v3, 0x7f800001, v0, vcc_lo
; %bb.28998:                            ;   in Loop: Header=BB6_27928 Depth=3
	s_or_b32 exec_lo, exec_lo, s15
.LBB6_28999:                            ;   in Loop: Header=BB6_27928 Depth=3
	s_delay_alu instid0(SALU_CYCLE_1)
	s_or_b32 exec_lo, exec_lo, s14
.LBB6_29000:                            ;   in Loop: Header=BB6_27928 Depth=3
	s_delay_alu instid0(SALU_CYCLE_1) | instskip(NEXT) | instid1(VALU_DEP_1)
	s_or_b32 exec_lo, exec_lo, s13
	v_dual_mul_f32 v4, s74, v3 :: v_dual_mov_b32 v1, v113
                                        ; implicit-def: $vgpr62
	s_delay_alu instid0(VALU_DEP_1) | instskip(NEXT) | instid1(VALU_DEP_1)
	v_and_b32_e32 v0, 0x7f800000, v4
	v_cmp_ne_u64_e32 vcc_lo, 0x7f800000, v[0:1]
	v_and_b32_e32 v0, 0x7fffff, v4
	s_and_saveexec_b32 s13, vcc_lo
	s_delay_alu instid0(SALU_CYCLE_1)
	s_xor_b32 s14, exec_lo, s13
	s_cbranch_execz .LBB6_29018
; %bb.29001:                            ;   in Loop: Header=BB6_27928 Depth=3
	v_dual_mov_b32 v7, v113 :: v_dual_lshrrev_b32 v3, 24, v4
	v_and_b32_e32 v6, 0x7fffffff, v4
                                        ; implicit-def: $vgpr62
	s_mov_b32 s13, exec_lo
	s_delay_alu instid0(VALU_DEP_2) | instskip(NEXT) | instid1(VALU_DEP_2)
	v_and_b32_e32 v3, 0x80, v3
	v_cmpx_gt_u64_e32 0x47600001, v[6:7]
	s_xor_b32 s15, exec_lo, s13
	s_cbranch_execz .LBB6_29015
; %bb.29002:                            ;   in Loop: Header=BB6_27928 Depth=3
	v_mov_b32_e32 v62, 0
	s_mov_b32 s74, exec_lo
	v_cmpx_ne_u32_e32 0, v4
	s_cbranch_execz .LBB6_29014
; %bb.29003:                            ;   in Loop: Header=BB6_27928 Depth=3
	v_bfe_u32 v6, v4, 23, 8
	v_or_b32_e32 v5, 0x800000, v0
	s_delay_alu instid0(VALU_DEP_2) | instskip(SKIP_2) | instid1(VALU_DEP_2)
	v_cmp_gt_u32_e64 s13, 0x72, v6
	v_sub_nc_u32_e32 v4, 0x71, v6
	v_cmp_eq_u32_e32 vcc_lo, 0, v6
	v_cndmask_b32_e64 v4, 0, v4, s13
	s_delay_alu instid0(VALU_DEP_1) | instskip(NEXT) | instid1(VALU_DEP_1)
	v_cndmask_b32_e64 v7, v4, 0x70, vcc_lo
	v_dual_cndmask_b32 v0, v5, v0, vcc_lo :: v_dual_add_nc_u32 v4, 21, v7
	v_add_nc_u32_e32 v14, 20, v7
	s_delay_alu instid0(VALU_DEP_2) | instskip(NEXT) | instid1(VALU_DEP_2)
	v_lshlrev_b64_e64 v[4:5], v4, -1
	v_lshlrev_b64_e64 v[14:15], v14, 1
	s_delay_alu instid0(VALU_DEP_2) | instskip(SKIP_1) | instid1(VALU_DEP_4)
	v_bfi_b32 v4, v4, 0, v0
	v_lshrrev_b64 v[0:1], v7, v[0:1]
	v_bfi_b32 v5, v5, 0, 0
	s_delay_alu instid0(VALU_DEP_1) | instskip(NEXT) | instid1(VALU_DEP_3)
	v_cmp_eq_u64_e64 s13, v[4:5], v[14:15]
	v_mov_b64_e32 v[4:5], v[0:1]
	s_and_saveexec_b32 s75, s13
; %bb.29004:                            ;   in Loop: Header=BB6_27928 Depth=3
	v_bfe_u32 v4, v0, 21, 1
	v_mov_b32_e32 v5, v113
	s_delay_alu instid0(VALU_DEP_1) | instskip(NEXT) | instid1(VALU_DEP_1)
	v_add_nc_u64_e32 v[4:5], v[0:1], v[4:5]
	v_add_nc_u64_e32 v[4:5], -1, v[4:5]
; %bb.29005:                            ;   in Loop: Header=BB6_27928 Depth=3
	s_or_b32 exec_lo, exec_lo, s75
	v_add_nc_u32_e32 v1, 0xffffff81, v6
	v_lshrrev_b32_e32 v5, 23, v0
	s_mov_b32 s13, exec_lo
	s_delay_alu instid0(VALU_DEP_2) | instskip(NEXT) | instid1(VALU_DEP_1)
	v_cndmask_b32_e64 v1, v1, 0xffffff82, vcc_lo
	v_add3_u32 v6, v7, v1, v5
	v_and_b32_e32 v1, 0x1fffff, v4
                                        ; implicit-def: $vgpr4
	s_delay_alu instid0(VALU_DEP_1) | instskip(SKIP_1) | instid1(VALU_DEP_2)
	v_dual_add_nc_u32 v5, 14, v6 :: v_dual_add_nc_u32 v0, v1, v0
	v_mov_b32_e32 v1, v113
	v_cmpx_ne_u32_e32 0, v5
	s_xor_b32 s13, exec_lo, s13
; %bb.29006:                            ;   in Loop: Header=BB6_27928 Depth=3
	s_delay_alu instid0(VALU_DEP_2) | instskip(SKIP_1) | instid1(VALU_DEP_1)
	v_cmp_lt_u64_e32 vcc_lo, 0xffffff, v[0:1]
	v_add_nc_u32_e32 v4, 15, v6
	v_cndmask_b32_e32 v4, v5, v4, vcc_lo
	v_cndmask_b32_e64 v5, 0, 1, vcc_lo
	s_delay_alu instid0(VALU_DEP_1)
	v_lshrrev_b64 v[0:1], v5, v[0:1]
; %bb.29007:                            ;   in Loop: Header=BB6_27928 Depth=3
	s_and_not1_saveexec_b32 s13, s13
; %bb.29008:                            ;   in Loop: Header=BB6_27928 Depth=3
	s_delay_alu instid0(VALU_DEP_1)
	v_bfe_u32 v4, v0, 23, 1
; %bb.29009:                            ;   in Loop: Header=BB6_27928 Depth=3
	s_or_b32 exec_lo, exec_lo, s13
	s_delay_alu instid0(VALU_DEP_2) | instskip(NEXT) | instid1(VALU_DEP_2)
	v_lshrrev_b64 v[0:1], 21, v[0:1]
	v_cmp_gt_i32_e32 vcc_lo, 32, v4
	v_cmp_ne_u32_e64 s13, 0, v4
                                        ; implicit-def: $vgpr62
	s_delay_alu instid0(VALU_DEP_3) | instskip(NEXT) | instid1(VALU_DEP_1)
	v_dual_cndmask_b32 v1, 0, v1 :: v_dual_cndmask_b32 v0, 3, v0
	v_cmp_ne_u64_e32 vcc_lo, 0, v[0:1]
	s_or_b32 s13, s13, vcc_lo
	s_delay_alu instid0(SALU_CYCLE_1) | instskip(NEXT) | instid1(SALU_CYCLE_1)
	s_and_saveexec_b32 s75, s13
	s_xor_b32 s13, exec_lo, s75
; %bb.29010:                            ;   in Loop: Header=BB6_27928 Depth=3
	v_min_i32_e32 v1, 31, v4
	s_delay_alu instid0(VALU_DEP_1) | instskip(NEXT) | instid1(VALU_DEP_1)
	v_lshl_or_b32 v1, v1, 2, v3
                                        ; implicit-def: $vgpr3
	v_and_or_b32 v62, v0, 3, v1
; %bb.29011:                            ;   in Loop: Header=BB6_27928 Depth=3
	s_and_not1_saveexec_b32 s13, s13
; %bb.29012:                            ;   in Loop: Header=BB6_27928 Depth=3
	v_mov_b32_e32 v62, v3
; %bb.29013:                            ;   in Loop: Header=BB6_27928 Depth=3
	s_or_b32 exec_lo, exec_lo, s13
.LBB6_29014:                            ;   in Loop: Header=BB6_27928 Depth=3
	s_delay_alu instid0(SALU_CYCLE_1)
	s_or_b32 exec_lo, exec_lo, s74
                                        ; implicit-def: $vgpr3
.LBB6_29015:                            ;   in Loop: Header=BB6_27928 Depth=3
	s_and_not1_saveexec_b32 s13, s15
; %bb.29016:                            ;   in Loop: Header=BB6_27928 Depth=3
	v_or_b32_e32 v62, 0x7b, v3
; %bb.29017:                            ;   in Loop: Header=BB6_27928 Depth=3
	s_or_b32 exec_lo, exec_lo, s13
                                        ; implicit-def: $vgpr4
                                        ; implicit-def: $vgpr0_vgpr1
.LBB6_29018:                            ;   in Loop: Header=BB6_27928 Depth=3
	s_and_not1_saveexec_b32 s13, s14
	s_cbranch_execz .LBB6_29024
; %bb.29019:                            ;   in Loop: Header=BB6_27928 Depth=3
	s_mov_b32 s14, exec_lo
                                        ; implicit-def: $vgpr62
	v_cmpx_ne_u64_e32 0, v[0:1]
	s_xor_b32 s14, exec_lo, s14
; %bb.29020:                            ;   in Loop: Header=BB6_27928 Depth=3
	v_lshrrev_b32_e32 v0, 24, v4
                                        ; implicit-def: $vgpr4
	s_delay_alu instid0(VALU_DEP_1)
	v_or_b32_e32 v62, 0x7f, v0
; %bb.29021:                            ;   in Loop: Header=BB6_27928 Depth=3
	s_and_not1_saveexec_b32 s14, s14
; %bb.29022:                            ;   in Loop: Header=BB6_27928 Depth=3
	v_cmp_lt_i32_e32 vcc_lo, -1, v4
	v_cndmask_b32_e64 v62, -4, 0x7c, vcc_lo
; %bb.29023:                            ;   in Loop: Header=BB6_27928 Depth=3
	s_or_b32 exec_lo, exec_lo, s14
.LBB6_29024:                            ;   in Loop: Header=BB6_27928 Depth=3
	s_delay_alu instid0(SALU_CYCLE_1)
	s_or_b32 exec_lo, exec_lo, s13
	s_clause 0x1f
	flat_load_i8 v56, v[10:11] th:TH_LOAD_NT
	flat_load_i8 v22, v[10:11] offset:32 th:TH_LOAD_NT
	flat_load_i8 v20, v[10:11] offset:64 th:TH_LOAD_NT
	;; [unrolled: 1-line block ×31, first 2 shown]
	v_and_b32_e32 v7, 0xff, v2
	v_dual_mov_b32 v1, 0 :: v_dual_mov_b32 v3, 0
	s_mov_b32 s14, exec_lo
	s_wait_xcnt 0x0
	s_delay_alu instid0(VALU_DEP_2)
	v_cmpx_ne_u16_e32 0, v7
	s_cbranch_execz .LBB6_29034
; %bb.29025:                            ;   in Loop: Header=BB6_27928 Depth=3
	v_bfrev_b32_e32 v3, 1
	s_mov_b32 s15, exec_lo
	v_cmpx_ne_u16_e32 0x80, v7
	s_cbranch_execz .LBB6_29033
; %bb.29026:                            ;   in Loop: Header=BB6_27928 Depth=3
	v_and_b32_e32 v3, 0x7c, v2
	v_and_b32_e32 v5, 3, v2
	s_delay_alu instid0(VALU_DEP_2) | instskip(SKIP_1) | instid1(SALU_CYCLE_1)
	v_cmp_ne_u32_e32 vcc_lo, 0x7c, v3
                                        ; implicit-def: $vgpr3
	s_and_saveexec_b32 s13, vcc_lo
	s_xor_b32 s13, exec_lo, s13
	s_cbranch_execz .LBB6_29030
; %bb.29027:                            ;   in Loop: Header=BB6_27928 Depth=3
	v_bfe_u32 v3, v7, 2, 5
	s_mov_b32 s74, exec_lo
	s_delay_alu instid0(VALU_DEP_1)
	v_cmpx_eq_u32_e32 0, v3
; %bb.29028:                            ;   in Loop: Header=BB6_27928 Depth=3
	v_clz_i32_u32_e32 v3, v5
	s_delay_alu instid0(VALU_DEP_1) | instskip(SKIP_1) | instid1(VALU_DEP_2)
	v_min_u32_e32 v5, 32, v3
	v_mov_b32_e32 v3, v113
	v_subrev_nc_u32_e32 v7, 29, v5
	s_delay_alu instid0(VALU_DEP_1) | instskip(NEXT) | instid1(VALU_DEP_1)
	v_lshlrev_b64_e32 v[58:59], v7, v[2:3]
	v_dual_sub_nc_u32 v3, 30, v5 :: v_dual_bitop2_b32 v5, 3, v58 bitop3:0x40
; %bb.29029:                            ;   in Loop: Header=BB6_27928 Depth=3
	s_or_b32 exec_lo, exec_lo, s74
	v_lshlrev_b32_e32 v2, 24, v2
	s_delay_alu instid0(VALU_DEP_1) | instskip(NEXT) | instid1(VALU_DEP_1)
	v_and_b32_e32 v2, 0x80000000, v2
	v_lshl_add_u32 v2, v3, 23, v2
	s_delay_alu instid0(VALU_DEP_1) | instskip(NEXT) | instid1(VALU_DEP_1)
	v_lshl_or_b32 v2, v5, 21, v2
                                        ; implicit-def: $vgpr5
	v_add_nc_u32_e32 v3, 0x38000000, v2
                                        ; implicit-def: $vgpr2
.LBB6_29030:                            ;   in Loop: Header=BB6_27928 Depth=3
	s_and_not1_saveexec_b32 s74, s13
; %bb.29031:                            ;   in Loop: Header=BB6_27928 Depth=3
	v_bfe_i32 v2, v2, 0, 8
	v_cmp_eq_u32_e32 vcc_lo, 0, v5
	s_delay_alu instid0(VALU_DEP_2) | instskip(SKIP_1) | instid1(VALU_DEP_1)
	v_cmp_lt_i16_e64 s13, -1, v2
	v_mov_b32_e32 v2, 0x7f800000
	v_cndmask_b32_e64 v2, 0xff800000, v2, s13
	s_delay_alu instid0(VALU_DEP_1)
	v_cndmask_b32_e32 v3, 0x7f800001, v2, vcc_lo
; %bb.29032:                            ;   in Loop: Header=BB6_27928 Depth=3
	s_or_b32 exec_lo, exec_lo, s74
.LBB6_29033:                            ;   in Loop: Header=BB6_27928 Depth=3
	s_delay_alu instid0(SALU_CYCLE_1)
	s_or_b32 exec_lo, exec_lo, s15
.LBB6_29034:                            ;   in Loop: Header=BB6_27928 Depth=3
	s_delay_alu instid0(SALU_CYCLE_1) | instskip(NEXT) | instid1(SALU_CYCLE_1)
	s_or_b32 exec_lo, exec_lo, s14
	s_mov_b32 s14, exec_lo
	s_wait_loadcnt_dscnt 0x1f1f
	v_cmpx_ne_u16_e32 0, v56
	s_cbranch_execz .LBB6_29044
; %bb.29035:                            ;   in Loop: Header=BB6_27928 Depth=3
	v_bfrev_b32_e32 v1, 1
	s_mov_b32 s15, exec_lo
	v_cmpx_ne_u16_e32 0xff80, v56
	s_cbranch_execz .LBB6_29043
; %bb.29036:                            ;   in Loop: Header=BB6_27928 Depth=3
	v_and_b32_e32 v1, 0x7c, v56
	v_and_b32_e32 v2, 3, v56
	s_delay_alu instid0(VALU_DEP_2) | instskip(SKIP_1) | instid1(SALU_CYCLE_1)
	v_cmp_ne_u32_e32 vcc_lo, 0x7c, v1
                                        ; implicit-def: $vgpr1
	s_and_saveexec_b32 s13, vcc_lo
	s_xor_b32 s13, exec_lo, s13
	s_cbranch_execz .LBB6_29040
; %bb.29037:                            ;   in Loop: Header=BB6_27928 Depth=3
	v_and_b32_e32 v1, 0xff, v56
	s_mov_b32 s74, exec_lo
	s_delay_alu instid0(VALU_DEP_1) | instskip(NEXT) | instid1(VALU_DEP_1)
	v_bfe_u32 v1, v1, 2, 5
	v_cmpx_eq_u32_e32 0, v1
	s_cbranch_execz .LBB6_29039
; %bb.29038:                            ;   in Loop: Header=BB6_27928 Depth=3
	v_clz_i32_u32_e32 v1, v2
	s_delay_alu instid0(VALU_DEP_1) | instskip(SKIP_1) | instid1(VALU_DEP_2)
	v_min_u32_e32 v1, 32, v1
	v_mov_b32_e32 v57, v113
	v_subrev_nc_u32_e32 v2, 29, v1
	v_sub_nc_u32_e32 v1, 30, v1
	s_delay_alu instid0(VALU_DEP_2) | instskip(NEXT) | instid1(VALU_DEP_1)
	v_lshlrev_b64_e32 v[58:59], v2, v[56:57]
	v_and_b32_e32 v2, 3, v58
.LBB6_29039:                            ;   in Loop: Header=BB6_27928 Depth=3
	s_or_b32 exec_lo, exec_lo, s74
	v_bfe_i32 v5, v56, 0, 16
                                        ; implicit-def: $vgpr56
	s_delay_alu instid0(VALU_DEP_1) | instskip(NEXT) | instid1(VALU_DEP_1)
	v_and_b32_e32 v5, 0x80000000, v5
	v_lshl_add_u32 v1, v1, 23, v5
	s_delay_alu instid0(VALU_DEP_1) | instskip(NEXT) | instid1(VALU_DEP_1)
	v_lshl_or_b32 v1, v2, 21, v1
                                        ; implicit-def: $vgpr2
	v_add_nc_u32_e32 v1, 0x38000000, v1
.LBB6_29040:                            ;   in Loop: Header=BB6_27928 Depth=3
	s_and_not1_saveexec_b32 s74, s13
; %bb.29041:                            ;   in Loop: Header=BB6_27928 Depth=3
	v_cmp_lt_i16_e64 s13, -1, v56
	v_mov_b32_e32 v1, 0x7f800000
	v_cmp_eq_u32_e32 vcc_lo, 0, v2
	s_delay_alu instid0(VALU_DEP_2) | instskip(NEXT) | instid1(VALU_DEP_1)
	v_cndmask_b32_e64 v1, 0xff800000, v1, s13
	v_cndmask_b32_e32 v1, 0x7f800001, v1, vcc_lo
; %bb.29042:                            ;   in Loop: Header=BB6_27928 Depth=3
	s_or_b32 exec_lo, exec_lo, s74
.LBB6_29043:                            ;   in Loop: Header=BB6_27928 Depth=3
	s_delay_alu instid0(SALU_CYCLE_1)
	s_or_b32 exec_lo, exec_lo, s15
.LBB6_29044:                            ;   in Loop: Header=BB6_27928 Depth=3
	s_delay_alu instid0(SALU_CYCLE_1) | instskip(NEXT) | instid1(VALU_DEP_1)
	s_or_b32 exec_lo, exec_lo, s14
	v_dual_add_f32 v5, v3, v1 :: v_dual_mov_b32 v3, v113
                                        ; implicit-def: $vgpr56
	s_delay_alu instid0(VALU_DEP_1) | instskip(NEXT) | instid1(VALU_DEP_1)
	v_and_b32_e32 v2, 0x7f800000, v5
	v_cmp_ne_u64_e32 vcc_lo, 0x7f800000, v[2:3]
	v_and_b32_e32 v2, 0x7fffff, v5
	s_and_saveexec_b32 s13, vcc_lo
	s_delay_alu instid0(SALU_CYCLE_1)
	s_xor_b32 s14, exec_lo, s13
	s_cbranch_execz .LBB6_29062
; %bb.29045:                            ;   in Loop: Header=BB6_27928 Depth=3
	v_and_b32_e32 v56, 0x7fffffff, v5
	v_dual_mov_b32 v57, v113 :: v_dual_lshrrev_b32 v1, 24, v5
	s_delay_alu instid0(VALU_DEP_1) | instskip(NEXT) | instid1(VALU_DEP_2)
	v_cmp_gt_u64_e32 vcc_lo, 0x47600001, v[56:57]
	v_and_b32_e32 v1, 0x80, v1
                                        ; implicit-def: $vgpr56
	s_and_saveexec_b32 s13, vcc_lo
	s_delay_alu instid0(SALU_CYCLE_1)
	s_xor_b32 s15, exec_lo, s13
	s_cbranch_execz .LBB6_29059
; %bb.29046:                            ;   in Loop: Header=BB6_27928 Depth=3
	v_mov_b32_e32 v56, 0
	s_mov_b32 s74, exec_lo
	v_cmpx_ne_u32_e32 0, v5
	s_cbranch_execz .LBB6_29058
; %bb.29047:                            ;   in Loop: Header=BB6_27928 Depth=3
	v_bfe_u32 v5, v5, 23, 8
	v_or_b32_e32 v15, 0x800000, v2
	s_delay_alu instid0(VALU_DEP_2) | instskip(SKIP_1) | instid1(VALU_DEP_3)
	v_cmp_eq_u32_e32 vcc_lo, 0, v5
	v_cmp_gt_u32_e64 s13, 0x72, v5
	v_dual_cndmask_b32 v2, v15, v2 :: v_dual_sub_nc_u32 v7, 0x71, v5
	s_delay_alu instid0(VALU_DEP_1) | instskip(NEXT) | instid1(VALU_DEP_1)
	v_cndmask_b32_e64 v7, 0, v7, s13
	v_cndmask_b32_e64 v7, v7, 0x70, vcc_lo
	s_delay_alu instid0(VALU_DEP_1) | instskip(NEXT) | instid1(VALU_DEP_1)
	v_add_nc_u32_e32 v15, 21, v7
	v_lshlrev_b64_e64 v[56:57], v15, -1
	v_add_nc_u32_e32 v15, 20, v7
	s_delay_alu instid0(VALU_DEP_1) | instskip(NEXT) | instid1(VALU_DEP_3)
	v_lshlrev_b64_e64 v[58:59], v15, 1
	v_bfi_b32 v56, v56, 0, v2
	v_lshrrev_b64 v[2:3], v7, v[2:3]
	v_bfi_b32 v57, v57, 0, 0
	s_delay_alu instid0(VALU_DEP_1) | instskip(NEXT) | instid1(VALU_DEP_3)
	v_cmp_eq_u64_e64 s13, v[56:57], v[58:59]
	v_mov_b64_e32 v[56:57], v[2:3]
	s_and_saveexec_b32 s75, s13
; %bb.29048:                            ;   in Loop: Header=BB6_27928 Depth=3
	v_bfe_u32 v56, v2, 21, 1
	v_mov_b32_e32 v57, v113
	s_delay_alu instid0(VALU_DEP_1) | instskip(NEXT) | instid1(VALU_DEP_1)
	v_add_nc_u64_e32 v[56:57], v[2:3], v[56:57]
	v_add_nc_u64_e32 v[56:57], -1, v[56:57]
; %bb.29049:                            ;   in Loop: Header=BB6_27928 Depth=3
	s_or_b32 exec_lo, exec_lo, s75
	v_add_nc_u32_e32 v3, 0xffffff81, v5
	v_lshrrev_b32_e32 v5, 23, v2
	s_mov_b32 s13, exec_lo
	s_delay_alu instid0(VALU_DEP_2) | instskip(NEXT) | instid1(VALU_DEP_1)
	v_cndmask_b32_e64 v3, v3, 0xffffff82, vcc_lo
	v_add3_u32 v15, v7, v3, v5
	v_and_b32_e32 v3, 0x1fffff, v56
                                        ; implicit-def: $vgpr5
	s_delay_alu instid0(VALU_DEP_1) | instskip(SKIP_1) | instid1(VALU_DEP_2)
	v_dual_add_nc_u32 v7, 14, v15 :: v_dual_add_nc_u32 v2, v3, v2
	v_mov_b32_e32 v3, v113
	v_cmpx_ne_u32_e32 0, v7
	s_xor_b32 s13, exec_lo, s13
; %bb.29050:                            ;   in Loop: Header=BB6_27928 Depth=3
	s_delay_alu instid0(VALU_DEP_2) | instskip(SKIP_1) | instid1(VALU_DEP_1)
	v_cmp_lt_u64_e32 vcc_lo, 0xffffff, v[2:3]
	v_add_nc_u32_e32 v5, 15, v15
	v_cndmask_b32_e32 v5, v7, v5, vcc_lo
	v_cndmask_b32_e64 v7, 0, 1, vcc_lo
	s_delay_alu instid0(VALU_DEP_1)
	v_lshrrev_b64 v[2:3], v7, v[2:3]
; %bb.29051:                            ;   in Loop: Header=BB6_27928 Depth=3
	s_and_not1_saveexec_b32 s13, s13
; %bb.29052:                            ;   in Loop: Header=BB6_27928 Depth=3
	s_delay_alu instid0(VALU_DEP_1)
	v_bfe_u32 v5, v2, 23, 1
; %bb.29053:                            ;   in Loop: Header=BB6_27928 Depth=3
	s_or_b32 exec_lo, exec_lo, s13
	s_delay_alu instid0(VALU_DEP_2) | instskip(NEXT) | instid1(VALU_DEP_2)
	v_lshrrev_b64 v[2:3], 21, v[2:3]
	v_cmp_gt_i32_e32 vcc_lo, 32, v5
	v_cmp_ne_u32_e64 s13, 0, v5
                                        ; implicit-def: $vgpr56
	s_delay_alu instid0(VALU_DEP_3) | instskip(NEXT) | instid1(VALU_DEP_1)
	v_dual_cndmask_b32 v3, 0, v3 :: v_dual_cndmask_b32 v2, 3, v2
	v_cmp_ne_u64_e32 vcc_lo, 0, v[2:3]
	s_or_b32 s13, s13, vcc_lo
	s_delay_alu instid0(SALU_CYCLE_1) | instskip(NEXT) | instid1(SALU_CYCLE_1)
	s_and_saveexec_b32 s75, s13
	s_xor_b32 s13, exec_lo, s75
; %bb.29054:                            ;   in Loop: Header=BB6_27928 Depth=3
	v_min_i32_e32 v3, 31, v5
	s_delay_alu instid0(VALU_DEP_1) | instskip(NEXT) | instid1(VALU_DEP_1)
	v_lshl_or_b32 v1, v3, 2, v1
	v_and_or_b32 v56, v2, 3, v1
                                        ; implicit-def: $vgpr1
; %bb.29055:                            ;   in Loop: Header=BB6_27928 Depth=3
	s_and_not1_saveexec_b32 s13, s13
; %bb.29056:                            ;   in Loop: Header=BB6_27928 Depth=3
	v_mov_b32_e32 v56, v1
; %bb.29057:                            ;   in Loop: Header=BB6_27928 Depth=3
	s_or_b32 exec_lo, exec_lo, s13
.LBB6_29058:                            ;   in Loop: Header=BB6_27928 Depth=3
	s_delay_alu instid0(SALU_CYCLE_1)
	s_or_b32 exec_lo, exec_lo, s74
                                        ; implicit-def: $vgpr1
.LBB6_29059:                            ;   in Loop: Header=BB6_27928 Depth=3
	s_and_not1_saveexec_b32 s13, s15
; %bb.29060:                            ;   in Loop: Header=BB6_27928 Depth=3
	v_or_b32_e32 v56, 0x7b, v1
; %bb.29061:                            ;   in Loop: Header=BB6_27928 Depth=3
	s_or_b32 exec_lo, exec_lo, s13
                                        ; implicit-def: $vgpr5
                                        ; implicit-def: $vgpr2_vgpr3
.LBB6_29062:                            ;   in Loop: Header=BB6_27928 Depth=3
	s_and_not1_saveexec_b32 s13, s14
	s_cbranch_execz .LBB6_29068
; %bb.29063:                            ;   in Loop: Header=BB6_27928 Depth=3
	s_mov_b32 s14, exec_lo
                                        ; implicit-def: $vgpr56
	v_cmpx_ne_u64_e32 0, v[2:3]
	s_xor_b32 s14, exec_lo, s14
; %bb.29064:                            ;   in Loop: Header=BB6_27928 Depth=3
	v_lshrrev_b32_e32 v1, 24, v5
                                        ; implicit-def: $vgpr5
	s_delay_alu instid0(VALU_DEP_1)
	v_or_b32_e32 v56, 0x7f, v1
; %bb.29065:                            ;   in Loop: Header=BB6_27928 Depth=3
	s_and_not1_saveexec_b32 s14, s14
; %bb.29066:                            ;   in Loop: Header=BB6_27928 Depth=3
	v_cmp_lt_i32_e32 vcc_lo, -1, v5
	v_cndmask_b32_e64 v56, -4, 0x7c, vcc_lo
; %bb.29067:                            ;   in Loop: Header=BB6_27928 Depth=3
	s_or_b32 exec_lo, exec_lo, s14
.LBB6_29068:                            ;   in Loop: Header=BB6_27928 Depth=3
	s_delay_alu instid0(SALU_CYCLE_1) | instskip(SKIP_3) | instid1(VALU_DEP_2)
	s_or_b32 exec_lo, exec_lo, s13
	v_and_b32_e32 v5, 0xff, v42
	v_dual_mov_b32 v1, 0 :: v_dual_mov_b32 v2, 0
	s_mov_b32 s14, exec_lo
	v_cmpx_ne_u16_e32 0, v5
	s_cbranch_execz .LBB6_29078
; %bb.29069:                            ;   in Loop: Header=BB6_27928 Depth=3
	v_bfrev_b32_e32 v2, 1
	s_mov_b32 s15, exec_lo
	v_cmpx_ne_u16_e32 0x80, v5
	s_cbranch_execz .LBB6_29077
; %bb.29070:                            ;   in Loop: Header=BB6_27928 Depth=3
	v_and_b32_e32 v2, 0x7c, v42
	v_and_b32_e32 v3, 3, v42
	s_delay_alu instid0(VALU_DEP_2) | instskip(SKIP_1) | instid1(SALU_CYCLE_1)
	v_cmp_ne_u32_e32 vcc_lo, 0x7c, v2
                                        ; implicit-def: $vgpr2
	s_and_saveexec_b32 s13, vcc_lo
	s_xor_b32 s13, exec_lo, s13
	s_cbranch_execz .LBB6_29074
; %bb.29071:                            ;   in Loop: Header=BB6_27928 Depth=3
	v_bfe_u32 v2, v5, 2, 5
	s_mov_b32 s74, exec_lo
	s_delay_alu instid0(VALU_DEP_1)
	v_cmpx_eq_u32_e32 0, v2
	s_cbranch_execz .LBB6_29073
; %bb.29072:                            ;   in Loop: Header=BB6_27928 Depth=3
	v_clz_i32_u32_e32 v2, v3
	s_delay_alu instid0(VALU_DEP_1) | instskip(SKIP_1) | instid1(VALU_DEP_2)
	v_min_u32_e32 v2, 32, v2
	v_mov_b32_e32 v43, v113
	v_subrev_nc_u32_e32 v3, 29, v2
	v_sub_nc_u32_e32 v2, 30, v2
	s_delay_alu instid0(VALU_DEP_2) | instskip(NEXT) | instid1(VALU_DEP_1)
	v_lshlrev_b64_e32 v[58:59], v3, v[42:43]
	v_and_b32_e32 v3, 3, v58
.LBB6_29073:                            ;   in Loop: Header=BB6_27928 Depth=3
	s_or_b32 exec_lo, exec_lo, s74
	v_lshlrev_b32_e32 v5, 24, v42
                                        ; implicit-def: $vgpr42
	s_delay_alu instid0(VALU_DEP_1) | instskip(NEXT) | instid1(VALU_DEP_1)
	v_and_b32_e32 v5, 0x80000000, v5
	v_lshl_add_u32 v2, v2, 23, v5
	s_delay_alu instid0(VALU_DEP_1) | instskip(NEXT) | instid1(VALU_DEP_1)
	v_lshl_or_b32 v2, v3, 21, v2
                                        ; implicit-def: $vgpr3
	v_add_nc_u32_e32 v2, 0x38000000, v2
.LBB6_29074:                            ;   in Loop: Header=BB6_27928 Depth=3
	s_and_not1_saveexec_b32 s74, s13
; %bb.29075:                            ;   in Loop: Header=BB6_27928 Depth=3
	v_bfe_i32 v2, v42, 0, 8
	v_cmp_eq_u32_e32 vcc_lo, 0, v3
	s_delay_alu instid0(VALU_DEP_2) | instskip(SKIP_1) | instid1(VALU_DEP_1)
	v_cmp_lt_i16_e64 s13, -1, v2
	v_mov_b32_e32 v2, 0x7f800000
	v_cndmask_b32_e64 v2, 0xff800000, v2, s13
	s_delay_alu instid0(VALU_DEP_1)
	v_cndmask_b32_e32 v2, 0x7f800001, v2, vcc_lo
; %bb.29076:                            ;   in Loop: Header=BB6_27928 Depth=3
	s_or_b32 exec_lo, exec_lo, s74
.LBB6_29077:                            ;   in Loop: Header=BB6_27928 Depth=3
	s_delay_alu instid0(SALU_CYCLE_1)
	s_or_b32 exec_lo, exec_lo, s15
.LBB6_29078:                            ;   in Loop: Header=BB6_27928 Depth=3
	s_delay_alu instid0(SALU_CYCLE_1) | instskip(NEXT) | instid1(SALU_CYCLE_1)
	s_or_b32 exec_lo, exec_lo, s14
	s_mov_b32 s14, exec_lo
	s_wait_loadcnt_dscnt 0x1e1e
	v_cmpx_ne_u16_e32 0, v22
	s_cbranch_execz .LBB6_29088
; %bb.29079:                            ;   in Loop: Header=BB6_27928 Depth=3
	v_bfrev_b32_e32 v1, 1
	s_mov_b32 s15, exec_lo
	v_cmpx_ne_u16_e32 0xff80, v22
	s_cbranch_execz .LBB6_29087
; %bb.29080:                            ;   in Loop: Header=BB6_27928 Depth=3
	v_and_b32_e32 v1, 0x7c, v22
	v_and_b32_e32 v3, 3, v22
	s_delay_alu instid0(VALU_DEP_2) | instskip(SKIP_1) | instid1(SALU_CYCLE_1)
	v_cmp_ne_u32_e32 vcc_lo, 0x7c, v1
                                        ; implicit-def: $vgpr1
	s_and_saveexec_b32 s13, vcc_lo
	s_xor_b32 s13, exec_lo, s13
	s_cbranch_execz .LBB6_29084
; %bb.29081:                            ;   in Loop: Header=BB6_27928 Depth=3
	v_and_b32_e32 v1, 0xff, v22
	s_mov_b32 s74, exec_lo
	s_delay_alu instid0(VALU_DEP_1) | instskip(NEXT) | instid1(VALU_DEP_1)
	v_bfe_u32 v1, v1, 2, 5
	v_cmpx_eq_u32_e32 0, v1
	s_cbranch_execz .LBB6_29083
; %bb.29082:                            ;   in Loop: Header=BB6_27928 Depth=3
	v_clz_i32_u32_e32 v1, v3
	s_delay_alu instid0(VALU_DEP_1) | instskip(SKIP_1) | instid1(VALU_DEP_2)
	v_min_u32_e32 v1, 32, v1
	v_mov_b32_e32 v23, v113
	v_subrev_nc_u32_e32 v3, 29, v1
	v_sub_nc_u32_e32 v1, 30, v1
	s_delay_alu instid0(VALU_DEP_2) | instskip(NEXT) | instid1(VALU_DEP_1)
	v_lshlrev_b64_e32 v[42:43], v3, v[22:23]
	v_and_b32_e32 v3, 3, v42
.LBB6_29083:                            ;   in Loop: Header=BB6_27928 Depth=3
	s_or_b32 exec_lo, exec_lo, s74
	v_bfe_i32 v5, v22, 0, 16
                                        ; implicit-def: $vgpr22
	s_delay_alu instid0(VALU_DEP_1) | instskip(NEXT) | instid1(VALU_DEP_1)
	v_and_b32_e32 v5, 0x80000000, v5
	v_lshl_add_u32 v1, v1, 23, v5
	s_delay_alu instid0(VALU_DEP_1) | instskip(NEXT) | instid1(VALU_DEP_1)
	v_lshl_or_b32 v1, v3, 21, v1
                                        ; implicit-def: $vgpr3
	v_add_nc_u32_e32 v1, 0x38000000, v1
.LBB6_29084:                            ;   in Loop: Header=BB6_27928 Depth=3
	s_and_not1_saveexec_b32 s74, s13
; %bb.29085:                            ;   in Loop: Header=BB6_27928 Depth=3
	v_cmp_lt_i16_e64 s13, -1, v22
	v_mov_b32_e32 v1, 0x7f800000
	v_cmp_eq_u32_e32 vcc_lo, 0, v3
	s_delay_alu instid0(VALU_DEP_2) | instskip(NEXT) | instid1(VALU_DEP_1)
	v_cndmask_b32_e64 v1, 0xff800000, v1, s13
	v_cndmask_b32_e32 v1, 0x7f800001, v1, vcc_lo
; %bb.29086:                            ;   in Loop: Header=BB6_27928 Depth=3
	s_or_b32 exec_lo, exec_lo, s74
.LBB6_29087:                            ;   in Loop: Header=BB6_27928 Depth=3
	s_delay_alu instid0(SALU_CYCLE_1)
	s_or_b32 exec_lo, exec_lo, s15
.LBB6_29088:                            ;   in Loop: Header=BB6_27928 Depth=3
	s_delay_alu instid0(SALU_CYCLE_1) | instskip(NEXT) | instid1(VALU_DEP_1)
	s_or_b32 exec_lo, exec_lo, s14
	v_dual_add_f32 v5, v2, v1 :: v_dual_mov_b32 v3, v113
                                        ; implicit-def: $vgpr22
	s_delay_alu instid0(VALU_DEP_1) | instskip(NEXT) | instid1(VALU_DEP_1)
	v_and_b32_e32 v2, 0x7f800000, v5
	v_cmp_ne_u64_e32 vcc_lo, 0x7f800000, v[2:3]
	v_and_b32_e32 v2, 0x7fffff, v5
	s_and_saveexec_b32 s13, vcc_lo
	s_delay_alu instid0(SALU_CYCLE_1)
	s_xor_b32 s14, exec_lo, s13
	s_cbranch_execz .LBB6_29106
; %bb.29089:                            ;   in Loop: Header=BB6_27928 Depth=3
	v_and_b32_e32 v22, 0x7fffffff, v5
	v_dual_mov_b32 v23, v113 :: v_dual_lshrrev_b32 v1, 24, v5
	s_delay_alu instid0(VALU_DEP_1) | instskip(NEXT) | instid1(VALU_DEP_2)
	v_cmp_gt_u64_e32 vcc_lo, 0x47600001, v[22:23]
	v_and_b32_e32 v1, 0x80, v1
                                        ; implicit-def: $vgpr22
	s_and_saveexec_b32 s13, vcc_lo
	s_delay_alu instid0(SALU_CYCLE_1)
	s_xor_b32 s15, exec_lo, s13
	s_cbranch_execz .LBB6_29103
; %bb.29090:                            ;   in Loop: Header=BB6_27928 Depth=3
	v_mov_b32_e32 v22, 0
	s_mov_b32 s74, exec_lo
	v_cmpx_ne_u32_e32 0, v5
	s_cbranch_execz .LBB6_29102
; %bb.29091:                            ;   in Loop: Header=BB6_27928 Depth=3
	v_bfe_u32 v5, v5, 23, 8
	v_or_b32_e32 v15, 0x800000, v2
	s_delay_alu instid0(VALU_DEP_2) | instskip(SKIP_1) | instid1(VALU_DEP_3)
	v_cmp_eq_u32_e32 vcc_lo, 0, v5
	v_cmp_gt_u32_e64 s13, 0x72, v5
	v_dual_cndmask_b32 v2, v15, v2 :: v_dual_sub_nc_u32 v7, 0x71, v5
	s_delay_alu instid0(VALU_DEP_1) | instskip(NEXT) | instid1(VALU_DEP_1)
	v_cndmask_b32_e64 v7, 0, v7, s13
	v_cndmask_b32_e64 v7, v7, 0x70, vcc_lo
	s_delay_alu instid0(VALU_DEP_1) | instskip(NEXT) | instid1(VALU_DEP_1)
	v_add_nc_u32_e32 v15, 21, v7
	v_lshlrev_b64_e64 v[22:23], v15, -1
	v_add_nc_u32_e32 v15, 20, v7
	s_delay_alu instid0(VALU_DEP_1) | instskip(NEXT) | instid1(VALU_DEP_3)
	v_lshlrev_b64_e64 v[42:43], v15, 1
	v_bfi_b32 v22, v22, 0, v2
	v_lshrrev_b64 v[2:3], v7, v[2:3]
	v_bfi_b32 v23, v23, 0, 0
	s_delay_alu instid0(VALU_DEP_1) | instskip(NEXT) | instid1(VALU_DEP_3)
	v_cmp_eq_u64_e64 s13, v[22:23], v[42:43]
	v_mov_b64_e32 v[22:23], v[2:3]
	s_and_saveexec_b32 s75, s13
; %bb.29092:                            ;   in Loop: Header=BB6_27928 Depth=3
	v_bfe_u32 v22, v2, 21, 1
	v_mov_b32_e32 v23, v113
	s_delay_alu instid0(VALU_DEP_1) | instskip(NEXT) | instid1(VALU_DEP_1)
	v_add_nc_u64_e32 v[22:23], v[2:3], v[22:23]
	v_add_nc_u64_e32 v[22:23], -1, v[22:23]
; %bb.29093:                            ;   in Loop: Header=BB6_27928 Depth=3
	s_or_b32 exec_lo, exec_lo, s75
	v_add_nc_u32_e32 v3, 0xffffff81, v5
	v_lshrrev_b32_e32 v5, 23, v2
	s_mov_b32 s13, exec_lo
	s_delay_alu instid0(VALU_DEP_2) | instskip(NEXT) | instid1(VALU_DEP_1)
	v_cndmask_b32_e64 v3, v3, 0xffffff82, vcc_lo
	v_add3_u32 v15, v7, v3, v5
	v_and_b32_e32 v3, 0x1fffff, v22
                                        ; implicit-def: $vgpr5
	s_delay_alu instid0(VALU_DEP_1) | instskip(SKIP_1) | instid1(VALU_DEP_2)
	v_dual_add_nc_u32 v7, 14, v15 :: v_dual_add_nc_u32 v2, v3, v2
	v_mov_b32_e32 v3, v113
	v_cmpx_ne_u32_e32 0, v7
	s_xor_b32 s13, exec_lo, s13
; %bb.29094:                            ;   in Loop: Header=BB6_27928 Depth=3
	s_delay_alu instid0(VALU_DEP_2) | instskip(SKIP_1) | instid1(VALU_DEP_1)
	v_cmp_lt_u64_e32 vcc_lo, 0xffffff, v[2:3]
	v_add_nc_u32_e32 v5, 15, v15
	v_cndmask_b32_e32 v5, v7, v5, vcc_lo
	v_cndmask_b32_e64 v7, 0, 1, vcc_lo
	s_delay_alu instid0(VALU_DEP_1)
	v_lshrrev_b64 v[2:3], v7, v[2:3]
; %bb.29095:                            ;   in Loop: Header=BB6_27928 Depth=3
	s_and_not1_saveexec_b32 s13, s13
; %bb.29096:                            ;   in Loop: Header=BB6_27928 Depth=3
	s_delay_alu instid0(VALU_DEP_1)
	v_bfe_u32 v5, v2, 23, 1
; %bb.29097:                            ;   in Loop: Header=BB6_27928 Depth=3
	s_or_b32 exec_lo, exec_lo, s13
	s_delay_alu instid0(VALU_DEP_2) | instskip(NEXT) | instid1(VALU_DEP_2)
	v_lshrrev_b64 v[2:3], 21, v[2:3]
	v_cmp_gt_i32_e32 vcc_lo, 32, v5
	v_cmp_ne_u32_e64 s13, 0, v5
                                        ; implicit-def: $vgpr22
	s_delay_alu instid0(VALU_DEP_3) | instskip(NEXT) | instid1(VALU_DEP_1)
	v_dual_cndmask_b32 v3, 0, v3 :: v_dual_cndmask_b32 v2, 3, v2
	v_cmp_ne_u64_e32 vcc_lo, 0, v[2:3]
	s_or_b32 s13, s13, vcc_lo
	s_delay_alu instid0(SALU_CYCLE_1) | instskip(NEXT) | instid1(SALU_CYCLE_1)
	s_and_saveexec_b32 s75, s13
	s_xor_b32 s13, exec_lo, s75
; %bb.29098:                            ;   in Loop: Header=BB6_27928 Depth=3
	v_min_i32_e32 v3, 31, v5
	s_delay_alu instid0(VALU_DEP_1) | instskip(NEXT) | instid1(VALU_DEP_1)
	v_lshl_or_b32 v1, v3, 2, v1
	v_and_or_b32 v22, v2, 3, v1
                                        ; implicit-def: $vgpr1
; %bb.29099:                            ;   in Loop: Header=BB6_27928 Depth=3
	s_and_not1_saveexec_b32 s13, s13
; %bb.29100:                            ;   in Loop: Header=BB6_27928 Depth=3
	v_mov_b32_e32 v22, v1
; %bb.29101:                            ;   in Loop: Header=BB6_27928 Depth=3
	s_or_b32 exec_lo, exec_lo, s13
.LBB6_29102:                            ;   in Loop: Header=BB6_27928 Depth=3
	s_delay_alu instid0(SALU_CYCLE_1)
	s_or_b32 exec_lo, exec_lo, s74
                                        ; implicit-def: $vgpr1
.LBB6_29103:                            ;   in Loop: Header=BB6_27928 Depth=3
	s_and_not1_saveexec_b32 s13, s15
; %bb.29104:                            ;   in Loop: Header=BB6_27928 Depth=3
	v_or_b32_e32 v22, 0x7b, v1
; %bb.29105:                            ;   in Loop: Header=BB6_27928 Depth=3
	s_or_b32 exec_lo, exec_lo, s13
                                        ; implicit-def: $vgpr5
                                        ; implicit-def: $vgpr2_vgpr3
.LBB6_29106:                            ;   in Loop: Header=BB6_27928 Depth=3
	s_and_not1_saveexec_b32 s13, s14
	s_cbranch_execz .LBB6_29112
; %bb.29107:                            ;   in Loop: Header=BB6_27928 Depth=3
	s_mov_b32 s14, exec_lo
                                        ; implicit-def: $vgpr22
	v_cmpx_ne_u64_e32 0, v[2:3]
	s_xor_b32 s14, exec_lo, s14
; %bb.29108:                            ;   in Loop: Header=BB6_27928 Depth=3
	v_lshrrev_b32_e32 v1, 24, v5
                                        ; implicit-def: $vgpr5
	s_delay_alu instid0(VALU_DEP_1)
	v_or_b32_e32 v22, 0x7f, v1
; %bb.29109:                            ;   in Loop: Header=BB6_27928 Depth=3
	s_and_not1_saveexec_b32 s14, s14
; %bb.29110:                            ;   in Loop: Header=BB6_27928 Depth=3
	v_cmp_lt_i32_e32 vcc_lo, -1, v5
	v_cndmask_b32_e64 v22, -4, 0x7c, vcc_lo
; %bb.29111:                            ;   in Loop: Header=BB6_27928 Depth=3
	s_or_b32 exec_lo, exec_lo, s14
.LBB6_29112:                            ;   in Loop: Header=BB6_27928 Depth=3
	s_delay_alu instid0(SALU_CYCLE_1) | instskip(SKIP_3) | instid1(VALU_DEP_2)
	s_or_b32 exec_lo, exec_lo, s13
	v_and_b32_e32 v5, 0xff, v100
	v_dual_mov_b32 v1, 0 :: v_dual_mov_b32 v2, 0
	s_mov_b32 s14, exec_lo
	v_cmpx_ne_u16_e32 0, v5
	s_cbranch_execz .LBB6_29122
; %bb.29113:                            ;   in Loop: Header=BB6_27928 Depth=3
	v_bfrev_b32_e32 v2, 1
	s_mov_b32 s15, exec_lo
	v_cmpx_ne_u16_e32 0x80, v5
	s_cbranch_execz .LBB6_29121
; %bb.29114:                            ;   in Loop: Header=BB6_27928 Depth=3
	v_and_b32_e32 v2, 0x7c, v100
	v_and_b32_e32 v3, 3, v100
	s_delay_alu instid0(VALU_DEP_2) | instskip(SKIP_1) | instid1(SALU_CYCLE_1)
	v_cmp_ne_u32_e32 vcc_lo, 0x7c, v2
                                        ; implicit-def: $vgpr2
	s_and_saveexec_b32 s13, vcc_lo
	s_xor_b32 s13, exec_lo, s13
	s_cbranch_execz .LBB6_29118
; %bb.29115:                            ;   in Loop: Header=BB6_27928 Depth=3
	v_bfe_u32 v2, v5, 2, 5
	s_mov_b32 s74, exec_lo
	s_delay_alu instid0(VALU_DEP_1)
	v_cmpx_eq_u32_e32 0, v2
	s_cbranch_execz .LBB6_29117
; %bb.29116:                            ;   in Loop: Header=BB6_27928 Depth=3
	v_clz_i32_u32_e32 v2, v3
	s_delay_alu instid0(VALU_DEP_1) | instskip(SKIP_1) | instid1(VALU_DEP_2)
	v_min_u32_e32 v2, 32, v2
	v_mov_b32_e32 v101, v113
	v_subrev_nc_u32_e32 v3, 29, v2
	v_sub_nc_u32_e32 v2, 30, v2
	s_delay_alu instid0(VALU_DEP_2) | instskip(NEXT) | instid1(VALU_DEP_1)
	v_lshlrev_b64_e32 v[42:43], v3, v[100:101]
	v_and_b32_e32 v3, 3, v42
.LBB6_29117:                            ;   in Loop: Header=BB6_27928 Depth=3
	s_or_b32 exec_lo, exec_lo, s74
	v_lshlrev_b32_e32 v5, 24, v100
                                        ; implicit-def: $vgpr100
	s_delay_alu instid0(VALU_DEP_1) | instskip(NEXT) | instid1(VALU_DEP_1)
	v_and_b32_e32 v5, 0x80000000, v5
	v_lshl_add_u32 v2, v2, 23, v5
	s_delay_alu instid0(VALU_DEP_1) | instskip(NEXT) | instid1(VALU_DEP_1)
	v_lshl_or_b32 v2, v3, 21, v2
                                        ; implicit-def: $vgpr3
	v_add_nc_u32_e32 v2, 0x38000000, v2
.LBB6_29118:                            ;   in Loop: Header=BB6_27928 Depth=3
	s_and_not1_saveexec_b32 s74, s13
; %bb.29119:                            ;   in Loop: Header=BB6_27928 Depth=3
	v_bfe_i32 v2, v100, 0, 8
	v_cmp_eq_u32_e32 vcc_lo, 0, v3
	s_delay_alu instid0(VALU_DEP_2) | instskip(SKIP_1) | instid1(VALU_DEP_1)
	v_cmp_lt_i16_e64 s13, -1, v2
	v_mov_b32_e32 v2, 0x7f800000
	v_cndmask_b32_e64 v2, 0xff800000, v2, s13
	s_delay_alu instid0(VALU_DEP_1)
	v_cndmask_b32_e32 v2, 0x7f800001, v2, vcc_lo
; %bb.29120:                            ;   in Loop: Header=BB6_27928 Depth=3
	s_or_b32 exec_lo, exec_lo, s74
.LBB6_29121:                            ;   in Loop: Header=BB6_27928 Depth=3
	s_delay_alu instid0(SALU_CYCLE_1)
	s_or_b32 exec_lo, exec_lo, s15
.LBB6_29122:                            ;   in Loop: Header=BB6_27928 Depth=3
	s_delay_alu instid0(SALU_CYCLE_1) | instskip(NEXT) | instid1(SALU_CYCLE_1)
	s_or_b32 exec_lo, exec_lo, s14
	s_mov_b32 s14, exec_lo
	s_wait_loadcnt_dscnt 0x1d1d
	v_cmpx_ne_u16_e32 0, v20
	s_cbranch_execz .LBB6_29132
; %bb.29123:                            ;   in Loop: Header=BB6_27928 Depth=3
	v_bfrev_b32_e32 v1, 1
	s_mov_b32 s15, exec_lo
	v_cmpx_ne_u16_e32 0xff80, v20
	s_cbranch_execz .LBB6_29131
; %bb.29124:                            ;   in Loop: Header=BB6_27928 Depth=3
	v_and_b32_e32 v1, 0x7c, v20
	v_and_b32_e32 v3, 3, v20
	s_delay_alu instid0(VALU_DEP_2) | instskip(SKIP_1) | instid1(SALU_CYCLE_1)
	v_cmp_ne_u32_e32 vcc_lo, 0x7c, v1
                                        ; implicit-def: $vgpr1
	s_and_saveexec_b32 s13, vcc_lo
	s_xor_b32 s13, exec_lo, s13
	s_cbranch_execz .LBB6_29128
; %bb.29125:                            ;   in Loop: Header=BB6_27928 Depth=3
	v_and_b32_e32 v1, 0xff, v20
	s_mov_b32 s74, exec_lo
	s_delay_alu instid0(VALU_DEP_1) | instskip(NEXT) | instid1(VALU_DEP_1)
	v_bfe_u32 v1, v1, 2, 5
	v_cmpx_eq_u32_e32 0, v1
	s_cbranch_execz .LBB6_29127
; %bb.29126:                            ;   in Loop: Header=BB6_27928 Depth=3
	v_clz_i32_u32_e32 v1, v3
	s_delay_alu instid0(VALU_DEP_1) | instskip(SKIP_1) | instid1(VALU_DEP_2)
	v_min_u32_e32 v1, 32, v1
	v_mov_b32_e32 v21, v113
	v_subrev_nc_u32_e32 v3, 29, v1
	v_sub_nc_u32_e32 v1, 30, v1
	s_delay_alu instid0(VALU_DEP_2) | instskip(NEXT) | instid1(VALU_DEP_1)
	v_lshlrev_b64_e32 v[100:101], v3, v[20:21]
	v_and_b32_e32 v3, 3, v100
.LBB6_29127:                            ;   in Loop: Header=BB6_27928 Depth=3
	s_or_b32 exec_lo, exec_lo, s74
	v_bfe_i32 v5, v20, 0, 16
                                        ; implicit-def: $vgpr20
	s_delay_alu instid0(VALU_DEP_1) | instskip(NEXT) | instid1(VALU_DEP_1)
	v_and_b32_e32 v5, 0x80000000, v5
	v_lshl_add_u32 v1, v1, 23, v5
	s_delay_alu instid0(VALU_DEP_1) | instskip(NEXT) | instid1(VALU_DEP_1)
	v_lshl_or_b32 v1, v3, 21, v1
                                        ; implicit-def: $vgpr3
	v_add_nc_u32_e32 v1, 0x38000000, v1
.LBB6_29128:                            ;   in Loop: Header=BB6_27928 Depth=3
	s_and_not1_saveexec_b32 s74, s13
; %bb.29129:                            ;   in Loop: Header=BB6_27928 Depth=3
	v_cmp_lt_i16_e64 s13, -1, v20
	v_mov_b32_e32 v1, 0x7f800000
	v_cmp_eq_u32_e32 vcc_lo, 0, v3
	s_delay_alu instid0(VALU_DEP_2) | instskip(NEXT) | instid1(VALU_DEP_1)
	v_cndmask_b32_e64 v1, 0xff800000, v1, s13
	v_cndmask_b32_e32 v1, 0x7f800001, v1, vcc_lo
; %bb.29130:                            ;   in Loop: Header=BB6_27928 Depth=3
	s_or_b32 exec_lo, exec_lo, s74
.LBB6_29131:                            ;   in Loop: Header=BB6_27928 Depth=3
	s_delay_alu instid0(SALU_CYCLE_1)
	s_or_b32 exec_lo, exec_lo, s15
.LBB6_29132:                            ;   in Loop: Header=BB6_27928 Depth=3
	s_delay_alu instid0(SALU_CYCLE_1) | instskip(NEXT) | instid1(VALU_DEP_1)
	s_or_b32 exec_lo, exec_lo, s14
	v_dual_add_f32 v5, v2, v1 :: v_dual_mov_b32 v3, v113
                                        ; implicit-def: $vgpr20
	s_delay_alu instid0(VALU_DEP_1) | instskip(NEXT) | instid1(VALU_DEP_1)
	v_and_b32_e32 v2, 0x7f800000, v5
	v_cmp_ne_u64_e32 vcc_lo, 0x7f800000, v[2:3]
	v_and_b32_e32 v2, 0x7fffff, v5
	s_and_saveexec_b32 s13, vcc_lo
	s_delay_alu instid0(SALU_CYCLE_1)
	s_xor_b32 s14, exec_lo, s13
	s_cbranch_execz .LBB6_29150
; %bb.29133:                            ;   in Loop: Header=BB6_27928 Depth=3
	v_and_b32_e32 v20, 0x7fffffff, v5
	v_dual_mov_b32 v21, v113 :: v_dual_lshrrev_b32 v1, 24, v5
	s_delay_alu instid0(VALU_DEP_1) | instskip(NEXT) | instid1(VALU_DEP_2)
	v_cmp_gt_u64_e32 vcc_lo, 0x47600001, v[20:21]
	v_and_b32_e32 v1, 0x80, v1
                                        ; implicit-def: $vgpr20
	s_and_saveexec_b32 s13, vcc_lo
	s_delay_alu instid0(SALU_CYCLE_1)
	s_xor_b32 s15, exec_lo, s13
	s_cbranch_execz .LBB6_29147
; %bb.29134:                            ;   in Loop: Header=BB6_27928 Depth=3
	v_mov_b32_e32 v20, 0
	s_mov_b32 s74, exec_lo
	v_cmpx_ne_u32_e32 0, v5
	s_cbranch_execz .LBB6_29146
; %bb.29135:                            ;   in Loop: Header=BB6_27928 Depth=3
	v_bfe_u32 v5, v5, 23, 8
	v_or_b32_e32 v15, 0x800000, v2
	s_delay_alu instid0(VALU_DEP_2) | instskip(SKIP_1) | instid1(VALU_DEP_3)
	v_cmp_eq_u32_e32 vcc_lo, 0, v5
	v_cmp_gt_u32_e64 s13, 0x72, v5
	v_dual_cndmask_b32 v2, v15, v2 :: v_dual_sub_nc_u32 v7, 0x71, v5
	s_delay_alu instid0(VALU_DEP_1) | instskip(NEXT) | instid1(VALU_DEP_1)
	v_cndmask_b32_e64 v7, 0, v7, s13
	v_cndmask_b32_e64 v7, v7, 0x70, vcc_lo
	s_delay_alu instid0(VALU_DEP_1) | instskip(NEXT) | instid1(VALU_DEP_1)
	v_add_nc_u32_e32 v15, 21, v7
	v_lshlrev_b64_e64 v[20:21], v15, -1
	v_add_nc_u32_e32 v15, 20, v7
	s_delay_alu instid0(VALU_DEP_1) | instskip(NEXT) | instid1(VALU_DEP_3)
	v_lshlrev_b64_e64 v[100:101], v15, 1
	v_bfi_b32 v20, v20, 0, v2
	v_lshrrev_b64 v[2:3], v7, v[2:3]
	v_bfi_b32 v21, v21, 0, 0
	s_delay_alu instid0(VALU_DEP_1) | instskip(NEXT) | instid1(VALU_DEP_3)
	v_cmp_eq_u64_e64 s13, v[20:21], v[100:101]
	v_mov_b64_e32 v[20:21], v[2:3]
	s_and_saveexec_b32 s75, s13
; %bb.29136:                            ;   in Loop: Header=BB6_27928 Depth=3
	v_bfe_u32 v20, v2, 21, 1
	v_mov_b32_e32 v21, v113
	s_delay_alu instid0(VALU_DEP_1) | instskip(NEXT) | instid1(VALU_DEP_1)
	v_add_nc_u64_e32 v[20:21], v[2:3], v[20:21]
	v_add_nc_u64_e32 v[20:21], -1, v[20:21]
; %bb.29137:                            ;   in Loop: Header=BB6_27928 Depth=3
	s_or_b32 exec_lo, exec_lo, s75
	v_add_nc_u32_e32 v3, 0xffffff81, v5
	v_lshrrev_b32_e32 v5, 23, v2
	s_mov_b32 s13, exec_lo
	s_delay_alu instid0(VALU_DEP_2) | instskip(NEXT) | instid1(VALU_DEP_1)
	v_cndmask_b32_e64 v3, v3, 0xffffff82, vcc_lo
	v_add3_u32 v15, v7, v3, v5
	v_and_b32_e32 v3, 0x1fffff, v20
                                        ; implicit-def: $vgpr5
	s_delay_alu instid0(VALU_DEP_1) | instskip(SKIP_1) | instid1(VALU_DEP_2)
	v_dual_add_nc_u32 v7, 14, v15 :: v_dual_add_nc_u32 v2, v3, v2
	v_mov_b32_e32 v3, v113
	v_cmpx_ne_u32_e32 0, v7
	s_xor_b32 s13, exec_lo, s13
; %bb.29138:                            ;   in Loop: Header=BB6_27928 Depth=3
	s_delay_alu instid0(VALU_DEP_2) | instskip(SKIP_1) | instid1(VALU_DEP_1)
	v_cmp_lt_u64_e32 vcc_lo, 0xffffff, v[2:3]
	v_add_nc_u32_e32 v5, 15, v15
	v_cndmask_b32_e32 v5, v7, v5, vcc_lo
	v_cndmask_b32_e64 v7, 0, 1, vcc_lo
	s_delay_alu instid0(VALU_DEP_1)
	v_lshrrev_b64 v[2:3], v7, v[2:3]
; %bb.29139:                            ;   in Loop: Header=BB6_27928 Depth=3
	s_and_not1_saveexec_b32 s13, s13
; %bb.29140:                            ;   in Loop: Header=BB6_27928 Depth=3
	s_delay_alu instid0(VALU_DEP_1)
	v_bfe_u32 v5, v2, 23, 1
; %bb.29141:                            ;   in Loop: Header=BB6_27928 Depth=3
	s_or_b32 exec_lo, exec_lo, s13
	s_delay_alu instid0(VALU_DEP_2) | instskip(NEXT) | instid1(VALU_DEP_2)
	v_lshrrev_b64 v[2:3], 21, v[2:3]
	v_cmp_gt_i32_e32 vcc_lo, 32, v5
	v_cmp_ne_u32_e64 s13, 0, v5
                                        ; implicit-def: $vgpr20
	s_delay_alu instid0(VALU_DEP_3) | instskip(NEXT) | instid1(VALU_DEP_1)
	v_dual_cndmask_b32 v3, 0, v3 :: v_dual_cndmask_b32 v2, 3, v2
	v_cmp_ne_u64_e32 vcc_lo, 0, v[2:3]
	s_or_b32 s13, s13, vcc_lo
	s_delay_alu instid0(SALU_CYCLE_1) | instskip(NEXT) | instid1(SALU_CYCLE_1)
	s_and_saveexec_b32 s75, s13
	s_xor_b32 s13, exec_lo, s75
; %bb.29142:                            ;   in Loop: Header=BB6_27928 Depth=3
	v_min_i32_e32 v3, 31, v5
	s_delay_alu instid0(VALU_DEP_1) | instskip(NEXT) | instid1(VALU_DEP_1)
	v_lshl_or_b32 v1, v3, 2, v1
	v_and_or_b32 v20, v2, 3, v1
                                        ; implicit-def: $vgpr1
; %bb.29143:                            ;   in Loop: Header=BB6_27928 Depth=3
	s_and_not1_saveexec_b32 s13, s13
; %bb.29144:                            ;   in Loop: Header=BB6_27928 Depth=3
	v_mov_b32_e32 v20, v1
; %bb.29145:                            ;   in Loop: Header=BB6_27928 Depth=3
	s_or_b32 exec_lo, exec_lo, s13
.LBB6_29146:                            ;   in Loop: Header=BB6_27928 Depth=3
	s_delay_alu instid0(SALU_CYCLE_1)
	s_or_b32 exec_lo, exec_lo, s74
                                        ; implicit-def: $vgpr1
.LBB6_29147:                            ;   in Loop: Header=BB6_27928 Depth=3
	s_and_not1_saveexec_b32 s13, s15
; %bb.29148:                            ;   in Loop: Header=BB6_27928 Depth=3
	v_or_b32_e32 v20, 0x7b, v1
; %bb.29149:                            ;   in Loop: Header=BB6_27928 Depth=3
	s_or_b32 exec_lo, exec_lo, s13
                                        ; implicit-def: $vgpr5
                                        ; implicit-def: $vgpr2_vgpr3
.LBB6_29150:                            ;   in Loop: Header=BB6_27928 Depth=3
	s_and_not1_saveexec_b32 s13, s14
	s_cbranch_execz .LBB6_29156
; %bb.29151:                            ;   in Loop: Header=BB6_27928 Depth=3
	s_mov_b32 s14, exec_lo
                                        ; implicit-def: $vgpr20
	v_cmpx_ne_u64_e32 0, v[2:3]
	s_xor_b32 s14, exec_lo, s14
; %bb.29152:                            ;   in Loop: Header=BB6_27928 Depth=3
	v_lshrrev_b32_e32 v1, 24, v5
                                        ; implicit-def: $vgpr5
	s_delay_alu instid0(VALU_DEP_1)
	v_or_b32_e32 v20, 0x7f, v1
; %bb.29153:                            ;   in Loop: Header=BB6_27928 Depth=3
	s_and_not1_saveexec_b32 s14, s14
; %bb.29154:                            ;   in Loop: Header=BB6_27928 Depth=3
	v_cmp_lt_i32_e32 vcc_lo, -1, v5
	v_cndmask_b32_e64 v20, -4, 0x7c, vcc_lo
; %bb.29155:                            ;   in Loop: Header=BB6_27928 Depth=3
	s_or_b32 exec_lo, exec_lo, s14
.LBB6_29156:                            ;   in Loop: Header=BB6_27928 Depth=3
	s_delay_alu instid0(SALU_CYCLE_1) | instskip(SKIP_3) | instid1(VALU_DEP_2)
	s_or_b32 exec_lo, exec_lo, s13
	v_and_b32_e32 v5, 0xff, v102
	v_dual_mov_b32 v1, 0 :: v_dual_mov_b32 v2, 0
	s_mov_b32 s14, exec_lo
	v_cmpx_ne_u16_e32 0, v5
	s_cbranch_execz .LBB6_29166
; %bb.29157:                            ;   in Loop: Header=BB6_27928 Depth=3
	v_bfrev_b32_e32 v2, 1
	s_mov_b32 s15, exec_lo
	v_cmpx_ne_u16_e32 0x80, v5
	s_cbranch_execz .LBB6_29165
; %bb.29158:                            ;   in Loop: Header=BB6_27928 Depth=3
	v_and_b32_e32 v2, 0x7c, v102
	v_and_b32_e32 v3, 3, v102
	s_delay_alu instid0(VALU_DEP_2) | instskip(SKIP_1) | instid1(SALU_CYCLE_1)
	v_cmp_ne_u32_e32 vcc_lo, 0x7c, v2
                                        ; implicit-def: $vgpr2
	s_and_saveexec_b32 s13, vcc_lo
	s_xor_b32 s13, exec_lo, s13
	s_cbranch_execz .LBB6_29162
; %bb.29159:                            ;   in Loop: Header=BB6_27928 Depth=3
	v_bfe_u32 v2, v5, 2, 5
	s_mov_b32 s74, exec_lo
	s_delay_alu instid0(VALU_DEP_1)
	v_cmpx_eq_u32_e32 0, v2
	s_cbranch_execz .LBB6_29161
; %bb.29160:                            ;   in Loop: Header=BB6_27928 Depth=3
	v_clz_i32_u32_e32 v2, v3
	s_delay_alu instid0(VALU_DEP_1) | instskip(SKIP_1) | instid1(VALU_DEP_2)
	v_min_u32_e32 v2, 32, v2
	v_mov_b32_e32 v103, v113
	v_subrev_nc_u32_e32 v3, 29, v2
	v_sub_nc_u32_e32 v2, 30, v2
	s_delay_alu instid0(VALU_DEP_2) | instskip(NEXT) | instid1(VALU_DEP_1)
	v_lshlrev_b64_e32 v[100:101], v3, v[102:103]
	v_and_b32_e32 v3, 3, v100
.LBB6_29161:                            ;   in Loop: Header=BB6_27928 Depth=3
	s_or_b32 exec_lo, exec_lo, s74
	v_lshlrev_b32_e32 v5, 24, v102
                                        ; implicit-def: $vgpr102
	s_delay_alu instid0(VALU_DEP_1) | instskip(NEXT) | instid1(VALU_DEP_1)
	v_and_b32_e32 v5, 0x80000000, v5
	v_lshl_add_u32 v2, v2, 23, v5
	s_delay_alu instid0(VALU_DEP_1) | instskip(NEXT) | instid1(VALU_DEP_1)
	v_lshl_or_b32 v2, v3, 21, v2
                                        ; implicit-def: $vgpr3
	v_add_nc_u32_e32 v2, 0x38000000, v2
.LBB6_29162:                            ;   in Loop: Header=BB6_27928 Depth=3
	s_and_not1_saveexec_b32 s74, s13
; %bb.29163:                            ;   in Loop: Header=BB6_27928 Depth=3
	v_bfe_i32 v2, v102, 0, 8
	v_cmp_eq_u32_e32 vcc_lo, 0, v3
	s_delay_alu instid0(VALU_DEP_2) | instskip(SKIP_1) | instid1(VALU_DEP_1)
	v_cmp_lt_i16_e64 s13, -1, v2
	v_mov_b32_e32 v2, 0x7f800000
	v_cndmask_b32_e64 v2, 0xff800000, v2, s13
	s_delay_alu instid0(VALU_DEP_1)
	v_cndmask_b32_e32 v2, 0x7f800001, v2, vcc_lo
; %bb.29164:                            ;   in Loop: Header=BB6_27928 Depth=3
	s_or_b32 exec_lo, exec_lo, s74
.LBB6_29165:                            ;   in Loop: Header=BB6_27928 Depth=3
	s_delay_alu instid0(SALU_CYCLE_1)
	s_or_b32 exec_lo, exec_lo, s15
.LBB6_29166:                            ;   in Loop: Header=BB6_27928 Depth=3
	s_delay_alu instid0(SALU_CYCLE_1) | instskip(NEXT) | instid1(SALU_CYCLE_1)
	s_or_b32 exec_lo, exec_lo, s14
	s_mov_b32 s14, exec_lo
	s_wait_loadcnt_dscnt 0x1c1c
	v_cmpx_ne_u16_e32 0, v18
	s_cbranch_execz .LBB6_29176
; %bb.29167:                            ;   in Loop: Header=BB6_27928 Depth=3
	v_bfrev_b32_e32 v1, 1
	s_mov_b32 s15, exec_lo
	v_cmpx_ne_u16_e32 0xff80, v18
	s_cbranch_execz .LBB6_29175
; %bb.29168:                            ;   in Loop: Header=BB6_27928 Depth=3
	v_and_b32_e32 v1, 0x7c, v18
	v_and_b32_e32 v3, 3, v18
	s_delay_alu instid0(VALU_DEP_2) | instskip(SKIP_1) | instid1(SALU_CYCLE_1)
	v_cmp_ne_u32_e32 vcc_lo, 0x7c, v1
                                        ; implicit-def: $vgpr1
	s_and_saveexec_b32 s13, vcc_lo
	s_xor_b32 s13, exec_lo, s13
	s_cbranch_execz .LBB6_29172
; %bb.29169:                            ;   in Loop: Header=BB6_27928 Depth=3
	v_and_b32_e32 v1, 0xff, v18
	s_mov_b32 s74, exec_lo
	s_delay_alu instid0(VALU_DEP_1) | instskip(NEXT) | instid1(VALU_DEP_1)
	v_bfe_u32 v1, v1, 2, 5
	v_cmpx_eq_u32_e32 0, v1
	s_cbranch_execz .LBB6_29171
; %bb.29170:                            ;   in Loop: Header=BB6_27928 Depth=3
	v_clz_i32_u32_e32 v1, v3
	s_delay_alu instid0(VALU_DEP_1) | instskip(SKIP_1) | instid1(VALU_DEP_2)
	v_min_u32_e32 v1, 32, v1
	v_mov_b32_e32 v19, v113
	v_subrev_nc_u32_e32 v3, 29, v1
	v_sub_nc_u32_e32 v1, 30, v1
	s_delay_alu instid0(VALU_DEP_2) | instskip(NEXT) | instid1(VALU_DEP_1)
	v_lshlrev_b64_e32 v[100:101], v3, v[18:19]
	v_and_b32_e32 v3, 3, v100
.LBB6_29171:                            ;   in Loop: Header=BB6_27928 Depth=3
	s_or_b32 exec_lo, exec_lo, s74
	v_bfe_i32 v5, v18, 0, 16
                                        ; implicit-def: $vgpr18
	s_delay_alu instid0(VALU_DEP_1) | instskip(NEXT) | instid1(VALU_DEP_1)
	v_and_b32_e32 v5, 0x80000000, v5
	v_lshl_add_u32 v1, v1, 23, v5
	s_delay_alu instid0(VALU_DEP_1) | instskip(NEXT) | instid1(VALU_DEP_1)
	v_lshl_or_b32 v1, v3, 21, v1
                                        ; implicit-def: $vgpr3
	v_add_nc_u32_e32 v1, 0x38000000, v1
.LBB6_29172:                            ;   in Loop: Header=BB6_27928 Depth=3
	s_and_not1_saveexec_b32 s74, s13
; %bb.29173:                            ;   in Loop: Header=BB6_27928 Depth=3
	v_cmp_lt_i16_e64 s13, -1, v18
	v_mov_b32_e32 v1, 0x7f800000
	v_cmp_eq_u32_e32 vcc_lo, 0, v3
	s_delay_alu instid0(VALU_DEP_2) | instskip(NEXT) | instid1(VALU_DEP_1)
	v_cndmask_b32_e64 v1, 0xff800000, v1, s13
	v_cndmask_b32_e32 v1, 0x7f800001, v1, vcc_lo
; %bb.29174:                            ;   in Loop: Header=BB6_27928 Depth=3
	s_or_b32 exec_lo, exec_lo, s74
.LBB6_29175:                            ;   in Loop: Header=BB6_27928 Depth=3
	s_delay_alu instid0(SALU_CYCLE_1)
	s_or_b32 exec_lo, exec_lo, s15
.LBB6_29176:                            ;   in Loop: Header=BB6_27928 Depth=3
	s_delay_alu instid0(SALU_CYCLE_1) | instskip(NEXT) | instid1(VALU_DEP_1)
	s_or_b32 exec_lo, exec_lo, s14
	v_dual_add_f32 v5, v2, v1 :: v_dual_mov_b32 v3, v113
                                        ; implicit-def: $vgpr18
	s_delay_alu instid0(VALU_DEP_1) | instskip(NEXT) | instid1(VALU_DEP_1)
	v_and_b32_e32 v2, 0x7f800000, v5
	v_cmp_ne_u64_e32 vcc_lo, 0x7f800000, v[2:3]
	v_and_b32_e32 v2, 0x7fffff, v5
	s_and_saveexec_b32 s13, vcc_lo
	s_delay_alu instid0(SALU_CYCLE_1)
	s_xor_b32 s14, exec_lo, s13
	s_cbranch_execz .LBB6_29194
; %bb.29177:                            ;   in Loop: Header=BB6_27928 Depth=3
	v_and_b32_e32 v18, 0x7fffffff, v5
	v_dual_mov_b32 v19, v113 :: v_dual_lshrrev_b32 v1, 24, v5
	s_delay_alu instid0(VALU_DEP_1) | instskip(NEXT) | instid1(VALU_DEP_2)
	v_cmp_gt_u64_e32 vcc_lo, 0x47600001, v[18:19]
	v_and_b32_e32 v1, 0x80, v1
                                        ; implicit-def: $vgpr18
	s_and_saveexec_b32 s13, vcc_lo
	s_delay_alu instid0(SALU_CYCLE_1)
	s_xor_b32 s15, exec_lo, s13
	s_cbranch_execz .LBB6_29191
; %bb.29178:                            ;   in Loop: Header=BB6_27928 Depth=3
	v_mov_b32_e32 v18, 0
	s_mov_b32 s74, exec_lo
	v_cmpx_ne_u32_e32 0, v5
	s_cbranch_execz .LBB6_29190
; %bb.29179:                            ;   in Loop: Header=BB6_27928 Depth=3
	v_bfe_u32 v5, v5, 23, 8
	v_or_b32_e32 v15, 0x800000, v2
	s_delay_alu instid0(VALU_DEP_2) | instskip(SKIP_1) | instid1(VALU_DEP_3)
	v_cmp_eq_u32_e32 vcc_lo, 0, v5
	v_cmp_gt_u32_e64 s13, 0x72, v5
	v_dual_cndmask_b32 v2, v15, v2 :: v_dual_sub_nc_u32 v7, 0x71, v5
	s_delay_alu instid0(VALU_DEP_1) | instskip(NEXT) | instid1(VALU_DEP_1)
	v_cndmask_b32_e64 v7, 0, v7, s13
	v_cndmask_b32_e64 v7, v7, 0x70, vcc_lo
	s_delay_alu instid0(VALU_DEP_1) | instskip(NEXT) | instid1(VALU_DEP_1)
	v_add_nc_u32_e32 v15, 21, v7
	v_lshlrev_b64_e64 v[18:19], v15, -1
	v_add_nc_u32_e32 v15, 20, v7
	s_delay_alu instid0(VALU_DEP_1) | instskip(NEXT) | instid1(VALU_DEP_3)
	v_lshlrev_b64_e64 v[100:101], v15, 1
	v_bfi_b32 v18, v18, 0, v2
	v_lshrrev_b64 v[2:3], v7, v[2:3]
	v_bfi_b32 v19, v19, 0, 0
	s_delay_alu instid0(VALU_DEP_1) | instskip(NEXT) | instid1(VALU_DEP_3)
	v_cmp_eq_u64_e64 s13, v[18:19], v[100:101]
	v_mov_b64_e32 v[18:19], v[2:3]
	s_and_saveexec_b32 s75, s13
; %bb.29180:                            ;   in Loop: Header=BB6_27928 Depth=3
	v_bfe_u32 v18, v2, 21, 1
	v_mov_b32_e32 v19, v113
	s_delay_alu instid0(VALU_DEP_1) | instskip(NEXT) | instid1(VALU_DEP_1)
	v_add_nc_u64_e32 v[18:19], v[2:3], v[18:19]
	v_add_nc_u64_e32 v[18:19], -1, v[18:19]
; %bb.29181:                            ;   in Loop: Header=BB6_27928 Depth=3
	s_or_b32 exec_lo, exec_lo, s75
	v_add_nc_u32_e32 v3, 0xffffff81, v5
	v_lshrrev_b32_e32 v5, 23, v2
	s_mov_b32 s13, exec_lo
	s_delay_alu instid0(VALU_DEP_2) | instskip(NEXT) | instid1(VALU_DEP_1)
	v_cndmask_b32_e64 v3, v3, 0xffffff82, vcc_lo
	v_add3_u32 v15, v7, v3, v5
	v_and_b32_e32 v3, 0x1fffff, v18
                                        ; implicit-def: $vgpr5
	s_delay_alu instid0(VALU_DEP_1) | instskip(SKIP_1) | instid1(VALU_DEP_2)
	v_dual_add_nc_u32 v7, 14, v15 :: v_dual_add_nc_u32 v2, v3, v2
	v_mov_b32_e32 v3, v113
	v_cmpx_ne_u32_e32 0, v7
	s_xor_b32 s13, exec_lo, s13
; %bb.29182:                            ;   in Loop: Header=BB6_27928 Depth=3
	s_delay_alu instid0(VALU_DEP_2) | instskip(SKIP_1) | instid1(VALU_DEP_1)
	v_cmp_lt_u64_e32 vcc_lo, 0xffffff, v[2:3]
	v_add_nc_u32_e32 v5, 15, v15
	v_cndmask_b32_e32 v5, v7, v5, vcc_lo
	v_cndmask_b32_e64 v7, 0, 1, vcc_lo
	s_delay_alu instid0(VALU_DEP_1)
	v_lshrrev_b64 v[2:3], v7, v[2:3]
; %bb.29183:                            ;   in Loop: Header=BB6_27928 Depth=3
	s_and_not1_saveexec_b32 s13, s13
; %bb.29184:                            ;   in Loop: Header=BB6_27928 Depth=3
	s_delay_alu instid0(VALU_DEP_1)
	v_bfe_u32 v5, v2, 23, 1
; %bb.29185:                            ;   in Loop: Header=BB6_27928 Depth=3
	s_or_b32 exec_lo, exec_lo, s13
	s_delay_alu instid0(VALU_DEP_2) | instskip(NEXT) | instid1(VALU_DEP_2)
	v_lshrrev_b64 v[2:3], 21, v[2:3]
	v_cmp_gt_i32_e32 vcc_lo, 32, v5
	v_cmp_ne_u32_e64 s13, 0, v5
                                        ; implicit-def: $vgpr18
	s_delay_alu instid0(VALU_DEP_3) | instskip(NEXT) | instid1(VALU_DEP_1)
	v_dual_cndmask_b32 v3, 0, v3 :: v_dual_cndmask_b32 v2, 3, v2
	v_cmp_ne_u64_e32 vcc_lo, 0, v[2:3]
	s_or_b32 s13, s13, vcc_lo
	s_delay_alu instid0(SALU_CYCLE_1) | instskip(NEXT) | instid1(SALU_CYCLE_1)
	s_and_saveexec_b32 s75, s13
	s_xor_b32 s13, exec_lo, s75
; %bb.29186:                            ;   in Loop: Header=BB6_27928 Depth=3
	v_min_i32_e32 v3, 31, v5
	s_delay_alu instid0(VALU_DEP_1) | instskip(NEXT) | instid1(VALU_DEP_1)
	v_lshl_or_b32 v1, v3, 2, v1
	v_and_or_b32 v18, v2, 3, v1
                                        ; implicit-def: $vgpr1
; %bb.29187:                            ;   in Loop: Header=BB6_27928 Depth=3
	s_and_not1_saveexec_b32 s13, s13
; %bb.29188:                            ;   in Loop: Header=BB6_27928 Depth=3
	v_mov_b32_e32 v18, v1
; %bb.29189:                            ;   in Loop: Header=BB6_27928 Depth=3
	s_or_b32 exec_lo, exec_lo, s13
.LBB6_29190:                            ;   in Loop: Header=BB6_27928 Depth=3
	s_delay_alu instid0(SALU_CYCLE_1)
	s_or_b32 exec_lo, exec_lo, s74
                                        ; implicit-def: $vgpr1
.LBB6_29191:                            ;   in Loop: Header=BB6_27928 Depth=3
	s_and_not1_saveexec_b32 s13, s15
; %bb.29192:                            ;   in Loop: Header=BB6_27928 Depth=3
	v_or_b32_e32 v18, 0x7b, v1
; %bb.29193:                            ;   in Loop: Header=BB6_27928 Depth=3
	s_or_b32 exec_lo, exec_lo, s13
                                        ; implicit-def: $vgpr5
                                        ; implicit-def: $vgpr2_vgpr3
.LBB6_29194:                            ;   in Loop: Header=BB6_27928 Depth=3
	s_and_not1_saveexec_b32 s13, s14
	s_cbranch_execz .LBB6_29200
; %bb.29195:                            ;   in Loop: Header=BB6_27928 Depth=3
	s_mov_b32 s14, exec_lo
                                        ; implicit-def: $vgpr18
	v_cmpx_ne_u64_e32 0, v[2:3]
	s_xor_b32 s14, exec_lo, s14
; %bb.29196:                            ;   in Loop: Header=BB6_27928 Depth=3
	v_lshrrev_b32_e32 v1, 24, v5
                                        ; implicit-def: $vgpr5
	s_delay_alu instid0(VALU_DEP_1)
	v_or_b32_e32 v18, 0x7f, v1
; %bb.29197:                            ;   in Loop: Header=BB6_27928 Depth=3
	s_and_not1_saveexec_b32 s14, s14
; %bb.29198:                            ;   in Loop: Header=BB6_27928 Depth=3
	v_cmp_lt_i32_e32 vcc_lo, -1, v5
	v_cndmask_b32_e64 v18, -4, 0x7c, vcc_lo
; %bb.29199:                            ;   in Loop: Header=BB6_27928 Depth=3
	s_or_b32 exec_lo, exec_lo, s14
.LBB6_29200:                            ;   in Loop: Header=BB6_27928 Depth=3
	s_delay_alu instid0(SALU_CYCLE_1) | instskip(SKIP_3) | instid1(VALU_DEP_2)
	s_or_b32 exec_lo, exec_lo, s13
	v_and_b32_e32 v5, 0xff, v34
	v_dual_mov_b32 v1, 0 :: v_dual_mov_b32 v2, 0
	s_mov_b32 s14, exec_lo
	v_cmpx_ne_u16_e32 0, v5
	s_cbranch_execz .LBB6_29210
; %bb.29201:                            ;   in Loop: Header=BB6_27928 Depth=3
	v_bfrev_b32_e32 v2, 1
	s_mov_b32 s15, exec_lo
	v_cmpx_ne_u16_e32 0x80, v5
	s_cbranch_execz .LBB6_29209
; %bb.29202:                            ;   in Loop: Header=BB6_27928 Depth=3
	v_and_b32_e32 v2, 0x7c, v34
	v_and_b32_e32 v3, 3, v34
	s_delay_alu instid0(VALU_DEP_2) | instskip(SKIP_1) | instid1(SALU_CYCLE_1)
	v_cmp_ne_u32_e32 vcc_lo, 0x7c, v2
                                        ; implicit-def: $vgpr2
	s_and_saveexec_b32 s13, vcc_lo
	s_xor_b32 s13, exec_lo, s13
	s_cbranch_execz .LBB6_29206
; %bb.29203:                            ;   in Loop: Header=BB6_27928 Depth=3
	v_bfe_u32 v2, v5, 2, 5
	s_mov_b32 s74, exec_lo
	s_delay_alu instid0(VALU_DEP_1)
	v_cmpx_eq_u32_e32 0, v2
	s_cbranch_execz .LBB6_29205
; %bb.29204:                            ;   in Loop: Header=BB6_27928 Depth=3
	v_clz_i32_u32_e32 v2, v3
	s_delay_alu instid0(VALU_DEP_1) | instskip(SKIP_1) | instid1(VALU_DEP_2)
	v_min_u32_e32 v2, 32, v2
	v_mov_b32_e32 v35, v113
	v_subrev_nc_u32_e32 v3, 29, v2
	v_sub_nc_u32_e32 v2, 30, v2
	s_delay_alu instid0(VALU_DEP_2) | instskip(NEXT) | instid1(VALU_DEP_1)
	v_lshlrev_b64_e32 v[100:101], v3, v[34:35]
	v_and_b32_e32 v3, 3, v100
.LBB6_29205:                            ;   in Loop: Header=BB6_27928 Depth=3
	s_or_b32 exec_lo, exec_lo, s74
	v_lshlrev_b32_e32 v5, 24, v34
                                        ; implicit-def: $vgpr34
	s_delay_alu instid0(VALU_DEP_1) | instskip(NEXT) | instid1(VALU_DEP_1)
	v_and_b32_e32 v5, 0x80000000, v5
	v_lshl_add_u32 v2, v2, 23, v5
	s_delay_alu instid0(VALU_DEP_1) | instskip(NEXT) | instid1(VALU_DEP_1)
	v_lshl_or_b32 v2, v3, 21, v2
                                        ; implicit-def: $vgpr3
	v_add_nc_u32_e32 v2, 0x38000000, v2
.LBB6_29206:                            ;   in Loop: Header=BB6_27928 Depth=3
	s_and_not1_saveexec_b32 s74, s13
; %bb.29207:                            ;   in Loop: Header=BB6_27928 Depth=3
	v_bfe_i32 v2, v34, 0, 8
	v_cmp_eq_u32_e32 vcc_lo, 0, v3
	s_delay_alu instid0(VALU_DEP_2) | instskip(SKIP_1) | instid1(VALU_DEP_1)
	v_cmp_lt_i16_e64 s13, -1, v2
	v_mov_b32_e32 v2, 0x7f800000
	v_cndmask_b32_e64 v2, 0xff800000, v2, s13
	s_delay_alu instid0(VALU_DEP_1)
	v_cndmask_b32_e32 v2, 0x7f800001, v2, vcc_lo
; %bb.29208:                            ;   in Loop: Header=BB6_27928 Depth=3
	s_or_b32 exec_lo, exec_lo, s74
.LBB6_29209:                            ;   in Loop: Header=BB6_27928 Depth=3
	s_delay_alu instid0(SALU_CYCLE_1)
	s_or_b32 exec_lo, exec_lo, s15
.LBB6_29210:                            ;   in Loop: Header=BB6_27928 Depth=3
	s_delay_alu instid0(SALU_CYCLE_1) | instskip(NEXT) | instid1(SALU_CYCLE_1)
	s_or_b32 exec_lo, exec_lo, s14
	s_mov_b32 s14, exec_lo
	s_wait_loadcnt_dscnt 0x1b1b
	v_cmpx_ne_u16_e32 0, v14
	s_cbranch_execz .LBB6_29220
; %bb.29211:                            ;   in Loop: Header=BB6_27928 Depth=3
	v_bfrev_b32_e32 v1, 1
	s_mov_b32 s15, exec_lo
	v_cmpx_ne_u16_e32 0xff80, v14
	s_cbranch_execz .LBB6_29219
; %bb.29212:                            ;   in Loop: Header=BB6_27928 Depth=3
	v_and_b32_e32 v1, 0x7c, v14
	v_and_b32_e32 v3, 3, v14
	s_delay_alu instid0(VALU_DEP_2) | instskip(SKIP_1) | instid1(SALU_CYCLE_1)
	v_cmp_ne_u32_e32 vcc_lo, 0x7c, v1
                                        ; implicit-def: $vgpr1
	s_and_saveexec_b32 s13, vcc_lo
	s_xor_b32 s13, exec_lo, s13
	s_cbranch_execz .LBB6_29216
; %bb.29213:                            ;   in Loop: Header=BB6_27928 Depth=3
	v_and_b32_e32 v1, 0xff, v14
	s_mov_b32 s74, exec_lo
	s_delay_alu instid0(VALU_DEP_1) | instskip(NEXT) | instid1(VALU_DEP_1)
	v_bfe_u32 v1, v1, 2, 5
	v_cmpx_eq_u32_e32 0, v1
	s_cbranch_execz .LBB6_29215
; %bb.29214:                            ;   in Loop: Header=BB6_27928 Depth=3
	v_clz_i32_u32_e32 v1, v3
	s_delay_alu instid0(VALU_DEP_1) | instskip(SKIP_1) | instid1(VALU_DEP_2)
	v_min_u32_e32 v1, 32, v1
	v_mov_b32_e32 v15, v113
	v_subrev_nc_u32_e32 v3, 29, v1
	v_sub_nc_u32_e32 v1, 30, v1
	s_delay_alu instid0(VALU_DEP_2) | instskip(NEXT) | instid1(VALU_DEP_1)
	v_lshlrev_b64_e32 v[34:35], v3, v[14:15]
	v_and_b32_e32 v3, 3, v34
.LBB6_29215:                            ;   in Loop: Header=BB6_27928 Depth=3
	s_or_b32 exec_lo, exec_lo, s74
	v_bfe_i32 v5, v14, 0, 16
                                        ; implicit-def: $vgpr14
	s_delay_alu instid0(VALU_DEP_1) | instskip(NEXT) | instid1(VALU_DEP_1)
	v_and_b32_e32 v5, 0x80000000, v5
	v_lshl_add_u32 v1, v1, 23, v5
	s_delay_alu instid0(VALU_DEP_1) | instskip(NEXT) | instid1(VALU_DEP_1)
	v_lshl_or_b32 v1, v3, 21, v1
                                        ; implicit-def: $vgpr3
	v_add_nc_u32_e32 v1, 0x38000000, v1
.LBB6_29216:                            ;   in Loop: Header=BB6_27928 Depth=3
	s_and_not1_saveexec_b32 s74, s13
; %bb.29217:                            ;   in Loop: Header=BB6_27928 Depth=3
	v_cmp_lt_i16_e64 s13, -1, v14
	v_mov_b32_e32 v1, 0x7f800000
	v_cmp_eq_u32_e32 vcc_lo, 0, v3
	s_delay_alu instid0(VALU_DEP_2) | instskip(NEXT) | instid1(VALU_DEP_1)
	v_cndmask_b32_e64 v1, 0xff800000, v1, s13
	v_cndmask_b32_e32 v1, 0x7f800001, v1, vcc_lo
; %bb.29218:                            ;   in Loop: Header=BB6_27928 Depth=3
	s_or_b32 exec_lo, exec_lo, s74
.LBB6_29219:                            ;   in Loop: Header=BB6_27928 Depth=3
	s_delay_alu instid0(SALU_CYCLE_1)
	s_or_b32 exec_lo, exec_lo, s15
.LBB6_29220:                            ;   in Loop: Header=BB6_27928 Depth=3
	s_delay_alu instid0(SALU_CYCLE_1) | instskip(NEXT) | instid1(VALU_DEP_1)
	s_or_b32 exec_lo, exec_lo, s14
	v_dual_add_f32 v5, v2, v1 :: v_dual_mov_b32 v3, v113
                                        ; implicit-def: $vgpr19
	s_delay_alu instid0(VALU_DEP_1) | instskip(NEXT) | instid1(VALU_DEP_1)
	v_and_b32_e32 v2, 0x7f800000, v5
	v_cmp_ne_u64_e32 vcc_lo, 0x7f800000, v[2:3]
	v_and_b32_e32 v2, 0x7fffff, v5
	s_and_saveexec_b32 s13, vcc_lo
	s_delay_alu instid0(SALU_CYCLE_1)
	s_xor_b32 s14, exec_lo, s13
	s_cbranch_execz .LBB6_29238
; %bb.29221:                            ;   in Loop: Header=BB6_27928 Depth=3
	v_dual_mov_b32 v15, v113 :: v_dual_lshrrev_b32 v1, 24, v5
	v_and_b32_e32 v14, 0x7fffffff, v5
                                        ; implicit-def: $vgpr19
	s_mov_b32 s13, exec_lo
	s_delay_alu instid0(VALU_DEP_2) | instskip(NEXT) | instid1(VALU_DEP_2)
	v_and_b32_e32 v1, 0x80, v1
	v_cmpx_gt_u64_e32 0x47600001, v[14:15]
	s_xor_b32 s15, exec_lo, s13
	s_cbranch_execz .LBB6_29235
; %bb.29222:                            ;   in Loop: Header=BB6_27928 Depth=3
	v_mov_b32_e32 v19, 0
	s_mov_b32 s74, exec_lo
	v_cmpx_ne_u32_e32 0, v5
	s_cbranch_execz .LBB6_29234
; %bb.29223:                            ;   in Loop: Header=BB6_27928 Depth=3
	v_bfe_u32 v5, v5, 23, 8
	v_or_b32_e32 v14, 0x800000, v2
	s_delay_alu instid0(VALU_DEP_2) | instskip(SKIP_1) | instid1(VALU_DEP_3)
	v_cmp_eq_u32_e32 vcc_lo, 0, v5
	v_cmp_gt_u32_e64 s13, 0x72, v5
	v_dual_cndmask_b32 v2, v14, v2 :: v_dual_sub_nc_u32 v7, 0x71, v5
	s_delay_alu instid0(VALU_DEP_1) | instskip(NEXT) | instid1(VALU_DEP_1)
	v_cndmask_b32_e64 v7, 0, v7, s13
	v_cndmask_b32_e64 v7, v7, 0x70, vcc_lo
	s_delay_alu instid0(VALU_DEP_1) | instskip(NEXT) | instid1(VALU_DEP_1)
	v_dual_add_nc_u32 v14, 21, v7 :: v_dual_add_nc_u32 v17, 20, v7
	v_lshlrev_b64_e64 v[14:15], v14, -1
	s_delay_alu instid0(VALU_DEP_2) | instskip(NEXT) | instid1(VALU_DEP_2)
	v_lshlrev_b64_e64 v[34:35], v17, 1
	v_bfi_b32 v14, v14, 0, v2
	v_lshrrev_b64 v[2:3], v7, v[2:3]
	s_delay_alu instid0(VALU_DEP_4) | instskip(NEXT) | instid1(VALU_DEP_1)
	v_bfi_b32 v15, v15, 0, 0
	v_cmp_eq_u64_e64 s13, v[14:15], v[34:35]
	s_delay_alu instid0(VALU_DEP_3)
	v_mov_b64_e32 v[14:15], v[2:3]
	s_and_saveexec_b32 s75, s13
; %bb.29224:                            ;   in Loop: Header=BB6_27928 Depth=3
	v_bfe_u32 v14, v2, 21, 1
	v_mov_b32_e32 v15, v113
	s_delay_alu instid0(VALU_DEP_1) | instskip(NEXT) | instid1(VALU_DEP_1)
	v_add_nc_u64_e32 v[14:15], v[2:3], v[14:15]
	v_add_nc_u64_e32 v[14:15], -1, v[14:15]
; %bb.29225:                            ;   in Loop: Header=BB6_27928 Depth=3
	s_or_b32 exec_lo, exec_lo, s75
	v_add_nc_u32_e32 v3, 0xffffff81, v5
	v_lshrrev_b32_e32 v5, 23, v2
	s_mov_b32 s13, exec_lo
	s_delay_alu instid0(VALU_DEP_2) | instskip(NEXT) | instid1(VALU_DEP_1)
	v_cndmask_b32_e64 v3, v3, 0xffffff82, vcc_lo
	v_add3_u32 v15, v7, v3, v5
	v_and_b32_e32 v3, 0x1fffff, v14
                                        ; implicit-def: $vgpr5
	s_delay_alu instid0(VALU_DEP_1) | instskip(SKIP_1) | instid1(VALU_DEP_2)
	v_dual_add_nc_u32 v7, 14, v15 :: v_dual_add_nc_u32 v2, v3, v2
	v_mov_b32_e32 v3, v113
	v_cmpx_ne_u32_e32 0, v7
	s_xor_b32 s13, exec_lo, s13
; %bb.29226:                            ;   in Loop: Header=BB6_27928 Depth=3
	s_delay_alu instid0(VALU_DEP_2) | instskip(SKIP_1) | instid1(VALU_DEP_1)
	v_cmp_lt_u64_e32 vcc_lo, 0xffffff, v[2:3]
	v_add_nc_u32_e32 v5, 15, v15
	v_cndmask_b32_e32 v5, v7, v5, vcc_lo
	v_cndmask_b32_e64 v7, 0, 1, vcc_lo
	s_delay_alu instid0(VALU_DEP_1)
	v_lshrrev_b64 v[2:3], v7, v[2:3]
; %bb.29227:                            ;   in Loop: Header=BB6_27928 Depth=3
	s_and_not1_saveexec_b32 s13, s13
; %bb.29228:                            ;   in Loop: Header=BB6_27928 Depth=3
	s_delay_alu instid0(VALU_DEP_1)
	v_bfe_u32 v5, v2, 23, 1
; %bb.29229:                            ;   in Loop: Header=BB6_27928 Depth=3
	s_or_b32 exec_lo, exec_lo, s13
	s_delay_alu instid0(VALU_DEP_2) | instskip(NEXT) | instid1(VALU_DEP_2)
	v_lshrrev_b64 v[2:3], 21, v[2:3]
	v_cmp_gt_i32_e32 vcc_lo, 32, v5
	v_cmp_ne_u32_e64 s13, 0, v5
                                        ; implicit-def: $vgpr19
	s_delay_alu instid0(VALU_DEP_3) | instskip(NEXT) | instid1(VALU_DEP_1)
	v_dual_cndmask_b32 v3, 0, v3 :: v_dual_cndmask_b32 v2, 3, v2
	v_cmp_ne_u64_e32 vcc_lo, 0, v[2:3]
	s_or_b32 s13, s13, vcc_lo
	s_delay_alu instid0(SALU_CYCLE_1) | instskip(NEXT) | instid1(SALU_CYCLE_1)
	s_and_saveexec_b32 s75, s13
	s_xor_b32 s13, exec_lo, s75
; %bb.29230:                            ;   in Loop: Header=BB6_27928 Depth=3
	v_min_i32_e32 v3, 31, v5
	s_delay_alu instid0(VALU_DEP_1) | instskip(NEXT) | instid1(VALU_DEP_1)
	v_lshl_or_b32 v1, v3, 2, v1
	v_and_or_b32 v19, v2, 3, v1
                                        ; implicit-def: $vgpr1
; %bb.29231:                            ;   in Loop: Header=BB6_27928 Depth=3
	s_and_not1_saveexec_b32 s13, s13
; %bb.29232:                            ;   in Loop: Header=BB6_27928 Depth=3
	v_mov_b32_e32 v19, v1
; %bb.29233:                            ;   in Loop: Header=BB6_27928 Depth=3
	s_or_b32 exec_lo, exec_lo, s13
.LBB6_29234:                            ;   in Loop: Header=BB6_27928 Depth=3
	s_delay_alu instid0(SALU_CYCLE_1)
	s_or_b32 exec_lo, exec_lo, s74
                                        ; implicit-def: $vgpr1
.LBB6_29235:                            ;   in Loop: Header=BB6_27928 Depth=3
	s_and_not1_saveexec_b32 s13, s15
; %bb.29236:                            ;   in Loop: Header=BB6_27928 Depth=3
	v_or_b32_e32 v19, 0x7b, v1
; %bb.29237:                            ;   in Loop: Header=BB6_27928 Depth=3
	s_or_b32 exec_lo, exec_lo, s13
                                        ; implicit-def: $vgpr5
                                        ; implicit-def: $vgpr2_vgpr3
.LBB6_29238:                            ;   in Loop: Header=BB6_27928 Depth=3
	s_and_not1_saveexec_b32 s13, s14
	s_cbranch_execz .LBB6_29244
; %bb.29239:                            ;   in Loop: Header=BB6_27928 Depth=3
	s_mov_b32 s14, exec_lo
                                        ; implicit-def: $vgpr19
	v_cmpx_ne_u64_e32 0, v[2:3]
	s_xor_b32 s14, exec_lo, s14
; %bb.29240:                            ;   in Loop: Header=BB6_27928 Depth=3
	v_lshrrev_b32_e32 v1, 24, v5
                                        ; implicit-def: $vgpr5
	s_delay_alu instid0(VALU_DEP_1)
	v_or_b32_e32 v19, 0x7f, v1
; %bb.29241:                            ;   in Loop: Header=BB6_27928 Depth=3
	s_and_not1_saveexec_b32 s14, s14
; %bb.29242:                            ;   in Loop: Header=BB6_27928 Depth=3
	v_cmp_lt_i32_e32 vcc_lo, -1, v5
	v_cndmask_b32_e64 v19, -4, 0x7c, vcc_lo
; %bb.29243:                            ;   in Loop: Header=BB6_27928 Depth=3
	s_or_b32 exec_lo, exec_lo, s14
.LBB6_29244:                            ;   in Loop: Header=BB6_27928 Depth=3
	s_delay_alu instid0(SALU_CYCLE_1) | instskip(SKIP_3) | instid1(VALU_DEP_2)
	s_or_b32 exec_lo, exec_lo, s13
	v_and_b32_e32 v5, 0xff, v120
	v_dual_mov_b32 v1, 0 :: v_dual_mov_b32 v2, 0
	s_mov_b32 s14, exec_lo
	v_cmpx_ne_u16_e32 0, v5
	s_cbranch_execz .LBB6_29254
; %bb.29245:                            ;   in Loop: Header=BB6_27928 Depth=3
	v_bfrev_b32_e32 v2, 1
	s_mov_b32 s15, exec_lo
	v_cmpx_ne_u16_e32 0x80, v5
	s_cbranch_execz .LBB6_29253
; %bb.29246:                            ;   in Loop: Header=BB6_27928 Depth=3
	v_and_b32_e32 v2, 0x7c, v120
	v_and_b32_e32 v3, 3, v120
	s_delay_alu instid0(VALU_DEP_2) | instskip(SKIP_1) | instid1(SALU_CYCLE_1)
	v_cmp_ne_u32_e32 vcc_lo, 0x7c, v2
                                        ; implicit-def: $vgpr2
	s_and_saveexec_b32 s13, vcc_lo
	s_xor_b32 s13, exec_lo, s13
	s_cbranch_execz .LBB6_29250
; %bb.29247:                            ;   in Loop: Header=BB6_27928 Depth=3
	v_bfe_u32 v2, v5, 2, 5
	s_mov_b32 s74, exec_lo
	s_delay_alu instid0(VALU_DEP_1)
	v_cmpx_eq_u32_e32 0, v2
	s_cbranch_execz .LBB6_29249
; %bb.29248:                            ;   in Loop: Header=BB6_27928 Depth=3
	v_clz_i32_u32_e32 v2, v3
	s_delay_alu instid0(VALU_DEP_1) | instskip(SKIP_1) | instid1(VALU_DEP_2)
	v_min_u32_e32 v2, 32, v2
	v_mov_b32_e32 v121, v113
	v_subrev_nc_u32_e32 v3, 29, v2
	v_sub_nc_u32_e32 v2, 30, v2
	s_delay_alu instid0(VALU_DEP_2) | instskip(NEXT) | instid1(VALU_DEP_1)
	v_lshlrev_b64_e32 v[14:15], v3, v[120:121]
	v_and_b32_e32 v3, 3, v14
.LBB6_29249:                            ;   in Loop: Header=BB6_27928 Depth=3
	s_or_b32 exec_lo, exec_lo, s74
	v_lshlrev_b32_e32 v5, 24, v120
                                        ; implicit-def: $vgpr120
	s_delay_alu instid0(VALU_DEP_1) | instskip(NEXT) | instid1(VALU_DEP_1)
	v_and_b32_e32 v5, 0x80000000, v5
	v_lshl_add_u32 v2, v2, 23, v5
	s_delay_alu instid0(VALU_DEP_1) | instskip(NEXT) | instid1(VALU_DEP_1)
	v_lshl_or_b32 v2, v3, 21, v2
                                        ; implicit-def: $vgpr3
	v_add_nc_u32_e32 v2, 0x38000000, v2
.LBB6_29250:                            ;   in Loop: Header=BB6_27928 Depth=3
	s_and_not1_saveexec_b32 s74, s13
; %bb.29251:                            ;   in Loop: Header=BB6_27928 Depth=3
	v_bfe_i32 v2, v120, 0, 8
	v_cmp_eq_u32_e32 vcc_lo, 0, v3
	s_delay_alu instid0(VALU_DEP_2) | instskip(SKIP_1) | instid1(VALU_DEP_1)
	v_cmp_lt_i16_e64 s13, -1, v2
	v_mov_b32_e32 v2, 0x7f800000
	v_cndmask_b32_e64 v2, 0xff800000, v2, s13
	s_delay_alu instid0(VALU_DEP_1)
	v_cndmask_b32_e32 v2, 0x7f800001, v2, vcc_lo
; %bb.29252:                            ;   in Loop: Header=BB6_27928 Depth=3
	s_or_b32 exec_lo, exec_lo, s74
.LBB6_29253:                            ;   in Loop: Header=BB6_27928 Depth=3
	s_delay_alu instid0(SALU_CYCLE_1)
	s_or_b32 exec_lo, exec_lo, s15
.LBB6_29254:                            ;   in Loop: Header=BB6_27928 Depth=3
	s_delay_alu instid0(SALU_CYCLE_1) | instskip(NEXT) | instid1(SALU_CYCLE_1)
	s_or_b32 exec_lo, exec_lo, s14
	s_mov_b32 s14, exec_lo
	s_wait_loadcnt_dscnt 0x1a1a
	v_cmpx_ne_u16_e32 0, v124
	s_cbranch_execz .LBB6_29264
; %bb.29255:                            ;   in Loop: Header=BB6_27928 Depth=3
	v_bfrev_b32_e32 v1, 1
	s_mov_b32 s15, exec_lo
	v_cmpx_ne_u16_e32 0xff80, v124
	s_cbranch_execz .LBB6_29263
; %bb.29256:                            ;   in Loop: Header=BB6_27928 Depth=3
	v_and_b32_e32 v1, 0x7c, v124
	v_and_b32_e32 v3, 3, v124
	s_delay_alu instid0(VALU_DEP_2) | instskip(SKIP_1) | instid1(SALU_CYCLE_1)
	v_cmp_ne_u32_e32 vcc_lo, 0x7c, v1
                                        ; implicit-def: $vgpr1
	s_and_saveexec_b32 s13, vcc_lo
	s_xor_b32 s13, exec_lo, s13
	s_cbranch_execz .LBB6_29260
; %bb.29257:                            ;   in Loop: Header=BB6_27928 Depth=3
	v_and_b32_e32 v1, 0xff, v124
	s_mov_b32 s74, exec_lo
	s_delay_alu instid0(VALU_DEP_1) | instskip(NEXT) | instid1(VALU_DEP_1)
	v_bfe_u32 v1, v1, 2, 5
	v_cmpx_eq_u32_e32 0, v1
	s_cbranch_execz .LBB6_29259
; %bb.29258:                            ;   in Loop: Header=BB6_27928 Depth=3
	v_clz_i32_u32_e32 v1, v3
	s_delay_alu instid0(VALU_DEP_1) | instskip(SKIP_1) | instid1(VALU_DEP_2)
	v_min_u32_e32 v1, 32, v1
	v_mov_b32_e32 v125, v113
	v_subrev_nc_u32_e32 v3, 29, v1
	v_sub_nc_u32_e32 v1, 30, v1
	s_delay_alu instid0(VALU_DEP_2) | instskip(NEXT) | instid1(VALU_DEP_1)
	v_lshlrev_b64_e32 v[14:15], v3, v[124:125]
	v_and_b32_e32 v3, 3, v14
.LBB6_29259:                            ;   in Loop: Header=BB6_27928 Depth=3
	s_or_b32 exec_lo, exec_lo, s74
	v_bfe_i32 v5, v124, 0, 16
                                        ; implicit-def: $vgpr124
	s_delay_alu instid0(VALU_DEP_1) | instskip(NEXT) | instid1(VALU_DEP_1)
	v_and_b32_e32 v5, 0x80000000, v5
	v_lshl_add_u32 v1, v1, 23, v5
	s_delay_alu instid0(VALU_DEP_1) | instskip(NEXT) | instid1(VALU_DEP_1)
	v_lshl_or_b32 v1, v3, 21, v1
                                        ; implicit-def: $vgpr3
	v_add_nc_u32_e32 v1, 0x38000000, v1
.LBB6_29260:                            ;   in Loop: Header=BB6_27928 Depth=3
	s_and_not1_saveexec_b32 s74, s13
; %bb.29261:                            ;   in Loop: Header=BB6_27928 Depth=3
	v_cmp_lt_i16_e64 s13, -1, v124
	v_mov_b32_e32 v1, 0x7f800000
	v_cmp_eq_u32_e32 vcc_lo, 0, v3
	s_delay_alu instid0(VALU_DEP_2) | instskip(NEXT) | instid1(VALU_DEP_1)
	v_cndmask_b32_e64 v1, 0xff800000, v1, s13
	v_cndmask_b32_e32 v1, 0x7f800001, v1, vcc_lo
; %bb.29262:                            ;   in Loop: Header=BB6_27928 Depth=3
	s_or_b32 exec_lo, exec_lo, s74
.LBB6_29263:                            ;   in Loop: Header=BB6_27928 Depth=3
	s_delay_alu instid0(SALU_CYCLE_1)
	s_or_b32 exec_lo, exec_lo, s15
.LBB6_29264:                            ;   in Loop: Header=BB6_27928 Depth=3
	s_delay_alu instid0(SALU_CYCLE_1) | instskip(NEXT) | instid1(VALU_DEP_1)
	s_or_b32 exec_lo, exec_lo, s14
	v_dual_add_f32 v5, v2, v1 :: v_dual_mov_b32 v3, v113
                                        ; implicit-def: $vgpr21
	s_delay_alu instid0(VALU_DEP_1) | instskip(NEXT) | instid1(VALU_DEP_1)
	v_and_b32_e32 v2, 0x7f800000, v5
	v_cmp_ne_u64_e32 vcc_lo, 0x7f800000, v[2:3]
	v_and_b32_e32 v2, 0x7fffff, v5
	s_and_saveexec_b32 s13, vcc_lo
	s_delay_alu instid0(SALU_CYCLE_1)
	s_xor_b32 s14, exec_lo, s13
	s_cbranch_execz .LBB6_29282
; %bb.29265:                            ;   in Loop: Header=BB6_27928 Depth=3
	v_dual_mov_b32 v15, v113 :: v_dual_lshrrev_b32 v1, 24, v5
	v_and_b32_e32 v14, 0x7fffffff, v5
                                        ; implicit-def: $vgpr21
	s_mov_b32 s13, exec_lo
	s_delay_alu instid0(VALU_DEP_2) | instskip(NEXT) | instid1(VALU_DEP_2)
	v_and_b32_e32 v1, 0x80, v1
	v_cmpx_gt_u64_e32 0x47600001, v[14:15]
	s_xor_b32 s15, exec_lo, s13
	s_cbranch_execz .LBB6_29279
; %bb.29266:                            ;   in Loop: Header=BB6_27928 Depth=3
	v_mov_b32_e32 v21, 0
	s_mov_b32 s74, exec_lo
	v_cmpx_ne_u32_e32 0, v5
	s_cbranch_execz .LBB6_29278
; %bb.29267:                            ;   in Loop: Header=BB6_27928 Depth=3
	v_bfe_u32 v5, v5, 23, 8
	v_or_b32_e32 v14, 0x800000, v2
	s_delay_alu instid0(VALU_DEP_2) | instskip(SKIP_1) | instid1(VALU_DEP_3)
	v_cmp_eq_u32_e32 vcc_lo, 0, v5
	v_cmp_gt_u32_e64 s13, 0x72, v5
	v_dual_cndmask_b32 v2, v14, v2 :: v_dual_sub_nc_u32 v7, 0x71, v5
	s_delay_alu instid0(VALU_DEP_1) | instskip(NEXT) | instid1(VALU_DEP_1)
	v_cndmask_b32_e64 v7, 0, v7, s13
	v_cndmask_b32_e64 v7, v7, 0x70, vcc_lo
	s_delay_alu instid0(VALU_DEP_1) | instskip(NEXT) | instid1(VALU_DEP_1)
	v_dual_add_nc_u32 v14, 21, v7 :: v_dual_add_nc_u32 v17, 20, v7
	v_lshlrev_b64_e64 v[14:15], v14, -1
	s_delay_alu instid0(VALU_DEP_2) | instskip(NEXT) | instid1(VALU_DEP_2)
	v_lshlrev_b64_e64 v[34:35], v17, 1
	v_bfi_b32 v14, v14, 0, v2
	v_lshrrev_b64 v[2:3], v7, v[2:3]
	s_delay_alu instid0(VALU_DEP_4) | instskip(NEXT) | instid1(VALU_DEP_1)
	v_bfi_b32 v15, v15, 0, 0
	v_cmp_eq_u64_e64 s13, v[14:15], v[34:35]
	s_delay_alu instid0(VALU_DEP_3)
	v_mov_b64_e32 v[14:15], v[2:3]
	s_and_saveexec_b32 s75, s13
; %bb.29268:                            ;   in Loop: Header=BB6_27928 Depth=3
	v_bfe_u32 v14, v2, 21, 1
	v_mov_b32_e32 v15, v113
	s_delay_alu instid0(VALU_DEP_1) | instskip(NEXT) | instid1(VALU_DEP_1)
	v_add_nc_u64_e32 v[14:15], v[2:3], v[14:15]
	v_add_nc_u64_e32 v[14:15], -1, v[14:15]
; %bb.29269:                            ;   in Loop: Header=BB6_27928 Depth=3
	s_or_b32 exec_lo, exec_lo, s75
	v_add_nc_u32_e32 v3, 0xffffff81, v5
	v_lshrrev_b32_e32 v5, 23, v2
	s_mov_b32 s13, exec_lo
	s_delay_alu instid0(VALU_DEP_2) | instskip(NEXT) | instid1(VALU_DEP_1)
	v_cndmask_b32_e64 v3, v3, 0xffffff82, vcc_lo
	v_add3_u32 v15, v7, v3, v5
	v_and_b32_e32 v3, 0x1fffff, v14
                                        ; implicit-def: $vgpr5
	s_delay_alu instid0(VALU_DEP_1) | instskip(SKIP_1) | instid1(VALU_DEP_2)
	v_dual_add_nc_u32 v7, 14, v15 :: v_dual_add_nc_u32 v2, v3, v2
	v_mov_b32_e32 v3, v113
	v_cmpx_ne_u32_e32 0, v7
	s_xor_b32 s13, exec_lo, s13
; %bb.29270:                            ;   in Loop: Header=BB6_27928 Depth=3
	s_delay_alu instid0(VALU_DEP_2) | instskip(SKIP_1) | instid1(VALU_DEP_1)
	v_cmp_lt_u64_e32 vcc_lo, 0xffffff, v[2:3]
	v_add_nc_u32_e32 v5, 15, v15
	v_cndmask_b32_e32 v5, v7, v5, vcc_lo
	v_cndmask_b32_e64 v7, 0, 1, vcc_lo
	s_delay_alu instid0(VALU_DEP_1)
	v_lshrrev_b64 v[2:3], v7, v[2:3]
; %bb.29271:                            ;   in Loop: Header=BB6_27928 Depth=3
	s_and_not1_saveexec_b32 s13, s13
; %bb.29272:                            ;   in Loop: Header=BB6_27928 Depth=3
	s_delay_alu instid0(VALU_DEP_1)
	v_bfe_u32 v5, v2, 23, 1
; %bb.29273:                            ;   in Loop: Header=BB6_27928 Depth=3
	s_or_b32 exec_lo, exec_lo, s13
	s_delay_alu instid0(VALU_DEP_2) | instskip(NEXT) | instid1(VALU_DEP_2)
	v_lshrrev_b64 v[2:3], 21, v[2:3]
	v_cmp_gt_i32_e32 vcc_lo, 32, v5
	v_cmp_ne_u32_e64 s13, 0, v5
                                        ; implicit-def: $vgpr21
	s_delay_alu instid0(VALU_DEP_3) | instskip(NEXT) | instid1(VALU_DEP_1)
	v_dual_cndmask_b32 v3, 0, v3 :: v_dual_cndmask_b32 v2, 3, v2
	v_cmp_ne_u64_e32 vcc_lo, 0, v[2:3]
	s_or_b32 s13, s13, vcc_lo
	s_delay_alu instid0(SALU_CYCLE_1) | instskip(NEXT) | instid1(SALU_CYCLE_1)
	s_and_saveexec_b32 s75, s13
	s_xor_b32 s13, exec_lo, s75
; %bb.29274:                            ;   in Loop: Header=BB6_27928 Depth=3
	v_min_i32_e32 v3, 31, v5
	s_delay_alu instid0(VALU_DEP_1) | instskip(NEXT) | instid1(VALU_DEP_1)
	v_lshl_or_b32 v1, v3, 2, v1
	v_and_or_b32 v21, v2, 3, v1
                                        ; implicit-def: $vgpr1
; %bb.29275:                            ;   in Loop: Header=BB6_27928 Depth=3
	s_and_not1_saveexec_b32 s13, s13
; %bb.29276:                            ;   in Loop: Header=BB6_27928 Depth=3
	v_mov_b32_e32 v21, v1
; %bb.29277:                            ;   in Loop: Header=BB6_27928 Depth=3
	s_or_b32 exec_lo, exec_lo, s13
.LBB6_29278:                            ;   in Loop: Header=BB6_27928 Depth=3
	s_delay_alu instid0(SALU_CYCLE_1)
	s_or_b32 exec_lo, exec_lo, s74
                                        ; implicit-def: $vgpr1
.LBB6_29279:                            ;   in Loop: Header=BB6_27928 Depth=3
	s_and_not1_saveexec_b32 s13, s15
; %bb.29280:                            ;   in Loop: Header=BB6_27928 Depth=3
	v_or_b32_e32 v21, 0x7b, v1
; %bb.29281:                            ;   in Loop: Header=BB6_27928 Depth=3
	s_or_b32 exec_lo, exec_lo, s13
                                        ; implicit-def: $vgpr5
                                        ; implicit-def: $vgpr2_vgpr3
.LBB6_29282:                            ;   in Loop: Header=BB6_27928 Depth=3
	s_and_not1_saveexec_b32 s13, s14
	s_cbranch_execz .LBB6_29288
; %bb.29283:                            ;   in Loop: Header=BB6_27928 Depth=3
	s_mov_b32 s14, exec_lo
                                        ; implicit-def: $vgpr21
	v_cmpx_ne_u64_e32 0, v[2:3]
	s_xor_b32 s14, exec_lo, s14
; %bb.29284:                            ;   in Loop: Header=BB6_27928 Depth=3
	v_lshrrev_b32_e32 v1, 24, v5
                                        ; implicit-def: $vgpr5
	s_delay_alu instid0(VALU_DEP_1)
	v_or_b32_e32 v21, 0x7f, v1
; %bb.29285:                            ;   in Loop: Header=BB6_27928 Depth=3
	s_and_not1_saveexec_b32 s14, s14
; %bb.29286:                            ;   in Loop: Header=BB6_27928 Depth=3
	v_cmp_lt_i32_e32 vcc_lo, -1, v5
	v_cndmask_b32_e64 v21, -4, 0x7c, vcc_lo
; %bb.29287:                            ;   in Loop: Header=BB6_27928 Depth=3
	s_or_b32 exec_lo, exec_lo, s14
.LBB6_29288:                            ;   in Loop: Header=BB6_27928 Depth=3
	s_delay_alu instid0(SALU_CYCLE_1) | instskip(SKIP_3) | instid1(VALU_DEP_2)
	s_or_b32 exec_lo, exec_lo, s13
	v_and_b32_e32 v5, 0xff, v40
	v_dual_mov_b32 v1, 0 :: v_dual_mov_b32 v2, 0
	s_mov_b32 s14, exec_lo
	v_cmpx_ne_u16_e32 0, v5
	s_cbranch_execz .LBB6_29298
; %bb.29289:                            ;   in Loop: Header=BB6_27928 Depth=3
	v_bfrev_b32_e32 v2, 1
	s_mov_b32 s15, exec_lo
	v_cmpx_ne_u16_e32 0x80, v5
	s_cbranch_execz .LBB6_29297
; %bb.29290:                            ;   in Loop: Header=BB6_27928 Depth=3
	v_and_b32_e32 v2, 0x7c, v40
	v_and_b32_e32 v3, 3, v40
	s_delay_alu instid0(VALU_DEP_2) | instskip(SKIP_1) | instid1(SALU_CYCLE_1)
	v_cmp_ne_u32_e32 vcc_lo, 0x7c, v2
                                        ; implicit-def: $vgpr2
	s_and_saveexec_b32 s13, vcc_lo
	s_xor_b32 s13, exec_lo, s13
	s_cbranch_execz .LBB6_29294
; %bb.29291:                            ;   in Loop: Header=BB6_27928 Depth=3
	v_bfe_u32 v2, v5, 2, 5
	s_mov_b32 s74, exec_lo
	s_delay_alu instid0(VALU_DEP_1)
	v_cmpx_eq_u32_e32 0, v2
	s_cbranch_execz .LBB6_29293
; %bb.29292:                            ;   in Loop: Header=BB6_27928 Depth=3
	v_clz_i32_u32_e32 v2, v3
	s_delay_alu instid0(VALU_DEP_1) | instskip(SKIP_1) | instid1(VALU_DEP_2)
	v_min_u32_e32 v2, 32, v2
	v_mov_b32_e32 v41, v113
	v_subrev_nc_u32_e32 v3, 29, v2
	v_sub_nc_u32_e32 v2, 30, v2
	s_delay_alu instid0(VALU_DEP_2) | instskip(NEXT) | instid1(VALU_DEP_1)
	v_lshlrev_b64_e32 v[14:15], v3, v[40:41]
	v_and_b32_e32 v3, 3, v14
.LBB6_29293:                            ;   in Loop: Header=BB6_27928 Depth=3
	s_or_b32 exec_lo, exec_lo, s74
	v_lshlrev_b32_e32 v5, 24, v40
                                        ; implicit-def: $vgpr40
	s_delay_alu instid0(VALU_DEP_1) | instskip(NEXT) | instid1(VALU_DEP_1)
	v_and_b32_e32 v5, 0x80000000, v5
	v_lshl_add_u32 v2, v2, 23, v5
	s_delay_alu instid0(VALU_DEP_1) | instskip(NEXT) | instid1(VALU_DEP_1)
	v_lshl_or_b32 v2, v3, 21, v2
                                        ; implicit-def: $vgpr3
	v_add_nc_u32_e32 v2, 0x38000000, v2
.LBB6_29294:                            ;   in Loop: Header=BB6_27928 Depth=3
	s_and_not1_saveexec_b32 s74, s13
; %bb.29295:                            ;   in Loop: Header=BB6_27928 Depth=3
	v_bfe_i32 v2, v40, 0, 8
	v_cmp_eq_u32_e32 vcc_lo, 0, v3
	s_delay_alu instid0(VALU_DEP_2) | instskip(SKIP_1) | instid1(VALU_DEP_1)
	v_cmp_lt_i16_e64 s13, -1, v2
	v_mov_b32_e32 v2, 0x7f800000
	v_cndmask_b32_e64 v2, 0xff800000, v2, s13
	s_delay_alu instid0(VALU_DEP_1)
	v_cndmask_b32_e32 v2, 0x7f800001, v2, vcc_lo
; %bb.29296:                            ;   in Loop: Header=BB6_27928 Depth=3
	s_or_b32 exec_lo, exec_lo, s74
.LBB6_29297:                            ;   in Loop: Header=BB6_27928 Depth=3
	s_delay_alu instid0(SALU_CYCLE_1)
	s_or_b32 exec_lo, exec_lo, s15
.LBB6_29298:                            ;   in Loop: Header=BB6_27928 Depth=3
	s_delay_alu instid0(SALU_CYCLE_1) | instskip(NEXT) | instid1(SALU_CYCLE_1)
	s_or_b32 exec_lo, exec_lo, s14
	s_mov_b32 s14, exec_lo
	s_wait_loadcnt_dscnt 0x1919
	v_cmpx_ne_u16_e32 0, v50
	s_cbranch_execz .LBB6_29308
; %bb.29299:                            ;   in Loop: Header=BB6_27928 Depth=3
	v_bfrev_b32_e32 v1, 1
	s_mov_b32 s15, exec_lo
	v_cmpx_ne_u16_e32 0xff80, v50
	s_cbranch_execz .LBB6_29307
; %bb.29300:                            ;   in Loop: Header=BB6_27928 Depth=3
	v_and_b32_e32 v1, 0x7c, v50
	v_and_b32_e32 v3, 3, v50
	s_delay_alu instid0(VALU_DEP_2) | instskip(SKIP_1) | instid1(SALU_CYCLE_1)
	v_cmp_ne_u32_e32 vcc_lo, 0x7c, v1
                                        ; implicit-def: $vgpr1
	s_and_saveexec_b32 s13, vcc_lo
	s_xor_b32 s13, exec_lo, s13
	s_cbranch_execz .LBB6_29304
; %bb.29301:                            ;   in Loop: Header=BB6_27928 Depth=3
	v_and_b32_e32 v1, 0xff, v50
	s_mov_b32 s74, exec_lo
	s_delay_alu instid0(VALU_DEP_1) | instskip(NEXT) | instid1(VALU_DEP_1)
	v_bfe_u32 v1, v1, 2, 5
	v_cmpx_eq_u32_e32 0, v1
	s_cbranch_execz .LBB6_29303
; %bb.29302:                            ;   in Loop: Header=BB6_27928 Depth=3
	v_clz_i32_u32_e32 v1, v3
	s_delay_alu instid0(VALU_DEP_1) | instskip(SKIP_1) | instid1(VALU_DEP_2)
	v_min_u32_e32 v1, 32, v1
	v_mov_b32_e32 v51, v113
	v_subrev_nc_u32_e32 v3, 29, v1
	v_sub_nc_u32_e32 v1, 30, v1
	s_delay_alu instid0(VALU_DEP_2) | instskip(NEXT) | instid1(VALU_DEP_1)
	v_lshlrev_b64_e32 v[14:15], v3, v[50:51]
	v_and_b32_e32 v3, 3, v14
.LBB6_29303:                            ;   in Loop: Header=BB6_27928 Depth=3
	s_or_b32 exec_lo, exec_lo, s74
	v_bfe_i32 v5, v50, 0, 16
                                        ; implicit-def: $vgpr50
	s_delay_alu instid0(VALU_DEP_1) | instskip(NEXT) | instid1(VALU_DEP_1)
	v_and_b32_e32 v5, 0x80000000, v5
	v_lshl_add_u32 v1, v1, 23, v5
	s_delay_alu instid0(VALU_DEP_1) | instskip(NEXT) | instid1(VALU_DEP_1)
	v_lshl_or_b32 v1, v3, 21, v1
                                        ; implicit-def: $vgpr3
	v_add_nc_u32_e32 v1, 0x38000000, v1
.LBB6_29304:                            ;   in Loop: Header=BB6_27928 Depth=3
	s_and_not1_saveexec_b32 s74, s13
; %bb.29305:                            ;   in Loop: Header=BB6_27928 Depth=3
	v_cmp_lt_i16_e64 s13, -1, v50
	v_mov_b32_e32 v1, 0x7f800000
	v_cmp_eq_u32_e32 vcc_lo, 0, v3
	s_delay_alu instid0(VALU_DEP_2) | instskip(NEXT) | instid1(VALU_DEP_1)
	v_cndmask_b32_e64 v1, 0xff800000, v1, s13
	v_cndmask_b32_e32 v1, 0x7f800001, v1, vcc_lo
; %bb.29306:                            ;   in Loop: Header=BB6_27928 Depth=3
	s_or_b32 exec_lo, exec_lo, s74
.LBB6_29307:                            ;   in Loop: Header=BB6_27928 Depth=3
	s_delay_alu instid0(SALU_CYCLE_1)
	s_or_b32 exec_lo, exec_lo, s15
.LBB6_29308:                            ;   in Loop: Header=BB6_27928 Depth=3
	s_delay_alu instid0(SALU_CYCLE_1) | instskip(NEXT) | instid1(VALU_DEP_1)
	s_or_b32 exec_lo, exec_lo, s14
	v_dual_add_f32 v5, v2, v1 :: v_dual_mov_b32 v3, v113
                                        ; implicit-def: $vgpr23
	s_delay_alu instid0(VALU_DEP_1) | instskip(NEXT) | instid1(VALU_DEP_1)
	v_and_b32_e32 v2, 0x7f800000, v5
	v_cmp_ne_u64_e32 vcc_lo, 0x7f800000, v[2:3]
	v_and_b32_e32 v2, 0x7fffff, v5
	s_and_saveexec_b32 s13, vcc_lo
	s_delay_alu instid0(SALU_CYCLE_1)
	s_xor_b32 s14, exec_lo, s13
	s_cbranch_execz .LBB6_29326
; %bb.29309:                            ;   in Loop: Header=BB6_27928 Depth=3
	v_dual_mov_b32 v15, v113 :: v_dual_lshrrev_b32 v1, 24, v5
	v_and_b32_e32 v14, 0x7fffffff, v5
                                        ; implicit-def: $vgpr23
	s_mov_b32 s13, exec_lo
	s_delay_alu instid0(VALU_DEP_2) | instskip(NEXT) | instid1(VALU_DEP_2)
	v_and_b32_e32 v1, 0x80, v1
	v_cmpx_gt_u64_e32 0x47600001, v[14:15]
	s_xor_b32 s15, exec_lo, s13
	s_cbranch_execz .LBB6_29323
; %bb.29310:                            ;   in Loop: Header=BB6_27928 Depth=3
	v_mov_b32_e32 v23, 0
	s_mov_b32 s74, exec_lo
	v_cmpx_ne_u32_e32 0, v5
	s_cbranch_execz .LBB6_29322
; %bb.29311:                            ;   in Loop: Header=BB6_27928 Depth=3
	v_bfe_u32 v5, v5, 23, 8
	v_or_b32_e32 v14, 0x800000, v2
	s_delay_alu instid0(VALU_DEP_2) | instskip(SKIP_1) | instid1(VALU_DEP_3)
	v_cmp_eq_u32_e32 vcc_lo, 0, v5
	v_cmp_gt_u32_e64 s13, 0x72, v5
	v_dual_cndmask_b32 v2, v14, v2 :: v_dual_sub_nc_u32 v7, 0x71, v5
	s_delay_alu instid0(VALU_DEP_1) | instskip(NEXT) | instid1(VALU_DEP_1)
	v_cndmask_b32_e64 v7, 0, v7, s13
	v_cndmask_b32_e64 v7, v7, 0x70, vcc_lo
	s_delay_alu instid0(VALU_DEP_1) | instskip(NEXT) | instid1(VALU_DEP_1)
	v_dual_add_nc_u32 v14, 21, v7 :: v_dual_add_nc_u32 v17, 20, v7
	v_lshlrev_b64_e64 v[14:15], v14, -1
	s_delay_alu instid0(VALU_DEP_2) | instskip(NEXT) | instid1(VALU_DEP_2)
	v_lshlrev_b64_e64 v[34:35], v17, 1
	v_bfi_b32 v14, v14, 0, v2
	v_lshrrev_b64 v[2:3], v7, v[2:3]
	s_delay_alu instid0(VALU_DEP_4) | instskip(NEXT) | instid1(VALU_DEP_1)
	v_bfi_b32 v15, v15, 0, 0
	v_cmp_eq_u64_e64 s13, v[14:15], v[34:35]
	s_delay_alu instid0(VALU_DEP_3)
	v_mov_b64_e32 v[14:15], v[2:3]
	s_and_saveexec_b32 s75, s13
; %bb.29312:                            ;   in Loop: Header=BB6_27928 Depth=3
	v_bfe_u32 v14, v2, 21, 1
	v_mov_b32_e32 v15, v113
	s_delay_alu instid0(VALU_DEP_1) | instskip(NEXT) | instid1(VALU_DEP_1)
	v_add_nc_u64_e32 v[14:15], v[2:3], v[14:15]
	v_add_nc_u64_e32 v[14:15], -1, v[14:15]
; %bb.29313:                            ;   in Loop: Header=BB6_27928 Depth=3
	s_or_b32 exec_lo, exec_lo, s75
	v_add_nc_u32_e32 v3, 0xffffff81, v5
	v_lshrrev_b32_e32 v5, 23, v2
	s_mov_b32 s13, exec_lo
	s_delay_alu instid0(VALU_DEP_2) | instskip(NEXT) | instid1(VALU_DEP_1)
	v_cndmask_b32_e64 v3, v3, 0xffffff82, vcc_lo
	v_add3_u32 v15, v7, v3, v5
	v_and_b32_e32 v3, 0x1fffff, v14
                                        ; implicit-def: $vgpr5
	s_delay_alu instid0(VALU_DEP_1) | instskip(SKIP_1) | instid1(VALU_DEP_2)
	v_dual_add_nc_u32 v7, 14, v15 :: v_dual_add_nc_u32 v2, v3, v2
	v_mov_b32_e32 v3, v113
	v_cmpx_ne_u32_e32 0, v7
	s_xor_b32 s13, exec_lo, s13
; %bb.29314:                            ;   in Loop: Header=BB6_27928 Depth=3
	s_delay_alu instid0(VALU_DEP_2) | instskip(SKIP_1) | instid1(VALU_DEP_1)
	v_cmp_lt_u64_e32 vcc_lo, 0xffffff, v[2:3]
	v_add_nc_u32_e32 v5, 15, v15
	v_cndmask_b32_e32 v5, v7, v5, vcc_lo
	v_cndmask_b32_e64 v7, 0, 1, vcc_lo
	s_delay_alu instid0(VALU_DEP_1)
	v_lshrrev_b64 v[2:3], v7, v[2:3]
; %bb.29315:                            ;   in Loop: Header=BB6_27928 Depth=3
	s_and_not1_saveexec_b32 s13, s13
; %bb.29316:                            ;   in Loop: Header=BB6_27928 Depth=3
	s_delay_alu instid0(VALU_DEP_1)
	v_bfe_u32 v5, v2, 23, 1
; %bb.29317:                            ;   in Loop: Header=BB6_27928 Depth=3
	s_or_b32 exec_lo, exec_lo, s13
	s_delay_alu instid0(VALU_DEP_2) | instskip(NEXT) | instid1(VALU_DEP_2)
	v_lshrrev_b64 v[2:3], 21, v[2:3]
	v_cmp_gt_i32_e32 vcc_lo, 32, v5
	v_cmp_ne_u32_e64 s13, 0, v5
                                        ; implicit-def: $vgpr23
	s_delay_alu instid0(VALU_DEP_3) | instskip(NEXT) | instid1(VALU_DEP_1)
	v_dual_cndmask_b32 v3, 0, v3 :: v_dual_cndmask_b32 v2, 3, v2
	v_cmp_ne_u64_e32 vcc_lo, 0, v[2:3]
	s_or_b32 s13, s13, vcc_lo
	s_delay_alu instid0(SALU_CYCLE_1) | instskip(NEXT) | instid1(SALU_CYCLE_1)
	s_and_saveexec_b32 s75, s13
	s_xor_b32 s13, exec_lo, s75
; %bb.29318:                            ;   in Loop: Header=BB6_27928 Depth=3
	v_min_i32_e32 v3, 31, v5
	s_delay_alu instid0(VALU_DEP_1) | instskip(NEXT) | instid1(VALU_DEP_1)
	v_lshl_or_b32 v1, v3, 2, v1
	v_and_or_b32 v23, v2, 3, v1
                                        ; implicit-def: $vgpr1
; %bb.29319:                            ;   in Loop: Header=BB6_27928 Depth=3
	s_and_not1_saveexec_b32 s13, s13
; %bb.29320:                            ;   in Loop: Header=BB6_27928 Depth=3
	v_mov_b32_e32 v23, v1
; %bb.29321:                            ;   in Loop: Header=BB6_27928 Depth=3
	s_or_b32 exec_lo, exec_lo, s13
.LBB6_29322:                            ;   in Loop: Header=BB6_27928 Depth=3
	s_delay_alu instid0(SALU_CYCLE_1)
	s_or_b32 exec_lo, exec_lo, s74
                                        ; implicit-def: $vgpr1
.LBB6_29323:                            ;   in Loop: Header=BB6_27928 Depth=3
	s_and_not1_saveexec_b32 s13, s15
; %bb.29324:                            ;   in Loop: Header=BB6_27928 Depth=3
	v_or_b32_e32 v23, 0x7b, v1
; %bb.29325:                            ;   in Loop: Header=BB6_27928 Depth=3
	s_or_b32 exec_lo, exec_lo, s13
                                        ; implicit-def: $vgpr5
                                        ; implicit-def: $vgpr2_vgpr3
.LBB6_29326:                            ;   in Loop: Header=BB6_27928 Depth=3
	s_and_not1_saveexec_b32 s13, s14
	s_cbranch_execz .LBB6_29332
; %bb.29327:                            ;   in Loop: Header=BB6_27928 Depth=3
	s_mov_b32 s14, exec_lo
                                        ; implicit-def: $vgpr23
	v_cmpx_ne_u64_e32 0, v[2:3]
	s_xor_b32 s14, exec_lo, s14
; %bb.29328:                            ;   in Loop: Header=BB6_27928 Depth=3
	v_lshrrev_b32_e32 v1, 24, v5
                                        ; implicit-def: $vgpr5
	s_delay_alu instid0(VALU_DEP_1)
	v_or_b32_e32 v23, 0x7f, v1
; %bb.29329:                            ;   in Loop: Header=BB6_27928 Depth=3
	s_and_not1_saveexec_b32 s14, s14
; %bb.29330:                            ;   in Loop: Header=BB6_27928 Depth=3
	v_cmp_lt_i32_e32 vcc_lo, -1, v5
	v_cndmask_b32_e64 v23, -4, 0x7c, vcc_lo
; %bb.29331:                            ;   in Loop: Header=BB6_27928 Depth=3
	s_or_b32 exec_lo, exec_lo, s14
.LBB6_29332:                            ;   in Loop: Header=BB6_27928 Depth=3
	s_delay_alu instid0(SALU_CYCLE_1) | instskip(SKIP_3) | instid1(VALU_DEP_2)
	s_or_b32 exec_lo, exec_lo, s13
	v_and_b32_e32 v5, 0xff, v114
	v_dual_mov_b32 v1, 0 :: v_dual_mov_b32 v2, 0
	s_mov_b32 s14, exec_lo
	v_cmpx_ne_u16_e32 0, v5
	s_cbranch_execz .LBB6_29342
; %bb.29333:                            ;   in Loop: Header=BB6_27928 Depth=3
	v_bfrev_b32_e32 v2, 1
	s_mov_b32 s15, exec_lo
	v_cmpx_ne_u16_e32 0x80, v5
	s_cbranch_execz .LBB6_29341
; %bb.29334:                            ;   in Loop: Header=BB6_27928 Depth=3
	v_and_b32_e32 v2, 0x7c, v114
	v_and_b32_e32 v3, 3, v114
	s_delay_alu instid0(VALU_DEP_2) | instskip(SKIP_1) | instid1(SALU_CYCLE_1)
	v_cmp_ne_u32_e32 vcc_lo, 0x7c, v2
                                        ; implicit-def: $vgpr2
	s_and_saveexec_b32 s13, vcc_lo
	s_xor_b32 s13, exec_lo, s13
	s_cbranch_execz .LBB6_29338
; %bb.29335:                            ;   in Loop: Header=BB6_27928 Depth=3
	v_bfe_u32 v2, v5, 2, 5
	s_mov_b32 s74, exec_lo
	s_delay_alu instid0(VALU_DEP_1)
	v_cmpx_eq_u32_e32 0, v2
	s_cbranch_execz .LBB6_29337
; %bb.29336:                            ;   in Loop: Header=BB6_27928 Depth=3
	v_clz_i32_u32_e32 v2, v3
	s_delay_alu instid0(VALU_DEP_1) | instskip(SKIP_1) | instid1(VALU_DEP_2)
	v_min_u32_e32 v2, 32, v2
	v_mov_b32_e32 v115, v113
	v_subrev_nc_u32_e32 v3, 29, v2
	v_sub_nc_u32_e32 v2, 30, v2
	s_delay_alu instid0(VALU_DEP_2) | instskip(NEXT) | instid1(VALU_DEP_1)
	v_lshlrev_b64_e32 v[14:15], v3, v[114:115]
	v_and_b32_e32 v3, 3, v14
.LBB6_29337:                            ;   in Loop: Header=BB6_27928 Depth=3
	s_or_b32 exec_lo, exec_lo, s74
	v_lshlrev_b32_e32 v5, 24, v114
                                        ; implicit-def: $vgpr114
	s_delay_alu instid0(VALU_DEP_1) | instskip(NEXT) | instid1(VALU_DEP_1)
	v_and_b32_e32 v5, 0x80000000, v5
	v_lshl_add_u32 v2, v2, 23, v5
	s_delay_alu instid0(VALU_DEP_1) | instskip(NEXT) | instid1(VALU_DEP_1)
	v_lshl_or_b32 v2, v3, 21, v2
                                        ; implicit-def: $vgpr3
	v_add_nc_u32_e32 v2, 0x38000000, v2
.LBB6_29338:                            ;   in Loop: Header=BB6_27928 Depth=3
	s_and_not1_saveexec_b32 s74, s13
; %bb.29339:                            ;   in Loop: Header=BB6_27928 Depth=3
	v_bfe_i32 v2, v114, 0, 8
	v_cmp_eq_u32_e32 vcc_lo, 0, v3
	s_delay_alu instid0(VALU_DEP_2) | instskip(SKIP_1) | instid1(VALU_DEP_1)
	v_cmp_lt_i16_e64 s13, -1, v2
	v_mov_b32_e32 v2, 0x7f800000
	v_cndmask_b32_e64 v2, 0xff800000, v2, s13
	s_delay_alu instid0(VALU_DEP_1)
	v_cndmask_b32_e32 v2, 0x7f800001, v2, vcc_lo
; %bb.29340:                            ;   in Loop: Header=BB6_27928 Depth=3
	s_or_b32 exec_lo, exec_lo, s74
.LBB6_29341:                            ;   in Loop: Header=BB6_27928 Depth=3
	s_delay_alu instid0(SALU_CYCLE_1)
	s_or_b32 exec_lo, exec_lo, s15
.LBB6_29342:                            ;   in Loop: Header=BB6_27928 Depth=3
	s_delay_alu instid0(SALU_CYCLE_1) | instskip(NEXT) | instid1(SALU_CYCLE_1)
	s_or_b32 exec_lo, exec_lo, s14
	s_mov_b32 s14, exec_lo
	s_wait_loadcnt_dscnt 0x1818
	v_cmpx_ne_u16_e32 0, v32
	s_cbranch_execz .LBB6_29352
; %bb.29343:                            ;   in Loop: Header=BB6_27928 Depth=3
	v_bfrev_b32_e32 v1, 1
	s_mov_b32 s15, exec_lo
	v_cmpx_ne_u16_e32 0xff80, v32
	s_cbranch_execz .LBB6_29351
; %bb.29344:                            ;   in Loop: Header=BB6_27928 Depth=3
	v_and_b32_e32 v1, 0x7c, v32
	v_and_b32_e32 v3, 3, v32
	s_delay_alu instid0(VALU_DEP_2) | instskip(SKIP_1) | instid1(SALU_CYCLE_1)
	v_cmp_ne_u32_e32 vcc_lo, 0x7c, v1
                                        ; implicit-def: $vgpr1
	s_and_saveexec_b32 s13, vcc_lo
	s_xor_b32 s13, exec_lo, s13
	s_cbranch_execz .LBB6_29348
; %bb.29345:                            ;   in Loop: Header=BB6_27928 Depth=3
	v_and_b32_e32 v1, 0xff, v32
	s_mov_b32 s74, exec_lo
	s_delay_alu instid0(VALU_DEP_1) | instskip(NEXT) | instid1(VALU_DEP_1)
	v_bfe_u32 v1, v1, 2, 5
	v_cmpx_eq_u32_e32 0, v1
	s_cbranch_execz .LBB6_29347
; %bb.29346:                            ;   in Loop: Header=BB6_27928 Depth=3
	v_clz_i32_u32_e32 v1, v3
	s_delay_alu instid0(VALU_DEP_1) | instskip(SKIP_1) | instid1(VALU_DEP_2)
	v_min_u32_e32 v1, 32, v1
	v_mov_b32_e32 v33, v113
	v_subrev_nc_u32_e32 v3, 29, v1
	v_sub_nc_u32_e32 v1, 30, v1
	s_delay_alu instid0(VALU_DEP_2) | instskip(NEXT) | instid1(VALU_DEP_1)
	v_lshlrev_b64_e32 v[14:15], v3, v[32:33]
	v_and_b32_e32 v3, 3, v14
.LBB6_29347:                            ;   in Loop: Header=BB6_27928 Depth=3
	s_or_b32 exec_lo, exec_lo, s74
	v_bfe_i32 v5, v32, 0, 16
                                        ; implicit-def: $vgpr32
	s_delay_alu instid0(VALU_DEP_1) | instskip(NEXT) | instid1(VALU_DEP_1)
	v_and_b32_e32 v5, 0x80000000, v5
	v_lshl_add_u32 v1, v1, 23, v5
	s_delay_alu instid0(VALU_DEP_1) | instskip(NEXT) | instid1(VALU_DEP_1)
	v_lshl_or_b32 v1, v3, 21, v1
                                        ; implicit-def: $vgpr3
	v_add_nc_u32_e32 v1, 0x38000000, v1
.LBB6_29348:                            ;   in Loop: Header=BB6_27928 Depth=3
	s_and_not1_saveexec_b32 s74, s13
; %bb.29349:                            ;   in Loop: Header=BB6_27928 Depth=3
	v_cmp_lt_i16_e64 s13, -1, v32
	v_mov_b32_e32 v1, 0x7f800000
	v_cmp_eq_u32_e32 vcc_lo, 0, v3
	s_delay_alu instid0(VALU_DEP_2) | instskip(NEXT) | instid1(VALU_DEP_1)
	v_cndmask_b32_e64 v1, 0xff800000, v1, s13
	v_cndmask_b32_e32 v1, 0x7f800001, v1, vcc_lo
; %bb.29350:                            ;   in Loop: Header=BB6_27928 Depth=3
	s_or_b32 exec_lo, exec_lo, s74
.LBB6_29351:                            ;   in Loop: Header=BB6_27928 Depth=3
	s_delay_alu instid0(SALU_CYCLE_1)
	s_or_b32 exec_lo, exec_lo, s15
.LBB6_29352:                            ;   in Loop: Header=BB6_27928 Depth=3
	s_delay_alu instid0(SALU_CYCLE_1) | instskip(NEXT) | instid1(VALU_DEP_1)
	s_or_b32 exec_lo, exec_lo, s14
	v_dual_add_f32 v5, v2, v1 :: v_dual_mov_b32 v3, v113
                                        ; implicit-def: $vgpr32
	s_delay_alu instid0(VALU_DEP_1) | instskip(NEXT) | instid1(VALU_DEP_1)
	v_and_b32_e32 v2, 0x7f800000, v5
	v_cmp_ne_u64_e32 vcc_lo, 0x7f800000, v[2:3]
	v_and_b32_e32 v2, 0x7fffff, v5
	s_and_saveexec_b32 s13, vcc_lo
	s_delay_alu instid0(SALU_CYCLE_1)
	s_xor_b32 s14, exec_lo, s13
	s_cbranch_execz .LBB6_29370
; %bb.29353:                            ;   in Loop: Header=BB6_27928 Depth=3
	v_dual_mov_b32 v15, v113 :: v_dual_lshrrev_b32 v1, 24, v5
	v_and_b32_e32 v14, 0x7fffffff, v5
                                        ; implicit-def: $vgpr32
	s_mov_b32 s13, exec_lo
	s_delay_alu instid0(VALU_DEP_2) | instskip(NEXT) | instid1(VALU_DEP_2)
	v_and_b32_e32 v1, 0x80, v1
	v_cmpx_gt_u64_e32 0x47600001, v[14:15]
	s_xor_b32 s15, exec_lo, s13
	s_cbranch_execz .LBB6_29367
; %bb.29354:                            ;   in Loop: Header=BB6_27928 Depth=3
	v_mov_b32_e32 v32, 0
	s_mov_b32 s74, exec_lo
	v_cmpx_ne_u32_e32 0, v5
	s_cbranch_execz .LBB6_29366
; %bb.29355:                            ;   in Loop: Header=BB6_27928 Depth=3
	v_bfe_u32 v5, v5, 23, 8
	v_or_b32_e32 v14, 0x800000, v2
	s_delay_alu instid0(VALU_DEP_2) | instskip(SKIP_1) | instid1(VALU_DEP_3)
	v_cmp_eq_u32_e32 vcc_lo, 0, v5
	v_cmp_gt_u32_e64 s13, 0x72, v5
	v_dual_cndmask_b32 v2, v14, v2 :: v_dual_sub_nc_u32 v7, 0x71, v5
	s_delay_alu instid0(VALU_DEP_1) | instskip(NEXT) | instid1(VALU_DEP_1)
	v_cndmask_b32_e64 v7, 0, v7, s13
	v_cndmask_b32_e64 v7, v7, 0x70, vcc_lo
	s_delay_alu instid0(VALU_DEP_1) | instskip(NEXT) | instid1(VALU_DEP_1)
	v_dual_add_nc_u32 v14, 21, v7 :: v_dual_add_nc_u32 v17, 20, v7
	v_lshlrev_b64_e64 v[14:15], v14, -1
	s_delay_alu instid0(VALU_DEP_2) | instskip(NEXT) | instid1(VALU_DEP_2)
	v_lshlrev_b64_e64 v[32:33], v17, 1
	v_bfi_b32 v14, v14, 0, v2
	v_lshrrev_b64 v[2:3], v7, v[2:3]
	s_delay_alu instid0(VALU_DEP_4) | instskip(NEXT) | instid1(VALU_DEP_1)
	v_bfi_b32 v15, v15, 0, 0
	v_cmp_eq_u64_e64 s13, v[14:15], v[32:33]
	s_delay_alu instid0(VALU_DEP_3)
	v_mov_b64_e32 v[14:15], v[2:3]
	s_and_saveexec_b32 s75, s13
; %bb.29356:                            ;   in Loop: Header=BB6_27928 Depth=3
	v_bfe_u32 v14, v2, 21, 1
	v_mov_b32_e32 v15, v113
	s_delay_alu instid0(VALU_DEP_1) | instskip(NEXT) | instid1(VALU_DEP_1)
	v_add_nc_u64_e32 v[14:15], v[2:3], v[14:15]
	v_add_nc_u64_e32 v[14:15], -1, v[14:15]
; %bb.29357:                            ;   in Loop: Header=BB6_27928 Depth=3
	s_or_b32 exec_lo, exec_lo, s75
	v_add_nc_u32_e32 v3, 0xffffff81, v5
	v_lshrrev_b32_e32 v5, 23, v2
	s_mov_b32 s13, exec_lo
	s_delay_alu instid0(VALU_DEP_2) | instskip(NEXT) | instid1(VALU_DEP_1)
	v_cndmask_b32_e64 v3, v3, 0xffffff82, vcc_lo
	v_add3_u32 v15, v7, v3, v5
	v_and_b32_e32 v3, 0x1fffff, v14
                                        ; implicit-def: $vgpr5
	s_delay_alu instid0(VALU_DEP_1) | instskip(SKIP_1) | instid1(VALU_DEP_2)
	v_dual_add_nc_u32 v7, 14, v15 :: v_dual_add_nc_u32 v2, v3, v2
	v_mov_b32_e32 v3, v113
	v_cmpx_ne_u32_e32 0, v7
	s_xor_b32 s13, exec_lo, s13
; %bb.29358:                            ;   in Loop: Header=BB6_27928 Depth=3
	s_delay_alu instid0(VALU_DEP_2) | instskip(SKIP_1) | instid1(VALU_DEP_1)
	v_cmp_lt_u64_e32 vcc_lo, 0xffffff, v[2:3]
	v_add_nc_u32_e32 v5, 15, v15
	v_cndmask_b32_e32 v5, v7, v5, vcc_lo
	v_cndmask_b32_e64 v7, 0, 1, vcc_lo
	s_delay_alu instid0(VALU_DEP_1)
	v_lshrrev_b64 v[2:3], v7, v[2:3]
; %bb.29359:                            ;   in Loop: Header=BB6_27928 Depth=3
	s_and_not1_saveexec_b32 s13, s13
; %bb.29360:                            ;   in Loop: Header=BB6_27928 Depth=3
	s_delay_alu instid0(VALU_DEP_1)
	v_bfe_u32 v5, v2, 23, 1
; %bb.29361:                            ;   in Loop: Header=BB6_27928 Depth=3
	s_or_b32 exec_lo, exec_lo, s13
	s_delay_alu instid0(VALU_DEP_2) | instskip(NEXT) | instid1(VALU_DEP_2)
	v_lshrrev_b64 v[2:3], 21, v[2:3]
	v_cmp_gt_i32_e32 vcc_lo, 32, v5
	v_cmp_ne_u32_e64 s13, 0, v5
                                        ; implicit-def: $vgpr32
	s_delay_alu instid0(VALU_DEP_3) | instskip(NEXT) | instid1(VALU_DEP_1)
	v_dual_cndmask_b32 v3, 0, v3 :: v_dual_cndmask_b32 v2, 3, v2
	v_cmp_ne_u64_e32 vcc_lo, 0, v[2:3]
	s_or_b32 s13, s13, vcc_lo
	s_delay_alu instid0(SALU_CYCLE_1) | instskip(NEXT) | instid1(SALU_CYCLE_1)
	s_and_saveexec_b32 s75, s13
	s_xor_b32 s13, exec_lo, s75
; %bb.29362:                            ;   in Loop: Header=BB6_27928 Depth=3
	v_min_i32_e32 v3, 31, v5
	s_delay_alu instid0(VALU_DEP_1) | instskip(NEXT) | instid1(VALU_DEP_1)
	v_lshl_or_b32 v1, v3, 2, v1
	v_and_or_b32 v32, v2, 3, v1
                                        ; implicit-def: $vgpr1
; %bb.29363:                            ;   in Loop: Header=BB6_27928 Depth=3
	s_and_not1_saveexec_b32 s13, s13
; %bb.29364:                            ;   in Loop: Header=BB6_27928 Depth=3
	v_mov_b32_e32 v32, v1
; %bb.29365:                            ;   in Loop: Header=BB6_27928 Depth=3
	s_or_b32 exec_lo, exec_lo, s13
.LBB6_29366:                            ;   in Loop: Header=BB6_27928 Depth=3
	s_delay_alu instid0(SALU_CYCLE_1)
	s_or_b32 exec_lo, exec_lo, s74
                                        ; implicit-def: $vgpr1
.LBB6_29367:                            ;   in Loop: Header=BB6_27928 Depth=3
	s_and_not1_saveexec_b32 s13, s15
; %bb.29368:                            ;   in Loop: Header=BB6_27928 Depth=3
	v_or_b32_e32 v32, 0x7b, v1
; %bb.29369:                            ;   in Loop: Header=BB6_27928 Depth=3
	s_or_b32 exec_lo, exec_lo, s13
                                        ; implicit-def: $vgpr5
                                        ; implicit-def: $vgpr2_vgpr3
.LBB6_29370:                            ;   in Loop: Header=BB6_27928 Depth=3
	s_and_not1_saveexec_b32 s13, s14
	s_cbranch_execz .LBB6_29376
; %bb.29371:                            ;   in Loop: Header=BB6_27928 Depth=3
	s_mov_b32 s14, exec_lo
                                        ; implicit-def: $vgpr32
	v_cmpx_ne_u64_e32 0, v[2:3]
	s_xor_b32 s14, exec_lo, s14
; %bb.29372:                            ;   in Loop: Header=BB6_27928 Depth=3
	v_lshrrev_b32_e32 v1, 24, v5
                                        ; implicit-def: $vgpr5
	s_delay_alu instid0(VALU_DEP_1)
	v_or_b32_e32 v32, 0x7f, v1
; %bb.29373:                            ;   in Loop: Header=BB6_27928 Depth=3
	s_and_not1_saveexec_b32 s14, s14
; %bb.29374:                            ;   in Loop: Header=BB6_27928 Depth=3
	v_cmp_lt_i32_e32 vcc_lo, -1, v5
	v_cndmask_b32_e64 v32, -4, 0x7c, vcc_lo
; %bb.29375:                            ;   in Loop: Header=BB6_27928 Depth=3
	s_or_b32 exec_lo, exec_lo, s14
.LBB6_29376:                            ;   in Loop: Header=BB6_27928 Depth=3
	s_delay_alu instid0(SALU_CYCLE_1) | instskip(SKIP_3) | instid1(VALU_DEP_2)
	s_or_b32 exec_lo, exec_lo, s13
	v_and_b32_e32 v5, 0xff, v110
	v_dual_mov_b32 v1, 0 :: v_dual_mov_b32 v2, 0
	s_mov_b32 s14, exec_lo
	v_cmpx_ne_u16_e32 0, v5
	s_cbranch_execz .LBB6_29386
; %bb.29377:                            ;   in Loop: Header=BB6_27928 Depth=3
	v_bfrev_b32_e32 v2, 1
	s_mov_b32 s15, exec_lo
	v_cmpx_ne_u16_e32 0x80, v5
	s_cbranch_execz .LBB6_29385
; %bb.29378:                            ;   in Loop: Header=BB6_27928 Depth=3
	v_and_b32_e32 v2, 0x7c, v110
	v_and_b32_e32 v3, 3, v110
	s_delay_alu instid0(VALU_DEP_2) | instskip(SKIP_1) | instid1(SALU_CYCLE_1)
	v_cmp_ne_u32_e32 vcc_lo, 0x7c, v2
                                        ; implicit-def: $vgpr2
	s_and_saveexec_b32 s13, vcc_lo
	s_xor_b32 s13, exec_lo, s13
	s_cbranch_execz .LBB6_29382
; %bb.29379:                            ;   in Loop: Header=BB6_27928 Depth=3
	v_bfe_u32 v2, v5, 2, 5
	s_mov_b32 s74, exec_lo
	s_delay_alu instid0(VALU_DEP_1)
	v_cmpx_eq_u32_e32 0, v2
	s_cbranch_execz .LBB6_29381
; %bb.29380:                            ;   in Loop: Header=BB6_27928 Depth=3
	v_clz_i32_u32_e32 v2, v3
	s_delay_alu instid0(VALU_DEP_1) | instskip(SKIP_1) | instid1(VALU_DEP_2)
	v_min_u32_e32 v2, 32, v2
	v_mov_b32_e32 v111, v113
	v_subrev_nc_u32_e32 v3, 29, v2
	v_sub_nc_u32_e32 v2, 30, v2
	s_delay_alu instid0(VALU_DEP_2) | instskip(NEXT) | instid1(VALU_DEP_1)
	v_lshlrev_b64_e32 v[14:15], v3, v[110:111]
	v_and_b32_e32 v3, 3, v14
.LBB6_29381:                            ;   in Loop: Header=BB6_27928 Depth=3
	s_or_b32 exec_lo, exec_lo, s74
	v_lshlrev_b32_e32 v5, 24, v110
                                        ; implicit-def: $vgpr110
	s_delay_alu instid0(VALU_DEP_1) | instskip(NEXT) | instid1(VALU_DEP_1)
	v_and_b32_e32 v5, 0x80000000, v5
	v_lshl_add_u32 v2, v2, 23, v5
	s_delay_alu instid0(VALU_DEP_1) | instskip(NEXT) | instid1(VALU_DEP_1)
	v_lshl_or_b32 v2, v3, 21, v2
                                        ; implicit-def: $vgpr3
	v_add_nc_u32_e32 v2, 0x38000000, v2
.LBB6_29382:                            ;   in Loop: Header=BB6_27928 Depth=3
	s_and_not1_saveexec_b32 s74, s13
; %bb.29383:                            ;   in Loop: Header=BB6_27928 Depth=3
	v_bfe_i32 v2, v110, 0, 8
	v_cmp_eq_u32_e32 vcc_lo, 0, v3
	s_delay_alu instid0(VALU_DEP_2) | instskip(SKIP_1) | instid1(VALU_DEP_1)
	v_cmp_lt_i16_e64 s13, -1, v2
	v_mov_b32_e32 v2, 0x7f800000
	v_cndmask_b32_e64 v2, 0xff800000, v2, s13
	s_delay_alu instid0(VALU_DEP_1)
	v_cndmask_b32_e32 v2, 0x7f800001, v2, vcc_lo
; %bb.29384:                            ;   in Loop: Header=BB6_27928 Depth=3
	s_or_b32 exec_lo, exec_lo, s74
.LBB6_29385:                            ;   in Loop: Header=BB6_27928 Depth=3
	s_delay_alu instid0(SALU_CYCLE_1)
	s_or_b32 exec_lo, exec_lo, s15
.LBB6_29386:                            ;   in Loop: Header=BB6_27928 Depth=3
	s_delay_alu instid0(SALU_CYCLE_1) | instskip(NEXT) | instid1(SALU_CYCLE_1)
	s_or_b32 exec_lo, exec_lo, s14
	s_mov_b32 s14, exec_lo
	s_wait_loadcnt_dscnt 0x1717
	v_cmpx_ne_u16_e32 0, v44
	s_cbranch_execz .LBB6_29396
; %bb.29387:                            ;   in Loop: Header=BB6_27928 Depth=3
	v_bfrev_b32_e32 v1, 1
	s_mov_b32 s15, exec_lo
	v_cmpx_ne_u16_e32 0xff80, v44
	s_cbranch_execz .LBB6_29395
; %bb.29388:                            ;   in Loop: Header=BB6_27928 Depth=3
	v_and_b32_e32 v1, 0x7c, v44
	v_and_b32_e32 v3, 3, v44
	s_delay_alu instid0(VALU_DEP_2) | instskip(SKIP_1) | instid1(SALU_CYCLE_1)
	v_cmp_ne_u32_e32 vcc_lo, 0x7c, v1
                                        ; implicit-def: $vgpr1
	s_and_saveexec_b32 s13, vcc_lo
	s_xor_b32 s13, exec_lo, s13
	s_cbranch_execz .LBB6_29392
; %bb.29389:                            ;   in Loop: Header=BB6_27928 Depth=3
	v_and_b32_e32 v1, 0xff, v44
	s_mov_b32 s74, exec_lo
	s_delay_alu instid0(VALU_DEP_1) | instskip(NEXT) | instid1(VALU_DEP_1)
	v_bfe_u32 v1, v1, 2, 5
	v_cmpx_eq_u32_e32 0, v1
	s_cbranch_execz .LBB6_29391
; %bb.29390:                            ;   in Loop: Header=BB6_27928 Depth=3
	v_clz_i32_u32_e32 v1, v3
	s_delay_alu instid0(VALU_DEP_1) | instskip(SKIP_1) | instid1(VALU_DEP_2)
	v_min_u32_e32 v1, 32, v1
	v_mov_b32_e32 v45, v113
	v_subrev_nc_u32_e32 v3, 29, v1
	v_sub_nc_u32_e32 v1, 30, v1
	s_delay_alu instid0(VALU_DEP_2) | instskip(NEXT) | instid1(VALU_DEP_1)
	v_lshlrev_b64_e32 v[14:15], v3, v[44:45]
	v_and_b32_e32 v3, 3, v14
.LBB6_29391:                            ;   in Loop: Header=BB6_27928 Depth=3
	s_or_b32 exec_lo, exec_lo, s74
	v_bfe_i32 v5, v44, 0, 16
                                        ; implicit-def: $vgpr44
	s_delay_alu instid0(VALU_DEP_1) | instskip(NEXT) | instid1(VALU_DEP_1)
	v_and_b32_e32 v5, 0x80000000, v5
	v_lshl_add_u32 v1, v1, 23, v5
	s_delay_alu instid0(VALU_DEP_1) | instskip(NEXT) | instid1(VALU_DEP_1)
	v_lshl_or_b32 v1, v3, 21, v1
                                        ; implicit-def: $vgpr3
	v_add_nc_u32_e32 v1, 0x38000000, v1
.LBB6_29392:                            ;   in Loop: Header=BB6_27928 Depth=3
	s_and_not1_saveexec_b32 s74, s13
; %bb.29393:                            ;   in Loop: Header=BB6_27928 Depth=3
	v_cmp_lt_i16_e64 s13, -1, v44
	v_mov_b32_e32 v1, 0x7f800000
	v_cmp_eq_u32_e32 vcc_lo, 0, v3
	s_delay_alu instid0(VALU_DEP_2) | instskip(NEXT) | instid1(VALU_DEP_1)
	v_cndmask_b32_e64 v1, 0xff800000, v1, s13
	v_cndmask_b32_e32 v1, 0x7f800001, v1, vcc_lo
; %bb.29394:                            ;   in Loop: Header=BB6_27928 Depth=3
	s_or_b32 exec_lo, exec_lo, s74
.LBB6_29395:                            ;   in Loop: Header=BB6_27928 Depth=3
	s_delay_alu instid0(SALU_CYCLE_1)
	s_or_b32 exec_lo, exec_lo, s15
.LBB6_29396:                            ;   in Loop: Header=BB6_27928 Depth=3
	s_delay_alu instid0(SALU_CYCLE_1) | instskip(NEXT) | instid1(VALU_DEP_1)
	s_or_b32 exec_lo, exec_lo, s14
	v_dual_add_f32 v5, v2, v1 :: v_dual_mov_b32 v3, v113
                                        ; implicit-def: $vgpr33
	s_delay_alu instid0(VALU_DEP_1) | instskip(NEXT) | instid1(VALU_DEP_1)
	v_and_b32_e32 v2, 0x7f800000, v5
	v_cmp_ne_u64_e32 vcc_lo, 0x7f800000, v[2:3]
	v_and_b32_e32 v2, 0x7fffff, v5
	s_and_saveexec_b32 s13, vcc_lo
	s_delay_alu instid0(SALU_CYCLE_1)
	s_xor_b32 s14, exec_lo, s13
	s_cbranch_execz .LBB6_29414
; %bb.29397:                            ;   in Loop: Header=BB6_27928 Depth=3
	v_dual_mov_b32 v15, v113 :: v_dual_lshrrev_b32 v1, 24, v5
	v_and_b32_e32 v14, 0x7fffffff, v5
                                        ; implicit-def: $vgpr33
	s_mov_b32 s13, exec_lo
	s_delay_alu instid0(VALU_DEP_2) | instskip(NEXT) | instid1(VALU_DEP_2)
	v_and_b32_e32 v1, 0x80, v1
	v_cmpx_gt_u64_e32 0x47600001, v[14:15]
	s_xor_b32 s15, exec_lo, s13
	s_cbranch_execz .LBB6_29411
; %bb.29398:                            ;   in Loop: Header=BB6_27928 Depth=3
	v_mov_b32_e32 v33, 0
	s_mov_b32 s74, exec_lo
	v_cmpx_ne_u32_e32 0, v5
	s_cbranch_execz .LBB6_29410
; %bb.29399:                            ;   in Loop: Header=BB6_27928 Depth=3
	v_bfe_u32 v5, v5, 23, 8
	v_or_b32_e32 v14, 0x800000, v2
	s_delay_alu instid0(VALU_DEP_2) | instskip(SKIP_1) | instid1(VALU_DEP_3)
	v_cmp_eq_u32_e32 vcc_lo, 0, v5
	v_cmp_gt_u32_e64 s13, 0x72, v5
	v_dual_cndmask_b32 v2, v14, v2 :: v_dual_sub_nc_u32 v7, 0x71, v5
	s_delay_alu instid0(VALU_DEP_1) | instskip(NEXT) | instid1(VALU_DEP_1)
	v_cndmask_b32_e64 v7, 0, v7, s13
	v_cndmask_b32_e64 v7, v7, 0x70, vcc_lo
	s_delay_alu instid0(VALU_DEP_1) | instskip(NEXT) | instid1(VALU_DEP_1)
	v_dual_add_nc_u32 v14, 21, v7 :: v_dual_add_nc_u32 v17, 20, v7
	v_lshlrev_b64_e64 v[14:15], v14, -1
	s_delay_alu instid0(VALU_DEP_2) | instskip(NEXT) | instid1(VALU_DEP_2)
	v_lshlrev_b64_e64 v[34:35], v17, 1
	v_bfi_b32 v14, v14, 0, v2
	v_lshrrev_b64 v[2:3], v7, v[2:3]
	s_delay_alu instid0(VALU_DEP_4) | instskip(NEXT) | instid1(VALU_DEP_1)
	v_bfi_b32 v15, v15, 0, 0
	v_cmp_eq_u64_e64 s13, v[14:15], v[34:35]
	s_delay_alu instid0(VALU_DEP_3)
	v_mov_b64_e32 v[14:15], v[2:3]
	s_and_saveexec_b32 s75, s13
; %bb.29400:                            ;   in Loop: Header=BB6_27928 Depth=3
	v_bfe_u32 v14, v2, 21, 1
	v_mov_b32_e32 v15, v113
	s_delay_alu instid0(VALU_DEP_1) | instskip(NEXT) | instid1(VALU_DEP_1)
	v_add_nc_u64_e32 v[14:15], v[2:3], v[14:15]
	v_add_nc_u64_e32 v[14:15], -1, v[14:15]
; %bb.29401:                            ;   in Loop: Header=BB6_27928 Depth=3
	s_or_b32 exec_lo, exec_lo, s75
	v_add_nc_u32_e32 v3, 0xffffff81, v5
	v_lshrrev_b32_e32 v5, 23, v2
	s_mov_b32 s13, exec_lo
	s_delay_alu instid0(VALU_DEP_2) | instskip(NEXT) | instid1(VALU_DEP_1)
	v_cndmask_b32_e64 v3, v3, 0xffffff82, vcc_lo
	v_add3_u32 v15, v7, v3, v5
	v_and_b32_e32 v3, 0x1fffff, v14
                                        ; implicit-def: $vgpr5
	s_delay_alu instid0(VALU_DEP_1) | instskip(SKIP_1) | instid1(VALU_DEP_2)
	v_dual_add_nc_u32 v7, 14, v15 :: v_dual_add_nc_u32 v2, v3, v2
	v_mov_b32_e32 v3, v113
	v_cmpx_ne_u32_e32 0, v7
	s_xor_b32 s13, exec_lo, s13
; %bb.29402:                            ;   in Loop: Header=BB6_27928 Depth=3
	s_delay_alu instid0(VALU_DEP_2) | instskip(SKIP_1) | instid1(VALU_DEP_1)
	v_cmp_lt_u64_e32 vcc_lo, 0xffffff, v[2:3]
	v_add_nc_u32_e32 v5, 15, v15
	v_cndmask_b32_e32 v5, v7, v5, vcc_lo
	v_cndmask_b32_e64 v7, 0, 1, vcc_lo
	s_delay_alu instid0(VALU_DEP_1)
	v_lshrrev_b64 v[2:3], v7, v[2:3]
; %bb.29403:                            ;   in Loop: Header=BB6_27928 Depth=3
	s_and_not1_saveexec_b32 s13, s13
; %bb.29404:                            ;   in Loop: Header=BB6_27928 Depth=3
	s_delay_alu instid0(VALU_DEP_1)
	v_bfe_u32 v5, v2, 23, 1
; %bb.29405:                            ;   in Loop: Header=BB6_27928 Depth=3
	s_or_b32 exec_lo, exec_lo, s13
	s_delay_alu instid0(VALU_DEP_2) | instskip(NEXT) | instid1(VALU_DEP_2)
	v_lshrrev_b64 v[2:3], 21, v[2:3]
	v_cmp_gt_i32_e32 vcc_lo, 32, v5
	v_cmp_ne_u32_e64 s13, 0, v5
                                        ; implicit-def: $vgpr33
	s_delay_alu instid0(VALU_DEP_3) | instskip(NEXT) | instid1(VALU_DEP_1)
	v_dual_cndmask_b32 v3, 0, v3 :: v_dual_cndmask_b32 v2, 3, v2
	v_cmp_ne_u64_e32 vcc_lo, 0, v[2:3]
	s_or_b32 s13, s13, vcc_lo
	s_delay_alu instid0(SALU_CYCLE_1) | instskip(NEXT) | instid1(SALU_CYCLE_1)
	s_and_saveexec_b32 s75, s13
	s_xor_b32 s13, exec_lo, s75
; %bb.29406:                            ;   in Loop: Header=BB6_27928 Depth=3
	v_min_i32_e32 v3, 31, v5
	s_delay_alu instid0(VALU_DEP_1) | instskip(NEXT) | instid1(VALU_DEP_1)
	v_lshl_or_b32 v1, v3, 2, v1
	v_and_or_b32 v33, v2, 3, v1
                                        ; implicit-def: $vgpr1
; %bb.29407:                            ;   in Loop: Header=BB6_27928 Depth=3
	s_and_not1_saveexec_b32 s13, s13
; %bb.29408:                            ;   in Loop: Header=BB6_27928 Depth=3
	v_mov_b32_e32 v33, v1
; %bb.29409:                            ;   in Loop: Header=BB6_27928 Depth=3
	s_or_b32 exec_lo, exec_lo, s13
.LBB6_29410:                            ;   in Loop: Header=BB6_27928 Depth=3
	s_delay_alu instid0(SALU_CYCLE_1)
	s_or_b32 exec_lo, exec_lo, s74
                                        ; implicit-def: $vgpr1
.LBB6_29411:                            ;   in Loop: Header=BB6_27928 Depth=3
	s_and_not1_saveexec_b32 s13, s15
; %bb.29412:                            ;   in Loop: Header=BB6_27928 Depth=3
	v_or_b32_e32 v33, 0x7b, v1
; %bb.29413:                            ;   in Loop: Header=BB6_27928 Depth=3
	s_or_b32 exec_lo, exec_lo, s13
                                        ; implicit-def: $vgpr5
                                        ; implicit-def: $vgpr2_vgpr3
.LBB6_29414:                            ;   in Loop: Header=BB6_27928 Depth=3
	s_and_not1_saveexec_b32 s13, s14
	s_cbranch_execz .LBB6_29420
; %bb.29415:                            ;   in Loop: Header=BB6_27928 Depth=3
	s_mov_b32 s14, exec_lo
                                        ; implicit-def: $vgpr33
	v_cmpx_ne_u64_e32 0, v[2:3]
	s_xor_b32 s14, exec_lo, s14
; %bb.29416:                            ;   in Loop: Header=BB6_27928 Depth=3
	v_lshrrev_b32_e32 v1, 24, v5
                                        ; implicit-def: $vgpr5
	s_delay_alu instid0(VALU_DEP_1)
	v_or_b32_e32 v33, 0x7f, v1
; %bb.29417:                            ;   in Loop: Header=BB6_27928 Depth=3
	s_and_not1_saveexec_b32 s14, s14
; %bb.29418:                            ;   in Loop: Header=BB6_27928 Depth=3
	v_cmp_lt_i32_e32 vcc_lo, -1, v5
	v_cndmask_b32_e64 v33, -4, 0x7c, vcc_lo
; %bb.29419:                            ;   in Loop: Header=BB6_27928 Depth=3
	s_or_b32 exec_lo, exec_lo, s14
.LBB6_29420:                            ;   in Loop: Header=BB6_27928 Depth=3
	s_delay_alu instid0(SALU_CYCLE_1) | instskip(SKIP_3) | instid1(VALU_DEP_2)
	s_or_b32 exec_lo, exec_lo, s13
	v_and_b32_e32 v5, 0xff, v46
	v_dual_mov_b32 v1, 0 :: v_dual_mov_b32 v2, 0
	s_mov_b32 s14, exec_lo
	v_cmpx_ne_u16_e32 0, v5
	s_cbranch_execz .LBB6_29430
; %bb.29421:                            ;   in Loop: Header=BB6_27928 Depth=3
	v_bfrev_b32_e32 v2, 1
	s_mov_b32 s15, exec_lo
	v_cmpx_ne_u16_e32 0x80, v5
	s_cbranch_execz .LBB6_29429
; %bb.29422:                            ;   in Loop: Header=BB6_27928 Depth=3
	v_and_b32_e32 v2, 0x7c, v46
	v_and_b32_e32 v3, 3, v46
	s_delay_alu instid0(VALU_DEP_2) | instskip(SKIP_1) | instid1(SALU_CYCLE_1)
	v_cmp_ne_u32_e32 vcc_lo, 0x7c, v2
                                        ; implicit-def: $vgpr2
	s_and_saveexec_b32 s13, vcc_lo
	s_xor_b32 s13, exec_lo, s13
	s_cbranch_execz .LBB6_29426
; %bb.29423:                            ;   in Loop: Header=BB6_27928 Depth=3
	v_bfe_u32 v2, v5, 2, 5
	s_mov_b32 s74, exec_lo
	s_delay_alu instid0(VALU_DEP_1)
	v_cmpx_eq_u32_e32 0, v2
	s_cbranch_execz .LBB6_29425
; %bb.29424:                            ;   in Loop: Header=BB6_27928 Depth=3
	v_clz_i32_u32_e32 v2, v3
	s_delay_alu instid0(VALU_DEP_1) | instskip(SKIP_1) | instid1(VALU_DEP_2)
	v_min_u32_e32 v2, 32, v2
	v_mov_b32_e32 v47, v113
	v_subrev_nc_u32_e32 v3, 29, v2
	v_sub_nc_u32_e32 v2, 30, v2
	s_delay_alu instid0(VALU_DEP_2) | instskip(NEXT) | instid1(VALU_DEP_1)
	v_lshlrev_b64_e32 v[14:15], v3, v[46:47]
	v_and_b32_e32 v3, 3, v14
.LBB6_29425:                            ;   in Loop: Header=BB6_27928 Depth=3
	s_or_b32 exec_lo, exec_lo, s74
	v_lshlrev_b32_e32 v5, 24, v46
                                        ; implicit-def: $vgpr46
	s_delay_alu instid0(VALU_DEP_1) | instskip(NEXT) | instid1(VALU_DEP_1)
	v_and_b32_e32 v5, 0x80000000, v5
	v_lshl_add_u32 v2, v2, 23, v5
	s_delay_alu instid0(VALU_DEP_1) | instskip(NEXT) | instid1(VALU_DEP_1)
	v_lshl_or_b32 v2, v3, 21, v2
                                        ; implicit-def: $vgpr3
	v_add_nc_u32_e32 v2, 0x38000000, v2
.LBB6_29426:                            ;   in Loop: Header=BB6_27928 Depth=3
	s_and_not1_saveexec_b32 s74, s13
; %bb.29427:                            ;   in Loop: Header=BB6_27928 Depth=3
	v_bfe_i32 v2, v46, 0, 8
	v_cmp_eq_u32_e32 vcc_lo, 0, v3
	s_delay_alu instid0(VALU_DEP_2) | instskip(SKIP_1) | instid1(VALU_DEP_1)
	v_cmp_lt_i16_e64 s13, -1, v2
	v_mov_b32_e32 v2, 0x7f800000
	v_cndmask_b32_e64 v2, 0xff800000, v2, s13
	s_delay_alu instid0(VALU_DEP_1)
	v_cndmask_b32_e32 v2, 0x7f800001, v2, vcc_lo
; %bb.29428:                            ;   in Loop: Header=BB6_27928 Depth=3
	s_or_b32 exec_lo, exec_lo, s74
.LBB6_29429:                            ;   in Loop: Header=BB6_27928 Depth=3
	s_delay_alu instid0(SALU_CYCLE_1)
	s_or_b32 exec_lo, exec_lo, s15
.LBB6_29430:                            ;   in Loop: Header=BB6_27928 Depth=3
	s_delay_alu instid0(SALU_CYCLE_1) | instskip(NEXT) | instid1(SALU_CYCLE_1)
	s_or_b32 exec_lo, exec_lo, s14
	s_mov_b32 s14, exec_lo
	s_wait_loadcnt_dscnt 0x1616
	v_cmpx_ne_u16_e32 0, v80
	s_cbranch_execz .LBB6_29440
; %bb.29431:                            ;   in Loop: Header=BB6_27928 Depth=3
	v_bfrev_b32_e32 v1, 1
	s_mov_b32 s15, exec_lo
	v_cmpx_ne_u16_e32 0xff80, v80
	s_cbranch_execz .LBB6_29439
; %bb.29432:                            ;   in Loop: Header=BB6_27928 Depth=3
	v_and_b32_e32 v1, 0x7c, v80
	v_and_b32_e32 v3, 3, v80
	s_delay_alu instid0(VALU_DEP_2) | instskip(SKIP_1) | instid1(SALU_CYCLE_1)
	v_cmp_ne_u32_e32 vcc_lo, 0x7c, v1
                                        ; implicit-def: $vgpr1
	s_and_saveexec_b32 s13, vcc_lo
	s_xor_b32 s13, exec_lo, s13
	s_cbranch_execz .LBB6_29436
; %bb.29433:                            ;   in Loop: Header=BB6_27928 Depth=3
	v_and_b32_e32 v1, 0xff, v80
	s_mov_b32 s74, exec_lo
	s_delay_alu instid0(VALU_DEP_1) | instskip(NEXT) | instid1(VALU_DEP_1)
	v_bfe_u32 v1, v1, 2, 5
	v_cmpx_eq_u32_e32 0, v1
	s_cbranch_execz .LBB6_29435
; %bb.29434:                            ;   in Loop: Header=BB6_27928 Depth=3
	v_clz_i32_u32_e32 v1, v3
	s_delay_alu instid0(VALU_DEP_1) | instskip(SKIP_1) | instid1(VALU_DEP_2)
	v_min_u32_e32 v1, 32, v1
	v_mov_b32_e32 v81, v113
	v_subrev_nc_u32_e32 v3, 29, v1
	v_sub_nc_u32_e32 v1, 30, v1
	s_delay_alu instid0(VALU_DEP_2) | instskip(NEXT) | instid1(VALU_DEP_1)
	v_lshlrev_b64_e32 v[14:15], v3, v[80:81]
	v_and_b32_e32 v3, 3, v14
.LBB6_29435:                            ;   in Loop: Header=BB6_27928 Depth=3
	s_or_b32 exec_lo, exec_lo, s74
	v_bfe_i32 v5, v80, 0, 16
                                        ; implicit-def: $vgpr80
	s_delay_alu instid0(VALU_DEP_1) | instskip(NEXT) | instid1(VALU_DEP_1)
	v_and_b32_e32 v5, 0x80000000, v5
	v_lshl_add_u32 v1, v1, 23, v5
	s_delay_alu instid0(VALU_DEP_1) | instskip(NEXT) | instid1(VALU_DEP_1)
	v_lshl_or_b32 v1, v3, 21, v1
                                        ; implicit-def: $vgpr3
	v_add_nc_u32_e32 v1, 0x38000000, v1
.LBB6_29436:                            ;   in Loop: Header=BB6_27928 Depth=3
	s_and_not1_saveexec_b32 s74, s13
; %bb.29437:                            ;   in Loop: Header=BB6_27928 Depth=3
	v_cmp_lt_i16_e64 s13, -1, v80
	v_mov_b32_e32 v1, 0x7f800000
	v_cmp_eq_u32_e32 vcc_lo, 0, v3
	s_delay_alu instid0(VALU_DEP_2) | instskip(NEXT) | instid1(VALU_DEP_1)
	v_cndmask_b32_e64 v1, 0xff800000, v1, s13
	v_cndmask_b32_e32 v1, 0x7f800001, v1, vcc_lo
; %bb.29438:                            ;   in Loop: Header=BB6_27928 Depth=3
	s_or_b32 exec_lo, exec_lo, s74
.LBB6_29439:                            ;   in Loop: Header=BB6_27928 Depth=3
	s_delay_alu instid0(SALU_CYCLE_1)
	s_or_b32 exec_lo, exec_lo, s15
.LBB6_29440:                            ;   in Loop: Header=BB6_27928 Depth=3
	s_delay_alu instid0(SALU_CYCLE_1) | instskip(NEXT) | instid1(VALU_DEP_1)
	s_or_b32 exec_lo, exec_lo, s14
	v_dual_add_f32 v5, v2, v1 :: v_dual_mov_b32 v3, v113
                                        ; implicit-def: $vgpr34
	s_delay_alu instid0(VALU_DEP_1) | instskip(NEXT) | instid1(VALU_DEP_1)
	v_and_b32_e32 v2, 0x7f800000, v5
	v_cmp_ne_u64_e32 vcc_lo, 0x7f800000, v[2:3]
	v_and_b32_e32 v2, 0x7fffff, v5
	s_and_saveexec_b32 s13, vcc_lo
	s_delay_alu instid0(SALU_CYCLE_1)
	s_xor_b32 s14, exec_lo, s13
	s_cbranch_execz .LBB6_29458
; %bb.29441:                            ;   in Loop: Header=BB6_27928 Depth=3
	v_dual_mov_b32 v15, v113 :: v_dual_lshrrev_b32 v1, 24, v5
	v_and_b32_e32 v14, 0x7fffffff, v5
                                        ; implicit-def: $vgpr34
	s_mov_b32 s13, exec_lo
	s_delay_alu instid0(VALU_DEP_2) | instskip(NEXT) | instid1(VALU_DEP_2)
	v_and_b32_e32 v1, 0x80, v1
	v_cmpx_gt_u64_e32 0x47600001, v[14:15]
	s_xor_b32 s15, exec_lo, s13
	s_cbranch_execz .LBB6_29455
; %bb.29442:                            ;   in Loop: Header=BB6_27928 Depth=3
	v_mov_b32_e32 v34, 0
	s_mov_b32 s74, exec_lo
	v_cmpx_ne_u32_e32 0, v5
	s_cbranch_execz .LBB6_29454
; %bb.29443:                            ;   in Loop: Header=BB6_27928 Depth=3
	v_bfe_u32 v5, v5, 23, 8
	v_or_b32_e32 v14, 0x800000, v2
	s_delay_alu instid0(VALU_DEP_2) | instskip(SKIP_1) | instid1(VALU_DEP_3)
	v_cmp_eq_u32_e32 vcc_lo, 0, v5
	v_cmp_gt_u32_e64 s13, 0x72, v5
	v_dual_cndmask_b32 v2, v14, v2 :: v_dual_sub_nc_u32 v7, 0x71, v5
	s_delay_alu instid0(VALU_DEP_1) | instskip(NEXT) | instid1(VALU_DEP_1)
	v_cndmask_b32_e64 v7, 0, v7, s13
	v_cndmask_b32_e64 v7, v7, 0x70, vcc_lo
	s_delay_alu instid0(VALU_DEP_1) | instskip(NEXT) | instid1(VALU_DEP_1)
	v_dual_add_nc_u32 v14, 21, v7 :: v_dual_add_nc_u32 v17, 20, v7
	v_lshlrev_b64_e64 v[14:15], v14, -1
	s_delay_alu instid0(VALU_DEP_2) | instskip(NEXT) | instid1(VALU_DEP_2)
	v_lshlrev_b64_e64 v[34:35], v17, 1
	v_bfi_b32 v14, v14, 0, v2
	v_lshrrev_b64 v[2:3], v7, v[2:3]
	s_delay_alu instid0(VALU_DEP_4) | instskip(NEXT) | instid1(VALU_DEP_1)
	v_bfi_b32 v15, v15, 0, 0
	v_cmp_eq_u64_e64 s13, v[14:15], v[34:35]
	s_delay_alu instid0(VALU_DEP_3)
	v_mov_b64_e32 v[14:15], v[2:3]
	s_and_saveexec_b32 s75, s13
; %bb.29444:                            ;   in Loop: Header=BB6_27928 Depth=3
	v_bfe_u32 v14, v2, 21, 1
	v_mov_b32_e32 v15, v113
	s_delay_alu instid0(VALU_DEP_1) | instskip(NEXT) | instid1(VALU_DEP_1)
	v_add_nc_u64_e32 v[14:15], v[2:3], v[14:15]
	v_add_nc_u64_e32 v[14:15], -1, v[14:15]
; %bb.29445:                            ;   in Loop: Header=BB6_27928 Depth=3
	s_or_b32 exec_lo, exec_lo, s75
	v_add_nc_u32_e32 v3, 0xffffff81, v5
	v_lshrrev_b32_e32 v5, 23, v2
	s_mov_b32 s13, exec_lo
	s_delay_alu instid0(VALU_DEP_2) | instskip(NEXT) | instid1(VALU_DEP_1)
	v_cndmask_b32_e64 v3, v3, 0xffffff82, vcc_lo
	v_add3_u32 v15, v7, v3, v5
	v_and_b32_e32 v3, 0x1fffff, v14
                                        ; implicit-def: $vgpr5
	s_delay_alu instid0(VALU_DEP_1) | instskip(SKIP_1) | instid1(VALU_DEP_2)
	v_dual_add_nc_u32 v7, 14, v15 :: v_dual_add_nc_u32 v2, v3, v2
	v_mov_b32_e32 v3, v113
	v_cmpx_ne_u32_e32 0, v7
	s_xor_b32 s13, exec_lo, s13
; %bb.29446:                            ;   in Loop: Header=BB6_27928 Depth=3
	s_delay_alu instid0(VALU_DEP_2) | instskip(SKIP_1) | instid1(VALU_DEP_1)
	v_cmp_lt_u64_e32 vcc_lo, 0xffffff, v[2:3]
	v_add_nc_u32_e32 v5, 15, v15
	v_cndmask_b32_e32 v5, v7, v5, vcc_lo
	v_cndmask_b32_e64 v7, 0, 1, vcc_lo
	s_delay_alu instid0(VALU_DEP_1)
	v_lshrrev_b64 v[2:3], v7, v[2:3]
; %bb.29447:                            ;   in Loop: Header=BB6_27928 Depth=3
	s_and_not1_saveexec_b32 s13, s13
; %bb.29448:                            ;   in Loop: Header=BB6_27928 Depth=3
	s_delay_alu instid0(VALU_DEP_1)
	v_bfe_u32 v5, v2, 23, 1
; %bb.29449:                            ;   in Loop: Header=BB6_27928 Depth=3
	s_or_b32 exec_lo, exec_lo, s13
	s_delay_alu instid0(VALU_DEP_2) | instskip(NEXT) | instid1(VALU_DEP_2)
	v_lshrrev_b64 v[2:3], 21, v[2:3]
	v_cmp_gt_i32_e32 vcc_lo, 32, v5
	v_cmp_ne_u32_e64 s13, 0, v5
                                        ; implicit-def: $vgpr34
	s_delay_alu instid0(VALU_DEP_3) | instskip(NEXT) | instid1(VALU_DEP_1)
	v_dual_cndmask_b32 v3, 0, v3 :: v_dual_cndmask_b32 v2, 3, v2
	v_cmp_ne_u64_e32 vcc_lo, 0, v[2:3]
	s_or_b32 s13, s13, vcc_lo
	s_delay_alu instid0(SALU_CYCLE_1) | instskip(NEXT) | instid1(SALU_CYCLE_1)
	s_and_saveexec_b32 s75, s13
	s_xor_b32 s13, exec_lo, s75
; %bb.29450:                            ;   in Loop: Header=BB6_27928 Depth=3
	v_min_i32_e32 v3, 31, v5
	s_delay_alu instid0(VALU_DEP_1) | instskip(NEXT) | instid1(VALU_DEP_1)
	v_lshl_or_b32 v1, v3, 2, v1
	v_and_or_b32 v34, v2, 3, v1
                                        ; implicit-def: $vgpr1
; %bb.29451:                            ;   in Loop: Header=BB6_27928 Depth=3
	s_and_not1_saveexec_b32 s13, s13
; %bb.29452:                            ;   in Loop: Header=BB6_27928 Depth=3
	v_mov_b32_e32 v34, v1
; %bb.29453:                            ;   in Loop: Header=BB6_27928 Depth=3
	s_or_b32 exec_lo, exec_lo, s13
.LBB6_29454:                            ;   in Loop: Header=BB6_27928 Depth=3
	s_delay_alu instid0(SALU_CYCLE_1)
	s_or_b32 exec_lo, exec_lo, s74
                                        ; implicit-def: $vgpr1
.LBB6_29455:                            ;   in Loop: Header=BB6_27928 Depth=3
	s_and_not1_saveexec_b32 s13, s15
; %bb.29456:                            ;   in Loop: Header=BB6_27928 Depth=3
	v_or_b32_e32 v34, 0x7b, v1
; %bb.29457:                            ;   in Loop: Header=BB6_27928 Depth=3
	s_or_b32 exec_lo, exec_lo, s13
                                        ; implicit-def: $vgpr5
                                        ; implicit-def: $vgpr2_vgpr3
.LBB6_29458:                            ;   in Loop: Header=BB6_27928 Depth=3
	s_and_not1_saveexec_b32 s13, s14
	s_cbranch_execz .LBB6_29464
; %bb.29459:                            ;   in Loop: Header=BB6_27928 Depth=3
	s_mov_b32 s14, exec_lo
                                        ; implicit-def: $vgpr34
	v_cmpx_ne_u64_e32 0, v[2:3]
	s_xor_b32 s14, exec_lo, s14
; %bb.29460:                            ;   in Loop: Header=BB6_27928 Depth=3
	v_lshrrev_b32_e32 v1, 24, v5
                                        ; implicit-def: $vgpr5
	s_delay_alu instid0(VALU_DEP_1)
	v_or_b32_e32 v34, 0x7f, v1
; %bb.29461:                            ;   in Loop: Header=BB6_27928 Depth=3
	s_and_not1_saveexec_b32 s14, s14
; %bb.29462:                            ;   in Loop: Header=BB6_27928 Depth=3
	v_cmp_lt_i32_e32 vcc_lo, -1, v5
	v_cndmask_b32_e64 v34, -4, 0x7c, vcc_lo
; %bb.29463:                            ;   in Loop: Header=BB6_27928 Depth=3
	s_or_b32 exec_lo, exec_lo, s14
.LBB6_29464:                            ;   in Loop: Header=BB6_27928 Depth=3
	s_delay_alu instid0(SALU_CYCLE_1) | instskip(SKIP_3) | instid1(VALU_DEP_2)
	s_or_b32 exec_lo, exec_lo, s13
	v_and_b32_e32 v5, 0xff, v118
	v_dual_mov_b32 v1, 0 :: v_dual_mov_b32 v2, 0
	s_mov_b32 s14, exec_lo
	v_cmpx_ne_u16_e32 0, v5
	s_cbranch_execz .LBB6_29474
; %bb.29465:                            ;   in Loop: Header=BB6_27928 Depth=3
	v_bfrev_b32_e32 v2, 1
	s_mov_b32 s15, exec_lo
	v_cmpx_ne_u16_e32 0x80, v5
	s_cbranch_execz .LBB6_29473
; %bb.29466:                            ;   in Loop: Header=BB6_27928 Depth=3
	v_and_b32_e32 v2, 0x7c, v118
	v_and_b32_e32 v3, 3, v118
	s_delay_alu instid0(VALU_DEP_2) | instskip(SKIP_1) | instid1(SALU_CYCLE_1)
	v_cmp_ne_u32_e32 vcc_lo, 0x7c, v2
                                        ; implicit-def: $vgpr2
	s_and_saveexec_b32 s13, vcc_lo
	s_xor_b32 s13, exec_lo, s13
	s_cbranch_execz .LBB6_29470
; %bb.29467:                            ;   in Loop: Header=BB6_27928 Depth=3
	v_bfe_u32 v2, v5, 2, 5
	s_mov_b32 s74, exec_lo
	s_delay_alu instid0(VALU_DEP_1)
	v_cmpx_eq_u32_e32 0, v2
	s_cbranch_execz .LBB6_29469
; %bb.29468:                            ;   in Loop: Header=BB6_27928 Depth=3
	v_clz_i32_u32_e32 v2, v3
	s_delay_alu instid0(VALU_DEP_1) | instskip(SKIP_1) | instid1(VALU_DEP_2)
	v_min_u32_e32 v2, 32, v2
	v_mov_b32_e32 v119, v113
	v_subrev_nc_u32_e32 v3, 29, v2
	v_sub_nc_u32_e32 v2, 30, v2
	s_delay_alu instid0(VALU_DEP_2) | instskip(NEXT) | instid1(VALU_DEP_1)
	v_lshlrev_b64_e32 v[14:15], v3, v[118:119]
	v_and_b32_e32 v3, 3, v14
.LBB6_29469:                            ;   in Loop: Header=BB6_27928 Depth=3
	s_or_b32 exec_lo, exec_lo, s74
	v_lshlrev_b32_e32 v5, 24, v118
                                        ; implicit-def: $vgpr118
	s_delay_alu instid0(VALU_DEP_1) | instskip(NEXT) | instid1(VALU_DEP_1)
	v_and_b32_e32 v5, 0x80000000, v5
	v_lshl_add_u32 v2, v2, 23, v5
	s_delay_alu instid0(VALU_DEP_1) | instskip(NEXT) | instid1(VALU_DEP_1)
	v_lshl_or_b32 v2, v3, 21, v2
                                        ; implicit-def: $vgpr3
	v_add_nc_u32_e32 v2, 0x38000000, v2
.LBB6_29470:                            ;   in Loop: Header=BB6_27928 Depth=3
	s_and_not1_saveexec_b32 s74, s13
; %bb.29471:                            ;   in Loop: Header=BB6_27928 Depth=3
	v_bfe_i32 v2, v118, 0, 8
	v_cmp_eq_u32_e32 vcc_lo, 0, v3
	s_delay_alu instid0(VALU_DEP_2) | instskip(SKIP_1) | instid1(VALU_DEP_1)
	v_cmp_lt_i16_e64 s13, -1, v2
	v_mov_b32_e32 v2, 0x7f800000
	v_cndmask_b32_e64 v2, 0xff800000, v2, s13
	s_delay_alu instid0(VALU_DEP_1)
	v_cndmask_b32_e32 v2, 0x7f800001, v2, vcc_lo
; %bb.29472:                            ;   in Loop: Header=BB6_27928 Depth=3
	s_or_b32 exec_lo, exec_lo, s74
.LBB6_29473:                            ;   in Loop: Header=BB6_27928 Depth=3
	s_delay_alu instid0(SALU_CYCLE_1)
	s_or_b32 exec_lo, exec_lo, s15
.LBB6_29474:                            ;   in Loop: Header=BB6_27928 Depth=3
	s_delay_alu instid0(SALU_CYCLE_1) | instskip(NEXT) | instid1(SALU_CYCLE_1)
	s_or_b32 exec_lo, exec_lo, s14
	s_mov_b32 s14, exec_lo
	s_wait_loadcnt_dscnt 0x1515
	v_cmpx_ne_u16_e32 0, v48
	s_cbranch_execz .LBB6_29484
; %bb.29475:                            ;   in Loop: Header=BB6_27928 Depth=3
	v_bfrev_b32_e32 v1, 1
	s_mov_b32 s15, exec_lo
	v_cmpx_ne_u16_e32 0xff80, v48
	s_cbranch_execz .LBB6_29483
; %bb.29476:                            ;   in Loop: Header=BB6_27928 Depth=3
	v_and_b32_e32 v1, 0x7c, v48
	v_and_b32_e32 v3, 3, v48
	s_delay_alu instid0(VALU_DEP_2) | instskip(SKIP_1) | instid1(SALU_CYCLE_1)
	v_cmp_ne_u32_e32 vcc_lo, 0x7c, v1
                                        ; implicit-def: $vgpr1
	s_and_saveexec_b32 s13, vcc_lo
	s_xor_b32 s13, exec_lo, s13
	s_cbranch_execz .LBB6_29480
; %bb.29477:                            ;   in Loop: Header=BB6_27928 Depth=3
	v_and_b32_e32 v1, 0xff, v48
	s_mov_b32 s74, exec_lo
	s_delay_alu instid0(VALU_DEP_1) | instskip(NEXT) | instid1(VALU_DEP_1)
	v_bfe_u32 v1, v1, 2, 5
	v_cmpx_eq_u32_e32 0, v1
	s_cbranch_execz .LBB6_29479
; %bb.29478:                            ;   in Loop: Header=BB6_27928 Depth=3
	v_clz_i32_u32_e32 v1, v3
	s_delay_alu instid0(VALU_DEP_1) | instskip(SKIP_1) | instid1(VALU_DEP_2)
	v_min_u32_e32 v1, 32, v1
	v_mov_b32_e32 v49, v113
	v_subrev_nc_u32_e32 v3, 29, v1
	v_sub_nc_u32_e32 v1, 30, v1
	s_delay_alu instid0(VALU_DEP_2) | instskip(NEXT) | instid1(VALU_DEP_1)
	v_lshlrev_b64_e32 v[14:15], v3, v[48:49]
	v_and_b32_e32 v3, 3, v14
.LBB6_29479:                            ;   in Loop: Header=BB6_27928 Depth=3
	s_or_b32 exec_lo, exec_lo, s74
	v_bfe_i32 v5, v48, 0, 16
                                        ; implicit-def: $vgpr48
	s_delay_alu instid0(VALU_DEP_1) | instskip(NEXT) | instid1(VALU_DEP_1)
	v_and_b32_e32 v5, 0x80000000, v5
	v_lshl_add_u32 v1, v1, 23, v5
	s_delay_alu instid0(VALU_DEP_1) | instskip(NEXT) | instid1(VALU_DEP_1)
	v_lshl_or_b32 v1, v3, 21, v1
                                        ; implicit-def: $vgpr3
	v_add_nc_u32_e32 v1, 0x38000000, v1
.LBB6_29480:                            ;   in Loop: Header=BB6_27928 Depth=3
	s_and_not1_saveexec_b32 s74, s13
; %bb.29481:                            ;   in Loop: Header=BB6_27928 Depth=3
	v_cmp_lt_i16_e64 s13, -1, v48
	v_mov_b32_e32 v1, 0x7f800000
	v_cmp_eq_u32_e32 vcc_lo, 0, v3
	s_delay_alu instid0(VALU_DEP_2) | instskip(NEXT) | instid1(VALU_DEP_1)
	v_cndmask_b32_e64 v1, 0xff800000, v1, s13
	v_cndmask_b32_e32 v1, 0x7f800001, v1, vcc_lo
; %bb.29482:                            ;   in Loop: Header=BB6_27928 Depth=3
	s_or_b32 exec_lo, exec_lo, s74
.LBB6_29483:                            ;   in Loop: Header=BB6_27928 Depth=3
	s_delay_alu instid0(SALU_CYCLE_1)
	s_or_b32 exec_lo, exec_lo, s15
.LBB6_29484:                            ;   in Loop: Header=BB6_27928 Depth=3
	s_delay_alu instid0(SALU_CYCLE_1) | instskip(NEXT) | instid1(VALU_DEP_1)
	s_or_b32 exec_lo, exec_lo, s14
	v_dual_add_f32 v5, v2, v1 :: v_dual_mov_b32 v3, v113
                                        ; implicit-def: $vgpr35
	s_delay_alu instid0(VALU_DEP_1) | instskip(NEXT) | instid1(VALU_DEP_1)
	v_and_b32_e32 v2, 0x7f800000, v5
	v_cmp_ne_u64_e32 vcc_lo, 0x7f800000, v[2:3]
	v_and_b32_e32 v2, 0x7fffff, v5
	s_and_saveexec_b32 s13, vcc_lo
	s_delay_alu instid0(SALU_CYCLE_1)
	s_xor_b32 s14, exec_lo, s13
	s_cbranch_execz .LBB6_29502
; %bb.29485:                            ;   in Loop: Header=BB6_27928 Depth=3
	v_dual_mov_b32 v15, v113 :: v_dual_lshrrev_b32 v1, 24, v5
	v_and_b32_e32 v14, 0x7fffffff, v5
                                        ; implicit-def: $vgpr35
	s_mov_b32 s13, exec_lo
	s_delay_alu instid0(VALU_DEP_2) | instskip(NEXT) | instid1(VALU_DEP_2)
	v_and_b32_e32 v1, 0x80, v1
	v_cmpx_gt_u64_e32 0x47600001, v[14:15]
	s_xor_b32 s15, exec_lo, s13
	s_cbranch_execz .LBB6_29499
; %bb.29486:                            ;   in Loop: Header=BB6_27928 Depth=3
	v_mov_b32_e32 v35, 0
	s_mov_b32 s74, exec_lo
	v_cmpx_ne_u32_e32 0, v5
	s_cbranch_execz .LBB6_29498
; %bb.29487:                            ;   in Loop: Header=BB6_27928 Depth=3
	v_bfe_u32 v5, v5, 23, 8
	v_or_b32_e32 v14, 0x800000, v2
	s_delay_alu instid0(VALU_DEP_2) | instskip(SKIP_1) | instid1(VALU_DEP_3)
	v_cmp_eq_u32_e32 vcc_lo, 0, v5
	v_cmp_gt_u32_e64 s13, 0x72, v5
	v_dual_cndmask_b32 v2, v14, v2 :: v_dual_sub_nc_u32 v7, 0x71, v5
	s_delay_alu instid0(VALU_DEP_1) | instskip(NEXT) | instid1(VALU_DEP_1)
	v_cndmask_b32_e64 v7, 0, v7, s13
	v_cndmask_b32_e64 v7, v7, 0x70, vcc_lo
	s_delay_alu instid0(VALU_DEP_1) | instskip(NEXT) | instid1(VALU_DEP_1)
	v_dual_add_nc_u32 v14, 21, v7 :: v_dual_add_nc_u32 v17, 20, v7
	v_lshlrev_b64_e64 v[14:15], v14, -1
	s_delay_alu instid0(VALU_DEP_2) | instskip(NEXT) | instid1(VALU_DEP_2)
	v_lshlrev_b64_e64 v[48:49], v17, 1
	v_bfi_b32 v14, v14, 0, v2
	v_lshrrev_b64 v[2:3], v7, v[2:3]
	s_delay_alu instid0(VALU_DEP_4) | instskip(NEXT) | instid1(VALU_DEP_1)
	v_bfi_b32 v15, v15, 0, 0
	v_cmp_eq_u64_e64 s13, v[14:15], v[48:49]
	s_delay_alu instid0(VALU_DEP_3)
	v_mov_b64_e32 v[14:15], v[2:3]
	s_and_saveexec_b32 s75, s13
; %bb.29488:                            ;   in Loop: Header=BB6_27928 Depth=3
	v_bfe_u32 v14, v2, 21, 1
	v_mov_b32_e32 v15, v113
	s_delay_alu instid0(VALU_DEP_1) | instskip(NEXT) | instid1(VALU_DEP_1)
	v_add_nc_u64_e32 v[14:15], v[2:3], v[14:15]
	v_add_nc_u64_e32 v[14:15], -1, v[14:15]
; %bb.29489:                            ;   in Loop: Header=BB6_27928 Depth=3
	s_or_b32 exec_lo, exec_lo, s75
	v_add_nc_u32_e32 v3, 0xffffff81, v5
	v_lshrrev_b32_e32 v5, 23, v2
	s_mov_b32 s13, exec_lo
	s_delay_alu instid0(VALU_DEP_2) | instskip(NEXT) | instid1(VALU_DEP_1)
	v_cndmask_b32_e64 v3, v3, 0xffffff82, vcc_lo
	v_add3_u32 v15, v7, v3, v5
	v_and_b32_e32 v3, 0x1fffff, v14
                                        ; implicit-def: $vgpr5
	s_delay_alu instid0(VALU_DEP_1) | instskip(SKIP_1) | instid1(VALU_DEP_2)
	v_dual_add_nc_u32 v7, 14, v15 :: v_dual_add_nc_u32 v2, v3, v2
	v_mov_b32_e32 v3, v113
	v_cmpx_ne_u32_e32 0, v7
	s_xor_b32 s13, exec_lo, s13
; %bb.29490:                            ;   in Loop: Header=BB6_27928 Depth=3
	s_delay_alu instid0(VALU_DEP_2) | instskip(SKIP_1) | instid1(VALU_DEP_1)
	v_cmp_lt_u64_e32 vcc_lo, 0xffffff, v[2:3]
	v_add_nc_u32_e32 v5, 15, v15
	v_cndmask_b32_e32 v5, v7, v5, vcc_lo
	v_cndmask_b32_e64 v7, 0, 1, vcc_lo
	s_delay_alu instid0(VALU_DEP_1)
	v_lshrrev_b64 v[2:3], v7, v[2:3]
; %bb.29491:                            ;   in Loop: Header=BB6_27928 Depth=3
	s_and_not1_saveexec_b32 s13, s13
; %bb.29492:                            ;   in Loop: Header=BB6_27928 Depth=3
	s_delay_alu instid0(VALU_DEP_1)
	v_bfe_u32 v5, v2, 23, 1
; %bb.29493:                            ;   in Loop: Header=BB6_27928 Depth=3
	s_or_b32 exec_lo, exec_lo, s13
	s_delay_alu instid0(VALU_DEP_2) | instskip(NEXT) | instid1(VALU_DEP_2)
	v_lshrrev_b64 v[2:3], 21, v[2:3]
	v_cmp_gt_i32_e32 vcc_lo, 32, v5
	v_cmp_ne_u32_e64 s13, 0, v5
                                        ; implicit-def: $vgpr35
	s_delay_alu instid0(VALU_DEP_3) | instskip(NEXT) | instid1(VALU_DEP_1)
	v_dual_cndmask_b32 v3, 0, v3 :: v_dual_cndmask_b32 v2, 3, v2
	v_cmp_ne_u64_e32 vcc_lo, 0, v[2:3]
	s_or_b32 s13, s13, vcc_lo
	s_delay_alu instid0(SALU_CYCLE_1) | instskip(NEXT) | instid1(SALU_CYCLE_1)
	s_and_saveexec_b32 s75, s13
	s_xor_b32 s13, exec_lo, s75
; %bb.29494:                            ;   in Loop: Header=BB6_27928 Depth=3
	v_min_i32_e32 v3, 31, v5
	s_delay_alu instid0(VALU_DEP_1) | instskip(NEXT) | instid1(VALU_DEP_1)
	v_lshl_or_b32 v1, v3, 2, v1
	v_and_or_b32 v35, v2, 3, v1
                                        ; implicit-def: $vgpr1
; %bb.29495:                            ;   in Loop: Header=BB6_27928 Depth=3
	s_and_not1_saveexec_b32 s13, s13
; %bb.29496:                            ;   in Loop: Header=BB6_27928 Depth=3
	v_mov_b32_e32 v35, v1
; %bb.29497:                            ;   in Loop: Header=BB6_27928 Depth=3
	s_or_b32 exec_lo, exec_lo, s13
.LBB6_29498:                            ;   in Loop: Header=BB6_27928 Depth=3
	s_delay_alu instid0(SALU_CYCLE_1)
	s_or_b32 exec_lo, exec_lo, s74
                                        ; implicit-def: $vgpr1
.LBB6_29499:                            ;   in Loop: Header=BB6_27928 Depth=3
	s_and_not1_saveexec_b32 s13, s15
; %bb.29500:                            ;   in Loop: Header=BB6_27928 Depth=3
	v_or_b32_e32 v35, 0x7b, v1
; %bb.29501:                            ;   in Loop: Header=BB6_27928 Depth=3
	s_or_b32 exec_lo, exec_lo, s13
                                        ; implicit-def: $vgpr5
                                        ; implicit-def: $vgpr2_vgpr3
.LBB6_29502:                            ;   in Loop: Header=BB6_27928 Depth=3
	s_and_not1_saveexec_b32 s13, s14
	s_cbranch_execz .LBB6_29508
; %bb.29503:                            ;   in Loop: Header=BB6_27928 Depth=3
	s_mov_b32 s14, exec_lo
                                        ; implicit-def: $vgpr35
	v_cmpx_ne_u64_e32 0, v[2:3]
	s_xor_b32 s14, exec_lo, s14
; %bb.29504:                            ;   in Loop: Header=BB6_27928 Depth=3
	v_lshrrev_b32_e32 v1, 24, v5
                                        ; implicit-def: $vgpr5
	s_delay_alu instid0(VALU_DEP_1)
	v_or_b32_e32 v35, 0x7f, v1
; %bb.29505:                            ;   in Loop: Header=BB6_27928 Depth=3
	s_and_not1_saveexec_b32 s14, s14
; %bb.29506:                            ;   in Loop: Header=BB6_27928 Depth=3
	v_cmp_lt_i32_e32 vcc_lo, -1, v5
	v_cndmask_b32_e64 v35, -4, 0x7c, vcc_lo
; %bb.29507:                            ;   in Loop: Header=BB6_27928 Depth=3
	s_or_b32 exec_lo, exec_lo, s14
.LBB6_29508:                            ;   in Loop: Header=BB6_27928 Depth=3
	s_delay_alu instid0(SALU_CYCLE_1) | instskip(SKIP_3) | instid1(VALU_DEP_2)
	s_or_b32 exec_lo, exec_lo, s13
	v_and_b32_e32 v5, 0xff, v66
	v_dual_mov_b32 v1, 0 :: v_dual_mov_b32 v2, 0
	s_mov_b32 s14, exec_lo
	v_cmpx_ne_u16_e32 0, v5
	s_cbranch_execz .LBB6_29518
; %bb.29509:                            ;   in Loop: Header=BB6_27928 Depth=3
	v_bfrev_b32_e32 v2, 1
	s_mov_b32 s15, exec_lo
	v_cmpx_ne_u16_e32 0x80, v5
	s_cbranch_execz .LBB6_29517
; %bb.29510:                            ;   in Loop: Header=BB6_27928 Depth=3
	v_and_b32_e32 v2, 0x7c, v66
	v_and_b32_e32 v3, 3, v66
	s_delay_alu instid0(VALU_DEP_2) | instskip(SKIP_1) | instid1(SALU_CYCLE_1)
	v_cmp_ne_u32_e32 vcc_lo, 0x7c, v2
                                        ; implicit-def: $vgpr2
	s_and_saveexec_b32 s13, vcc_lo
	s_xor_b32 s13, exec_lo, s13
	s_cbranch_execz .LBB6_29514
; %bb.29511:                            ;   in Loop: Header=BB6_27928 Depth=3
	v_bfe_u32 v2, v5, 2, 5
	s_mov_b32 s74, exec_lo
	s_delay_alu instid0(VALU_DEP_1)
	v_cmpx_eq_u32_e32 0, v2
	s_cbranch_execz .LBB6_29513
; %bb.29512:                            ;   in Loop: Header=BB6_27928 Depth=3
	v_clz_i32_u32_e32 v2, v3
	s_delay_alu instid0(VALU_DEP_1) | instskip(SKIP_1) | instid1(VALU_DEP_2)
	v_min_u32_e32 v2, 32, v2
	v_mov_b32_e32 v67, v113
	v_subrev_nc_u32_e32 v3, 29, v2
	v_sub_nc_u32_e32 v2, 30, v2
	s_delay_alu instid0(VALU_DEP_2) | instskip(NEXT) | instid1(VALU_DEP_1)
	v_lshlrev_b64_e32 v[14:15], v3, v[66:67]
	v_and_b32_e32 v3, 3, v14
.LBB6_29513:                            ;   in Loop: Header=BB6_27928 Depth=3
	s_or_b32 exec_lo, exec_lo, s74
	v_lshlrev_b32_e32 v5, 24, v66
                                        ; implicit-def: $vgpr66
	s_delay_alu instid0(VALU_DEP_1) | instskip(NEXT) | instid1(VALU_DEP_1)
	v_and_b32_e32 v5, 0x80000000, v5
	v_lshl_add_u32 v2, v2, 23, v5
	s_delay_alu instid0(VALU_DEP_1) | instskip(NEXT) | instid1(VALU_DEP_1)
	v_lshl_or_b32 v2, v3, 21, v2
                                        ; implicit-def: $vgpr3
	v_add_nc_u32_e32 v2, 0x38000000, v2
.LBB6_29514:                            ;   in Loop: Header=BB6_27928 Depth=3
	s_and_not1_saveexec_b32 s74, s13
; %bb.29515:                            ;   in Loop: Header=BB6_27928 Depth=3
	v_bfe_i32 v2, v66, 0, 8
	v_cmp_eq_u32_e32 vcc_lo, 0, v3
	s_delay_alu instid0(VALU_DEP_2) | instskip(SKIP_1) | instid1(VALU_DEP_1)
	v_cmp_lt_i16_e64 s13, -1, v2
	v_mov_b32_e32 v2, 0x7f800000
	v_cndmask_b32_e64 v2, 0xff800000, v2, s13
	s_delay_alu instid0(VALU_DEP_1)
	v_cndmask_b32_e32 v2, 0x7f800001, v2, vcc_lo
; %bb.29516:                            ;   in Loop: Header=BB6_27928 Depth=3
	s_or_b32 exec_lo, exec_lo, s74
.LBB6_29517:                            ;   in Loop: Header=BB6_27928 Depth=3
	s_delay_alu instid0(SALU_CYCLE_1)
	s_or_b32 exec_lo, exec_lo, s15
.LBB6_29518:                            ;   in Loop: Header=BB6_27928 Depth=3
	s_delay_alu instid0(SALU_CYCLE_1) | instskip(NEXT) | instid1(SALU_CYCLE_1)
	s_or_b32 exec_lo, exec_lo, s14
	s_mov_b32 s14, exec_lo
	s_wait_loadcnt_dscnt 0x1414
	v_cmpx_ne_u16_e32 0, v52
	s_cbranch_execz .LBB6_29528
; %bb.29519:                            ;   in Loop: Header=BB6_27928 Depth=3
	v_bfrev_b32_e32 v1, 1
	s_mov_b32 s15, exec_lo
	v_cmpx_ne_u16_e32 0xff80, v52
	s_cbranch_execz .LBB6_29527
; %bb.29520:                            ;   in Loop: Header=BB6_27928 Depth=3
	v_and_b32_e32 v1, 0x7c, v52
	v_and_b32_e32 v3, 3, v52
	s_delay_alu instid0(VALU_DEP_2) | instskip(SKIP_1) | instid1(SALU_CYCLE_1)
	v_cmp_ne_u32_e32 vcc_lo, 0x7c, v1
                                        ; implicit-def: $vgpr1
	s_and_saveexec_b32 s13, vcc_lo
	s_xor_b32 s13, exec_lo, s13
	s_cbranch_execz .LBB6_29524
; %bb.29521:                            ;   in Loop: Header=BB6_27928 Depth=3
	v_and_b32_e32 v1, 0xff, v52
	s_mov_b32 s74, exec_lo
	s_delay_alu instid0(VALU_DEP_1) | instskip(NEXT) | instid1(VALU_DEP_1)
	v_bfe_u32 v1, v1, 2, 5
	v_cmpx_eq_u32_e32 0, v1
	s_cbranch_execz .LBB6_29523
; %bb.29522:                            ;   in Loop: Header=BB6_27928 Depth=3
	v_clz_i32_u32_e32 v1, v3
	s_delay_alu instid0(VALU_DEP_1) | instskip(SKIP_1) | instid1(VALU_DEP_2)
	v_min_u32_e32 v1, 32, v1
	v_mov_b32_e32 v53, v113
	v_subrev_nc_u32_e32 v3, 29, v1
	v_sub_nc_u32_e32 v1, 30, v1
	s_delay_alu instid0(VALU_DEP_2) | instskip(NEXT) | instid1(VALU_DEP_1)
	v_lshlrev_b64_e32 v[14:15], v3, v[52:53]
	v_and_b32_e32 v3, 3, v14
.LBB6_29523:                            ;   in Loop: Header=BB6_27928 Depth=3
	s_or_b32 exec_lo, exec_lo, s74
	v_bfe_i32 v5, v52, 0, 16
                                        ; implicit-def: $vgpr52
	s_delay_alu instid0(VALU_DEP_1) | instskip(NEXT) | instid1(VALU_DEP_1)
	v_and_b32_e32 v5, 0x80000000, v5
	v_lshl_add_u32 v1, v1, 23, v5
	s_delay_alu instid0(VALU_DEP_1) | instskip(NEXT) | instid1(VALU_DEP_1)
	v_lshl_or_b32 v1, v3, 21, v1
                                        ; implicit-def: $vgpr3
	v_add_nc_u32_e32 v1, 0x38000000, v1
.LBB6_29524:                            ;   in Loop: Header=BB6_27928 Depth=3
	s_and_not1_saveexec_b32 s74, s13
; %bb.29525:                            ;   in Loop: Header=BB6_27928 Depth=3
	v_cmp_lt_i16_e64 s13, -1, v52
	v_mov_b32_e32 v1, 0x7f800000
	v_cmp_eq_u32_e32 vcc_lo, 0, v3
	s_delay_alu instid0(VALU_DEP_2) | instskip(NEXT) | instid1(VALU_DEP_1)
	v_cndmask_b32_e64 v1, 0xff800000, v1, s13
	v_cndmask_b32_e32 v1, 0x7f800001, v1, vcc_lo
; %bb.29526:                            ;   in Loop: Header=BB6_27928 Depth=3
	s_or_b32 exec_lo, exec_lo, s74
.LBB6_29527:                            ;   in Loop: Header=BB6_27928 Depth=3
	s_delay_alu instid0(SALU_CYCLE_1)
	s_or_b32 exec_lo, exec_lo, s15
.LBB6_29528:                            ;   in Loop: Header=BB6_27928 Depth=3
	s_delay_alu instid0(SALU_CYCLE_1) | instskip(NEXT) | instid1(VALU_DEP_1)
	s_or_b32 exec_lo, exec_lo, s14
	v_dual_add_f32 v5, v2, v1 :: v_dual_mov_b32 v3, v113
                                        ; implicit-def: $vgpr48
	s_delay_alu instid0(VALU_DEP_1) | instskip(NEXT) | instid1(VALU_DEP_1)
	v_and_b32_e32 v2, 0x7f800000, v5
	v_cmp_ne_u64_e32 vcc_lo, 0x7f800000, v[2:3]
	v_and_b32_e32 v2, 0x7fffff, v5
	s_and_saveexec_b32 s13, vcc_lo
	s_delay_alu instid0(SALU_CYCLE_1)
	s_xor_b32 s14, exec_lo, s13
	s_cbranch_execz .LBB6_29546
; %bb.29529:                            ;   in Loop: Header=BB6_27928 Depth=3
	v_dual_mov_b32 v15, v113 :: v_dual_lshrrev_b32 v1, 24, v5
	v_and_b32_e32 v14, 0x7fffffff, v5
                                        ; implicit-def: $vgpr48
	s_mov_b32 s13, exec_lo
	s_delay_alu instid0(VALU_DEP_2) | instskip(NEXT) | instid1(VALU_DEP_2)
	v_and_b32_e32 v1, 0x80, v1
	v_cmpx_gt_u64_e32 0x47600001, v[14:15]
	s_xor_b32 s15, exec_lo, s13
	s_cbranch_execz .LBB6_29543
; %bb.29530:                            ;   in Loop: Header=BB6_27928 Depth=3
	v_mov_b32_e32 v48, 0
	s_mov_b32 s74, exec_lo
	v_cmpx_ne_u32_e32 0, v5
	s_cbranch_execz .LBB6_29542
; %bb.29531:                            ;   in Loop: Header=BB6_27928 Depth=3
	v_bfe_u32 v5, v5, 23, 8
	v_or_b32_e32 v14, 0x800000, v2
	s_delay_alu instid0(VALU_DEP_2) | instskip(SKIP_1) | instid1(VALU_DEP_3)
	v_cmp_eq_u32_e32 vcc_lo, 0, v5
	v_cmp_gt_u32_e64 s13, 0x72, v5
	v_dual_cndmask_b32 v2, v14, v2 :: v_dual_sub_nc_u32 v7, 0x71, v5
	s_delay_alu instid0(VALU_DEP_1) | instskip(NEXT) | instid1(VALU_DEP_1)
	v_cndmask_b32_e64 v7, 0, v7, s13
	v_cndmask_b32_e64 v7, v7, 0x70, vcc_lo
	s_delay_alu instid0(VALU_DEP_1) | instskip(NEXT) | instid1(VALU_DEP_1)
	v_dual_add_nc_u32 v14, 21, v7 :: v_dual_add_nc_u32 v17, 20, v7
	v_lshlrev_b64_e64 v[14:15], v14, -1
	s_delay_alu instid0(VALU_DEP_2) | instskip(NEXT) | instid1(VALU_DEP_2)
	v_lshlrev_b64_e64 v[48:49], v17, 1
	v_bfi_b32 v14, v14, 0, v2
	v_lshrrev_b64 v[2:3], v7, v[2:3]
	s_delay_alu instid0(VALU_DEP_4) | instskip(NEXT) | instid1(VALU_DEP_1)
	v_bfi_b32 v15, v15, 0, 0
	v_cmp_eq_u64_e64 s13, v[14:15], v[48:49]
	s_delay_alu instid0(VALU_DEP_3)
	v_mov_b64_e32 v[14:15], v[2:3]
	s_and_saveexec_b32 s75, s13
; %bb.29532:                            ;   in Loop: Header=BB6_27928 Depth=3
	v_bfe_u32 v14, v2, 21, 1
	v_mov_b32_e32 v15, v113
	s_delay_alu instid0(VALU_DEP_1) | instskip(NEXT) | instid1(VALU_DEP_1)
	v_add_nc_u64_e32 v[14:15], v[2:3], v[14:15]
	v_add_nc_u64_e32 v[14:15], -1, v[14:15]
; %bb.29533:                            ;   in Loop: Header=BB6_27928 Depth=3
	s_or_b32 exec_lo, exec_lo, s75
	v_add_nc_u32_e32 v3, 0xffffff81, v5
	v_lshrrev_b32_e32 v5, 23, v2
	s_mov_b32 s13, exec_lo
	s_delay_alu instid0(VALU_DEP_2) | instskip(NEXT) | instid1(VALU_DEP_1)
	v_cndmask_b32_e64 v3, v3, 0xffffff82, vcc_lo
	v_add3_u32 v15, v7, v3, v5
	v_and_b32_e32 v3, 0x1fffff, v14
                                        ; implicit-def: $vgpr5
	s_delay_alu instid0(VALU_DEP_1) | instskip(SKIP_1) | instid1(VALU_DEP_2)
	v_dual_add_nc_u32 v7, 14, v15 :: v_dual_add_nc_u32 v2, v3, v2
	v_mov_b32_e32 v3, v113
	v_cmpx_ne_u32_e32 0, v7
	s_xor_b32 s13, exec_lo, s13
; %bb.29534:                            ;   in Loop: Header=BB6_27928 Depth=3
	s_delay_alu instid0(VALU_DEP_2) | instskip(SKIP_1) | instid1(VALU_DEP_1)
	v_cmp_lt_u64_e32 vcc_lo, 0xffffff, v[2:3]
	v_add_nc_u32_e32 v5, 15, v15
	v_cndmask_b32_e32 v5, v7, v5, vcc_lo
	v_cndmask_b32_e64 v7, 0, 1, vcc_lo
	s_delay_alu instid0(VALU_DEP_1)
	v_lshrrev_b64 v[2:3], v7, v[2:3]
; %bb.29535:                            ;   in Loop: Header=BB6_27928 Depth=3
	s_and_not1_saveexec_b32 s13, s13
; %bb.29536:                            ;   in Loop: Header=BB6_27928 Depth=3
	s_delay_alu instid0(VALU_DEP_1)
	v_bfe_u32 v5, v2, 23, 1
; %bb.29537:                            ;   in Loop: Header=BB6_27928 Depth=3
	s_or_b32 exec_lo, exec_lo, s13
	s_delay_alu instid0(VALU_DEP_2) | instskip(NEXT) | instid1(VALU_DEP_2)
	v_lshrrev_b64 v[2:3], 21, v[2:3]
	v_cmp_gt_i32_e32 vcc_lo, 32, v5
	v_cmp_ne_u32_e64 s13, 0, v5
                                        ; implicit-def: $vgpr48
	s_delay_alu instid0(VALU_DEP_3) | instskip(NEXT) | instid1(VALU_DEP_1)
	v_dual_cndmask_b32 v3, 0, v3 :: v_dual_cndmask_b32 v2, 3, v2
	v_cmp_ne_u64_e32 vcc_lo, 0, v[2:3]
	s_or_b32 s13, s13, vcc_lo
	s_delay_alu instid0(SALU_CYCLE_1) | instskip(NEXT) | instid1(SALU_CYCLE_1)
	s_and_saveexec_b32 s75, s13
	s_xor_b32 s13, exec_lo, s75
; %bb.29538:                            ;   in Loop: Header=BB6_27928 Depth=3
	v_min_i32_e32 v3, 31, v5
	s_delay_alu instid0(VALU_DEP_1) | instskip(NEXT) | instid1(VALU_DEP_1)
	v_lshl_or_b32 v1, v3, 2, v1
	v_and_or_b32 v48, v2, 3, v1
                                        ; implicit-def: $vgpr1
; %bb.29539:                            ;   in Loop: Header=BB6_27928 Depth=3
	s_and_not1_saveexec_b32 s13, s13
; %bb.29540:                            ;   in Loop: Header=BB6_27928 Depth=3
	v_mov_b32_e32 v48, v1
; %bb.29541:                            ;   in Loop: Header=BB6_27928 Depth=3
	s_or_b32 exec_lo, exec_lo, s13
.LBB6_29542:                            ;   in Loop: Header=BB6_27928 Depth=3
	s_delay_alu instid0(SALU_CYCLE_1)
	s_or_b32 exec_lo, exec_lo, s74
                                        ; implicit-def: $vgpr1
.LBB6_29543:                            ;   in Loop: Header=BB6_27928 Depth=3
	s_and_not1_saveexec_b32 s13, s15
; %bb.29544:                            ;   in Loop: Header=BB6_27928 Depth=3
	v_or_b32_e32 v48, 0x7b, v1
; %bb.29545:                            ;   in Loop: Header=BB6_27928 Depth=3
	s_or_b32 exec_lo, exec_lo, s13
                                        ; implicit-def: $vgpr5
                                        ; implicit-def: $vgpr2_vgpr3
.LBB6_29546:                            ;   in Loop: Header=BB6_27928 Depth=3
	s_and_not1_saveexec_b32 s13, s14
	s_cbranch_execz .LBB6_29552
; %bb.29547:                            ;   in Loop: Header=BB6_27928 Depth=3
	s_mov_b32 s14, exec_lo
                                        ; implicit-def: $vgpr48
	v_cmpx_ne_u64_e32 0, v[2:3]
	s_xor_b32 s14, exec_lo, s14
; %bb.29548:                            ;   in Loop: Header=BB6_27928 Depth=3
	v_lshrrev_b32_e32 v1, 24, v5
                                        ; implicit-def: $vgpr5
	s_delay_alu instid0(VALU_DEP_1)
	v_or_b32_e32 v48, 0x7f, v1
; %bb.29549:                            ;   in Loop: Header=BB6_27928 Depth=3
	s_and_not1_saveexec_b32 s14, s14
; %bb.29550:                            ;   in Loop: Header=BB6_27928 Depth=3
	v_cmp_lt_i32_e32 vcc_lo, -1, v5
	v_cndmask_b32_e64 v48, -4, 0x7c, vcc_lo
; %bb.29551:                            ;   in Loop: Header=BB6_27928 Depth=3
	s_or_b32 exec_lo, exec_lo, s14
.LBB6_29552:                            ;   in Loop: Header=BB6_27928 Depth=3
	s_delay_alu instid0(SALU_CYCLE_1) | instskip(SKIP_3) | instid1(VALU_DEP_2)
	s_or_b32 exec_lo, exec_lo, s13
	v_and_b32_e32 v5, 0xff, v82
	v_dual_mov_b32 v1, 0 :: v_dual_mov_b32 v2, 0
	s_mov_b32 s14, exec_lo
	v_cmpx_ne_u16_e32 0, v5
	s_cbranch_execz .LBB6_29562
; %bb.29553:                            ;   in Loop: Header=BB6_27928 Depth=3
	v_bfrev_b32_e32 v2, 1
	s_mov_b32 s15, exec_lo
	v_cmpx_ne_u16_e32 0x80, v5
	s_cbranch_execz .LBB6_29561
; %bb.29554:                            ;   in Loop: Header=BB6_27928 Depth=3
	v_and_b32_e32 v2, 0x7c, v82
	v_and_b32_e32 v3, 3, v82
	s_delay_alu instid0(VALU_DEP_2) | instskip(SKIP_1) | instid1(SALU_CYCLE_1)
	v_cmp_ne_u32_e32 vcc_lo, 0x7c, v2
                                        ; implicit-def: $vgpr2
	s_and_saveexec_b32 s13, vcc_lo
	s_xor_b32 s13, exec_lo, s13
	s_cbranch_execz .LBB6_29558
; %bb.29555:                            ;   in Loop: Header=BB6_27928 Depth=3
	v_bfe_u32 v2, v5, 2, 5
	s_mov_b32 s74, exec_lo
	s_delay_alu instid0(VALU_DEP_1)
	v_cmpx_eq_u32_e32 0, v2
	s_cbranch_execz .LBB6_29557
; %bb.29556:                            ;   in Loop: Header=BB6_27928 Depth=3
	v_clz_i32_u32_e32 v2, v3
	s_delay_alu instid0(VALU_DEP_1) | instskip(SKIP_1) | instid1(VALU_DEP_2)
	v_min_u32_e32 v2, 32, v2
	v_mov_b32_e32 v83, v113
	v_subrev_nc_u32_e32 v3, 29, v2
	v_sub_nc_u32_e32 v2, 30, v2
	s_delay_alu instid0(VALU_DEP_2) | instskip(NEXT) | instid1(VALU_DEP_1)
	v_lshlrev_b64_e32 v[14:15], v3, v[82:83]
	v_and_b32_e32 v3, 3, v14
.LBB6_29557:                            ;   in Loop: Header=BB6_27928 Depth=3
	s_or_b32 exec_lo, exec_lo, s74
	v_lshlrev_b32_e32 v5, 24, v82
                                        ; implicit-def: $vgpr82
	s_delay_alu instid0(VALU_DEP_1) | instskip(NEXT) | instid1(VALU_DEP_1)
	v_and_b32_e32 v5, 0x80000000, v5
	v_lshl_add_u32 v2, v2, 23, v5
	s_delay_alu instid0(VALU_DEP_1) | instskip(NEXT) | instid1(VALU_DEP_1)
	v_lshl_or_b32 v2, v3, 21, v2
                                        ; implicit-def: $vgpr3
	v_add_nc_u32_e32 v2, 0x38000000, v2
.LBB6_29558:                            ;   in Loop: Header=BB6_27928 Depth=3
	s_and_not1_saveexec_b32 s74, s13
; %bb.29559:                            ;   in Loop: Header=BB6_27928 Depth=3
	v_bfe_i32 v2, v82, 0, 8
	v_cmp_eq_u32_e32 vcc_lo, 0, v3
	s_delay_alu instid0(VALU_DEP_2) | instskip(SKIP_1) | instid1(VALU_DEP_1)
	v_cmp_lt_i16_e64 s13, -1, v2
	v_mov_b32_e32 v2, 0x7f800000
	v_cndmask_b32_e64 v2, 0xff800000, v2, s13
	s_delay_alu instid0(VALU_DEP_1)
	v_cndmask_b32_e32 v2, 0x7f800001, v2, vcc_lo
; %bb.29560:                            ;   in Loop: Header=BB6_27928 Depth=3
	s_or_b32 exec_lo, exec_lo, s74
.LBB6_29561:                            ;   in Loop: Header=BB6_27928 Depth=3
	s_delay_alu instid0(SALU_CYCLE_1)
	s_or_b32 exec_lo, exec_lo, s15
.LBB6_29562:                            ;   in Loop: Header=BB6_27928 Depth=3
	s_delay_alu instid0(SALU_CYCLE_1) | instskip(NEXT) | instid1(SALU_CYCLE_1)
	s_or_b32 exec_lo, exec_lo, s14
	s_mov_b32 s14, exec_lo
	s_wait_loadcnt_dscnt 0x1313
	v_cmpx_ne_u16_e32 0, v116
	s_cbranch_execz .LBB6_29572
; %bb.29563:                            ;   in Loop: Header=BB6_27928 Depth=3
	v_bfrev_b32_e32 v1, 1
	s_mov_b32 s15, exec_lo
	v_cmpx_ne_u16_e32 0xff80, v116
	s_cbranch_execz .LBB6_29571
; %bb.29564:                            ;   in Loop: Header=BB6_27928 Depth=3
	v_and_b32_e32 v1, 0x7c, v116
	v_and_b32_e32 v3, 3, v116
	s_delay_alu instid0(VALU_DEP_2) | instskip(SKIP_1) | instid1(SALU_CYCLE_1)
	v_cmp_ne_u32_e32 vcc_lo, 0x7c, v1
                                        ; implicit-def: $vgpr1
	s_and_saveexec_b32 s13, vcc_lo
	s_xor_b32 s13, exec_lo, s13
	s_cbranch_execz .LBB6_29568
; %bb.29565:                            ;   in Loop: Header=BB6_27928 Depth=3
	v_and_b32_e32 v1, 0xff, v116
	s_mov_b32 s74, exec_lo
	s_delay_alu instid0(VALU_DEP_1) | instskip(NEXT) | instid1(VALU_DEP_1)
	v_bfe_u32 v1, v1, 2, 5
	v_cmpx_eq_u32_e32 0, v1
	s_cbranch_execz .LBB6_29567
; %bb.29566:                            ;   in Loop: Header=BB6_27928 Depth=3
	v_clz_i32_u32_e32 v1, v3
	s_delay_alu instid0(VALU_DEP_1) | instskip(SKIP_1) | instid1(VALU_DEP_2)
	v_min_u32_e32 v1, 32, v1
	v_mov_b32_e32 v117, v113
	v_subrev_nc_u32_e32 v3, 29, v1
	v_sub_nc_u32_e32 v1, 30, v1
	s_delay_alu instid0(VALU_DEP_2) | instskip(NEXT) | instid1(VALU_DEP_1)
	v_lshlrev_b64_e32 v[14:15], v3, v[116:117]
	v_and_b32_e32 v3, 3, v14
.LBB6_29567:                            ;   in Loop: Header=BB6_27928 Depth=3
	s_or_b32 exec_lo, exec_lo, s74
	v_bfe_i32 v5, v116, 0, 16
                                        ; implicit-def: $vgpr116
	s_delay_alu instid0(VALU_DEP_1) | instskip(NEXT) | instid1(VALU_DEP_1)
	v_and_b32_e32 v5, 0x80000000, v5
	v_lshl_add_u32 v1, v1, 23, v5
	s_delay_alu instid0(VALU_DEP_1) | instskip(NEXT) | instid1(VALU_DEP_1)
	v_lshl_or_b32 v1, v3, 21, v1
                                        ; implicit-def: $vgpr3
	v_add_nc_u32_e32 v1, 0x38000000, v1
.LBB6_29568:                            ;   in Loop: Header=BB6_27928 Depth=3
	s_and_not1_saveexec_b32 s74, s13
; %bb.29569:                            ;   in Loop: Header=BB6_27928 Depth=3
	v_cmp_lt_i16_e64 s13, -1, v116
	v_mov_b32_e32 v1, 0x7f800000
	v_cmp_eq_u32_e32 vcc_lo, 0, v3
	s_delay_alu instid0(VALU_DEP_2) | instskip(NEXT) | instid1(VALU_DEP_1)
	v_cndmask_b32_e64 v1, 0xff800000, v1, s13
	v_cndmask_b32_e32 v1, 0x7f800001, v1, vcc_lo
; %bb.29570:                            ;   in Loop: Header=BB6_27928 Depth=3
	s_or_b32 exec_lo, exec_lo, s74
.LBB6_29571:                            ;   in Loop: Header=BB6_27928 Depth=3
	s_delay_alu instid0(SALU_CYCLE_1)
	s_or_b32 exec_lo, exec_lo, s15
.LBB6_29572:                            ;   in Loop: Header=BB6_27928 Depth=3
	s_delay_alu instid0(SALU_CYCLE_1) | instskip(NEXT) | instid1(VALU_DEP_1)
	s_or_b32 exec_lo, exec_lo, s14
	v_dual_add_f32 v5, v2, v1 :: v_dual_mov_b32 v3, v113
                                        ; implicit-def: $vgpr49
	s_delay_alu instid0(VALU_DEP_1) | instskip(NEXT) | instid1(VALU_DEP_1)
	v_and_b32_e32 v2, 0x7f800000, v5
	v_cmp_ne_u64_e32 vcc_lo, 0x7f800000, v[2:3]
	v_and_b32_e32 v2, 0x7fffff, v5
	s_and_saveexec_b32 s13, vcc_lo
	s_delay_alu instid0(SALU_CYCLE_1)
	s_xor_b32 s14, exec_lo, s13
	s_cbranch_execz .LBB6_29590
; %bb.29573:                            ;   in Loop: Header=BB6_27928 Depth=3
	v_dual_mov_b32 v15, v113 :: v_dual_lshrrev_b32 v1, 24, v5
	v_and_b32_e32 v14, 0x7fffffff, v5
                                        ; implicit-def: $vgpr49
	s_mov_b32 s13, exec_lo
	s_delay_alu instid0(VALU_DEP_2) | instskip(NEXT) | instid1(VALU_DEP_2)
	v_and_b32_e32 v1, 0x80, v1
	v_cmpx_gt_u64_e32 0x47600001, v[14:15]
	s_xor_b32 s15, exec_lo, s13
	s_cbranch_execz .LBB6_29587
; %bb.29574:                            ;   in Loop: Header=BB6_27928 Depth=3
	v_mov_b32_e32 v49, 0
	s_mov_b32 s74, exec_lo
	v_cmpx_ne_u32_e32 0, v5
	s_cbranch_execz .LBB6_29586
; %bb.29575:                            ;   in Loop: Header=BB6_27928 Depth=3
	v_bfe_u32 v5, v5, 23, 8
	v_or_b32_e32 v14, 0x800000, v2
	s_delay_alu instid0(VALU_DEP_2) | instskip(SKIP_1) | instid1(VALU_DEP_3)
	v_cmp_eq_u32_e32 vcc_lo, 0, v5
	v_cmp_gt_u32_e64 s13, 0x72, v5
	v_dual_cndmask_b32 v2, v14, v2 :: v_dual_sub_nc_u32 v7, 0x71, v5
	s_delay_alu instid0(VALU_DEP_1) | instskip(NEXT) | instid1(VALU_DEP_1)
	v_cndmask_b32_e64 v7, 0, v7, s13
	v_cndmask_b32_e64 v7, v7, 0x70, vcc_lo
	s_delay_alu instid0(VALU_DEP_1) | instskip(NEXT) | instid1(VALU_DEP_1)
	v_dual_add_nc_u32 v14, 21, v7 :: v_dual_add_nc_u32 v17, 20, v7
	v_lshlrev_b64_e64 v[14:15], v14, -1
	s_delay_alu instid0(VALU_DEP_2) | instskip(NEXT) | instid1(VALU_DEP_2)
	v_lshlrev_b64_e64 v[50:51], v17, 1
	v_bfi_b32 v14, v14, 0, v2
	v_lshrrev_b64 v[2:3], v7, v[2:3]
	s_delay_alu instid0(VALU_DEP_4) | instskip(NEXT) | instid1(VALU_DEP_1)
	v_bfi_b32 v15, v15, 0, 0
	v_cmp_eq_u64_e64 s13, v[14:15], v[50:51]
	s_delay_alu instid0(VALU_DEP_3)
	v_mov_b64_e32 v[14:15], v[2:3]
	s_and_saveexec_b32 s75, s13
; %bb.29576:                            ;   in Loop: Header=BB6_27928 Depth=3
	v_bfe_u32 v14, v2, 21, 1
	v_mov_b32_e32 v15, v113
	s_delay_alu instid0(VALU_DEP_1) | instskip(NEXT) | instid1(VALU_DEP_1)
	v_add_nc_u64_e32 v[14:15], v[2:3], v[14:15]
	v_add_nc_u64_e32 v[14:15], -1, v[14:15]
; %bb.29577:                            ;   in Loop: Header=BB6_27928 Depth=3
	s_or_b32 exec_lo, exec_lo, s75
	v_add_nc_u32_e32 v3, 0xffffff81, v5
	v_lshrrev_b32_e32 v5, 23, v2
	s_mov_b32 s13, exec_lo
	s_delay_alu instid0(VALU_DEP_2) | instskip(NEXT) | instid1(VALU_DEP_1)
	v_cndmask_b32_e64 v3, v3, 0xffffff82, vcc_lo
	v_add3_u32 v15, v7, v3, v5
	v_and_b32_e32 v3, 0x1fffff, v14
                                        ; implicit-def: $vgpr5
	s_delay_alu instid0(VALU_DEP_1) | instskip(SKIP_1) | instid1(VALU_DEP_2)
	v_dual_add_nc_u32 v7, 14, v15 :: v_dual_add_nc_u32 v2, v3, v2
	v_mov_b32_e32 v3, v113
	v_cmpx_ne_u32_e32 0, v7
	s_xor_b32 s13, exec_lo, s13
; %bb.29578:                            ;   in Loop: Header=BB6_27928 Depth=3
	s_delay_alu instid0(VALU_DEP_2) | instskip(SKIP_1) | instid1(VALU_DEP_1)
	v_cmp_lt_u64_e32 vcc_lo, 0xffffff, v[2:3]
	v_add_nc_u32_e32 v5, 15, v15
	v_cndmask_b32_e32 v5, v7, v5, vcc_lo
	v_cndmask_b32_e64 v7, 0, 1, vcc_lo
	s_delay_alu instid0(VALU_DEP_1)
	v_lshrrev_b64 v[2:3], v7, v[2:3]
; %bb.29579:                            ;   in Loop: Header=BB6_27928 Depth=3
	s_and_not1_saveexec_b32 s13, s13
; %bb.29580:                            ;   in Loop: Header=BB6_27928 Depth=3
	s_delay_alu instid0(VALU_DEP_1)
	v_bfe_u32 v5, v2, 23, 1
; %bb.29581:                            ;   in Loop: Header=BB6_27928 Depth=3
	s_or_b32 exec_lo, exec_lo, s13
	s_delay_alu instid0(VALU_DEP_2) | instskip(NEXT) | instid1(VALU_DEP_2)
	v_lshrrev_b64 v[2:3], 21, v[2:3]
	v_cmp_gt_i32_e32 vcc_lo, 32, v5
	v_cmp_ne_u32_e64 s13, 0, v5
                                        ; implicit-def: $vgpr49
	s_delay_alu instid0(VALU_DEP_3) | instskip(NEXT) | instid1(VALU_DEP_1)
	v_dual_cndmask_b32 v3, 0, v3 :: v_dual_cndmask_b32 v2, 3, v2
	v_cmp_ne_u64_e32 vcc_lo, 0, v[2:3]
	s_or_b32 s13, s13, vcc_lo
	s_delay_alu instid0(SALU_CYCLE_1) | instskip(NEXT) | instid1(SALU_CYCLE_1)
	s_and_saveexec_b32 s75, s13
	s_xor_b32 s13, exec_lo, s75
; %bb.29582:                            ;   in Loop: Header=BB6_27928 Depth=3
	v_min_i32_e32 v3, 31, v5
	s_delay_alu instid0(VALU_DEP_1) | instskip(NEXT) | instid1(VALU_DEP_1)
	v_lshl_or_b32 v1, v3, 2, v1
	v_and_or_b32 v49, v2, 3, v1
                                        ; implicit-def: $vgpr1
; %bb.29583:                            ;   in Loop: Header=BB6_27928 Depth=3
	s_and_not1_saveexec_b32 s13, s13
; %bb.29584:                            ;   in Loop: Header=BB6_27928 Depth=3
	v_mov_b32_e32 v49, v1
; %bb.29585:                            ;   in Loop: Header=BB6_27928 Depth=3
	s_or_b32 exec_lo, exec_lo, s13
.LBB6_29586:                            ;   in Loop: Header=BB6_27928 Depth=3
	s_delay_alu instid0(SALU_CYCLE_1)
	s_or_b32 exec_lo, exec_lo, s74
                                        ; implicit-def: $vgpr1
.LBB6_29587:                            ;   in Loop: Header=BB6_27928 Depth=3
	s_and_not1_saveexec_b32 s13, s15
; %bb.29588:                            ;   in Loop: Header=BB6_27928 Depth=3
	v_or_b32_e32 v49, 0x7b, v1
; %bb.29589:                            ;   in Loop: Header=BB6_27928 Depth=3
	s_or_b32 exec_lo, exec_lo, s13
                                        ; implicit-def: $vgpr5
                                        ; implicit-def: $vgpr2_vgpr3
.LBB6_29590:                            ;   in Loop: Header=BB6_27928 Depth=3
	s_and_not1_saveexec_b32 s13, s14
	s_cbranch_execz .LBB6_29596
; %bb.29591:                            ;   in Loop: Header=BB6_27928 Depth=3
	s_mov_b32 s14, exec_lo
                                        ; implicit-def: $vgpr49
	v_cmpx_ne_u64_e32 0, v[2:3]
	s_xor_b32 s14, exec_lo, s14
; %bb.29592:                            ;   in Loop: Header=BB6_27928 Depth=3
	v_lshrrev_b32_e32 v1, 24, v5
                                        ; implicit-def: $vgpr5
	s_delay_alu instid0(VALU_DEP_1)
	v_or_b32_e32 v49, 0x7f, v1
; %bb.29593:                            ;   in Loop: Header=BB6_27928 Depth=3
	s_and_not1_saveexec_b32 s14, s14
; %bb.29594:                            ;   in Loop: Header=BB6_27928 Depth=3
	v_cmp_lt_i32_e32 vcc_lo, -1, v5
	v_cndmask_b32_e64 v49, -4, 0x7c, vcc_lo
; %bb.29595:                            ;   in Loop: Header=BB6_27928 Depth=3
	s_or_b32 exec_lo, exec_lo, s14
.LBB6_29596:                            ;   in Loop: Header=BB6_27928 Depth=3
	s_delay_alu instid0(SALU_CYCLE_1) | instskip(SKIP_3) | instid1(VALU_DEP_2)
	s_or_b32 exec_lo, exec_lo, s13
	v_and_b32_e32 v5, 0xff, v24
	v_dual_mov_b32 v1, 0 :: v_dual_mov_b32 v2, 0
	s_mov_b32 s14, exec_lo
	v_cmpx_ne_u16_e32 0, v5
	s_cbranch_execz .LBB6_29606
; %bb.29597:                            ;   in Loop: Header=BB6_27928 Depth=3
	v_bfrev_b32_e32 v2, 1
	s_mov_b32 s15, exec_lo
	v_cmpx_ne_u16_e32 0x80, v5
	s_cbranch_execz .LBB6_29605
; %bb.29598:                            ;   in Loop: Header=BB6_27928 Depth=3
	v_and_b32_e32 v2, 0x7c, v24
	v_and_b32_e32 v3, 3, v24
	s_delay_alu instid0(VALU_DEP_2) | instskip(SKIP_1) | instid1(SALU_CYCLE_1)
	v_cmp_ne_u32_e32 vcc_lo, 0x7c, v2
                                        ; implicit-def: $vgpr2
	s_and_saveexec_b32 s13, vcc_lo
	s_xor_b32 s13, exec_lo, s13
	s_cbranch_execz .LBB6_29602
; %bb.29599:                            ;   in Loop: Header=BB6_27928 Depth=3
	v_bfe_u32 v2, v5, 2, 5
	s_mov_b32 s74, exec_lo
	s_delay_alu instid0(VALU_DEP_1)
	v_cmpx_eq_u32_e32 0, v2
	s_cbranch_execz .LBB6_29601
; %bb.29600:                            ;   in Loop: Header=BB6_27928 Depth=3
	v_clz_i32_u32_e32 v2, v3
	s_delay_alu instid0(VALU_DEP_1) | instskip(SKIP_1) | instid1(VALU_DEP_2)
	v_min_u32_e32 v2, 32, v2
	v_mov_b32_e32 v25, v113
	v_subrev_nc_u32_e32 v3, 29, v2
	v_sub_nc_u32_e32 v2, 30, v2
	s_delay_alu instid0(VALU_DEP_2) | instskip(NEXT) | instid1(VALU_DEP_1)
	v_lshlrev_b64_e32 v[14:15], v3, v[24:25]
	v_and_b32_e32 v3, 3, v14
.LBB6_29601:                            ;   in Loop: Header=BB6_27928 Depth=3
	s_or_b32 exec_lo, exec_lo, s74
	v_lshlrev_b32_e32 v5, 24, v24
                                        ; implicit-def: $vgpr24
	s_delay_alu instid0(VALU_DEP_1) | instskip(NEXT) | instid1(VALU_DEP_1)
	v_and_b32_e32 v5, 0x80000000, v5
	v_lshl_add_u32 v2, v2, 23, v5
	s_delay_alu instid0(VALU_DEP_1) | instskip(NEXT) | instid1(VALU_DEP_1)
	v_lshl_or_b32 v2, v3, 21, v2
                                        ; implicit-def: $vgpr3
	v_add_nc_u32_e32 v2, 0x38000000, v2
.LBB6_29602:                            ;   in Loop: Header=BB6_27928 Depth=3
	s_and_not1_saveexec_b32 s74, s13
; %bb.29603:                            ;   in Loop: Header=BB6_27928 Depth=3
	v_bfe_i32 v2, v24, 0, 8
	v_cmp_eq_u32_e32 vcc_lo, 0, v3
	s_delay_alu instid0(VALU_DEP_2) | instskip(SKIP_1) | instid1(VALU_DEP_1)
	v_cmp_lt_i16_e64 s13, -1, v2
	v_mov_b32_e32 v2, 0x7f800000
	v_cndmask_b32_e64 v2, 0xff800000, v2, s13
	s_delay_alu instid0(VALU_DEP_1)
	v_cndmask_b32_e32 v2, 0x7f800001, v2, vcc_lo
; %bb.29604:                            ;   in Loop: Header=BB6_27928 Depth=3
	s_or_b32 exec_lo, exec_lo, s74
.LBB6_29605:                            ;   in Loop: Header=BB6_27928 Depth=3
	s_delay_alu instid0(SALU_CYCLE_1)
	s_or_b32 exec_lo, exec_lo, s15
.LBB6_29606:                            ;   in Loop: Header=BB6_27928 Depth=3
	s_delay_alu instid0(SALU_CYCLE_1) | instskip(NEXT) | instid1(SALU_CYCLE_1)
	s_or_b32 exec_lo, exec_lo, s14
	s_mov_b32 s14, exec_lo
	s_wait_loadcnt_dscnt 0x1212
	v_cmpx_ne_u16_e32 0, v86
	s_cbranch_execz .LBB6_29616
; %bb.29607:                            ;   in Loop: Header=BB6_27928 Depth=3
	v_bfrev_b32_e32 v1, 1
	s_mov_b32 s15, exec_lo
	v_cmpx_ne_u16_e32 0xff80, v86
	s_cbranch_execz .LBB6_29615
; %bb.29608:                            ;   in Loop: Header=BB6_27928 Depth=3
	v_and_b32_e32 v1, 0x7c, v86
	v_and_b32_e32 v3, 3, v86
	s_delay_alu instid0(VALU_DEP_2) | instskip(SKIP_1) | instid1(SALU_CYCLE_1)
	v_cmp_ne_u32_e32 vcc_lo, 0x7c, v1
                                        ; implicit-def: $vgpr1
	s_and_saveexec_b32 s13, vcc_lo
	s_xor_b32 s13, exec_lo, s13
	s_cbranch_execz .LBB6_29612
; %bb.29609:                            ;   in Loop: Header=BB6_27928 Depth=3
	v_and_b32_e32 v1, 0xff, v86
	s_mov_b32 s74, exec_lo
	s_delay_alu instid0(VALU_DEP_1) | instskip(NEXT) | instid1(VALU_DEP_1)
	v_bfe_u32 v1, v1, 2, 5
	v_cmpx_eq_u32_e32 0, v1
	s_cbranch_execz .LBB6_29611
; %bb.29610:                            ;   in Loop: Header=BB6_27928 Depth=3
	v_clz_i32_u32_e32 v1, v3
	s_delay_alu instid0(VALU_DEP_1) | instskip(SKIP_1) | instid1(VALU_DEP_2)
	v_min_u32_e32 v1, 32, v1
	v_mov_b32_e32 v87, v113
	v_subrev_nc_u32_e32 v3, 29, v1
	v_sub_nc_u32_e32 v1, 30, v1
	s_delay_alu instid0(VALU_DEP_2) | instskip(NEXT) | instid1(VALU_DEP_1)
	v_lshlrev_b64_e32 v[14:15], v3, v[86:87]
	v_and_b32_e32 v3, 3, v14
.LBB6_29611:                            ;   in Loop: Header=BB6_27928 Depth=3
	s_or_b32 exec_lo, exec_lo, s74
	v_bfe_i32 v5, v86, 0, 16
                                        ; implicit-def: $vgpr86
	s_delay_alu instid0(VALU_DEP_1) | instskip(NEXT) | instid1(VALU_DEP_1)
	v_and_b32_e32 v5, 0x80000000, v5
	v_lshl_add_u32 v1, v1, 23, v5
	s_delay_alu instid0(VALU_DEP_1) | instskip(NEXT) | instid1(VALU_DEP_1)
	v_lshl_or_b32 v1, v3, 21, v1
                                        ; implicit-def: $vgpr3
	v_add_nc_u32_e32 v1, 0x38000000, v1
.LBB6_29612:                            ;   in Loop: Header=BB6_27928 Depth=3
	s_and_not1_saveexec_b32 s74, s13
; %bb.29613:                            ;   in Loop: Header=BB6_27928 Depth=3
	v_cmp_lt_i16_e64 s13, -1, v86
	v_mov_b32_e32 v1, 0x7f800000
	v_cmp_eq_u32_e32 vcc_lo, 0, v3
	s_delay_alu instid0(VALU_DEP_2) | instskip(NEXT) | instid1(VALU_DEP_1)
	v_cndmask_b32_e64 v1, 0xff800000, v1, s13
	v_cndmask_b32_e32 v1, 0x7f800001, v1, vcc_lo
; %bb.29614:                            ;   in Loop: Header=BB6_27928 Depth=3
	s_or_b32 exec_lo, exec_lo, s74
.LBB6_29615:                            ;   in Loop: Header=BB6_27928 Depth=3
	s_delay_alu instid0(SALU_CYCLE_1)
	s_or_b32 exec_lo, exec_lo, s15
.LBB6_29616:                            ;   in Loop: Header=BB6_27928 Depth=3
	s_delay_alu instid0(SALU_CYCLE_1) | instskip(NEXT) | instid1(VALU_DEP_1)
	s_or_b32 exec_lo, exec_lo, s14
	v_dual_add_f32 v5, v2, v1 :: v_dual_mov_b32 v3, v113
                                        ; implicit-def: $vgpr24
	s_delay_alu instid0(VALU_DEP_1) | instskip(NEXT) | instid1(VALU_DEP_1)
	v_and_b32_e32 v2, 0x7f800000, v5
	v_cmp_ne_u64_e32 vcc_lo, 0x7f800000, v[2:3]
	v_and_b32_e32 v2, 0x7fffff, v5
	s_and_saveexec_b32 s13, vcc_lo
	s_delay_alu instid0(SALU_CYCLE_1)
	s_xor_b32 s14, exec_lo, s13
	s_cbranch_execz .LBB6_29634
; %bb.29617:                            ;   in Loop: Header=BB6_27928 Depth=3
	v_dual_mov_b32 v15, v113 :: v_dual_lshrrev_b32 v1, 24, v5
	v_and_b32_e32 v14, 0x7fffffff, v5
                                        ; implicit-def: $vgpr24
	s_mov_b32 s13, exec_lo
	s_delay_alu instid0(VALU_DEP_2) | instskip(NEXT) | instid1(VALU_DEP_2)
	v_and_b32_e32 v1, 0x80, v1
	v_cmpx_gt_u64_e32 0x47600001, v[14:15]
	s_xor_b32 s15, exec_lo, s13
	s_cbranch_execz .LBB6_29631
; %bb.29618:                            ;   in Loop: Header=BB6_27928 Depth=3
	v_mov_b32_e32 v24, 0
	s_mov_b32 s74, exec_lo
	v_cmpx_ne_u32_e32 0, v5
	s_cbranch_execz .LBB6_29630
; %bb.29619:                            ;   in Loop: Header=BB6_27928 Depth=3
	v_bfe_u32 v5, v5, 23, 8
	v_or_b32_e32 v14, 0x800000, v2
	s_delay_alu instid0(VALU_DEP_2) | instskip(SKIP_1) | instid1(VALU_DEP_3)
	v_cmp_eq_u32_e32 vcc_lo, 0, v5
	v_cmp_gt_u32_e64 s13, 0x72, v5
	v_dual_cndmask_b32 v2, v14, v2 :: v_dual_sub_nc_u32 v7, 0x71, v5
	s_delay_alu instid0(VALU_DEP_1) | instskip(NEXT) | instid1(VALU_DEP_1)
	v_cndmask_b32_e64 v7, 0, v7, s13
	v_cndmask_b32_e64 v7, v7, 0x70, vcc_lo
	s_delay_alu instid0(VALU_DEP_1) | instskip(NEXT) | instid1(VALU_DEP_1)
	v_dual_add_nc_u32 v14, 21, v7 :: v_dual_add_nc_u32 v17, 20, v7
	v_lshlrev_b64_e64 v[14:15], v14, -1
	s_delay_alu instid0(VALU_DEP_2) | instskip(NEXT) | instid1(VALU_DEP_2)
	v_lshlrev_b64_e64 v[24:25], v17, 1
	v_bfi_b32 v14, v14, 0, v2
	v_lshrrev_b64 v[2:3], v7, v[2:3]
	s_delay_alu instid0(VALU_DEP_4) | instskip(NEXT) | instid1(VALU_DEP_1)
	v_bfi_b32 v15, v15, 0, 0
	v_cmp_eq_u64_e64 s13, v[14:15], v[24:25]
	s_delay_alu instid0(VALU_DEP_3)
	v_mov_b64_e32 v[14:15], v[2:3]
	s_and_saveexec_b32 s75, s13
; %bb.29620:                            ;   in Loop: Header=BB6_27928 Depth=3
	v_bfe_u32 v14, v2, 21, 1
	v_mov_b32_e32 v15, v113
	s_delay_alu instid0(VALU_DEP_1) | instskip(NEXT) | instid1(VALU_DEP_1)
	v_add_nc_u64_e32 v[14:15], v[2:3], v[14:15]
	v_add_nc_u64_e32 v[14:15], -1, v[14:15]
; %bb.29621:                            ;   in Loop: Header=BB6_27928 Depth=3
	s_or_b32 exec_lo, exec_lo, s75
	v_add_nc_u32_e32 v3, 0xffffff81, v5
	v_lshrrev_b32_e32 v5, 23, v2
	s_mov_b32 s13, exec_lo
	s_delay_alu instid0(VALU_DEP_2) | instskip(NEXT) | instid1(VALU_DEP_1)
	v_cndmask_b32_e64 v3, v3, 0xffffff82, vcc_lo
	v_add3_u32 v15, v7, v3, v5
	v_and_b32_e32 v3, 0x1fffff, v14
                                        ; implicit-def: $vgpr5
	s_delay_alu instid0(VALU_DEP_1) | instskip(SKIP_1) | instid1(VALU_DEP_2)
	v_dual_add_nc_u32 v7, 14, v15 :: v_dual_add_nc_u32 v2, v3, v2
	v_mov_b32_e32 v3, v113
	v_cmpx_ne_u32_e32 0, v7
	s_xor_b32 s13, exec_lo, s13
; %bb.29622:                            ;   in Loop: Header=BB6_27928 Depth=3
	s_delay_alu instid0(VALU_DEP_2) | instskip(SKIP_1) | instid1(VALU_DEP_1)
	v_cmp_lt_u64_e32 vcc_lo, 0xffffff, v[2:3]
	v_add_nc_u32_e32 v5, 15, v15
	v_cndmask_b32_e32 v5, v7, v5, vcc_lo
	v_cndmask_b32_e64 v7, 0, 1, vcc_lo
	s_delay_alu instid0(VALU_DEP_1)
	v_lshrrev_b64 v[2:3], v7, v[2:3]
; %bb.29623:                            ;   in Loop: Header=BB6_27928 Depth=3
	s_and_not1_saveexec_b32 s13, s13
; %bb.29624:                            ;   in Loop: Header=BB6_27928 Depth=3
	s_delay_alu instid0(VALU_DEP_1)
	v_bfe_u32 v5, v2, 23, 1
; %bb.29625:                            ;   in Loop: Header=BB6_27928 Depth=3
	s_or_b32 exec_lo, exec_lo, s13
	s_delay_alu instid0(VALU_DEP_2) | instskip(NEXT) | instid1(VALU_DEP_2)
	v_lshrrev_b64 v[2:3], 21, v[2:3]
	v_cmp_gt_i32_e32 vcc_lo, 32, v5
	v_cmp_ne_u32_e64 s13, 0, v5
                                        ; implicit-def: $vgpr24
	s_delay_alu instid0(VALU_DEP_3) | instskip(NEXT) | instid1(VALU_DEP_1)
	v_dual_cndmask_b32 v3, 0, v3 :: v_dual_cndmask_b32 v2, 3, v2
	v_cmp_ne_u64_e32 vcc_lo, 0, v[2:3]
	s_or_b32 s13, s13, vcc_lo
	s_delay_alu instid0(SALU_CYCLE_1) | instskip(NEXT) | instid1(SALU_CYCLE_1)
	s_and_saveexec_b32 s75, s13
	s_xor_b32 s13, exec_lo, s75
; %bb.29626:                            ;   in Loop: Header=BB6_27928 Depth=3
	v_min_i32_e32 v3, 31, v5
	s_delay_alu instid0(VALU_DEP_1) | instskip(NEXT) | instid1(VALU_DEP_1)
	v_lshl_or_b32 v1, v3, 2, v1
	v_and_or_b32 v24, v2, 3, v1
                                        ; implicit-def: $vgpr1
; %bb.29627:                            ;   in Loop: Header=BB6_27928 Depth=3
	s_and_not1_saveexec_b32 s13, s13
; %bb.29628:                            ;   in Loop: Header=BB6_27928 Depth=3
	v_mov_b32_e32 v24, v1
; %bb.29629:                            ;   in Loop: Header=BB6_27928 Depth=3
	s_or_b32 exec_lo, exec_lo, s13
.LBB6_29630:                            ;   in Loop: Header=BB6_27928 Depth=3
	s_delay_alu instid0(SALU_CYCLE_1)
	s_or_b32 exec_lo, exec_lo, s74
                                        ; implicit-def: $vgpr1
.LBB6_29631:                            ;   in Loop: Header=BB6_27928 Depth=3
	s_and_not1_saveexec_b32 s13, s15
; %bb.29632:                            ;   in Loop: Header=BB6_27928 Depth=3
	v_or_b32_e32 v24, 0x7b, v1
; %bb.29633:                            ;   in Loop: Header=BB6_27928 Depth=3
	s_or_b32 exec_lo, exec_lo, s13
                                        ; implicit-def: $vgpr5
                                        ; implicit-def: $vgpr2_vgpr3
.LBB6_29634:                            ;   in Loop: Header=BB6_27928 Depth=3
	s_and_not1_saveexec_b32 s13, s14
	s_cbranch_execz .LBB6_29640
; %bb.29635:                            ;   in Loop: Header=BB6_27928 Depth=3
	s_mov_b32 s14, exec_lo
                                        ; implicit-def: $vgpr24
	v_cmpx_ne_u64_e32 0, v[2:3]
	s_xor_b32 s14, exec_lo, s14
; %bb.29636:                            ;   in Loop: Header=BB6_27928 Depth=3
	v_lshrrev_b32_e32 v1, 24, v5
                                        ; implicit-def: $vgpr5
	s_delay_alu instid0(VALU_DEP_1)
	v_or_b32_e32 v24, 0x7f, v1
; %bb.29637:                            ;   in Loop: Header=BB6_27928 Depth=3
	s_and_not1_saveexec_b32 s14, s14
; %bb.29638:                            ;   in Loop: Header=BB6_27928 Depth=3
	v_cmp_lt_i32_e32 vcc_lo, -1, v5
	v_cndmask_b32_e64 v24, -4, 0x7c, vcc_lo
; %bb.29639:                            ;   in Loop: Header=BB6_27928 Depth=3
	s_or_b32 exec_lo, exec_lo, s14
.LBB6_29640:                            ;   in Loop: Header=BB6_27928 Depth=3
	s_delay_alu instid0(SALU_CYCLE_1) | instskip(SKIP_3) | instid1(VALU_DEP_2)
	s_or_b32 exec_lo, exec_lo, s13
	v_and_b32_e32 v5, 0xff, v30
	v_dual_mov_b32 v1, 0 :: v_dual_mov_b32 v2, 0
	s_mov_b32 s14, exec_lo
	v_cmpx_ne_u16_e32 0, v5
	s_cbranch_execz .LBB6_29650
; %bb.29641:                            ;   in Loop: Header=BB6_27928 Depth=3
	v_bfrev_b32_e32 v2, 1
	s_mov_b32 s15, exec_lo
	v_cmpx_ne_u16_e32 0x80, v5
	s_cbranch_execz .LBB6_29649
; %bb.29642:                            ;   in Loop: Header=BB6_27928 Depth=3
	v_and_b32_e32 v2, 0x7c, v30
	v_and_b32_e32 v3, 3, v30
	s_delay_alu instid0(VALU_DEP_2) | instskip(SKIP_1) | instid1(SALU_CYCLE_1)
	v_cmp_ne_u32_e32 vcc_lo, 0x7c, v2
                                        ; implicit-def: $vgpr2
	s_and_saveexec_b32 s13, vcc_lo
	s_xor_b32 s13, exec_lo, s13
	s_cbranch_execz .LBB6_29646
; %bb.29643:                            ;   in Loop: Header=BB6_27928 Depth=3
	v_bfe_u32 v2, v5, 2, 5
	s_mov_b32 s74, exec_lo
	s_delay_alu instid0(VALU_DEP_1)
	v_cmpx_eq_u32_e32 0, v2
	s_cbranch_execz .LBB6_29645
; %bb.29644:                            ;   in Loop: Header=BB6_27928 Depth=3
	v_clz_i32_u32_e32 v2, v3
	s_delay_alu instid0(VALU_DEP_1) | instskip(SKIP_1) | instid1(VALU_DEP_2)
	v_min_u32_e32 v2, 32, v2
	v_mov_b32_e32 v31, v113
	v_subrev_nc_u32_e32 v3, 29, v2
	v_sub_nc_u32_e32 v2, 30, v2
	s_delay_alu instid0(VALU_DEP_2) | instskip(NEXT) | instid1(VALU_DEP_1)
	v_lshlrev_b64_e32 v[14:15], v3, v[30:31]
	v_and_b32_e32 v3, 3, v14
.LBB6_29645:                            ;   in Loop: Header=BB6_27928 Depth=3
	s_or_b32 exec_lo, exec_lo, s74
	v_lshlrev_b32_e32 v5, 24, v30
                                        ; implicit-def: $vgpr30
	s_delay_alu instid0(VALU_DEP_1) | instskip(NEXT) | instid1(VALU_DEP_1)
	v_and_b32_e32 v5, 0x80000000, v5
	v_lshl_add_u32 v2, v2, 23, v5
	s_delay_alu instid0(VALU_DEP_1) | instskip(NEXT) | instid1(VALU_DEP_1)
	v_lshl_or_b32 v2, v3, 21, v2
                                        ; implicit-def: $vgpr3
	v_add_nc_u32_e32 v2, 0x38000000, v2
.LBB6_29646:                            ;   in Loop: Header=BB6_27928 Depth=3
	s_and_not1_saveexec_b32 s74, s13
; %bb.29647:                            ;   in Loop: Header=BB6_27928 Depth=3
	v_bfe_i32 v2, v30, 0, 8
	v_cmp_eq_u32_e32 vcc_lo, 0, v3
	s_delay_alu instid0(VALU_DEP_2) | instskip(SKIP_1) | instid1(VALU_DEP_1)
	v_cmp_lt_i16_e64 s13, -1, v2
	v_mov_b32_e32 v2, 0x7f800000
	v_cndmask_b32_e64 v2, 0xff800000, v2, s13
	s_delay_alu instid0(VALU_DEP_1)
	v_cndmask_b32_e32 v2, 0x7f800001, v2, vcc_lo
; %bb.29648:                            ;   in Loop: Header=BB6_27928 Depth=3
	s_or_b32 exec_lo, exec_lo, s74
.LBB6_29649:                            ;   in Loop: Header=BB6_27928 Depth=3
	s_delay_alu instid0(SALU_CYCLE_1)
	s_or_b32 exec_lo, exec_lo, s15
.LBB6_29650:                            ;   in Loop: Header=BB6_27928 Depth=3
	s_delay_alu instid0(SALU_CYCLE_1) | instskip(NEXT) | instid1(SALU_CYCLE_1)
	s_or_b32 exec_lo, exec_lo, s14
	s_mov_b32 s14, exec_lo
	s_wait_loadcnt_dscnt 0x1111
	v_cmpx_ne_u16_e32 0, v54
	s_cbranch_execz .LBB6_29660
; %bb.29651:                            ;   in Loop: Header=BB6_27928 Depth=3
	v_bfrev_b32_e32 v1, 1
	s_mov_b32 s15, exec_lo
	v_cmpx_ne_u16_e32 0xff80, v54
	s_cbranch_execz .LBB6_29659
; %bb.29652:                            ;   in Loop: Header=BB6_27928 Depth=3
	v_and_b32_e32 v1, 0x7c, v54
	v_and_b32_e32 v3, 3, v54
	s_delay_alu instid0(VALU_DEP_2) | instskip(SKIP_1) | instid1(SALU_CYCLE_1)
	v_cmp_ne_u32_e32 vcc_lo, 0x7c, v1
                                        ; implicit-def: $vgpr1
	s_and_saveexec_b32 s13, vcc_lo
	s_xor_b32 s13, exec_lo, s13
	s_cbranch_execz .LBB6_29656
; %bb.29653:                            ;   in Loop: Header=BB6_27928 Depth=3
	v_and_b32_e32 v1, 0xff, v54
	s_mov_b32 s74, exec_lo
	s_delay_alu instid0(VALU_DEP_1) | instskip(NEXT) | instid1(VALU_DEP_1)
	v_bfe_u32 v1, v1, 2, 5
	v_cmpx_eq_u32_e32 0, v1
	s_cbranch_execz .LBB6_29655
; %bb.29654:                            ;   in Loop: Header=BB6_27928 Depth=3
	v_clz_i32_u32_e32 v1, v3
	s_delay_alu instid0(VALU_DEP_1) | instskip(SKIP_1) | instid1(VALU_DEP_2)
	v_min_u32_e32 v1, 32, v1
	v_mov_b32_e32 v55, v113
	v_subrev_nc_u32_e32 v3, 29, v1
	v_sub_nc_u32_e32 v1, 30, v1
	s_delay_alu instid0(VALU_DEP_2) | instskip(NEXT) | instid1(VALU_DEP_1)
	v_lshlrev_b64_e32 v[14:15], v3, v[54:55]
	v_and_b32_e32 v3, 3, v14
.LBB6_29655:                            ;   in Loop: Header=BB6_27928 Depth=3
	s_or_b32 exec_lo, exec_lo, s74
	v_bfe_i32 v5, v54, 0, 16
                                        ; implicit-def: $vgpr54
	s_delay_alu instid0(VALU_DEP_1) | instskip(NEXT) | instid1(VALU_DEP_1)
	v_and_b32_e32 v5, 0x80000000, v5
	v_lshl_add_u32 v1, v1, 23, v5
	s_delay_alu instid0(VALU_DEP_1) | instskip(NEXT) | instid1(VALU_DEP_1)
	v_lshl_or_b32 v1, v3, 21, v1
                                        ; implicit-def: $vgpr3
	v_add_nc_u32_e32 v1, 0x38000000, v1
.LBB6_29656:                            ;   in Loop: Header=BB6_27928 Depth=3
	s_and_not1_saveexec_b32 s74, s13
; %bb.29657:                            ;   in Loop: Header=BB6_27928 Depth=3
	v_cmp_lt_i16_e64 s13, -1, v54
	v_mov_b32_e32 v1, 0x7f800000
	v_cmp_eq_u32_e32 vcc_lo, 0, v3
	s_delay_alu instid0(VALU_DEP_2) | instskip(NEXT) | instid1(VALU_DEP_1)
	v_cndmask_b32_e64 v1, 0xff800000, v1, s13
	v_cndmask_b32_e32 v1, 0x7f800001, v1, vcc_lo
; %bb.29658:                            ;   in Loop: Header=BB6_27928 Depth=3
	s_or_b32 exec_lo, exec_lo, s74
.LBB6_29659:                            ;   in Loop: Header=BB6_27928 Depth=3
	s_delay_alu instid0(SALU_CYCLE_1)
	s_or_b32 exec_lo, exec_lo, s15
.LBB6_29660:                            ;   in Loop: Header=BB6_27928 Depth=3
	s_delay_alu instid0(SALU_CYCLE_1) | instskip(NEXT) | instid1(VALU_DEP_1)
	s_or_b32 exec_lo, exec_lo, s14
	v_dual_add_f32 v5, v2, v1 :: v_dual_mov_b32 v3, v113
                                        ; implicit-def: $vgpr25
	s_delay_alu instid0(VALU_DEP_1) | instskip(NEXT) | instid1(VALU_DEP_1)
	v_and_b32_e32 v2, 0x7f800000, v5
	v_cmp_ne_u64_e32 vcc_lo, 0x7f800000, v[2:3]
	v_and_b32_e32 v2, 0x7fffff, v5
	s_and_saveexec_b32 s13, vcc_lo
	s_delay_alu instid0(SALU_CYCLE_1)
	s_xor_b32 s14, exec_lo, s13
	s_cbranch_execz .LBB6_29678
; %bb.29661:                            ;   in Loop: Header=BB6_27928 Depth=3
	v_dual_mov_b32 v15, v113 :: v_dual_lshrrev_b32 v1, 24, v5
	v_and_b32_e32 v14, 0x7fffffff, v5
                                        ; implicit-def: $vgpr25
	s_mov_b32 s13, exec_lo
	s_delay_alu instid0(VALU_DEP_2) | instskip(NEXT) | instid1(VALU_DEP_2)
	v_and_b32_e32 v1, 0x80, v1
	v_cmpx_gt_u64_e32 0x47600001, v[14:15]
	s_xor_b32 s15, exec_lo, s13
	s_cbranch_execz .LBB6_29675
; %bb.29662:                            ;   in Loop: Header=BB6_27928 Depth=3
	v_mov_b32_e32 v25, 0
	s_mov_b32 s74, exec_lo
	v_cmpx_ne_u32_e32 0, v5
	s_cbranch_execz .LBB6_29674
; %bb.29663:                            ;   in Loop: Header=BB6_27928 Depth=3
	v_bfe_u32 v5, v5, 23, 8
	v_or_b32_e32 v14, 0x800000, v2
	s_delay_alu instid0(VALU_DEP_2) | instskip(SKIP_1) | instid1(VALU_DEP_3)
	v_cmp_eq_u32_e32 vcc_lo, 0, v5
	v_cmp_gt_u32_e64 s13, 0x72, v5
	v_dual_cndmask_b32 v2, v14, v2 :: v_dual_sub_nc_u32 v7, 0x71, v5
	s_delay_alu instid0(VALU_DEP_1) | instskip(NEXT) | instid1(VALU_DEP_1)
	v_cndmask_b32_e64 v7, 0, v7, s13
	v_cndmask_b32_e64 v7, v7, 0x70, vcc_lo
	s_delay_alu instid0(VALU_DEP_1) | instskip(NEXT) | instid1(VALU_DEP_1)
	v_dual_add_nc_u32 v14, 21, v7 :: v_dual_add_nc_u32 v17, 20, v7
	v_lshlrev_b64_e64 v[14:15], v14, -1
	s_delay_alu instid0(VALU_DEP_2) | instskip(NEXT) | instid1(VALU_DEP_2)
	v_lshlrev_b64_e64 v[30:31], v17, 1
	v_bfi_b32 v14, v14, 0, v2
	v_lshrrev_b64 v[2:3], v7, v[2:3]
	s_delay_alu instid0(VALU_DEP_4) | instskip(NEXT) | instid1(VALU_DEP_1)
	v_bfi_b32 v15, v15, 0, 0
	v_cmp_eq_u64_e64 s13, v[14:15], v[30:31]
	s_delay_alu instid0(VALU_DEP_3)
	v_mov_b64_e32 v[14:15], v[2:3]
	s_and_saveexec_b32 s75, s13
; %bb.29664:                            ;   in Loop: Header=BB6_27928 Depth=3
	v_bfe_u32 v14, v2, 21, 1
	v_mov_b32_e32 v15, v113
	s_delay_alu instid0(VALU_DEP_1) | instskip(NEXT) | instid1(VALU_DEP_1)
	v_add_nc_u64_e32 v[14:15], v[2:3], v[14:15]
	v_add_nc_u64_e32 v[14:15], -1, v[14:15]
; %bb.29665:                            ;   in Loop: Header=BB6_27928 Depth=3
	s_or_b32 exec_lo, exec_lo, s75
	v_add_nc_u32_e32 v3, 0xffffff81, v5
	v_lshrrev_b32_e32 v5, 23, v2
	s_mov_b32 s13, exec_lo
	s_delay_alu instid0(VALU_DEP_2) | instskip(NEXT) | instid1(VALU_DEP_1)
	v_cndmask_b32_e64 v3, v3, 0xffffff82, vcc_lo
	v_add3_u32 v15, v7, v3, v5
	v_and_b32_e32 v3, 0x1fffff, v14
                                        ; implicit-def: $vgpr5
	s_delay_alu instid0(VALU_DEP_1) | instskip(SKIP_1) | instid1(VALU_DEP_2)
	v_dual_add_nc_u32 v7, 14, v15 :: v_dual_add_nc_u32 v2, v3, v2
	v_mov_b32_e32 v3, v113
	v_cmpx_ne_u32_e32 0, v7
	s_xor_b32 s13, exec_lo, s13
; %bb.29666:                            ;   in Loop: Header=BB6_27928 Depth=3
	s_delay_alu instid0(VALU_DEP_2) | instskip(SKIP_1) | instid1(VALU_DEP_1)
	v_cmp_lt_u64_e32 vcc_lo, 0xffffff, v[2:3]
	v_add_nc_u32_e32 v5, 15, v15
	v_cndmask_b32_e32 v5, v7, v5, vcc_lo
	v_cndmask_b32_e64 v7, 0, 1, vcc_lo
	s_delay_alu instid0(VALU_DEP_1)
	v_lshrrev_b64 v[2:3], v7, v[2:3]
; %bb.29667:                            ;   in Loop: Header=BB6_27928 Depth=3
	s_and_not1_saveexec_b32 s13, s13
; %bb.29668:                            ;   in Loop: Header=BB6_27928 Depth=3
	s_delay_alu instid0(VALU_DEP_1)
	v_bfe_u32 v5, v2, 23, 1
; %bb.29669:                            ;   in Loop: Header=BB6_27928 Depth=3
	s_or_b32 exec_lo, exec_lo, s13
	s_delay_alu instid0(VALU_DEP_2) | instskip(NEXT) | instid1(VALU_DEP_2)
	v_lshrrev_b64 v[2:3], 21, v[2:3]
	v_cmp_gt_i32_e32 vcc_lo, 32, v5
	v_cmp_ne_u32_e64 s13, 0, v5
                                        ; implicit-def: $vgpr25
	s_delay_alu instid0(VALU_DEP_3) | instskip(NEXT) | instid1(VALU_DEP_1)
	v_dual_cndmask_b32 v3, 0, v3 :: v_dual_cndmask_b32 v2, 3, v2
	v_cmp_ne_u64_e32 vcc_lo, 0, v[2:3]
	s_or_b32 s13, s13, vcc_lo
	s_delay_alu instid0(SALU_CYCLE_1) | instskip(NEXT) | instid1(SALU_CYCLE_1)
	s_and_saveexec_b32 s75, s13
	s_xor_b32 s13, exec_lo, s75
; %bb.29670:                            ;   in Loop: Header=BB6_27928 Depth=3
	v_min_i32_e32 v3, 31, v5
	s_delay_alu instid0(VALU_DEP_1) | instskip(NEXT) | instid1(VALU_DEP_1)
	v_lshl_or_b32 v1, v3, 2, v1
	v_and_or_b32 v25, v2, 3, v1
                                        ; implicit-def: $vgpr1
; %bb.29671:                            ;   in Loop: Header=BB6_27928 Depth=3
	s_and_not1_saveexec_b32 s13, s13
; %bb.29672:                            ;   in Loop: Header=BB6_27928 Depth=3
	v_mov_b32_e32 v25, v1
; %bb.29673:                            ;   in Loop: Header=BB6_27928 Depth=3
	s_or_b32 exec_lo, exec_lo, s13
.LBB6_29674:                            ;   in Loop: Header=BB6_27928 Depth=3
	s_delay_alu instid0(SALU_CYCLE_1)
	s_or_b32 exec_lo, exec_lo, s74
                                        ; implicit-def: $vgpr1
.LBB6_29675:                            ;   in Loop: Header=BB6_27928 Depth=3
	s_and_not1_saveexec_b32 s13, s15
; %bb.29676:                            ;   in Loop: Header=BB6_27928 Depth=3
	v_or_b32_e32 v25, 0x7b, v1
; %bb.29677:                            ;   in Loop: Header=BB6_27928 Depth=3
	s_or_b32 exec_lo, exec_lo, s13
                                        ; implicit-def: $vgpr5
                                        ; implicit-def: $vgpr2_vgpr3
.LBB6_29678:                            ;   in Loop: Header=BB6_27928 Depth=3
	s_and_not1_saveexec_b32 s13, s14
	s_cbranch_execz .LBB6_29684
; %bb.29679:                            ;   in Loop: Header=BB6_27928 Depth=3
	s_mov_b32 s14, exec_lo
                                        ; implicit-def: $vgpr25
	v_cmpx_ne_u64_e32 0, v[2:3]
	s_xor_b32 s14, exec_lo, s14
; %bb.29680:                            ;   in Loop: Header=BB6_27928 Depth=3
	v_lshrrev_b32_e32 v1, 24, v5
                                        ; implicit-def: $vgpr5
	s_delay_alu instid0(VALU_DEP_1)
	v_or_b32_e32 v25, 0x7f, v1
; %bb.29681:                            ;   in Loop: Header=BB6_27928 Depth=3
	s_and_not1_saveexec_b32 s14, s14
; %bb.29682:                            ;   in Loop: Header=BB6_27928 Depth=3
	v_cmp_lt_i32_e32 vcc_lo, -1, v5
	v_cndmask_b32_e64 v25, -4, 0x7c, vcc_lo
; %bb.29683:                            ;   in Loop: Header=BB6_27928 Depth=3
	s_or_b32 exec_lo, exec_lo, s14
.LBB6_29684:                            ;   in Loop: Header=BB6_27928 Depth=3
	s_delay_alu instid0(SALU_CYCLE_1) | instskip(SKIP_3) | instid1(VALU_DEP_2)
	s_or_b32 exec_lo, exec_lo, s13
	v_and_b32_e32 v5, 0xff, v28
	v_dual_mov_b32 v1, 0 :: v_dual_mov_b32 v2, 0
	s_mov_b32 s14, exec_lo
	v_cmpx_ne_u16_e32 0, v5
	s_cbranch_execz .LBB6_29694
; %bb.29685:                            ;   in Loop: Header=BB6_27928 Depth=3
	v_bfrev_b32_e32 v2, 1
	s_mov_b32 s15, exec_lo
	v_cmpx_ne_u16_e32 0x80, v5
	s_cbranch_execz .LBB6_29693
; %bb.29686:                            ;   in Loop: Header=BB6_27928 Depth=3
	v_and_b32_e32 v2, 0x7c, v28
	v_and_b32_e32 v3, 3, v28
	s_delay_alu instid0(VALU_DEP_2) | instskip(SKIP_1) | instid1(SALU_CYCLE_1)
	v_cmp_ne_u32_e32 vcc_lo, 0x7c, v2
                                        ; implicit-def: $vgpr2
	s_and_saveexec_b32 s13, vcc_lo
	s_xor_b32 s13, exec_lo, s13
	s_cbranch_execz .LBB6_29690
; %bb.29687:                            ;   in Loop: Header=BB6_27928 Depth=3
	v_bfe_u32 v2, v5, 2, 5
	s_mov_b32 s74, exec_lo
	s_delay_alu instid0(VALU_DEP_1)
	v_cmpx_eq_u32_e32 0, v2
	s_cbranch_execz .LBB6_29689
; %bb.29688:                            ;   in Loop: Header=BB6_27928 Depth=3
	v_clz_i32_u32_e32 v2, v3
	s_delay_alu instid0(VALU_DEP_1) | instskip(SKIP_1) | instid1(VALU_DEP_2)
	v_min_u32_e32 v2, 32, v2
	v_mov_b32_e32 v29, v113
	v_subrev_nc_u32_e32 v3, 29, v2
	v_sub_nc_u32_e32 v2, 30, v2
	s_delay_alu instid0(VALU_DEP_2) | instskip(NEXT) | instid1(VALU_DEP_1)
	v_lshlrev_b64_e32 v[14:15], v3, v[28:29]
	v_and_b32_e32 v3, 3, v14
.LBB6_29689:                            ;   in Loop: Header=BB6_27928 Depth=3
	s_or_b32 exec_lo, exec_lo, s74
	v_lshlrev_b32_e32 v5, 24, v28
                                        ; implicit-def: $vgpr28
	s_delay_alu instid0(VALU_DEP_1) | instskip(NEXT) | instid1(VALU_DEP_1)
	v_and_b32_e32 v5, 0x80000000, v5
	v_lshl_add_u32 v2, v2, 23, v5
	s_delay_alu instid0(VALU_DEP_1) | instskip(NEXT) | instid1(VALU_DEP_1)
	v_lshl_or_b32 v2, v3, 21, v2
                                        ; implicit-def: $vgpr3
	v_add_nc_u32_e32 v2, 0x38000000, v2
.LBB6_29690:                            ;   in Loop: Header=BB6_27928 Depth=3
	s_and_not1_saveexec_b32 s74, s13
; %bb.29691:                            ;   in Loop: Header=BB6_27928 Depth=3
	v_bfe_i32 v2, v28, 0, 8
	v_cmp_eq_u32_e32 vcc_lo, 0, v3
	s_delay_alu instid0(VALU_DEP_2) | instskip(SKIP_1) | instid1(VALU_DEP_1)
	v_cmp_lt_i16_e64 s13, -1, v2
	v_mov_b32_e32 v2, 0x7f800000
	v_cndmask_b32_e64 v2, 0xff800000, v2, s13
	s_delay_alu instid0(VALU_DEP_1)
	v_cndmask_b32_e32 v2, 0x7f800001, v2, vcc_lo
; %bb.29692:                            ;   in Loop: Header=BB6_27928 Depth=3
	s_or_b32 exec_lo, exec_lo, s74
.LBB6_29693:                            ;   in Loop: Header=BB6_27928 Depth=3
	s_delay_alu instid0(SALU_CYCLE_1)
	s_or_b32 exec_lo, exec_lo, s15
.LBB6_29694:                            ;   in Loop: Header=BB6_27928 Depth=3
	s_delay_alu instid0(SALU_CYCLE_1) | instskip(NEXT) | instid1(SALU_CYCLE_1)
	s_or_b32 exec_lo, exec_lo, s14
	s_mov_b32 s14, exec_lo
	s_wait_loadcnt_dscnt 0x1010
	v_cmpx_ne_u16_e32 0, v70
	s_cbranch_execz .LBB6_29704
; %bb.29695:                            ;   in Loop: Header=BB6_27928 Depth=3
	v_bfrev_b32_e32 v1, 1
	s_mov_b32 s15, exec_lo
	v_cmpx_ne_u16_e32 0xff80, v70
	s_cbranch_execz .LBB6_29703
; %bb.29696:                            ;   in Loop: Header=BB6_27928 Depth=3
	v_and_b32_e32 v1, 0x7c, v70
	v_and_b32_e32 v3, 3, v70
	s_delay_alu instid0(VALU_DEP_2) | instskip(SKIP_1) | instid1(SALU_CYCLE_1)
	v_cmp_ne_u32_e32 vcc_lo, 0x7c, v1
                                        ; implicit-def: $vgpr1
	s_and_saveexec_b32 s13, vcc_lo
	s_xor_b32 s13, exec_lo, s13
	s_cbranch_execz .LBB6_29700
; %bb.29697:                            ;   in Loop: Header=BB6_27928 Depth=3
	v_and_b32_e32 v1, 0xff, v70
	s_mov_b32 s74, exec_lo
	s_delay_alu instid0(VALU_DEP_1) | instskip(NEXT) | instid1(VALU_DEP_1)
	v_bfe_u32 v1, v1, 2, 5
	v_cmpx_eq_u32_e32 0, v1
	s_cbranch_execz .LBB6_29699
; %bb.29698:                            ;   in Loop: Header=BB6_27928 Depth=3
	v_clz_i32_u32_e32 v1, v3
	s_delay_alu instid0(VALU_DEP_1) | instskip(SKIP_1) | instid1(VALU_DEP_2)
	v_min_u32_e32 v1, 32, v1
	v_mov_b32_e32 v71, v113
	v_subrev_nc_u32_e32 v3, 29, v1
	v_sub_nc_u32_e32 v1, 30, v1
	s_delay_alu instid0(VALU_DEP_2) | instskip(NEXT) | instid1(VALU_DEP_1)
	v_lshlrev_b64_e32 v[14:15], v3, v[70:71]
	v_and_b32_e32 v3, 3, v14
.LBB6_29699:                            ;   in Loop: Header=BB6_27928 Depth=3
	s_or_b32 exec_lo, exec_lo, s74
	v_bfe_i32 v5, v70, 0, 16
                                        ; implicit-def: $vgpr70
	s_delay_alu instid0(VALU_DEP_1) | instskip(NEXT) | instid1(VALU_DEP_1)
	v_and_b32_e32 v5, 0x80000000, v5
	v_lshl_add_u32 v1, v1, 23, v5
	s_delay_alu instid0(VALU_DEP_1) | instskip(NEXT) | instid1(VALU_DEP_1)
	v_lshl_or_b32 v1, v3, 21, v1
                                        ; implicit-def: $vgpr3
	v_add_nc_u32_e32 v1, 0x38000000, v1
.LBB6_29700:                            ;   in Loop: Header=BB6_27928 Depth=3
	s_and_not1_saveexec_b32 s74, s13
; %bb.29701:                            ;   in Loop: Header=BB6_27928 Depth=3
	v_cmp_lt_i16_e64 s13, -1, v70
	v_mov_b32_e32 v1, 0x7f800000
	v_cmp_eq_u32_e32 vcc_lo, 0, v3
	s_delay_alu instid0(VALU_DEP_2) | instskip(NEXT) | instid1(VALU_DEP_1)
	v_cndmask_b32_e64 v1, 0xff800000, v1, s13
	v_cndmask_b32_e32 v1, 0x7f800001, v1, vcc_lo
; %bb.29702:                            ;   in Loop: Header=BB6_27928 Depth=3
	s_or_b32 exec_lo, exec_lo, s74
.LBB6_29703:                            ;   in Loop: Header=BB6_27928 Depth=3
	s_delay_alu instid0(SALU_CYCLE_1)
	s_or_b32 exec_lo, exec_lo, s15
.LBB6_29704:                            ;   in Loop: Header=BB6_27928 Depth=3
	s_delay_alu instid0(SALU_CYCLE_1) | instskip(NEXT) | instid1(VALU_DEP_1)
	s_or_b32 exec_lo, exec_lo, s14
	v_dual_add_f32 v5, v2, v1 :: v_dual_mov_b32 v3, v113
                                        ; implicit-def: $vgpr28
	s_delay_alu instid0(VALU_DEP_1) | instskip(NEXT) | instid1(VALU_DEP_1)
	v_and_b32_e32 v2, 0x7f800000, v5
	v_cmp_ne_u64_e32 vcc_lo, 0x7f800000, v[2:3]
	v_and_b32_e32 v2, 0x7fffff, v5
	s_and_saveexec_b32 s13, vcc_lo
	s_delay_alu instid0(SALU_CYCLE_1)
	s_xor_b32 s14, exec_lo, s13
	s_cbranch_execz .LBB6_29722
; %bb.29705:                            ;   in Loop: Header=BB6_27928 Depth=3
	v_dual_mov_b32 v15, v113 :: v_dual_lshrrev_b32 v1, 24, v5
	v_and_b32_e32 v14, 0x7fffffff, v5
                                        ; implicit-def: $vgpr28
	s_mov_b32 s13, exec_lo
	s_delay_alu instid0(VALU_DEP_2) | instskip(NEXT) | instid1(VALU_DEP_2)
	v_and_b32_e32 v1, 0x80, v1
	v_cmpx_gt_u64_e32 0x47600001, v[14:15]
	s_xor_b32 s15, exec_lo, s13
	s_cbranch_execz .LBB6_29719
; %bb.29706:                            ;   in Loop: Header=BB6_27928 Depth=3
	v_mov_b32_e32 v28, 0
	s_mov_b32 s74, exec_lo
	v_cmpx_ne_u32_e32 0, v5
	s_cbranch_execz .LBB6_29718
; %bb.29707:                            ;   in Loop: Header=BB6_27928 Depth=3
	v_bfe_u32 v5, v5, 23, 8
	v_or_b32_e32 v14, 0x800000, v2
	s_delay_alu instid0(VALU_DEP_2) | instskip(SKIP_1) | instid1(VALU_DEP_3)
	v_cmp_eq_u32_e32 vcc_lo, 0, v5
	v_cmp_gt_u32_e64 s13, 0x72, v5
	v_dual_cndmask_b32 v2, v14, v2 :: v_dual_sub_nc_u32 v7, 0x71, v5
	s_delay_alu instid0(VALU_DEP_1) | instskip(NEXT) | instid1(VALU_DEP_1)
	v_cndmask_b32_e64 v7, 0, v7, s13
	v_cndmask_b32_e64 v7, v7, 0x70, vcc_lo
	s_delay_alu instid0(VALU_DEP_1) | instskip(NEXT) | instid1(VALU_DEP_1)
	v_dual_add_nc_u32 v14, 21, v7 :: v_dual_add_nc_u32 v17, 20, v7
	v_lshlrev_b64_e64 v[14:15], v14, -1
	s_delay_alu instid0(VALU_DEP_2) | instskip(NEXT) | instid1(VALU_DEP_2)
	v_lshlrev_b64_e64 v[28:29], v17, 1
	v_bfi_b32 v14, v14, 0, v2
	v_lshrrev_b64 v[2:3], v7, v[2:3]
	s_delay_alu instid0(VALU_DEP_4) | instskip(NEXT) | instid1(VALU_DEP_1)
	v_bfi_b32 v15, v15, 0, 0
	v_cmp_eq_u64_e64 s13, v[14:15], v[28:29]
	s_delay_alu instid0(VALU_DEP_3)
	v_mov_b64_e32 v[14:15], v[2:3]
	s_and_saveexec_b32 s75, s13
; %bb.29708:                            ;   in Loop: Header=BB6_27928 Depth=3
	v_bfe_u32 v14, v2, 21, 1
	v_mov_b32_e32 v15, v113
	s_delay_alu instid0(VALU_DEP_1) | instskip(NEXT) | instid1(VALU_DEP_1)
	v_add_nc_u64_e32 v[14:15], v[2:3], v[14:15]
	v_add_nc_u64_e32 v[14:15], -1, v[14:15]
; %bb.29709:                            ;   in Loop: Header=BB6_27928 Depth=3
	s_or_b32 exec_lo, exec_lo, s75
	v_add_nc_u32_e32 v3, 0xffffff81, v5
	v_lshrrev_b32_e32 v5, 23, v2
	s_mov_b32 s13, exec_lo
	s_delay_alu instid0(VALU_DEP_2) | instskip(NEXT) | instid1(VALU_DEP_1)
	v_cndmask_b32_e64 v3, v3, 0xffffff82, vcc_lo
	v_add3_u32 v15, v7, v3, v5
	v_and_b32_e32 v3, 0x1fffff, v14
                                        ; implicit-def: $vgpr5
	s_delay_alu instid0(VALU_DEP_1) | instskip(SKIP_1) | instid1(VALU_DEP_2)
	v_dual_add_nc_u32 v7, 14, v15 :: v_dual_add_nc_u32 v2, v3, v2
	v_mov_b32_e32 v3, v113
	v_cmpx_ne_u32_e32 0, v7
	s_xor_b32 s13, exec_lo, s13
; %bb.29710:                            ;   in Loop: Header=BB6_27928 Depth=3
	s_delay_alu instid0(VALU_DEP_2) | instskip(SKIP_1) | instid1(VALU_DEP_1)
	v_cmp_lt_u64_e32 vcc_lo, 0xffffff, v[2:3]
	v_add_nc_u32_e32 v5, 15, v15
	v_cndmask_b32_e32 v5, v7, v5, vcc_lo
	v_cndmask_b32_e64 v7, 0, 1, vcc_lo
	s_delay_alu instid0(VALU_DEP_1)
	v_lshrrev_b64 v[2:3], v7, v[2:3]
; %bb.29711:                            ;   in Loop: Header=BB6_27928 Depth=3
	s_and_not1_saveexec_b32 s13, s13
; %bb.29712:                            ;   in Loop: Header=BB6_27928 Depth=3
	s_delay_alu instid0(VALU_DEP_1)
	v_bfe_u32 v5, v2, 23, 1
; %bb.29713:                            ;   in Loop: Header=BB6_27928 Depth=3
	s_or_b32 exec_lo, exec_lo, s13
	s_delay_alu instid0(VALU_DEP_2) | instskip(NEXT) | instid1(VALU_DEP_2)
	v_lshrrev_b64 v[2:3], 21, v[2:3]
	v_cmp_gt_i32_e32 vcc_lo, 32, v5
	v_cmp_ne_u32_e64 s13, 0, v5
                                        ; implicit-def: $vgpr28
	s_delay_alu instid0(VALU_DEP_3) | instskip(NEXT) | instid1(VALU_DEP_1)
	v_dual_cndmask_b32 v3, 0, v3 :: v_dual_cndmask_b32 v2, 3, v2
	v_cmp_ne_u64_e32 vcc_lo, 0, v[2:3]
	s_or_b32 s13, s13, vcc_lo
	s_delay_alu instid0(SALU_CYCLE_1) | instskip(NEXT) | instid1(SALU_CYCLE_1)
	s_and_saveexec_b32 s75, s13
	s_xor_b32 s13, exec_lo, s75
; %bb.29714:                            ;   in Loop: Header=BB6_27928 Depth=3
	v_min_i32_e32 v3, 31, v5
	s_delay_alu instid0(VALU_DEP_1) | instskip(NEXT) | instid1(VALU_DEP_1)
	v_lshl_or_b32 v1, v3, 2, v1
	v_and_or_b32 v28, v2, 3, v1
                                        ; implicit-def: $vgpr1
; %bb.29715:                            ;   in Loop: Header=BB6_27928 Depth=3
	s_and_not1_saveexec_b32 s13, s13
; %bb.29716:                            ;   in Loop: Header=BB6_27928 Depth=3
	v_mov_b32_e32 v28, v1
; %bb.29717:                            ;   in Loop: Header=BB6_27928 Depth=3
	s_or_b32 exec_lo, exec_lo, s13
.LBB6_29718:                            ;   in Loop: Header=BB6_27928 Depth=3
	s_delay_alu instid0(SALU_CYCLE_1)
	s_or_b32 exec_lo, exec_lo, s74
                                        ; implicit-def: $vgpr1
.LBB6_29719:                            ;   in Loop: Header=BB6_27928 Depth=3
	s_and_not1_saveexec_b32 s13, s15
; %bb.29720:                            ;   in Loop: Header=BB6_27928 Depth=3
	v_or_b32_e32 v28, 0x7b, v1
; %bb.29721:                            ;   in Loop: Header=BB6_27928 Depth=3
	s_or_b32 exec_lo, exec_lo, s13
                                        ; implicit-def: $vgpr5
                                        ; implicit-def: $vgpr2_vgpr3
.LBB6_29722:                            ;   in Loop: Header=BB6_27928 Depth=3
	s_and_not1_saveexec_b32 s13, s14
	s_cbranch_execz .LBB6_29728
; %bb.29723:                            ;   in Loop: Header=BB6_27928 Depth=3
	s_mov_b32 s14, exec_lo
                                        ; implicit-def: $vgpr28
	v_cmpx_ne_u64_e32 0, v[2:3]
	s_xor_b32 s14, exec_lo, s14
; %bb.29724:                            ;   in Loop: Header=BB6_27928 Depth=3
	v_lshrrev_b32_e32 v1, 24, v5
                                        ; implicit-def: $vgpr5
	s_delay_alu instid0(VALU_DEP_1)
	v_or_b32_e32 v28, 0x7f, v1
; %bb.29725:                            ;   in Loop: Header=BB6_27928 Depth=3
	s_and_not1_saveexec_b32 s14, s14
; %bb.29726:                            ;   in Loop: Header=BB6_27928 Depth=3
	v_cmp_lt_i32_e32 vcc_lo, -1, v5
	v_cndmask_b32_e64 v28, -4, 0x7c, vcc_lo
; %bb.29727:                            ;   in Loop: Header=BB6_27928 Depth=3
	s_or_b32 exec_lo, exec_lo, s14
.LBB6_29728:                            ;   in Loop: Header=BB6_27928 Depth=3
	s_delay_alu instid0(SALU_CYCLE_1) | instskip(SKIP_3) | instid1(VALU_DEP_2)
	s_or_b32 exec_lo, exec_lo, s13
	v_and_b32_e32 v5, 0xff, v108
	v_dual_mov_b32 v1, 0 :: v_dual_mov_b32 v2, 0
	s_mov_b32 s14, exec_lo
	v_cmpx_ne_u16_e32 0, v5
	s_cbranch_execz .LBB6_29738
; %bb.29729:                            ;   in Loop: Header=BB6_27928 Depth=3
	v_bfrev_b32_e32 v2, 1
	s_mov_b32 s15, exec_lo
	v_cmpx_ne_u16_e32 0x80, v5
	s_cbranch_execz .LBB6_29737
; %bb.29730:                            ;   in Loop: Header=BB6_27928 Depth=3
	v_and_b32_e32 v2, 0x7c, v108
	v_and_b32_e32 v3, 3, v108
	s_delay_alu instid0(VALU_DEP_2) | instskip(SKIP_1) | instid1(SALU_CYCLE_1)
	v_cmp_ne_u32_e32 vcc_lo, 0x7c, v2
                                        ; implicit-def: $vgpr2
	s_and_saveexec_b32 s13, vcc_lo
	s_xor_b32 s13, exec_lo, s13
	s_cbranch_execz .LBB6_29734
; %bb.29731:                            ;   in Loop: Header=BB6_27928 Depth=3
	v_bfe_u32 v2, v5, 2, 5
	s_mov_b32 s74, exec_lo
	s_delay_alu instid0(VALU_DEP_1)
	v_cmpx_eq_u32_e32 0, v2
	s_cbranch_execz .LBB6_29733
; %bb.29732:                            ;   in Loop: Header=BB6_27928 Depth=3
	v_clz_i32_u32_e32 v2, v3
	s_delay_alu instid0(VALU_DEP_1) | instskip(SKIP_1) | instid1(VALU_DEP_2)
	v_min_u32_e32 v2, 32, v2
	v_mov_b32_e32 v109, v113
	v_subrev_nc_u32_e32 v3, 29, v2
	v_sub_nc_u32_e32 v2, 30, v2
	s_delay_alu instid0(VALU_DEP_2) | instskip(NEXT) | instid1(VALU_DEP_1)
	v_lshlrev_b64_e32 v[14:15], v3, v[108:109]
	v_and_b32_e32 v3, 3, v14
.LBB6_29733:                            ;   in Loop: Header=BB6_27928 Depth=3
	s_or_b32 exec_lo, exec_lo, s74
	v_lshlrev_b32_e32 v5, 24, v108
                                        ; implicit-def: $vgpr108
	s_delay_alu instid0(VALU_DEP_1) | instskip(NEXT) | instid1(VALU_DEP_1)
	v_and_b32_e32 v5, 0x80000000, v5
	v_lshl_add_u32 v2, v2, 23, v5
	s_delay_alu instid0(VALU_DEP_1) | instskip(NEXT) | instid1(VALU_DEP_1)
	v_lshl_or_b32 v2, v3, 21, v2
                                        ; implicit-def: $vgpr3
	v_add_nc_u32_e32 v2, 0x38000000, v2
.LBB6_29734:                            ;   in Loop: Header=BB6_27928 Depth=3
	s_and_not1_saveexec_b32 s74, s13
; %bb.29735:                            ;   in Loop: Header=BB6_27928 Depth=3
	v_bfe_i32 v2, v108, 0, 8
	v_cmp_eq_u32_e32 vcc_lo, 0, v3
	s_delay_alu instid0(VALU_DEP_2) | instskip(SKIP_1) | instid1(VALU_DEP_1)
	v_cmp_lt_i16_e64 s13, -1, v2
	v_mov_b32_e32 v2, 0x7f800000
	v_cndmask_b32_e64 v2, 0xff800000, v2, s13
	s_delay_alu instid0(VALU_DEP_1)
	v_cndmask_b32_e32 v2, 0x7f800001, v2, vcc_lo
; %bb.29736:                            ;   in Loop: Header=BB6_27928 Depth=3
	s_or_b32 exec_lo, exec_lo, s74
.LBB6_29737:                            ;   in Loop: Header=BB6_27928 Depth=3
	s_delay_alu instid0(SALU_CYCLE_1)
	s_or_b32 exec_lo, exec_lo, s15
.LBB6_29738:                            ;   in Loop: Header=BB6_27928 Depth=3
	s_delay_alu instid0(SALU_CYCLE_1) | instskip(NEXT) | instid1(SALU_CYCLE_1)
	s_or_b32 exec_lo, exec_lo, s14
	s_mov_b32 s14, exec_lo
	s_wait_loadcnt_dscnt 0xf0f
	v_cmpx_ne_u16_e32 0, v98
	s_cbranch_execz .LBB6_29748
; %bb.29739:                            ;   in Loop: Header=BB6_27928 Depth=3
	v_bfrev_b32_e32 v1, 1
	s_mov_b32 s15, exec_lo
	v_cmpx_ne_u16_e32 0xff80, v98
	s_cbranch_execz .LBB6_29747
; %bb.29740:                            ;   in Loop: Header=BB6_27928 Depth=3
	v_and_b32_e32 v1, 0x7c, v98
	v_and_b32_e32 v3, 3, v98
	s_delay_alu instid0(VALU_DEP_2) | instskip(SKIP_1) | instid1(SALU_CYCLE_1)
	v_cmp_ne_u32_e32 vcc_lo, 0x7c, v1
                                        ; implicit-def: $vgpr1
	s_and_saveexec_b32 s13, vcc_lo
	s_xor_b32 s13, exec_lo, s13
	s_cbranch_execz .LBB6_29744
; %bb.29741:                            ;   in Loop: Header=BB6_27928 Depth=3
	v_and_b32_e32 v1, 0xff, v98
	s_mov_b32 s74, exec_lo
	s_delay_alu instid0(VALU_DEP_1) | instskip(NEXT) | instid1(VALU_DEP_1)
	v_bfe_u32 v1, v1, 2, 5
	v_cmpx_eq_u32_e32 0, v1
	s_cbranch_execz .LBB6_29743
; %bb.29742:                            ;   in Loop: Header=BB6_27928 Depth=3
	v_clz_i32_u32_e32 v1, v3
	s_delay_alu instid0(VALU_DEP_1) | instskip(SKIP_1) | instid1(VALU_DEP_2)
	v_min_u32_e32 v1, 32, v1
	v_mov_b32_e32 v99, v113
	v_subrev_nc_u32_e32 v3, 29, v1
	v_sub_nc_u32_e32 v1, 30, v1
	s_delay_alu instid0(VALU_DEP_2) | instskip(NEXT) | instid1(VALU_DEP_1)
	v_lshlrev_b64_e32 v[14:15], v3, v[98:99]
	v_and_b32_e32 v3, 3, v14
.LBB6_29743:                            ;   in Loop: Header=BB6_27928 Depth=3
	s_or_b32 exec_lo, exec_lo, s74
	v_bfe_i32 v5, v98, 0, 16
                                        ; implicit-def: $vgpr98
	s_delay_alu instid0(VALU_DEP_1) | instskip(NEXT) | instid1(VALU_DEP_1)
	v_and_b32_e32 v5, 0x80000000, v5
	v_lshl_add_u32 v1, v1, 23, v5
	s_delay_alu instid0(VALU_DEP_1) | instskip(NEXT) | instid1(VALU_DEP_1)
	v_lshl_or_b32 v1, v3, 21, v1
                                        ; implicit-def: $vgpr3
	v_add_nc_u32_e32 v1, 0x38000000, v1
.LBB6_29744:                            ;   in Loop: Header=BB6_27928 Depth=3
	s_and_not1_saveexec_b32 s74, s13
; %bb.29745:                            ;   in Loop: Header=BB6_27928 Depth=3
	v_cmp_lt_i16_e64 s13, -1, v98
	v_mov_b32_e32 v1, 0x7f800000
	v_cmp_eq_u32_e32 vcc_lo, 0, v3
	s_delay_alu instid0(VALU_DEP_2) | instskip(NEXT) | instid1(VALU_DEP_1)
	v_cndmask_b32_e64 v1, 0xff800000, v1, s13
	v_cndmask_b32_e32 v1, 0x7f800001, v1, vcc_lo
; %bb.29746:                            ;   in Loop: Header=BB6_27928 Depth=3
	s_or_b32 exec_lo, exec_lo, s74
.LBB6_29747:                            ;   in Loop: Header=BB6_27928 Depth=3
	s_delay_alu instid0(SALU_CYCLE_1)
	s_or_b32 exec_lo, exec_lo, s15
.LBB6_29748:                            ;   in Loop: Header=BB6_27928 Depth=3
	s_delay_alu instid0(SALU_CYCLE_1) | instskip(NEXT) | instid1(VALU_DEP_1)
	s_or_b32 exec_lo, exec_lo, s14
	v_dual_add_f32 v5, v2, v1 :: v_dual_mov_b32 v3, v113
                                        ; implicit-def: $vgpr29
	s_delay_alu instid0(VALU_DEP_1) | instskip(NEXT) | instid1(VALU_DEP_1)
	v_and_b32_e32 v2, 0x7f800000, v5
	v_cmp_ne_u64_e32 vcc_lo, 0x7f800000, v[2:3]
	v_and_b32_e32 v2, 0x7fffff, v5
	s_and_saveexec_b32 s13, vcc_lo
	s_delay_alu instid0(SALU_CYCLE_1)
	s_xor_b32 s14, exec_lo, s13
	s_cbranch_execz .LBB6_29766
; %bb.29749:                            ;   in Loop: Header=BB6_27928 Depth=3
	v_dual_mov_b32 v15, v113 :: v_dual_lshrrev_b32 v1, 24, v5
	v_and_b32_e32 v14, 0x7fffffff, v5
                                        ; implicit-def: $vgpr29
	s_mov_b32 s13, exec_lo
	s_delay_alu instid0(VALU_DEP_2) | instskip(NEXT) | instid1(VALU_DEP_2)
	v_and_b32_e32 v1, 0x80, v1
	v_cmpx_gt_u64_e32 0x47600001, v[14:15]
	s_xor_b32 s15, exec_lo, s13
	s_cbranch_execz .LBB6_29763
; %bb.29750:                            ;   in Loop: Header=BB6_27928 Depth=3
	v_mov_b32_e32 v29, 0
	s_mov_b32 s74, exec_lo
	v_cmpx_ne_u32_e32 0, v5
	s_cbranch_execz .LBB6_29762
; %bb.29751:                            ;   in Loop: Header=BB6_27928 Depth=3
	v_bfe_u32 v5, v5, 23, 8
	v_or_b32_e32 v14, 0x800000, v2
	s_delay_alu instid0(VALU_DEP_2) | instskip(SKIP_1) | instid1(VALU_DEP_3)
	v_cmp_eq_u32_e32 vcc_lo, 0, v5
	v_cmp_gt_u32_e64 s13, 0x72, v5
	v_dual_cndmask_b32 v2, v14, v2 :: v_dual_sub_nc_u32 v7, 0x71, v5
	s_delay_alu instid0(VALU_DEP_1) | instskip(NEXT) | instid1(VALU_DEP_1)
	v_cndmask_b32_e64 v7, 0, v7, s13
	v_cndmask_b32_e64 v7, v7, 0x70, vcc_lo
	s_delay_alu instid0(VALU_DEP_1) | instskip(NEXT) | instid1(VALU_DEP_1)
	v_dual_add_nc_u32 v14, 21, v7 :: v_dual_add_nc_u32 v17, 20, v7
	v_lshlrev_b64_e64 v[14:15], v14, -1
	s_delay_alu instid0(VALU_DEP_2) | instskip(NEXT) | instid1(VALU_DEP_2)
	v_lshlrev_b64_e64 v[30:31], v17, 1
	v_bfi_b32 v14, v14, 0, v2
	v_lshrrev_b64 v[2:3], v7, v[2:3]
	s_delay_alu instid0(VALU_DEP_4) | instskip(NEXT) | instid1(VALU_DEP_1)
	v_bfi_b32 v15, v15, 0, 0
	v_cmp_eq_u64_e64 s13, v[14:15], v[30:31]
	s_delay_alu instid0(VALU_DEP_3)
	v_mov_b64_e32 v[14:15], v[2:3]
	s_and_saveexec_b32 s75, s13
; %bb.29752:                            ;   in Loop: Header=BB6_27928 Depth=3
	v_bfe_u32 v14, v2, 21, 1
	v_mov_b32_e32 v15, v113
	s_delay_alu instid0(VALU_DEP_1) | instskip(NEXT) | instid1(VALU_DEP_1)
	v_add_nc_u64_e32 v[14:15], v[2:3], v[14:15]
	v_add_nc_u64_e32 v[14:15], -1, v[14:15]
; %bb.29753:                            ;   in Loop: Header=BB6_27928 Depth=3
	s_or_b32 exec_lo, exec_lo, s75
	v_add_nc_u32_e32 v3, 0xffffff81, v5
	v_lshrrev_b32_e32 v5, 23, v2
	s_mov_b32 s13, exec_lo
	s_delay_alu instid0(VALU_DEP_2) | instskip(NEXT) | instid1(VALU_DEP_1)
	v_cndmask_b32_e64 v3, v3, 0xffffff82, vcc_lo
	v_add3_u32 v15, v7, v3, v5
	v_and_b32_e32 v3, 0x1fffff, v14
                                        ; implicit-def: $vgpr5
	s_delay_alu instid0(VALU_DEP_1) | instskip(SKIP_1) | instid1(VALU_DEP_2)
	v_dual_add_nc_u32 v7, 14, v15 :: v_dual_add_nc_u32 v2, v3, v2
	v_mov_b32_e32 v3, v113
	v_cmpx_ne_u32_e32 0, v7
	s_xor_b32 s13, exec_lo, s13
; %bb.29754:                            ;   in Loop: Header=BB6_27928 Depth=3
	s_delay_alu instid0(VALU_DEP_2) | instskip(SKIP_1) | instid1(VALU_DEP_1)
	v_cmp_lt_u64_e32 vcc_lo, 0xffffff, v[2:3]
	v_add_nc_u32_e32 v5, 15, v15
	v_cndmask_b32_e32 v5, v7, v5, vcc_lo
	v_cndmask_b32_e64 v7, 0, 1, vcc_lo
	s_delay_alu instid0(VALU_DEP_1)
	v_lshrrev_b64 v[2:3], v7, v[2:3]
; %bb.29755:                            ;   in Loop: Header=BB6_27928 Depth=3
	s_and_not1_saveexec_b32 s13, s13
; %bb.29756:                            ;   in Loop: Header=BB6_27928 Depth=3
	s_delay_alu instid0(VALU_DEP_1)
	v_bfe_u32 v5, v2, 23, 1
; %bb.29757:                            ;   in Loop: Header=BB6_27928 Depth=3
	s_or_b32 exec_lo, exec_lo, s13
	s_delay_alu instid0(VALU_DEP_2) | instskip(NEXT) | instid1(VALU_DEP_2)
	v_lshrrev_b64 v[2:3], 21, v[2:3]
	v_cmp_gt_i32_e32 vcc_lo, 32, v5
	v_cmp_ne_u32_e64 s13, 0, v5
                                        ; implicit-def: $vgpr29
	s_delay_alu instid0(VALU_DEP_3) | instskip(NEXT) | instid1(VALU_DEP_1)
	v_dual_cndmask_b32 v3, 0, v3 :: v_dual_cndmask_b32 v2, 3, v2
	v_cmp_ne_u64_e32 vcc_lo, 0, v[2:3]
	s_or_b32 s13, s13, vcc_lo
	s_delay_alu instid0(SALU_CYCLE_1) | instskip(NEXT) | instid1(SALU_CYCLE_1)
	s_and_saveexec_b32 s75, s13
	s_xor_b32 s13, exec_lo, s75
; %bb.29758:                            ;   in Loop: Header=BB6_27928 Depth=3
	v_min_i32_e32 v3, 31, v5
	s_delay_alu instid0(VALU_DEP_1) | instskip(NEXT) | instid1(VALU_DEP_1)
	v_lshl_or_b32 v1, v3, 2, v1
	v_and_or_b32 v29, v2, 3, v1
                                        ; implicit-def: $vgpr1
; %bb.29759:                            ;   in Loop: Header=BB6_27928 Depth=3
	s_and_not1_saveexec_b32 s13, s13
; %bb.29760:                            ;   in Loop: Header=BB6_27928 Depth=3
	v_mov_b32_e32 v29, v1
; %bb.29761:                            ;   in Loop: Header=BB6_27928 Depth=3
	s_or_b32 exec_lo, exec_lo, s13
.LBB6_29762:                            ;   in Loop: Header=BB6_27928 Depth=3
	s_delay_alu instid0(SALU_CYCLE_1)
	s_or_b32 exec_lo, exec_lo, s74
                                        ; implicit-def: $vgpr1
.LBB6_29763:                            ;   in Loop: Header=BB6_27928 Depth=3
	s_and_not1_saveexec_b32 s13, s15
; %bb.29764:                            ;   in Loop: Header=BB6_27928 Depth=3
	v_or_b32_e32 v29, 0x7b, v1
; %bb.29765:                            ;   in Loop: Header=BB6_27928 Depth=3
	s_or_b32 exec_lo, exec_lo, s13
                                        ; implicit-def: $vgpr5
                                        ; implicit-def: $vgpr2_vgpr3
.LBB6_29766:                            ;   in Loop: Header=BB6_27928 Depth=3
	s_and_not1_saveexec_b32 s13, s14
	s_cbranch_execz .LBB6_29772
; %bb.29767:                            ;   in Loop: Header=BB6_27928 Depth=3
	s_mov_b32 s14, exec_lo
                                        ; implicit-def: $vgpr29
	v_cmpx_ne_u64_e32 0, v[2:3]
	s_xor_b32 s14, exec_lo, s14
; %bb.29768:                            ;   in Loop: Header=BB6_27928 Depth=3
	v_lshrrev_b32_e32 v1, 24, v5
                                        ; implicit-def: $vgpr5
	s_delay_alu instid0(VALU_DEP_1)
	v_or_b32_e32 v29, 0x7f, v1
; %bb.29769:                            ;   in Loop: Header=BB6_27928 Depth=3
	s_and_not1_saveexec_b32 s14, s14
; %bb.29770:                            ;   in Loop: Header=BB6_27928 Depth=3
	v_cmp_lt_i32_e32 vcc_lo, -1, v5
	v_cndmask_b32_e64 v29, -4, 0x7c, vcc_lo
; %bb.29771:                            ;   in Loop: Header=BB6_27928 Depth=3
	s_or_b32 exec_lo, exec_lo, s14
.LBB6_29772:                            ;   in Loop: Header=BB6_27928 Depth=3
	s_delay_alu instid0(SALU_CYCLE_1) | instskip(SKIP_3) | instid1(VALU_DEP_2)
	s_or_b32 exec_lo, exec_lo, s13
	v_and_b32_e32 v5, 0xff, v106
	v_dual_mov_b32 v1, 0 :: v_dual_mov_b32 v2, 0
	s_mov_b32 s14, exec_lo
	v_cmpx_ne_u16_e32 0, v5
	s_cbranch_execz .LBB6_29782
; %bb.29773:                            ;   in Loop: Header=BB6_27928 Depth=3
	v_bfrev_b32_e32 v2, 1
	s_mov_b32 s15, exec_lo
	v_cmpx_ne_u16_e32 0x80, v5
	s_cbranch_execz .LBB6_29781
; %bb.29774:                            ;   in Loop: Header=BB6_27928 Depth=3
	v_and_b32_e32 v2, 0x7c, v106
	v_and_b32_e32 v3, 3, v106
	s_delay_alu instid0(VALU_DEP_2) | instskip(SKIP_1) | instid1(SALU_CYCLE_1)
	v_cmp_ne_u32_e32 vcc_lo, 0x7c, v2
                                        ; implicit-def: $vgpr2
	s_and_saveexec_b32 s13, vcc_lo
	s_xor_b32 s13, exec_lo, s13
	s_cbranch_execz .LBB6_29778
; %bb.29775:                            ;   in Loop: Header=BB6_27928 Depth=3
	v_bfe_u32 v2, v5, 2, 5
	s_mov_b32 s74, exec_lo
	s_delay_alu instid0(VALU_DEP_1)
	v_cmpx_eq_u32_e32 0, v2
	s_cbranch_execz .LBB6_29777
; %bb.29776:                            ;   in Loop: Header=BB6_27928 Depth=3
	v_clz_i32_u32_e32 v2, v3
	s_delay_alu instid0(VALU_DEP_1) | instskip(SKIP_1) | instid1(VALU_DEP_2)
	v_min_u32_e32 v2, 32, v2
	v_mov_b32_e32 v107, v113
	v_subrev_nc_u32_e32 v3, 29, v2
	v_sub_nc_u32_e32 v2, 30, v2
	s_delay_alu instid0(VALU_DEP_2) | instskip(NEXT) | instid1(VALU_DEP_1)
	v_lshlrev_b64_e32 v[14:15], v3, v[106:107]
	v_and_b32_e32 v3, 3, v14
.LBB6_29777:                            ;   in Loop: Header=BB6_27928 Depth=3
	s_or_b32 exec_lo, exec_lo, s74
	v_lshlrev_b32_e32 v5, 24, v106
                                        ; implicit-def: $vgpr106
	s_delay_alu instid0(VALU_DEP_1) | instskip(NEXT) | instid1(VALU_DEP_1)
	v_and_b32_e32 v5, 0x80000000, v5
	v_lshl_add_u32 v2, v2, 23, v5
	s_delay_alu instid0(VALU_DEP_1) | instskip(NEXT) | instid1(VALU_DEP_1)
	v_lshl_or_b32 v2, v3, 21, v2
                                        ; implicit-def: $vgpr3
	v_add_nc_u32_e32 v2, 0x38000000, v2
.LBB6_29778:                            ;   in Loop: Header=BB6_27928 Depth=3
	s_and_not1_saveexec_b32 s74, s13
; %bb.29779:                            ;   in Loop: Header=BB6_27928 Depth=3
	v_bfe_i32 v2, v106, 0, 8
	v_cmp_eq_u32_e32 vcc_lo, 0, v3
	s_delay_alu instid0(VALU_DEP_2) | instskip(SKIP_1) | instid1(VALU_DEP_1)
	v_cmp_lt_i16_e64 s13, -1, v2
	v_mov_b32_e32 v2, 0x7f800000
	v_cndmask_b32_e64 v2, 0xff800000, v2, s13
	s_delay_alu instid0(VALU_DEP_1)
	v_cndmask_b32_e32 v2, 0x7f800001, v2, vcc_lo
; %bb.29780:                            ;   in Loop: Header=BB6_27928 Depth=3
	s_or_b32 exec_lo, exec_lo, s74
.LBB6_29781:                            ;   in Loop: Header=BB6_27928 Depth=3
	s_delay_alu instid0(SALU_CYCLE_1)
	s_or_b32 exec_lo, exec_lo, s15
.LBB6_29782:                            ;   in Loop: Header=BB6_27928 Depth=3
	s_delay_alu instid0(SALU_CYCLE_1) | instskip(NEXT) | instid1(SALU_CYCLE_1)
	s_or_b32 exec_lo, exec_lo, s14
	s_mov_b32 s14, exec_lo
	s_wait_loadcnt_dscnt 0xe0e
	v_cmpx_ne_u16_e32 0, v68
	s_cbranch_execz .LBB6_29792
; %bb.29783:                            ;   in Loop: Header=BB6_27928 Depth=3
	v_bfrev_b32_e32 v1, 1
	s_mov_b32 s15, exec_lo
	v_cmpx_ne_u16_e32 0xff80, v68
	s_cbranch_execz .LBB6_29791
; %bb.29784:                            ;   in Loop: Header=BB6_27928 Depth=3
	v_and_b32_e32 v1, 0x7c, v68
	v_and_b32_e32 v3, 3, v68
	s_delay_alu instid0(VALU_DEP_2) | instskip(SKIP_1) | instid1(SALU_CYCLE_1)
	v_cmp_ne_u32_e32 vcc_lo, 0x7c, v1
                                        ; implicit-def: $vgpr1
	s_and_saveexec_b32 s13, vcc_lo
	s_xor_b32 s13, exec_lo, s13
	s_cbranch_execz .LBB6_29788
; %bb.29785:                            ;   in Loop: Header=BB6_27928 Depth=3
	v_and_b32_e32 v1, 0xff, v68
	s_mov_b32 s74, exec_lo
	s_delay_alu instid0(VALU_DEP_1) | instskip(NEXT) | instid1(VALU_DEP_1)
	v_bfe_u32 v1, v1, 2, 5
	v_cmpx_eq_u32_e32 0, v1
	s_cbranch_execz .LBB6_29787
; %bb.29786:                            ;   in Loop: Header=BB6_27928 Depth=3
	v_clz_i32_u32_e32 v1, v3
	s_delay_alu instid0(VALU_DEP_1) | instskip(SKIP_1) | instid1(VALU_DEP_2)
	v_min_u32_e32 v1, 32, v1
	v_mov_b32_e32 v69, v113
	v_subrev_nc_u32_e32 v3, 29, v1
	v_sub_nc_u32_e32 v1, 30, v1
	s_delay_alu instid0(VALU_DEP_2) | instskip(NEXT) | instid1(VALU_DEP_1)
	v_lshlrev_b64_e32 v[14:15], v3, v[68:69]
	v_and_b32_e32 v3, 3, v14
.LBB6_29787:                            ;   in Loop: Header=BB6_27928 Depth=3
	s_or_b32 exec_lo, exec_lo, s74
	v_bfe_i32 v5, v68, 0, 16
                                        ; implicit-def: $vgpr68
	s_delay_alu instid0(VALU_DEP_1) | instskip(NEXT) | instid1(VALU_DEP_1)
	v_and_b32_e32 v5, 0x80000000, v5
	v_lshl_add_u32 v1, v1, 23, v5
	s_delay_alu instid0(VALU_DEP_1) | instskip(NEXT) | instid1(VALU_DEP_1)
	v_lshl_or_b32 v1, v3, 21, v1
                                        ; implicit-def: $vgpr3
	v_add_nc_u32_e32 v1, 0x38000000, v1
.LBB6_29788:                            ;   in Loop: Header=BB6_27928 Depth=3
	s_and_not1_saveexec_b32 s74, s13
; %bb.29789:                            ;   in Loop: Header=BB6_27928 Depth=3
	v_cmp_lt_i16_e64 s13, -1, v68
	v_mov_b32_e32 v1, 0x7f800000
	v_cmp_eq_u32_e32 vcc_lo, 0, v3
	s_delay_alu instid0(VALU_DEP_2) | instskip(NEXT) | instid1(VALU_DEP_1)
	v_cndmask_b32_e64 v1, 0xff800000, v1, s13
	v_cndmask_b32_e32 v1, 0x7f800001, v1, vcc_lo
; %bb.29790:                            ;   in Loop: Header=BB6_27928 Depth=3
	s_or_b32 exec_lo, exec_lo, s74
.LBB6_29791:                            ;   in Loop: Header=BB6_27928 Depth=3
	s_delay_alu instid0(SALU_CYCLE_1)
	s_or_b32 exec_lo, exec_lo, s15
.LBB6_29792:                            ;   in Loop: Header=BB6_27928 Depth=3
	s_delay_alu instid0(SALU_CYCLE_1) | instskip(NEXT) | instid1(VALU_DEP_1)
	s_or_b32 exec_lo, exec_lo, s14
	v_dual_add_f32 v5, v2, v1 :: v_dual_mov_b32 v3, v113
                                        ; implicit-def: $vgpr30
	s_delay_alu instid0(VALU_DEP_1) | instskip(NEXT) | instid1(VALU_DEP_1)
	v_and_b32_e32 v2, 0x7f800000, v5
	v_cmp_ne_u64_e32 vcc_lo, 0x7f800000, v[2:3]
	v_and_b32_e32 v2, 0x7fffff, v5
	s_and_saveexec_b32 s13, vcc_lo
	s_delay_alu instid0(SALU_CYCLE_1)
	s_xor_b32 s14, exec_lo, s13
	s_cbranch_execz .LBB6_29810
; %bb.29793:                            ;   in Loop: Header=BB6_27928 Depth=3
	v_dual_mov_b32 v15, v113 :: v_dual_lshrrev_b32 v1, 24, v5
	v_and_b32_e32 v14, 0x7fffffff, v5
                                        ; implicit-def: $vgpr30
	s_mov_b32 s13, exec_lo
	s_delay_alu instid0(VALU_DEP_2) | instskip(NEXT) | instid1(VALU_DEP_2)
	v_and_b32_e32 v1, 0x80, v1
	v_cmpx_gt_u64_e32 0x47600001, v[14:15]
	s_xor_b32 s15, exec_lo, s13
	s_cbranch_execz .LBB6_29807
; %bb.29794:                            ;   in Loop: Header=BB6_27928 Depth=3
	v_mov_b32_e32 v30, 0
	s_mov_b32 s74, exec_lo
	v_cmpx_ne_u32_e32 0, v5
	s_cbranch_execz .LBB6_29806
; %bb.29795:                            ;   in Loop: Header=BB6_27928 Depth=3
	v_bfe_u32 v5, v5, 23, 8
	v_or_b32_e32 v14, 0x800000, v2
	s_delay_alu instid0(VALU_DEP_2) | instskip(SKIP_1) | instid1(VALU_DEP_3)
	v_cmp_eq_u32_e32 vcc_lo, 0, v5
	v_cmp_gt_u32_e64 s13, 0x72, v5
	v_dual_cndmask_b32 v2, v14, v2 :: v_dual_sub_nc_u32 v7, 0x71, v5
	s_delay_alu instid0(VALU_DEP_1) | instskip(NEXT) | instid1(VALU_DEP_1)
	v_cndmask_b32_e64 v7, 0, v7, s13
	v_cndmask_b32_e64 v7, v7, 0x70, vcc_lo
	s_delay_alu instid0(VALU_DEP_1) | instskip(NEXT) | instid1(VALU_DEP_1)
	v_dual_add_nc_u32 v14, 21, v7 :: v_dual_add_nc_u32 v17, 20, v7
	v_lshlrev_b64_e64 v[14:15], v14, -1
	s_delay_alu instid0(VALU_DEP_2) | instskip(NEXT) | instid1(VALU_DEP_2)
	v_lshlrev_b64_e64 v[30:31], v17, 1
	v_bfi_b32 v14, v14, 0, v2
	v_lshrrev_b64 v[2:3], v7, v[2:3]
	s_delay_alu instid0(VALU_DEP_4) | instskip(NEXT) | instid1(VALU_DEP_1)
	v_bfi_b32 v15, v15, 0, 0
	v_cmp_eq_u64_e64 s13, v[14:15], v[30:31]
	s_delay_alu instid0(VALU_DEP_3)
	v_mov_b64_e32 v[14:15], v[2:3]
	s_and_saveexec_b32 s75, s13
; %bb.29796:                            ;   in Loop: Header=BB6_27928 Depth=3
	v_bfe_u32 v14, v2, 21, 1
	v_mov_b32_e32 v15, v113
	s_delay_alu instid0(VALU_DEP_1) | instskip(NEXT) | instid1(VALU_DEP_1)
	v_add_nc_u64_e32 v[14:15], v[2:3], v[14:15]
	v_add_nc_u64_e32 v[14:15], -1, v[14:15]
; %bb.29797:                            ;   in Loop: Header=BB6_27928 Depth=3
	s_or_b32 exec_lo, exec_lo, s75
	v_add_nc_u32_e32 v3, 0xffffff81, v5
	v_lshrrev_b32_e32 v5, 23, v2
	s_mov_b32 s13, exec_lo
	s_delay_alu instid0(VALU_DEP_2) | instskip(NEXT) | instid1(VALU_DEP_1)
	v_cndmask_b32_e64 v3, v3, 0xffffff82, vcc_lo
	v_add3_u32 v15, v7, v3, v5
	v_and_b32_e32 v3, 0x1fffff, v14
                                        ; implicit-def: $vgpr5
	s_delay_alu instid0(VALU_DEP_1) | instskip(SKIP_1) | instid1(VALU_DEP_2)
	v_dual_add_nc_u32 v7, 14, v15 :: v_dual_add_nc_u32 v2, v3, v2
	v_mov_b32_e32 v3, v113
	v_cmpx_ne_u32_e32 0, v7
	s_xor_b32 s13, exec_lo, s13
; %bb.29798:                            ;   in Loop: Header=BB6_27928 Depth=3
	s_delay_alu instid0(VALU_DEP_2) | instskip(SKIP_1) | instid1(VALU_DEP_1)
	v_cmp_lt_u64_e32 vcc_lo, 0xffffff, v[2:3]
	v_add_nc_u32_e32 v5, 15, v15
	v_cndmask_b32_e32 v5, v7, v5, vcc_lo
	v_cndmask_b32_e64 v7, 0, 1, vcc_lo
	s_delay_alu instid0(VALU_DEP_1)
	v_lshrrev_b64 v[2:3], v7, v[2:3]
; %bb.29799:                            ;   in Loop: Header=BB6_27928 Depth=3
	s_and_not1_saveexec_b32 s13, s13
; %bb.29800:                            ;   in Loop: Header=BB6_27928 Depth=3
	s_delay_alu instid0(VALU_DEP_1)
	v_bfe_u32 v5, v2, 23, 1
; %bb.29801:                            ;   in Loop: Header=BB6_27928 Depth=3
	s_or_b32 exec_lo, exec_lo, s13
	s_delay_alu instid0(VALU_DEP_2) | instskip(NEXT) | instid1(VALU_DEP_2)
	v_lshrrev_b64 v[2:3], 21, v[2:3]
	v_cmp_gt_i32_e32 vcc_lo, 32, v5
	v_cmp_ne_u32_e64 s13, 0, v5
                                        ; implicit-def: $vgpr30
	s_delay_alu instid0(VALU_DEP_3) | instskip(NEXT) | instid1(VALU_DEP_1)
	v_dual_cndmask_b32 v3, 0, v3 :: v_dual_cndmask_b32 v2, 3, v2
	v_cmp_ne_u64_e32 vcc_lo, 0, v[2:3]
	s_or_b32 s13, s13, vcc_lo
	s_delay_alu instid0(SALU_CYCLE_1) | instskip(NEXT) | instid1(SALU_CYCLE_1)
	s_and_saveexec_b32 s75, s13
	s_xor_b32 s13, exec_lo, s75
; %bb.29802:                            ;   in Loop: Header=BB6_27928 Depth=3
	v_min_i32_e32 v3, 31, v5
	s_delay_alu instid0(VALU_DEP_1) | instskip(NEXT) | instid1(VALU_DEP_1)
	v_lshl_or_b32 v1, v3, 2, v1
	v_and_or_b32 v30, v2, 3, v1
                                        ; implicit-def: $vgpr1
; %bb.29803:                            ;   in Loop: Header=BB6_27928 Depth=3
	s_and_not1_saveexec_b32 s13, s13
; %bb.29804:                            ;   in Loop: Header=BB6_27928 Depth=3
	v_mov_b32_e32 v30, v1
; %bb.29805:                            ;   in Loop: Header=BB6_27928 Depth=3
	s_or_b32 exec_lo, exec_lo, s13
.LBB6_29806:                            ;   in Loop: Header=BB6_27928 Depth=3
	s_delay_alu instid0(SALU_CYCLE_1)
	s_or_b32 exec_lo, exec_lo, s74
                                        ; implicit-def: $vgpr1
.LBB6_29807:                            ;   in Loop: Header=BB6_27928 Depth=3
	s_and_not1_saveexec_b32 s13, s15
; %bb.29808:                            ;   in Loop: Header=BB6_27928 Depth=3
	v_or_b32_e32 v30, 0x7b, v1
; %bb.29809:                            ;   in Loop: Header=BB6_27928 Depth=3
	s_or_b32 exec_lo, exec_lo, s13
                                        ; implicit-def: $vgpr5
                                        ; implicit-def: $vgpr2_vgpr3
.LBB6_29810:                            ;   in Loop: Header=BB6_27928 Depth=3
	s_and_not1_saveexec_b32 s13, s14
	s_cbranch_execz .LBB6_29816
; %bb.29811:                            ;   in Loop: Header=BB6_27928 Depth=3
	s_mov_b32 s14, exec_lo
                                        ; implicit-def: $vgpr30
	v_cmpx_ne_u64_e32 0, v[2:3]
	s_xor_b32 s14, exec_lo, s14
; %bb.29812:                            ;   in Loop: Header=BB6_27928 Depth=3
	v_lshrrev_b32_e32 v1, 24, v5
                                        ; implicit-def: $vgpr5
	s_delay_alu instid0(VALU_DEP_1)
	v_or_b32_e32 v30, 0x7f, v1
; %bb.29813:                            ;   in Loop: Header=BB6_27928 Depth=3
	s_and_not1_saveexec_b32 s14, s14
; %bb.29814:                            ;   in Loop: Header=BB6_27928 Depth=3
	v_cmp_lt_i32_e32 vcc_lo, -1, v5
	v_cndmask_b32_e64 v30, -4, 0x7c, vcc_lo
; %bb.29815:                            ;   in Loop: Header=BB6_27928 Depth=3
	s_or_b32 exec_lo, exec_lo, s14
.LBB6_29816:                            ;   in Loop: Header=BB6_27928 Depth=3
	s_delay_alu instid0(SALU_CYCLE_1) | instskip(SKIP_3) | instid1(VALU_DEP_2)
	s_or_b32 exec_lo, exec_lo, s13
	v_and_b32_e32 v5, 0xff, v104
	v_dual_mov_b32 v1, 0 :: v_dual_mov_b32 v2, 0
	s_mov_b32 s14, exec_lo
	v_cmpx_ne_u16_e32 0, v5
	s_cbranch_execz .LBB6_29826
; %bb.29817:                            ;   in Loop: Header=BB6_27928 Depth=3
	v_bfrev_b32_e32 v2, 1
	s_mov_b32 s15, exec_lo
	v_cmpx_ne_u16_e32 0x80, v5
	s_cbranch_execz .LBB6_29825
; %bb.29818:                            ;   in Loop: Header=BB6_27928 Depth=3
	v_and_b32_e32 v2, 0x7c, v104
	v_and_b32_e32 v3, 3, v104
	s_delay_alu instid0(VALU_DEP_2) | instskip(SKIP_1) | instid1(SALU_CYCLE_1)
	v_cmp_ne_u32_e32 vcc_lo, 0x7c, v2
                                        ; implicit-def: $vgpr2
	s_and_saveexec_b32 s13, vcc_lo
	s_xor_b32 s13, exec_lo, s13
	s_cbranch_execz .LBB6_29822
; %bb.29819:                            ;   in Loop: Header=BB6_27928 Depth=3
	v_bfe_u32 v2, v5, 2, 5
	s_mov_b32 s74, exec_lo
	s_delay_alu instid0(VALU_DEP_1)
	v_cmpx_eq_u32_e32 0, v2
	s_cbranch_execz .LBB6_29821
; %bb.29820:                            ;   in Loop: Header=BB6_27928 Depth=3
	v_clz_i32_u32_e32 v2, v3
	s_delay_alu instid0(VALU_DEP_1) | instskip(SKIP_1) | instid1(VALU_DEP_2)
	v_min_u32_e32 v2, 32, v2
	v_mov_b32_e32 v105, v113
	v_subrev_nc_u32_e32 v3, 29, v2
	v_sub_nc_u32_e32 v2, 30, v2
	s_delay_alu instid0(VALU_DEP_2) | instskip(NEXT) | instid1(VALU_DEP_1)
	v_lshlrev_b64_e32 v[14:15], v3, v[104:105]
	v_and_b32_e32 v3, 3, v14
.LBB6_29821:                            ;   in Loop: Header=BB6_27928 Depth=3
	s_or_b32 exec_lo, exec_lo, s74
	v_lshlrev_b32_e32 v5, 24, v104
                                        ; implicit-def: $vgpr104
	s_delay_alu instid0(VALU_DEP_1) | instskip(NEXT) | instid1(VALU_DEP_1)
	v_and_b32_e32 v5, 0x80000000, v5
	v_lshl_add_u32 v2, v2, 23, v5
	s_delay_alu instid0(VALU_DEP_1) | instskip(NEXT) | instid1(VALU_DEP_1)
	v_lshl_or_b32 v2, v3, 21, v2
                                        ; implicit-def: $vgpr3
	v_add_nc_u32_e32 v2, 0x38000000, v2
.LBB6_29822:                            ;   in Loop: Header=BB6_27928 Depth=3
	s_and_not1_saveexec_b32 s74, s13
; %bb.29823:                            ;   in Loop: Header=BB6_27928 Depth=3
	v_bfe_i32 v2, v104, 0, 8
	v_cmp_eq_u32_e32 vcc_lo, 0, v3
	s_delay_alu instid0(VALU_DEP_2) | instskip(SKIP_1) | instid1(VALU_DEP_1)
	v_cmp_lt_i16_e64 s13, -1, v2
	v_mov_b32_e32 v2, 0x7f800000
	v_cndmask_b32_e64 v2, 0xff800000, v2, s13
	s_delay_alu instid0(VALU_DEP_1)
	v_cndmask_b32_e32 v2, 0x7f800001, v2, vcc_lo
; %bb.29824:                            ;   in Loop: Header=BB6_27928 Depth=3
	s_or_b32 exec_lo, exec_lo, s74
.LBB6_29825:                            ;   in Loop: Header=BB6_27928 Depth=3
	s_delay_alu instid0(SALU_CYCLE_1)
	s_or_b32 exec_lo, exec_lo, s15
.LBB6_29826:                            ;   in Loop: Header=BB6_27928 Depth=3
	s_delay_alu instid0(SALU_CYCLE_1) | instskip(NEXT) | instid1(SALU_CYCLE_1)
	s_or_b32 exec_lo, exec_lo, s14
	s_mov_b32 s14, exec_lo
	s_wait_loadcnt_dscnt 0xd0d
	v_cmpx_ne_u16_e32 0, v122
	s_cbranch_execz .LBB6_29836
; %bb.29827:                            ;   in Loop: Header=BB6_27928 Depth=3
	v_bfrev_b32_e32 v1, 1
	s_mov_b32 s15, exec_lo
	v_cmpx_ne_u16_e32 0xff80, v122
	s_cbranch_execz .LBB6_29835
; %bb.29828:                            ;   in Loop: Header=BB6_27928 Depth=3
	v_and_b32_e32 v1, 0x7c, v122
	v_and_b32_e32 v3, 3, v122
	s_delay_alu instid0(VALU_DEP_2) | instskip(SKIP_1) | instid1(SALU_CYCLE_1)
	v_cmp_ne_u32_e32 vcc_lo, 0x7c, v1
                                        ; implicit-def: $vgpr1
	s_and_saveexec_b32 s13, vcc_lo
	s_xor_b32 s13, exec_lo, s13
	s_cbranch_execz .LBB6_29832
; %bb.29829:                            ;   in Loop: Header=BB6_27928 Depth=3
	v_and_b32_e32 v1, 0xff, v122
	s_mov_b32 s74, exec_lo
	s_delay_alu instid0(VALU_DEP_1) | instskip(NEXT) | instid1(VALU_DEP_1)
	v_bfe_u32 v1, v1, 2, 5
	v_cmpx_eq_u32_e32 0, v1
	s_cbranch_execz .LBB6_29831
; %bb.29830:                            ;   in Loop: Header=BB6_27928 Depth=3
	v_clz_i32_u32_e32 v1, v3
	s_delay_alu instid0(VALU_DEP_1) | instskip(SKIP_1) | instid1(VALU_DEP_2)
	v_min_u32_e32 v1, 32, v1
	v_mov_b32_e32 v123, v113
	v_subrev_nc_u32_e32 v3, 29, v1
	v_sub_nc_u32_e32 v1, 30, v1
	s_delay_alu instid0(VALU_DEP_2) | instskip(NEXT) | instid1(VALU_DEP_1)
	v_lshlrev_b64_e32 v[14:15], v3, v[122:123]
	v_and_b32_e32 v3, 3, v14
.LBB6_29831:                            ;   in Loop: Header=BB6_27928 Depth=3
	s_or_b32 exec_lo, exec_lo, s74
	v_bfe_i32 v5, v122, 0, 16
                                        ; implicit-def: $vgpr122
	s_delay_alu instid0(VALU_DEP_1) | instskip(NEXT) | instid1(VALU_DEP_1)
	v_and_b32_e32 v5, 0x80000000, v5
	v_lshl_add_u32 v1, v1, 23, v5
	s_delay_alu instid0(VALU_DEP_1) | instskip(NEXT) | instid1(VALU_DEP_1)
	v_lshl_or_b32 v1, v3, 21, v1
                                        ; implicit-def: $vgpr3
	v_add_nc_u32_e32 v1, 0x38000000, v1
.LBB6_29832:                            ;   in Loop: Header=BB6_27928 Depth=3
	s_and_not1_saveexec_b32 s74, s13
; %bb.29833:                            ;   in Loop: Header=BB6_27928 Depth=3
	v_cmp_lt_i16_e64 s13, -1, v122
	v_mov_b32_e32 v1, 0x7f800000
	v_cmp_eq_u32_e32 vcc_lo, 0, v3
	s_delay_alu instid0(VALU_DEP_2) | instskip(NEXT) | instid1(VALU_DEP_1)
	v_cndmask_b32_e64 v1, 0xff800000, v1, s13
	v_cndmask_b32_e32 v1, 0x7f800001, v1, vcc_lo
; %bb.29834:                            ;   in Loop: Header=BB6_27928 Depth=3
	s_or_b32 exec_lo, exec_lo, s74
.LBB6_29835:                            ;   in Loop: Header=BB6_27928 Depth=3
	s_delay_alu instid0(SALU_CYCLE_1)
	s_or_b32 exec_lo, exec_lo, s15
.LBB6_29836:                            ;   in Loop: Header=BB6_27928 Depth=3
	s_delay_alu instid0(SALU_CYCLE_1) | instskip(NEXT) | instid1(VALU_DEP_1)
	s_or_b32 exec_lo, exec_lo, s14
	v_dual_add_f32 v5, v2, v1 :: v_dual_mov_b32 v3, v113
                                        ; implicit-def: $vgpr31
	s_delay_alu instid0(VALU_DEP_1) | instskip(NEXT) | instid1(VALU_DEP_1)
	v_and_b32_e32 v2, 0x7f800000, v5
	v_cmp_ne_u64_e32 vcc_lo, 0x7f800000, v[2:3]
	v_and_b32_e32 v2, 0x7fffff, v5
	s_and_saveexec_b32 s13, vcc_lo
	s_delay_alu instid0(SALU_CYCLE_1)
	s_xor_b32 s14, exec_lo, s13
	s_cbranch_execz .LBB6_29854
; %bb.29837:                            ;   in Loop: Header=BB6_27928 Depth=3
	v_dual_mov_b32 v15, v113 :: v_dual_lshrrev_b32 v1, 24, v5
	v_and_b32_e32 v14, 0x7fffffff, v5
                                        ; implicit-def: $vgpr31
	s_mov_b32 s13, exec_lo
	s_delay_alu instid0(VALU_DEP_2) | instskip(NEXT) | instid1(VALU_DEP_2)
	v_and_b32_e32 v1, 0x80, v1
	v_cmpx_gt_u64_e32 0x47600001, v[14:15]
	s_xor_b32 s15, exec_lo, s13
	s_cbranch_execz .LBB6_29851
; %bb.29838:                            ;   in Loop: Header=BB6_27928 Depth=3
	v_mov_b32_e32 v31, 0
	s_mov_b32 s74, exec_lo
	v_cmpx_ne_u32_e32 0, v5
	s_cbranch_execz .LBB6_29850
; %bb.29839:                            ;   in Loop: Header=BB6_27928 Depth=3
	v_bfe_u32 v5, v5, 23, 8
	v_or_b32_e32 v14, 0x800000, v2
	s_delay_alu instid0(VALU_DEP_2) | instskip(SKIP_1) | instid1(VALU_DEP_3)
	v_cmp_eq_u32_e32 vcc_lo, 0, v5
	v_cmp_gt_u32_e64 s13, 0x72, v5
	v_dual_cndmask_b32 v2, v14, v2 :: v_dual_sub_nc_u32 v7, 0x71, v5
	s_delay_alu instid0(VALU_DEP_1) | instskip(NEXT) | instid1(VALU_DEP_1)
	v_cndmask_b32_e64 v7, 0, v7, s13
	v_cndmask_b32_e64 v7, v7, 0x70, vcc_lo
	s_delay_alu instid0(VALU_DEP_1) | instskip(NEXT) | instid1(VALU_DEP_1)
	v_dual_add_nc_u32 v14, 21, v7 :: v_dual_add_nc_u32 v17, 20, v7
	v_lshlrev_b64_e64 v[14:15], v14, -1
	s_delay_alu instid0(VALU_DEP_2) | instskip(NEXT) | instid1(VALU_DEP_2)
	v_lshlrev_b64_e64 v[50:51], v17, 1
	v_bfi_b32 v14, v14, 0, v2
	v_lshrrev_b64 v[2:3], v7, v[2:3]
	s_delay_alu instid0(VALU_DEP_4) | instskip(NEXT) | instid1(VALU_DEP_1)
	v_bfi_b32 v15, v15, 0, 0
	v_cmp_eq_u64_e64 s13, v[14:15], v[50:51]
	s_delay_alu instid0(VALU_DEP_3)
	v_mov_b64_e32 v[14:15], v[2:3]
	s_and_saveexec_b32 s75, s13
; %bb.29840:                            ;   in Loop: Header=BB6_27928 Depth=3
	v_bfe_u32 v14, v2, 21, 1
	v_mov_b32_e32 v15, v113
	s_delay_alu instid0(VALU_DEP_1) | instskip(NEXT) | instid1(VALU_DEP_1)
	v_add_nc_u64_e32 v[14:15], v[2:3], v[14:15]
	v_add_nc_u64_e32 v[14:15], -1, v[14:15]
; %bb.29841:                            ;   in Loop: Header=BB6_27928 Depth=3
	s_or_b32 exec_lo, exec_lo, s75
	v_add_nc_u32_e32 v3, 0xffffff81, v5
	v_lshrrev_b32_e32 v5, 23, v2
	s_mov_b32 s13, exec_lo
	s_delay_alu instid0(VALU_DEP_2) | instskip(NEXT) | instid1(VALU_DEP_1)
	v_cndmask_b32_e64 v3, v3, 0xffffff82, vcc_lo
	v_add3_u32 v15, v7, v3, v5
	v_and_b32_e32 v3, 0x1fffff, v14
                                        ; implicit-def: $vgpr5
	s_delay_alu instid0(VALU_DEP_1) | instskip(SKIP_1) | instid1(VALU_DEP_2)
	v_dual_add_nc_u32 v7, 14, v15 :: v_dual_add_nc_u32 v2, v3, v2
	v_mov_b32_e32 v3, v113
	v_cmpx_ne_u32_e32 0, v7
	s_xor_b32 s13, exec_lo, s13
; %bb.29842:                            ;   in Loop: Header=BB6_27928 Depth=3
	s_delay_alu instid0(VALU_DEP_2) | instskip(SKIP_1) | instid1(VALU_DEP_1)
	v_cmp_lt_u64_e32 vcc_lo, 0xffffff, v[2:3]
	v_add_nc_u32_e32 v5, 15, v15
	v_cndmask_b32_e32 v5, v7, v5, vcc_lo
	v_cndmask_b32_e64 v7, 0, 1, vcc_lo
	s_delay_alu instid0(VALU_DEP_1)
	v_lshrrev_b64 v[2:3], v7, v[2:3]
; %bb.29843:                            ;   in Loop: Header=BB6_27928 Depth=3
	s_and_not1_saveexec_b32 s13, s13
; %bb.29844:                            ;   in Loop: Header=BB6_27928 Depth=3
	s_delay_alu instid0(VALU_DEP_1)
	v_bfe_u32 v5, v2, 23, 1
; %bb.29845:                            ;   in Loop: Header=BB6_27928 Depth=3
	s_or_b32 exec_lo, exec_lo, s13
	s_delay_alu instid0(VALU_DEP_2) | instskip(NEXT) | instid1(VALU_DEP_2)
	v_lshrrev_b64 v[2:3], 21, v[2:3]
	v_cmp_gt_i32_e32 vcc_lo, 32, v5
	v_cmp_ne_u32_e64 s13, 0, v5
                                        ; implicit-def: $vgpr31
	s_delay_alu instid0(VALU_DEP_3) | instskip(NEXT) | instid1(VALU_DEP_1)
	v_dual_cndmask_b32 v3, 0, v3 :: v_dual_cndmask_b32 v2, 3, v2
	v_cmp_ne_u64_e32 vcc_lo, 0, v[2:3]
	s_or_b32 s13, s13, vcc_lo
	s_delay_alu instid0(SALU_CYCLE_1) | instskip(NEXT) | instid1(SALU_CYCLE_1)
	s_and_saveexec_b32 s75, s13
	s_xor_b32 s13, exec_lo, s75
; %bb.29846:                            ;   in Loop: Header=BB6_27928 Depth=3
	v_min_i32_e32 v3, 31, v5
	s_delay_alu instid0(VALU_DEP_1) | instskip(NEXT) | instid1(VALU_DEP_1)
	v_lshl_or_b32 v1, v3, 2, v1
	v_and_or_b32 v31, v2, 3, v1
                                        ; implicit-def: $vgpr1
; %bb.29847:                            ;   in Loop: Header=BB6_27928 Depth=3
	s_and_not1_saveexec_b32 s13, s13
; %bb.29848:                            ;   in Loop: Header=BB6_27928 Depth=3
	v_mov_b32_e32 v31, v1
; %bb.29849:                            ;   in Loop: Header=BB6_27928 Depth=3
	s_or_b32 exec_lo, exec_lo, s13
.LBB6_29850:                            ;   in Loop: Header=BB6_27928 Depth=3
	s_delay_alu instid0(SALU_CYCLE_1)
	s_or_b32 exec_lo, exec_lo, s74
                                        ; implicit-def: $vgpr1
.LBB6_29851:                            ;   in Loop: Header=BB6_27928 Depth=3
	s_and_not1_saveexec_b32 s13, s15
; %bb.29852:                            ;   in Loop: Header=BB6_27928 Depth=3
	v_or_b32_e32 v31, 0x7b, v1
; %bb.29853:                            ;   in Loop: Header=BB6_27928 Depth=3
	s_or_b32 exec_lo, exec_lo, s13
                                        ; implicit-def: $vgpr5
                                        ; implicit-def: $vgpr2_vgpr3
.LBB6_29854:                            ;   in Loop: Header=BB6_27928 Depth=3
	s_and_not1_saveexec_b32 s13, s14
	s_cbranch_execz .LBB6_29860
; %bb.29855:                            ;   in Loop: Header=BB6_27928 Depth=3
	s_mov_b32 s14, exec_lo
                                        ; implicit-def: $vgpr31
	v_cmpx_ne_u64_e32 0, v[2:3]
	s_xor_b32 s14, exec_lo, s14
; %bb.29856:                            ;   in Loop: Header=BB6_27928 Depth=3
	v_lshrrev_b32_e32 v1, 24, v5
                                        ; implicit-def: $vgpr5
	s_delay_alu instid0(VALU_DEP_1)
	v_or_b32_e32 v31, 0x7f, v1
; %bb.29857:                            ;   in Loop: Header=BB6_27928 Depth=3
	s_and_not1_saveexec_b32 s14, s14
; %bb.29858:                            ;   in Loop: Header=BB6_27928 Depth=3
	v_cmp_lt_i32_e32 vcc_lo, -1, v5
	v_cndmask_b32_e64 v31, -4, 0x7c, vcc_lo
; %bb.29859:                            ;   in Loop: Header=BB6_27928 Depth=3
	s_or_b32 exec_lo, exec_lo, s14
.LBB6_29860:                            ;   in Loop: Header=BB6_27928 Depth=3
	s_delay_alu instid0(SALU_CYCLE_1) | instskip(SKIP_3) | instid1(VALU_DEP_2)
	s_or_b32 exec_lo, exec_lo, s13
	v_and_b32_e32 v5, 0xff, v92
	v_dual_mov_b32 v1, 0 :: v_dual_mov_b32 v2, 0
	s_mov_b32 s14, exec_lo
	v_cmpx_ne_u16_e32 0, v5
	s_cbranch_execz .LBB6_29870
; %bb.29861:                            ;   in Loop: Header=BB6_27928 Depth=3
	v_bfrev_b32_e32 v2, 1
	s_mov_b32 s15, exec_lo
	v_cmpx_ne_u16_e32 0x80, v5
	s_cbranch_execz .LBB6_29869
; %bb.29862:                            ;   in Loop: Header=BB6_27928 Depth=3
	v_and_b32_e32 v2, 0x7c, v92
	v_and_b32_e32 v3, 3, v92
	s_delay_alu instid0(VALU_DEP_2) | instskip(SKIP_1) | instid1(SALU_CYCLE_1)
	v_cmp_ne_u32_e32 vcc_lo, 0x7c, v2
                                        ; implicit-def: $vgpr2
	s_and_saveexec_b32 s13, vcc_lo
	s_xor_b32 s13, exec_lo, s13
	s_cbranch_execz .LBB6_29866
; %bb.29863:                            ;   in Loop: Header=BB6_27928 Depth=3
	v_bfe_u32 v2, v5, 2, 5
	s_mov_b32 s74, exec_lo
	s_delay_alu instid0(VALU_DEP_1)
	v_cmpx_eq_u32_e32 0, v2
	s_cbranch_execz .LBB6_29865
; %bb.29864:                            ;   in Loop: Header=BB6_27928 Depth=3
	v_clz_i32_u32_e32 v2, v3
	s_delay_alu instid0(VALU_DEP_1) | instskip(SKIP_1) | instid1(VALU_DEP_2)
	v_min_u32_e32 v2, 32, v2
	v_mov_b32_e32 v93, v113
	v_subrev_nc_u32_e32 v3, 29, v2
	v_sub_nc_u32_e32 v2, 30, v2
	s_delay_alu instid0(VALU_DEP_2) | instskip(NEXT) | instid1(VALU_DEP_1)
	v_lshlrev_b64_e32 v[14:15], v3, v[92:93]
	v_and_b32_e32 v3, 3, v14
.LBB6_29865:                            ;   in Loop: Header=BB6_27928 Depth=3
	s_or_b32 exec_lo, exec_lo, s74
	v_lshlrev_b32_e32 v5, 24, v92
                                        ; implicit-def: $vgpr92
	s_delay_alu instid0(VALU_DEP_1) | instskip(NEXT) | instid1(VALU_DEP_1)
	v_and_b32_e32 v5, 0x80000000, v5
	v_lshl_add_u32 v2, v2, 23, v5
	s_delay_alu instid0(VALU_DEP_1) | instskip(NEXT) | instid1(VALU_DEP_1)
	v_lshl_or_b32 v2, v3, 21, v2
                                        ; implicit-def: $vgpr3
	v_add_nc_u32_e32 v2, 0x38000000, v2
.LBB6_29866:                            ;   in Loop: Header=BB6_27928 Depth=3
	s_and_not1_saveexec_b32 s74, s13
; %bb.29867:                            ;   in Loop: Header=BB6_27928 Depth=3
	v_bfe_i32 v2, v92, 0, 8
	v_cmp_eq_u32_e32 vcc_lo, 0, v3
	s_delay_alu instid0(VALU_DEP_2) | instskip(SKIP_1) | instid1(VALU_DEP_1)
	v_cmp_lt_i16_e64 s13, -1, v2
	v_mov_b32_e32 v2, 0x7f800000
	v_cndmask_b32_e64 v2, 0xff800000, v2, s13
	s_delay_alu instid0(VALU_DEP_1)
	v_cndmask_b32_e32 v2, 0x7f800001, v2, vcc_lo
; %bb.29868:                            ;   in Loop: Header=BB6_27928 Depth=3
	s_or_b32 exec_lo, exec_lo, s74
.LBB6_29869:                            ;   in Loop: Header=BB6_27928 Depth=3
	s_delay_alu instid0(SALU_CYCLE_1)
	s_or_b32 exec_lo, exec_lo, s15
.LBB6_29870:                            ;   in Loop: Header=BB6_27928 Depth=3
	s_delay_alu instid0(SALU_CYCLE_1) | instskip(NEXT) | instid1(SALU_CYCLE_1)
	s_or_b32 exec_lo, exec_lo, s14
	s_mov_b32 s14, exec_lo
	s_wait_loadcnt_dscnt 0xc0c
	v_cmpx_ne_u16_e32 0, v36
	s_cbranch_execz .LBB6_29880
; %bb.29871:                            ;   in Loop: Header=BB6_27928 Depth=3
	v_bfrev_b32_e32 v1, 1
	s_mov_b32 s15, exec_lo
	v_cmpx_ne_u16_e32 0xff80, v36
	s_cbranch_execz .LBB6_29879
; %bb.29872:                            ;   in Loop: Header=BB6_27928 Depth=3
	v_and_b32_e32 v1, 0x7c, v36
	v_and_b32_e32 v3, 3, v36
	s_delay_alu instid0(VALU_DEP_2) | instskip(SKIP_1) | instid1(SALU_CYCLE_1)
	v_cmp_ne_u32_e32 vcc_lo, 0x7c, v1
                                        ; implicit-def: $vgpr1
	s_and_saveexec_b32 s13, vcc_lo
	s_xor_b32 s13, exec_lo, s13
	s_cbranch_execz .LBB6_29876
; %bb.29873:                            ;   in Loop: Header=BB6_27928 Depth=3
	v_and_b32_e32 v1, 0xff, v36
	s_mov_b32 s74, exec_lo
	s_delay_alu instid0(VALU_DEP_1) | instskip(NEXT) | instid1(VALU_DEP_1)
	v_bfe_u32 v1, v1, 2, 5
	v_cmpx_eq_u32_e32 0, v1
	s_cbranch_execz .LBB6_29875
; %bb.29874:                            ;   in Loop: Header=BB6_27928 Depth=3
	v_clz_i32_u32_e32 v1, v3
	s_delay_alu instid0(VALU_DEP_1) | instskip(SKIP_1) | instid1(VALU_DEP_2)
	v_min_u32_e32 v1, 32, v1
	v_mov_b32_e32 v37, v113
	v_subrev_nc_u32_e32 v3, 29, v1
	v_sub_nc_u32_e32 v1, 30, v1
	s_delay_alu instid0(VALU_DEP_2) | instskip(NEXT) | instid1(VALU_DEP_1)
	v_lshlrev_b64_e32 v[14:15], v3, v[36:37]
	v_and_b32_e32 v3, 3, v14
.LBB6_29875:                            ;   in Loop: Header=BB6_27928 Depth=3
	s_or_b32 exec_lo, exec_lo, s74
	v_bfe_i32 v5, v36, 0, 16
                                        ; implicit-def: $vgpr36
	s_delay_alu instid0(VALU_DEP_1) | instskip(NEXT) | instid1(VALU_DEP_1)
	v_and_b32_e32 v5, 0x80000000, v5
	v_lshl_add_u32 v1, v1, 23, v5
	s_delay_alu instid0(VALU_DEP_1) | instskip(NEXT) | instid1(VALU_DEP_1)
	v_lshl_or_b32 v1, v3, 21, v1
                                        ; implicit-def: $vgpr3
	v_add_nc_u32_e32 v1, 0x38000000, v1
.LBB6_29876:                            ;   in Loop: Header=BB6_27928 Depth=3
	s_and_not1_saveexec_b32 s74, s13
; %bb.29877:                            ;   in Loop: Header=BB6_27928 Depth=3
	v_cmp_lt_i16_e64 s13, -1, v36
	v_mov_b32_e32 v1, 0x7f800000
	v_cmp_eq_u32_e32 vcc_lo, 0, v3
	s_delay_alu instid0(VALU_DEP_2) | instskip(NEXT) | instid1(VALU_DEP_1)
	v_cndmask_b32_e64 v1, 0xff800000, v1, s13
	v_cndmask_b32_e32 v1, 0x7f800001, v1, vcc_lo
; %bb.29878:                            ;   in Loop: Header=BB6_27928 Depth=3
	s_or_b32 exec_lo, exec_lo, s74
.LBB6_29879:                            ;   in Loop: Header=BB6_27928 Depth=3
	s_delay_alu instid0(SALU_CYCLE_1)
	s_or_b32 exec_lo, exec_lo, s15
.LBB6_29880:                            ;   in Loop: Header=BB6_27928 Depth=3
	s_delay_alu instid0(SALU_CYCLE_1) | instskip(NEXT) | instid1(VALU_DEP_1)
	s_or_b32 exec_lo, exec_lo, s14
	v_dual_add_f32 v5, v2, v1 :: v_dual_mov_b32 v3, v113
                                        ; implicit-def: $vgpr14
	s_delay_alu instid0(VALU_DEP_1) | instskip(NEXT) | instid1(VALU_DEP_1)
	v_and_b32_e32 v2, 0x7f800000, v5
	v_cmp_ne_u64_e32 vcc_lo, 0x7f800000, v[2:3]
	v_and_b32_e32 v2, 0x7fffff, v5
	s_and_saveexec_b32 s13, vcc_lo
	s_delay_alu instid0(SALU_CYCLE_1)
	s_xor_b32 s14, exec_lo, s13
	s_cbranch_execz .LBB6_29898
; %bb.29881:                            ;   in Loop: Header=BB6_27928 Depth=3
	v_and_b32_e32 v14, 0x7fffffff, v5
	v_dual_mov_b32 v15, v113 :: v_dual_lshrrev_b32 v1, 24, v5
	s_delay_alu instid0(VALU_DEP_1) | instskip(NEXT) | instid1(VALU_DEP_2)
	v_cmp_gt_u64_e32 vcc_lo, 0x47600001, v[14:15]
	v_and_b32_e32 v1, 0x80, v1
                                        ; implicit-def: $vgpr14
	s_and_saveexec_b32 s13, vcc_lo
	s_delay_alu instid0(SALU_CYCLE_1)
	s_xor_b32 s15, exec_lo, s13
	s_cbranch_execz .LBB6_29895
; %bb.29882:                            ;   in Loop: Header=BB6_27928 Depth=3
	v_mov_b32_e32 v14, 0
	s_mov_b32 s74, exec_lo
	v_cmpx_ne_u32_e32 0, v5
	s_cbranch_execz .LBB6_29894
; %bb.29883:                            ;   in Loop: Header=BB6_27928 Depth=3
	v_bfe_u32 v5, v5, 23, 8
	v_or_b32_e32 v14, 0x800000, v2
	s_delay_alu instid0(VALU_DEP_2) | instskip(SKIP_1) | instid1(VALU_DEP_3)
	v_cmp_eq_u32_e32 vcc_lo, 0, v5
	v_cmp_gt_u32_e64 s13, 0x72, v5
	v_dual_cndmask_b32 v2, v14, v2 :: v_dual_sub_nc_u32 v7, 0x71, v5
	s_delay_alu instid0(VALU_DEP_1) | instskip(NEXT) | instid1(VALU_DEP_1)
	v_cndmask_b32_e64 v7, 0, v7, s13
	v_cndmask_b32_e64 v7, v7, 0x70, vcc_lo
	s_delay_alu instid0(VALU_DEP_1) | instskip(NEXT) | instid1(VALU_DEP_1)
	v_dual_add_nc_u32 v14, 21, v7 :: v_dual_add_nc_u32 v17, 20, v7
	v_lshlrev_b64_e64 v[14:15], v14, -1
	s_delay_alu instid0(VALU_DEP_2) | instskip(NEXT) | instid1(VALU_DEP_2)
	v_lshlrev_b64_e64 v[36:37], v17, 1
	v_bfi_b32 v14, v14, 0, v2
	v_lshrrev_b64 v[2:3], v7, v[2:3]
	s_delay_alu instid0(VALU_DEP_4) | instskip(NEXT) | instid1(VALU_DEP_1)
	v_bfi_b32 v15, v15, 0, 0
	v_cmp_eq_u64_e64 s13, v[14:15], v[36:37]
	s_delay_alu instid0(VALU_DEP_3)
	v_mov_b64_e32 v[14:15], v[2:3]
	s_and_saveexec_b32 s75, s13
; %bb.29884:                            ;   in Loop: Header=BB6_27928 Depth=3
	v_bfe_u32 v14, v2, 21, 1
	v_mov_b32_e32 v15, v113
	s_delay_alu instid0(VALU_DEP_1) | instskip(NEXT) | instid1(VALU_DEP_1)
	v_add_nc_u64_e32 v[14:15], v[2:3], v[14:15]
	v_add_nc_u64_e32 v[14:15], -1, v[14:15]
; %bb.29885:                            ;   in Loop: Header=BB6_27928 Depth=3
	s_or_b32 exec_lo, exec_lo, s75
	v_add_nc_u32_e32 v3, 0xffffff81, v5
	v_lshrrev_b32_e32 v5, 23, v2
	s_mov_b32 s13, exec_lo
	s_delay_alu instid0(VALU_DEP_2) | instskip(NEXT) | instid1(VALU_DEP_1)
	v_cndmask_b32_e64 v3, v3, 0xffffff82, vcc_lo
	v_add3_u32 v15, v7, v3, v5
	v_and_b32_e32 v3, 0x1fffff, v14
                                        ; implicit-def: $vgpr5
	s_delay_alu instid0(VALU_DEP_1) | instskip(SKIP_1) | instid1(VALU_DEP_2)
	v_dual_add_nc_u32 v7, 14, v15 :: v_dual_add_nc_u32 v2, v3, v2
	v_mov_b32_e32 v3, v113
	v_cmpx_ne_u32_e32 0, v7
	s_xor_b32 s13, exec_lo, s13
; %bb.29886:                            ;   in Loop: Header=BB6_27928 Depth=3
	s_delay_alu instid0(VALU_DEP_2) | instskip(SKIP_1) | instid1(VALU_DEP_1)
	v_cmp_lt_u64_e32 vcc_lo, 0xffffff, v[2:3]
	v_add_nc_u32_e32 v5, 15, v15
	v_cndmask_b32_e32 v5, v7, v5, vcc_lo
	v_cndmask_b32_e64 v7, 0, 1, vcc_lo
	s_delay_alu instid0(VALU_DEP_1)
	v_lshrrev_b64 v[2:3], v7, v[2:3]
; %bb.29887:                            ;   in Loop: Header=BB6_27928 Depth=3
	s_and_not1_saveexec_b32 s13, s13
; %bb.29888:                            ;   in Loop: Header=BB6_27928 Depth=3
	s_delay_alu instid0(VALU_DEP_1)
	v_bfe_u32 v5, v2, 23, 1
; %bb.29889:                            ;   in Loop: Header=BB6_27928 Depth=3
	s_or_b32 exec_lo, exec_lo, s13
	s_delay_alu instid0(VALU_DEP_2) | instskip(NEXT) | instid1(VALU_DEP_2)
	v_lshrrev_b64 v[2:3], 21, v[2:3]
	v_cmp_gt_i32_e32 vcc_lo, 32, v5
	v_cmp_ne_u32_e64 s13, 0, v5
                                        ; implicit-def: $vgpr14
	s_delay_alu instid0(VALU_DEP_3) | instskip(NEXT) | instid1(VALU_DEP_1)
	v_dual_cndmask_b32 v3, 0, v3 :: v_dual_cndmask_b32 v2, 3, v2
	v_cmp_ne_u64_e32 vcc_lo, 0, v[2:3]
	s_or_b32 s13, s13, vcc_lo
	s_delay_alu instid0(SALU_CYCLE_1) | instskip(NEXT) | instid1(SALU_CYCLE_1)
	s_and_saveexec_b32 s75, s13
	s_xor_b32 s13, exec_lo, s75
; %bb.29890:                            ;   in Loop: Header=BB6_27928 Depth=3
	v_min_i32_e32 v3, 31, v5
	s_delay_alu instid0(VALU_DEP_1) | instskip(NEXT) | instid1(VALU_DEP_1)
	v_lshl_or_b32 v1, v3, 2, v1
	v_and_or_b32 v14, v2, 3, v1
                                        ; implicit-def: $vgpr1
; %bb.29891:                            ;   in Loop: Header=BB6_27928 Depth=3
	s_and_not1_saveexec_b32 s13, s13
; %bb.29892:                            ;   in Loop: Header=BB6_27928 Depth=3
	v_mov_b32_e32 v14, v1
; %bb.29893:                            ;   in Loop: Header=BB6_27928 Depth=3
	s_or_b32 exec_lo, exec_lo, s13
.LBB6_29894:                            ;   in Loop: Header=BB6_27928 Depth=3
	s_delay_alu instid0(SALU_CYCLE_1)
	s_or_b32 exec_lo, exec_lo, s74
                                        ; implicit-def: $vgpr1
.LBB6_29895:                            ;   in Loop: Header=BB6_27928 Depth=3
	s_and_not1_saveexec_b32 s13, s15
; %bb.29896:                            ;   in Loop: Header=BB6_27928 Depth=3
	v_or_b32_e32 v14, 0x7b, v1
; %bb.29897:                            ;   in Loop: Header=BB6_27928 Depth=3
	s_or_b32 exec_lo, exec_lo, s13
                                        ; implicit-def: $vgpr5
                                        ; implicit-def: $vgpr2_vgpr3
.LBB6_29898:                            ;   in Loop: Header=BB6_27928 Depth=3
	s_and_not1_saveexec_b32 s13, s14
	s_cbranch_execz .LBB6_29904
; %bb.29899:                            ;   in Loop: Header=BB6_27928 Depth=3
	s_mov_b32 s14, exec_lo
                                        ; implicit-def: $vgpr14
	v_cmpx_ne_u64_e32 0, v[2:3]
	s_xor_b32 s14, exec_lo, s14
; %bb.29900:                            ;   in Loop: Header=BB6_27928 Depth=3
	v_lshrrev_b32_e32 v1, 24, v5
                                        ; implicit-def: $vgpr5
	s_delay_alu instid0(VALU_DEP_1)
	v_or_b32_e32 v14, 0x7f, v1
; %bb.29901:                            ;   in Loop: Header=BB6_27928 Depth=3
	s_and_not1_saveexec_b32 s14, s14
; %bb.29902:                            ;   in Loop: Header=BB6_27928 Depth=3
	v_cmp_lt_i32_e32 vcc_lo, -1, v5
	v_cndmask_b32_e64 v14, -4, 0x7c, vcc_lo
; %bb.29903:                            ;   in Loop: Header=BB6_27928 Depth=3
	s_or_b32 exec_lo, exec_lo, s14
.LBB6_29904:                            ;   in Loop: Header=BB6_27928 Depth=3
	s_delay_alu instid0(SALU_CYCLE_1) | instskip(SKIP_3) | instid1(VALU_DEP_2)
	s_or_b32 exec_lo, exec_lo, s13
	v_and_b32_e32 v5, 0xff, v90
	v_dual_mov_b32 v1, 0 :: v_dual_mov_b32 v2, 0
	s_mov_b32 s14, exec_lo
	v_cmpx_ne_u16_e32 0, v5
	s_cbranch_execz .LBB6_29914
; %bb.29905:                            ;   in Loop: Header=BB6_27928 Depth=3
	v_bfrev_b32_e32 v2, 1
	s_mov_b32 s15, exec_lo
	v_cmpx_ne_u16_e32 0x80, v5
	s_cbranch_execz .LBB6_29913
; %bb.29906:                            ;   in Loop: Header=BB6_27928 Depth=3
	v_and_b32_e32 v2, 0x7c, v90
	v_and_b32_e32 v3, 3, v90
	s_delay_alu instid0(VALU_DEP_2) | instskip(SKIP_1) | instid1(SALU_CYCLE_1)
	v_cmp_ne_u32_e32 vcc_lo, 0x7c, v2
                                        ; implicit-def: $vgpr2
	s_and_saveexec_b32 s13, vcc_lo
	s_xor_b32 s13, exec_lo, s13
	s_cbranch_execz .LBB6_29910
; %bb.29907:                            ;   in Loop: Header=BB6_27928 Depth=3
	v_bfe_u32 v2, v5, 2, 5
	s_mov_b32 s74, exec_lo
	s_delay_alu instid0(VALU_DEP_1)
	v_cmpx_eq_u32_e32 0, v2
	s_cbranch_execz .LBB6_29909
; %bb.29908:                            ;   in Loop: Header=BB6_27928 Depth=3
	v_clz_i32_u32_e32 v2, v3
	s_delay_alu instid0(VALU_DEP_1) | instskip(SKIP_1) | instid1(VALU_DEP_2)
	v_min_u32_e32 v2, 32, v2
	v_mov_b32_e32 v91, v113
	v_subrev_nc_u32_e32 v3, 29, v2
	v_sub_nc_u32_e32 v2, 30, v2
	s_delay_alu instid0(VALU_DEP_2) | instskip(NEXT) | instid1(VALU_DEP_1)
	v_lshlrev_b64_e32 v[36:37], v3, v[90:91]
	v_and_b32_e32 v3, 3, v36
.LBB6_29909:                            ;   in Loop: Header=BB6_27928 Depth=3
	s_or_b32 exec_lo, exec_lo, s74
	v_lshlrev_b32_e32 v5, 24, v90
                                        ; implicit-def: $vgpr90
	s_delay_alu instid0(VALU_DEP_1) | instskip(NEXT) | instid1(VALU_DEP_1)
	v_and_b32_e32 v5, 0x80000000, v5
	v_lshl_add_u32 v2, v2, 23, v5
	s_delay_alu instid0(VALU_DEP_1) | instskip(NEXT) | instid1(VALU_DEP_1)
	v_lshl_or_b32 v2, v3, 21, v2
                                        ; implicit-def: $vgpr3
	v_add_nc_u32_e32 v2, 0x38000000, v2
.LBB6_29910:                            ;   in Loop: Header=BB6_27928 Depth=3
	s_and_not1_saveexec_b32 s74, s13
; %bb.29911:                            ;   in Loop: Header=BB6_27928 Depth=3
	v_bfe_i32 v2, v90, 0, 8
	v_cmp_eq_u32_e32 vcc_lo, 0, v3
	s_delay_alu instid0(VALU_DEP_2) | instskip(SKIP_1) | instid1(VALU_DEP_1)
	v_cmp_lt_i16_e64 s13, -1, v2
	v_mov_b32_e32 v2, 0x7f800000
	v_cndmask_b32_e64 v2, 0xff800000, v2, s13
	s_delay_alu instid0(VALU_DEP_1)
	v_cndmask_b32_e32 v2, 0x7f800001, v2, vcc_lo
; %bb.29912:                            ;   in Loop: Header=BB6_27928 Depth=3
	s_or_b32 exec_lo, exec_lo, s74
.LBB6_29913:                            ;   in Loop: Header=BB6_27928 Depth=3
	s_delay_alu instid0(SALU_CYCLE_1)
	s_or_b32 exec_lo, exec_lo, s15
.LBB6_29914:                            ;   in Loop: Header=BB6_27928 Depth=3
	s_delay_alu instid0(SALU_CYCLE_1) | instskip(NEXT) | instid1(SALU_CYCLE_1)
	s_or_b32 exec_lo, exec_lo, s14
	s_mov_b32 s14, exec_lo
	s_wait_loadcnt_dscnt 0xb0b
	v_cmpx_ne_u16_e32 0, v6
	s_cbranch_execz .LBB6_29924
; %bb.29915:                            ;   in Loop: Header=BB6_27928 Depth=3
	v_bfrev_b32_e32 v1, 1
	s_mov_b32 s15, exec_lo
	v_cmpx_ne_u16_e32 0xff80, v6
	s_cbranch_execz .LBB6_29923
; %bb.29916:                            ;   in Loop: Header=BB6_27928 Depth=3
	v_and_b32_e32 v1, 0x7c, v6
	v_and_b32_e32 v3, 3, v6
	s_delay_alu instid0(VALU_DEP_2) | instskip(SKIP_1) | instid1(SALU_CYCLE_1)
	v_cmp_ne_u32_e32 vcc_lo, 0x7c, v1
                                        ; implicit-def: $vgpr1
	s_and_saveexec_b32 s13, vcc_lo
	s_xor_b32 s13, exec_lo, s13
	s_cbranch_execz .LBB6_29920
; %bb.29917:                            ;   in Loop: Header=BB6_27928 Depth=3
	v_and_b32_e32 v1, 0xff, v6
	s_mov_b32 s74, exec_lo
	s_delay_alu instid0(VALU_DEP_1) | instskip(NEXT) | instid1(VALU_DEP_1)
	v_bfe_u32 v1, v1, 2, 5
	v_cmpx_eq_u32_e32 0, v1
	s_cbranch_execz .LBB6_29919
; %bb.29918:                            ;   in Loop: Header=BB6_27928 Depth=3
	v_clz_i32_u32_e32 v1, v3
	s_delay_alu instid0(VALU_DEP_1) | instskip(SKIP_1) | instid1(VALU_DEP_2)
	v_min_u32_e32 v1, 32, v1
	v_mov_b32_e32 v7, v113
	v_subrev_nc_u32_e32 v3, 29, v1
	v_sub_nc_u32_e32 v1, 30, v1
	s_delay_alu instid0(VALU_DEP_2) | instskip(NEXT) | instid1(VALU_DEP_1)
	v_lshlrev_b64_e32 v[36:37], v3, v[6:7]
	v_and_b32_e32 v3, 3, v36
.LBB6_29919:                            ;   in Loop: Header=BB6_27928 Depth=3
	s_or_b32 exec_lo, exec_lo, s74
	v_bfe_i32 v5, v6, 0, 16
                                        ; implicit-def: $vgpr6
	s_delay_alu instid0(VALU_DEP_1) | instskip(NEXT) | instid1(VALU_DEP_1)
	v_and_b32_e32 v5, 0x80000000, v5
	v_lshl_add_u32 v1, v1, 23, v5
	s_delay_alu instid0(VALU_DEP_1) | instskip(NEXT) | instid1(VALU_DEP_1)
	v_lshl_or_b32 v1, v3, 21, v1
                                        ; implicit-def: $vgpr3
	v_add_nc_u32_e32 v1, 0x38000000, v1
.LBB6_29920:                            ;   in Loop: Header=BB6_27928 Depth=3
	s_and_not1_saveexec_b32 s74, s13
; %bb.29921:                            ;   in Loop: Header=BB6_27928 Depth=3
	v_cmp_lt_i16_e64 s13, -1, v6
	v_mov_b32_e32 v1, 0x7f800000
	v_cmp_eq_u32_e32 vcc_lo, 0, v3
	s_delay_alu instid0(VALU_DEP_2) | instskip(NEXT) | instid1(VALU_DEP_1)
	v_cndmask_b32_e64 v1, 0xff800000, v1, s13
	v_cndmask_b32_e32 v1, 0x7f800001, v1, vcc_lo
; %bb.29922:                            ;   in Loop: Header=BB6_27928 Depth=3
	s_or_b32 exec_lo, exec_lo, s74
.LBB6_29923:                            ;   in Loop: Header=BB6_27928 Depth=3
	s_delay_alu instid0(SALU_CYCLE_1)
	s_or_b32 exec_lo, exec_lo, s15
.LBB6_29924:                            ;   in Loop: Header=BB6_27928 Depth=3
	s_delay_alu instid0(SALU_CYCLE_1) | instskip(NEXT) | instid1(VALU_DEP_1)
	s_or_b32 exec_lo, exec_lo, s14
	v_dual_add_f32 v5, v2, v1 :: v_dual_mov_b32 v3, v113
                                        ; implicit-def: $vgpr15
	s_delay_alu instid0(VALU_DEP_1) | instskip(NEXT) | instid1(VALU_DEP_1)
	v_and_b32_e32 v2, 0x7f800000, v5
	v_cmp_ne_u64_e32 vcc_lo, 0x7f800000, v[2:3]
	v_and_b32_e32 v2, 0x7fffff, v5
	s_and_saveexec_b32 s13, vcc_lo
	s_delay_alu instid0(SALU_CYCLE_1)
	s_xor_b32 s14, exec_lo, s13
	s_cbranch_execz .LBB6_29942
; %bb.29925:                            ;   in Loop: Header=BB6_27928 Depth=3
	v_dual_mov_b32 v7, v113 :: v_dual_lshrrev_b32 v1, 24, v5
	v_and_b32_e32 v6, 0x7fffffff, v5
                                        ; implicit-def: $vgpr15
	s_mov_b32 s13, exec_lo
	s_delay_alu instid0(VALU_DEP_2) | instskip(NEXT) | instid1(VALU_DEP_2)
	v_and_b32_e32 v1, 0x80, v1
	v_cmpx_gt_u64_e32 0x47600001, v[6:7]
	s_xor_b32 s15, exec_lo, s13
	s_cbranch_execz .LBB6_29939
; %bb.29926:                            ;   in Loop: Header=BB6_27928 Depth=3
	v_mov_b32_e32 v15, 0
	s_mov_b32 s74, exec_lo
	v_cmpx_ne_u32_e32 0, v5
	s_cbranch_execz .LBB6_29938
; %bb.29927:                            ;   in Loop: Header=BB6_27928 Depth=3
	v_bfe_u32 v5, v5, 23, 8
	v_or_b32_e32 v7, 0x800000, v2
	s_delay_alu instid0(VALU_DEP_2) | instskip(SKIP_2) | instid1(VALU_DEP_2)
	v_cmp_gt_u32_e64 s13, 0x72, v5
	v_sub_nc_u32_e32 v6, 0x71, v5
	v_cmp_eq_u32_e32 vcc_lo, 0, v5
	v_cndmask_b32_e64 v6, 0, v6, s13
	s_delay_alu instid0(VALU_DEP_1) | instskip(NEXT) | instid1(VALU_DEP_1)
	v_cndmask_b32_e64 v15, v6, 0x70, vcc_lo
	v_dual_cndmask_b32 v2, v7, v2, vcc_lo :: v_dual_add_nc_u32 v6, 21, v15
	v_add_nc_u32_e32 v17, 20, v15
	s_delay_alu instid0(VALU_DEP_2) | instskip(NEXT) | instid1(VALU_DEP_2)
	v_lshlrev_b64_e64 v[6:7], v6, -1
	v_lshlrev_b64_e64 v[36:37], v17, 1
	s_delay_alu instid0(VALU_DEP_2) | instskip(SKIP_1) | instid1(VALU_DEP_4)
	v_bfi_b32 v6, v6, 0, v2
	v_lshrrev_b64 v[2:3], v15, v[2:3]
	v_bfi_b32 v7, v7, 0, 0
	s_delay_alu instid0(VALU_DEP_1) | instskip(NEXT) | instid1(VALU_DEP_3)
	v_cmp_eq_u64_e64 s13, v[6:7], v[36:37]
	v_mov_b64_e32 v[6:7], v[2:3]
	s_and_saveexec_b32 s75, s13
; %bb.29928:                            ;   in Loop: Header=BB6_27928 Depth=3
	v_bfe_u32 v6, v2, 21, 1
	v_mov_b32_e32 v7, v113
	s_delay_alu instid0(VALU_DEP_1) | instskip(NEXT) | instid1(VALU_DEP_1)
	v_add_nc_u64_e32 v[6:7], v[2:3], v[6:7]
	v_add_nc_u64_e32 v[6:7], -1, v[6:7]
; %bb.29929:                            ;   in Loop: Header=BB6_27928 Depth=3
	s_or_b32 exec_lo, exec_lo, s75
	v_add_nc_u32_e32 v3, 0xffffff81, v5
	v_lshrrev_b32_e32 v5, 23, v2
	s_mov_b32 s13, exec_lo
	s_delay_alu instid0(VALU_DEP_2) | instskip(NEXT) | instid1(VALU_DEP_1)
	v_cndmask_b32_e64 v3, v3, 0xffffff82, vcc_lo
	v_add3_u32 v7, v15, v3, v5
	v_and_b32_e32 v3, 0x1fffff, v6
                                        ; implicit-def: $vgpr5
	s_delay_alu instid0(VALU_DEP_1) | instskip(SKIP_1) | instid1(VALU_DEP_2)
	v_dual_add_nc_u32 v6, 14, v7 :: v_dual_add_nc_u32 v2, v3, v2
	v_mov_b32_e32 v3, v113
	v_cmpx_ne_u32_e32 0, v6
	s_xor_b32 s13, exec_lo, s13
; %bb.29930:                            ;   in Loop: Header=BB6_27928 Depth=3
	s_delay_alu instid0(VALU_DEP_2) | instskip(SKIP_1) | instid1(VALU_DEP_1)
	v_cmp_lt_u64_e32 vcc_lo, 0xffffff, v[2:3]
	v_add_nc_u32_e32 v5, 15, v7
	v_cndmask_b32_e32 v5, v6, v5, vcc_lo
	v_cndmask_b32_e64 v6, 0, 1, vcc_lo
	s_delay_alu instid0(VALU_DEP_1)
	v_lshrrev_b64 v[2:3], v6, v[2:3]
; %bb.29931:                            ;   in Loop: Header=BB6_27928 Depth=3
	s_and_not1_saveexec_b32 s13, s13
; %bb.29932:                            ;   in Loop: Header=BB6_27928 Depth=3
	s_delay_alu instid0(VALU_DEP_1)
	v_bfe_u32 v5, v2, 23, 1
; %bb.29933:                            ;   in Loop: Header=BB6_27928 Depth=3
	s_or_b32 exec_lo, exec_lo, s13
	s_delay_alu instid0(VALU_DEP_2) | instskip(NEXT) | instid1(VALU_DEP_2)
	v_lshrrev_b64 v[2:3], 21, v[2:3]
	v_cmp_gt_i32_e32 vcc_lo, 32, v5
	v_cmp_ne_u32_e64 s13, 0, v5
                                        ; implicit-def: $vgpr15
	s_delay_alu instid0(VALU_DEP_3) | instskip(NEXT) | instid1(VALU_DEP_1)
	v_dual_cndmask_b32 v3, 0, v3 :: v_dual_cndmask_b32 v2, 3, v2
	v_cmp_ne_u64_e32 vcc_lo, 0, v[2:3]
	s_or_b32 s13, s13, vcc_lo
	s_delay_alu instid0(SALU_CYCLE_1) | instskip(NEXT) | instid1(SALU_CYCLE_1)
	s_and_saveexec_b32 s75, s13
	s_xor_b32 s13, exec_lo, s75
; %bb.29934:                            ;   in Loop: Header=BB6_27928 Depth=3
	v_min_i32_e32 v3, 31, v5
	s_delay_alu instid0(VALU_DEP_1) | instskip(NEXT) | instid1(VALU_DEP_1)
	v_lshl_or_b32 v1, v3, 2, v1
	v_and_or_b32 v15, v2, 3, v1
                                        ; implicit-def: $vgpr1
; %bb.29935:                            ;   in Loop: Header=BB6_27928 Depth=3
	s_and_not1_saveexec_b32 s13, s13
; %bb.29936:                            ;   in Loop: Header=BB6_27928 Depth=3
	v_mov_b32_e32 v15, v1
; %bb.29937:                            ;   in Loop: Header=BB6_27928 Depth=3
	s_or_b32 exec_lo, exec_lo, s13
.LBB6_29938:                            ;   in Loop: Header=BB6_27928 Depth=3
	s_delay_alu instid0(SALU_CYCLE_1)
	s_or_b32 exec_lo, exec_lo, s74
                                        ; implicit-def: $vgpr1
.LBB6_29939:                            ;   in Loop: Header=BB6_27928 Depth=3
	s_and_not1_saveexec_b32 s13, s15
; %bb.29940:                            ;   in Loop: Header=BB6_27928 Depth=3
	v_or_b32_e32 v15, 0x7b, v1
; %bb.29941:                            ;   in Loop: Header=BB6_27928 Depth=3
	s_or_b32 exec_lo, exec_lo, s13
                                        ; implicit-def: $vgpr5
                                        ; implicit-def: $vgpr2_vgpr3
.LBB6_29942:                            ;   in Loop: Header=BB6_27928 Depth=3
	s_and_not1_saveexec_b32 s13, s14
	s_cbranch_execz .LBB6_29948
; %bb.29943:                            ;   in Loop: Header=BB6_27928 Depth=3
	s_mov_b32 s14, exec_lo
                                        ; implicit-def: $vgpr15
	v_cmpx_ne_u64_e32 0, v[2:3]
	s_xor_b32 s14, exec_lo, s14
; %bb.29944:                            ;   in Loop: Header=BB6_27928 Depth=3
	v_lshrrev_b32_e32 v1, 24, v5
                                        ; implicit-def: $vgpr5
	s_delay_alu instid0(VALU_DEP_1)
	v_or_b32_e32 v15, 0x7f, v1
; %bb.29945:                            ;   in Loop: Header=BB6_27928 Depth=3
	s_and_not1_saveexec_b32 s14, s14
; %bb.29946:                            ;   in Loop: Header=BB6_27928 Depth=3
	v_cmp_lt_i32_e32 vcc_lo, -1, v5
	v_cndmask_b32_e64 v15, -4, 0x7c, vcc_lo
; %bb.29947:                            ;   in Loop: Header=BB6_27928 Depth=3
	s_or_b32 exec_lo, exec_lo, s14
.LBB6_29948:                            ;   in Loop: Header=BB6_27928 Depth=3
	s_delay_alu instid0(SALU_CYCLE_1) | instskip(SKIP_3) | instid1(VALU_DEP_2)
	s_or_b32 exec_lo, exec_lo, s13
	v_and_b32_e32 v5, 0xff, v88
	v_dual_mov_b32 v1, 0 :: v_dual_mov_b32 v2, 0
	s_mov_b32 s14, exec_lo
	v_cmpx_ne_u16_e32 0, v5
	s_cbranch_execz .LBB6_29958
; %bb.29949:                            ;   in Loop: Header=BB6_27928 Depth=3
	v_bfrev_b32_e32 v2, 1
	s_mov_b32 s15, exec_lo
	v_cmpx_ne_u16_e32 0x80, v5
	s_cbranch_execz .LBB6_29957
; %bb.29950:                            ;   in Loop: Header=BB6_27928 Depth=3
	v_and_b32_e32 v2, 0x7c, v88
	v_and_b32_e32 v3, 3, v88
	s_delay_alu instid0(VALU_DEP_2) | instskip(SKIP_1) | instid1(SALU_CYCLE_1)
	v_cmp_ne_u32_e32 vcc_lo, 0x7c, v2
                                        ; implicit-def: $vgpr2
	s_and_saveexec_b32 s13, vcc_lo
	s_xor_b32 s13, exec_lo, s13
	s_cbranch_execz .LBB6_29954
; %bb.29951:                            ;   in Loop: Header=BB6_27928 Depth=3
	v_bfe_u32 v2, v5, 2, 5
	s_mov_b32 s74, exec_lo
	s_delay_alu instid0(VALU_DEP_1)
	v_cmpx_eq_u32_e32 0, v2
	s_cbranch_execz .LBB6_29953
; %bb.29952:                            ;   in Loop: Header=BB6_27928 Depth=3
	v_clz_i32_u32_e32 v2, v3
	s_delay_alu instid0(VALU_DEP_1) | instskip(SKIP_1) | instid1(VALU_DEP_2)
	v_min_u32_e32 v2, 32, v2
	v_mov_b32_e32 v89, v113
	v_subrev_nc_u32_e32 v3, 29, v2
	v_sub_nc_u32_e32 v2, 30, v2
	s_delay_alu instid0(VALU_DEP_2) | instskip(NEXT) | instid1(VALU_DEP_1)
	v_lshlrev_b64_e32 v[6:7], v3, v[88:89]
	v_and_b32_e32 v3, 3, v6
.LBB6_29953:                            ;   in Loop: Header=BB6_27928 Depth=3
	s_or_b32 exec_lo, exec_lo, s74
	v_lshlrev_b32_e32 v5, 24, v88
                                        ; implicit-def: $vgpr88
	s_delay_alu instid0(VALU_DEP_1) | instskip(NEXT) | instid1(VALU_DEP_1)
	v_and_b32_e32 v5, 0x80000000, v5
	v_lshl_add_u32 v2, v2, 23, v5
	s_delay_alu instid0(VALU_DEP_1) | instskip(NEXT) | instid1(VALU_DEP_1)
	v_lshl_or_b32 v2, v3, 21, v2
                                        ; implicit-def: $vgpr3
	v_add_nc_u32_e32 v2, 0x38000000, v2
.LBB6_29954:                            ;   in Loop: Header=BB6_27928 Depth=3
	s_and_not1_saveexec_b32 s74, s13
; %bb.29955:                            ;   in Loop: Header=BB6_27928 Depth=3
	v_bfe_i32 v2, v88, 0, 8
	v_cmp_eq_u32_e32 vcc_lo, 0, v3
	s_delay_alu instid0(VALU_DEP_2) | instskip(SKIP_1) | instid1(VALU_DEP_1)
	v_cmp_lt_i16_e64 s13, -1, v2
	v_mov_b32_e32 v2, 0x7f800000
	v_cndmask_b32_e64 v2, 0xff800000, v2, s13
	s_delay_alu instid0(VALU_DEP_1)
	v_cndmask_b32_e32 v2, 0x7f800001, v2, vcc_lo
; %bb.29956:                            ;   in Loop: Header=BB6_27928 Depth=3
	s_or_b32 exec_lo, exec_lo, s74
.LBB6_29957:                            ;   in Loop: Header=BB6_27928 Depth=3
	s_delay_alu instid0(SALU_CYCLE_1)
	s_or_b32 exec_lo, exec_lo, s15
.LBB6_29958:                            ;   in Loop: Header=BB6_27928 Depth=3
	s_delay_alu instid0(SALU_CYCLE_1) | instskip(NEXT) | instid1(SALU_CYCLE_1)
	s_or_b32 exec_lo, exec_lo, s14
	s_mov_b32 s14, exec_lo
	s_wait_loadcnt_dscnt 0xa0a
	v_cmpx_ne_u16_e32 0, v38
	s_cbranch_execz .LBB6_29968
; %bb.29959:                            ;   in Loop: Header=BB6_27928 Depth=3
	v_bfrev_b32_e32 v1, 1
	s_mov_b32 s15, exec_lo
	v_cmpx_ne_u16_e32 0xff80, v38
	s_cbranch_execz .LBB6_29967
; %bb.29960:                            ;   in Loop: Header=BB6_27928 Depth=3
	v_and_b32_e32 v1, 0x7c, v38
	v_and_b32_e32 v3, 3, v38
	s_delay_alu instid0(VALU_DEP_2) | instskip(SKIP_1) | instid1(SALU_CYCLE_1)
	v_cmp_ne_u32_e32 vcc_lo, 0x7c, v1
                                        ; implicit-def: $vgpr1
	s_and_saveexec_b32 s13, vcc_lo
	s_xor_b32 s13, exec_lo, s13
	s_cbranch_execz .LBB6_29964
; %bb.29961:                            ;   in Loop: Header=BB6_27928 Depth=3
	v_and_b32_e32 v1, 0xff, v38
	s_mov_b32 s74, exec_lo
	s_delay_alu instid0(VALU_DEP_1) | instskip(NEXT) | instid1(VALU_DEP_1)
	v_bfe_u32 v1, v1, 2, 5
	v_cmpx_eq_u32_e32 0, v1
	s_cbranch_execz .LBB6_29963
; %bb.29962:                            ;   in Loop: Header=BB6_27928 Depth=3
	v_clz_i32_u32_e32 v1, v3
	s_delay_alu instid0(VALU_DEP_1) | instskip(SKIP_1) | instid1(VALU_DEP_2)
	v_min_u32_e32 v1, 32, v1
	v_mov_b32_e32 v39, v113
	v_subrev_nc_u32_e32 v3, 29, v1
	v_sub_nc_u32_e32 v1, 30, v1
	s_delay_alu instid0(VALU_DEP_2) | instskip(NEXT) | instid1(VALU_DEP_1)
	v_lshlrev_b64_e32 v[6:7], v3, v[38:39]
	v_and_b32_e32 v3, 3, v6
.LBB6_29963:                            ;   in Loop: Header=BB6_27928 Depth=3
	s_or_b32 exec_lo, exec_lo, s74
	v_bfe_i32 v5, v38, 0, 16
                                        ; implicit-def: $vgpr38
	s_delay_alu instid0(VALU_DEP_1) | instskip(NEXT) | instid1(VALU_DEP_1)
	v_and_b32_e32 v5, 0x80000000, v5
	v_lshl_add_u32 v1, v1, 23, v5
	s_delay_alu instid0(VALU_DEP_1) | instskip(NEXT) | instid1(VALU_DEP_1)
	v_lshl_or_b32 v1, v3, 21, v1
                                        ; implicit-def: $vgpr3
	v_add_nc_u32_e32 v1, 0x38000000, v1
.LBB6_29964:                            ;   in Loop: Header=BB6_27928 Depth=3
	s_and_not1_saveexec_b32 s74, s13
; %bb.29965:                            ;   in Loop: Header=BB6_27928 Depth=3
	v_cmp_lt_i16_e64 s13, -1, v38
	v_mov_b32_e32 v1, 0x7f800000
	v_cmp_eq_u32_e32 vcc_lo, 0, v3
	s_delay_alu instid0(VALU_DEP_2) | instskip(NEXT) | instid1(VALU_DEP_1)
	v_cndmask_b32_e64 v1, 0xff800000, v1, s13
	v_cndmask_b32_e32 v1, 0x7f800001, v1, vcc_lo
; %bb.29966:                            ;   in Loop: Header=BB6_27928 Depth=3
	s_or_b32 exec_lo, exec_lo, s74
.LBB6_29967:                            ;   in Loop: Header=BB6_27928 Depth=3
	s_delay_alu instid0(SALU_CYCLE_1)
	s_or_b32 exec_lo, exec_lo, s15
.LBB6_29968:                            ;   in Loop: Header=BB6_27928 Depth=3
	s_delay_alu instid0(SALU_CYCLE_1) | instskip(NEXT) | instid1(VALU_DEP_1)
	s_or_b32 exec_lo, exec_lo, s14
	v_dual_add_f32 v5, v2, v1 :: v_dual_mov_b32 v3, v113
                                        ; implicit-def: $vgpr36
	s_delay_alu instid0(VALU_DEP_1) | instskip(NEXT) | instid1(VALU_DEP_1)
	v_and_b32_e32 v2, 0x7f800000, v5
	v_cmp_ne_u64_e32 vcc_lo, 0x7f800000, v[2:3]
	v_and_b32_e32 v2, 0x7fffff, v5
	s_and_saveexec_b32 s13, vcc_lo
	s_delay_alu instid0(SALU_CYCLE_1)
	s_xor_b32 s14, exec_lo, s13
	s_cbranch_execz .LBB6_29986
; %bb.29969:                            ;   in Loop: Header=BB6_27928 Depth=3
	v_dual_mov_b32 v7, v113 :: v_dual_lshrrev_b32 v1, 24, v5
	v_and_b32_e32 v6, 0x7fffffff, v5
                                        ; implicit-def: $vgpr36
	s_mov_b32 s13, exec_lo
	s_delay_alu instid0(VALU_DEP_2) | instskip(NEXT) | instid1(VALU_DEP_2)
	v_and_b32_e32 v1, 0x80, v1
	v_cmpx_gt_u64_e32 0x47600001, v[6:7]
	s_xor_b32 s15, exec_lo, s13
	s_cbranch_execz .LBB6_29983
; %bb.29970:                            ;   in Loop: Header=BB6_27928 Depth=3
	v_mov_b32_e32 v36, 0
	s_mov_b32 s74, exec_lo
	v_cmpx_ne_u32_e32 0, v5
	s_cbranch_execz .LBB6_29982
; %bb.29971:                            ;   in Loop: Header=BB6_27928 Depth=3
	v_bfe_u32 v5, v5, 23, 8
	v_or_b32_e32 v7, 0x800000, v2
	s_delay_alu instid0(VALU_DEP_2) | instskip(SKIP_2) | instid1(VALU_DEP_2)
	v_cmp_gt_u32_e64 s13, 0x72, v5
	v_sub_nc_u32_e32 v6, 0x71, v5
	v_cmp_eq_u32_e32 vcc_lo, 0, v5
	v_cndmask_b32_e64 v6, 0, v6, s13
	s_delay_alu instid0(VALU_DEP_1) | instskip(NEXT) | instid1(VALU_DEP_1)
	v_cndmask_b32_e64 v17, v6, 0x70, vcc_lo
	v_dual_cndmask_b32 v2, v7, v2, vcc_lo :: v_dual_add_nc_u32 v6, 21, v17
	v_add_nc_u32_e32 v27, 20, v17
	s_delay_alu instid0(VALU_DEP_2) | instskip(NEXT) | instid1(VALU_DEP_2)
	v_lshlrev_b64_e64 v[6:7], v6, -1
	v_lshlrev_b64_e64 v[36:37], v27, 1
	s_delay_alu instid0(VALU_DEP_2) | instskip(SKIP_1) | instid1(VALU_DEP_4)
	v_bfi_b32 v6, v6, 0, v2
	v_lshrrev_b64 v[2:3], v17, v[2:3]
	v_bfi_b32 v7, v7, 0, 0
	s_delay_alu instid0(VALU_DEP_1) | instskip(NEXT) | instid1(VALU_DEP_3)
	v_cmp_eq_u64_e64 s13, v[6:7], v[36:37]
	v_mov_b64_e32 v[6:7], v[2:3]
	s_and_saveexec_b32 s75, s13
; %bb.29972:                            ;   in Loop: Header=BB6_27928 Depth=3
	v_bfe_u32 v6, v2, 21, 1
	v_mov_b32_e32 v7, v113
	s_delay_alu instid0(VALU_DEP_1) | instskip(NEXT) | instid1(VALU_DEP_1)
	v_add_nc_u64_e32 v[6:7], v[2:3], v[6:7]
	v_add_nc_u64_e32 v[6:7], -1, v[6:7]
; %bb.29973:                            ;   in Loop: Header=BB6_27928 Depth=3
	s_or_b32 exec_lo, exec_lo, s75
	v_add_nc_u32_e32 v3, 0xffffff81, v5
	v_lshrrev_b32_e32 v5, 23, v2
	s_mov_b32 s13, exec_lo
	s_delay_alu instid0(VALU_DEP_2) | instskip(NEXT) | instid1(VALU_DEP_1)
	v_cndmask_b32_e64 v3, v3, 0xffffff82, vcc_lo
	v_add3_u32 v7, v17, v3, v5
	v_and_b32_e32 v3, 0x1fffff, v6
                                        ; implicit-def: $vgpr5
	s_delay_alu instid0(VALU_DEP_1) | instskip(SKIP_1) | instid1(VALU_DEP_2)
	v_dual_add_nc_u32 v6, 14, v7 :: v_dual_add_nc_u32 v2, v3, v2
	v_mov_b32_e32 v3, v113
	v_cmpx_ne_u32_e32 0, v6
	s_xor_b32 s13, exec_lo, s13
; %bb.29974:                            ;   in Loop: Header=BB6_27928 Depth=3
	s_delay_alu instid0(VALU_DEP_2) | instskip(SKIP_1) | instid1(VALU_DEP_1)
	v_cmp_lt_u64_e32 vcc_lo, 0xffffff, v[2:3]
	v_add_nc_u32_e32 v5, 15, v7
	v_cndmask_b32_e32 v5, v6, v5, vcc_lo
	v_cndmask_b32_e64 v6, 0, 1, vcc_lo
	s_delay_alu instid0(VALU_DEP_1)
	v_lshrrev_b64 v[2:3], v6, v[2:3]
; %bb.29975:                            ;   in Loop: Header=BB6_27928 Depth=3
	s_and_not1_saveexec_b32 s13, s13
; %bb.29976:                            ;   in Loop: Header=BB6_27928 Depth=3
	s_delay_alu instid0(VALU_DEP_1)
	v_bfe_u32 v5, v2, 23, 1
; %bb.29977:                            ;   in Loop: Header=BB6_27928 Depth=3
	s_or_b32 exec_lo, exec_lo, s13
	s_delay_alu instid0(VALU_DEP_2) | instskip(NEXT) | instid1(VALU_DEP_2)
	v_lshrrev_b64 v[2:3], 21, v[2:3]
	v_cmp_gt_i32_e32 vcc_lo, 32, v5
	v_cmp_ne_u32_e64 s13, 0, v5
                                        ; implicit-def: $vgpr36
	s_delay_alu instid0(VALU_DEP_3) | instskip(NEXT) | instid1(VALU_DEP_1)
	v_dual_cndmask_b32 v3, 0, v3 :: v_dual_cndmask_b32 v2, 3, v2
	v_cmp_ne_u64_e32 vcc_lo, 0, v[2:3]
	s_or_b32 s13, s13, vcc_lo
	s_delay_alu instid0(SALU_CYCLE_1) | instskip(NEXT) | instid1(SALU_CYCLE_1)
	s_and_saveexec_b32 s75, s13
	s_xor_b32 s13, exec_lo, s75
; %bb.29978:                            ;   in Loop: Header=BB6_27928 Depth=3
	v_min_i32_e32 v3, 31, v5
	s_delay_alu instid0(VALU_DEP_1) | instskip(NEXT) | instid1(VALU_DEP_1)
	v_lshl_or_b32 v1, v3, 2, v1
	v_and_or_b32 v36, v2, 3, v1
                                        ; implicit-def: $vgpr1
; %bb.29979:                            ;   in Loop: Header=BB6_27928 Depth=3
	s_and_not1_saveexec_b32 s13, s13
; %bb.29980:                            ;   in Loop: Header=BB6_27928 Depth=3
	v_mov_b32_e32 v36, v1
; %bb.29981:                            ;   in Loop: Header=BB6_27928 Depth=3
	s_or_b32 exec_lo, exec_lo, s13
.LBB6_29982:                            ;   in Loop: Header=BB6_27928 Depth=3
	s_delay_alu instid0(SALU_CYCLE_1)
	s_or_b32 exec_lo, exec_lo, s74
                                        ; implicit-def: $vgpr1
.LBB6_29983:                            ;   in Loop: Header=BB6_27928 Depth=3
	s_and_not1_saveexec_b32 s13, s15
; %bb.29984:                            ;   in Loop: Header=BB6_27928 Depth=3
	v_or_b32_e32 v36, 0x7b, v1
; %bb.29985:                            ;   in Loop: Header=BB6_27928 Depth=3
	s_or_b32 exec_lo, exec_lo, s13
                                        ; implicit-def: $vgpr5
                                        ; implicit-def: $vgpr2_vgpr3
.LBB6_29986:                            ;   in Loop: Header=BB6_27928 Depth=3
	s_and_not1_saveexec_b32 s13, s14
	s_cbranch_execz .LBB6_29992
; %bb.29987:                            ;   in Loop: Header=BB6_27928 Depth=3
	s_mov_b32 s14, exec_lo
                                        ; implicit-def: $vgpr36
	v_cmpx_ne_u64_e32 0, v[2:3]
	s_xor_b32 s14, exec_lo, s14
; %bb.29988:                            ;   in Loop: Header=BB6_27928 Depth=3
	v_lshrrev_b32_e32 v1, 24, v5
                                        ; implicit-def: $vgpr5
	s_delay_alu instid0(VALU_DEP_1)
	v_or_b32_e32 v36, 0x7f, v1
; %bb.29989:                            ;   in Loop: Header=BB6_27928 Depth=3
	s_and_not1_saveexec_b32 s14, s14
; %bb.29990:                            ;   in Loop: Header=BB6_27928 Depth=3
	v_cmp_lt_i32_e32 vcc_lo, -1, v5
	v_cndmask_b32_e64 v36, -4, 0x7c, vcc_lo
; %bb.29991:                            ;   in Loop: Header=BB6_27928 Depth=3
	s_or_b32 exec_lo, exec_lo, s14
.LBB6_29992:                            ;   in Loop: Header=BB6_27928 Depth=3
	s_delay_alu instid0(SALU_CYCLE_1) | instskip(SKIP_3) | instid1(VALU_DEP_2)
	s_or_b32 exec_lo, exec_lo, s13
	v_and_b32_e32 v5, 0xff, v78
	v_dual_mov_b32 v1, 0 :: v_dual_mov_b32 v2, 0
	s_mov_b32 s14, exec_lo
	v_cmpx_ne_u16_e32 0, v5
	s_cbranch_execz .LBB6_30002
; %bb.29993:                            ;   in Loop: Header=BB6_27928 Depth=3
	v_bfrev_b32_e32 v2, 1
	s_mov_b32 s15, exec_lo
	v_cmpx_ne_u16_e32 0x80, v5
	s_cbranch_execz .LBB6_30001
; %bb.29994:                            ;   in Loop: Header=BB6_27928 Depth=3
	v_and_b32_e32 v2, 0x7c, v78
	v_and_b32_e32 v3, 3, v78
	s_delay_alu instid0(VALU_DEP_2) | instskip(SKIP_1) | instid1(SALU_CYCLE_1)
	v_cmp_ne_u32_e32 vcc_lo, 0x7c, v2
                                        ; implicit-def: $vgpr2
	s_and_saveexec_b32 s13, vcc_lo
	s_xor_b32 s13, exec_lo, s13
	s_cbranch_execz .LBB6_29998
; %bb.29995:                            ;   in Loop: Header=BB6_27928 Depth=3
	v_bfe_u32 v2, v5, 2, 5
	s_mov_b32 s74, exec_lo
	s_delay_alu instid0(VALU_DEP_1)
	v_cmpx_eq_u32_e32 0, v2
	s_cbranch_execz .LBB6_29997
; %bb.29996:                            ;   in Loop: Header=BB6_27928 Depth=3
	v_clz_i32_u32_e32 v2, v3
	s_delay_alu instid0(VALU_DEP_1) | instskip(SKIP_1) | instid1(VALU_DEP_2)
	v_min_u32_e32 v2, 32, v2
	v_mov_b32_e32 v79, v113
	v_subrev_nc_u32_e32 v3, 29, v2
	v_sub_nc_u32_e32 v2, 30, v2
	s_delay_alu instid0(VALU_DEP_2) | instskip(NEXT) | instid1(VALU_DEP_1)
	v_lshlrev_b64_e32 v[6:7], v3, v[78:79]
	v_and_b32_e32 v3, 3, v6
.LBB6_29997:                            ;   in Loop: Header=BB6_27928 Depth=3
	s_or_b32 exec_lo, exec_lo, s74
	v_lshlrev_b32_e32 v5, 24, v78
                                        ; implicit-def: $vgpr78
	s_delay_alu instid0(VALU_DEP_1) | instskip(NEXT) | instid1(VALU_DEP_1)
	v_and_b32_e32 v5, 0x80000000, v5
	v_lshl_add_u32 v2, v2, 23, v5
	s_delay_alu instid0(VALU_DEP_1) | instskip(NEXT) | instid1(VALU_DEP_1)
	v_lshl_or_b32 v2, v3, 21, v2
                                        ; implicit-def: $vgpr3
	v_add_nc_u32_e32 v2, 0x38000000, v2
.LBB6_29998:                            ;   in Loop: Header=BB6_27928 Depth=3
	s_and_not1_saveexec_b32 s74, s13
; %bb.29999:                            ;   in Loop: Header=BB6_27928 Depth=3
	v_bfe_i32 v2, v78, 0, 8
	v_cmp_eq_u32_e32 vcc_lo, 0, v3
	s_delay_alu instid0(VALU_DEP_2) | instskip(SKIP_1) | instid1(VALU_DEP_1)
	v_cmp_lt_i16_e64 s13, -1, v2
	v_mov_b32_e32 v2, 0x7f800000
	v_cndmask_b32_e64 v2, 0xff800000, v2, s13
	s_delay_alu instid0(VALU_DEP_1)
	v_cndmask_b32_e32 v2, 0x7f800001, v2, vcc_lo
; %bb.30000:                            ;   in Loop: Header=BB6_27928 Depth=3
	s_or_b32 exec_lo, exec_lo, s74
.LBB6_30001:                            ;   in Loop: Header=BB6_27928 Depth=3
	s_delay_alu instid0(SALU_CYCLE_1)
	s_or_b32 exec_lo, exec_lo, s15
.LBB6_30002:                            ;   in Loop: Header=BB6_27928 Depth=3
	s_delay_alu instid0(SALU_CYCLE_1) | instskip(NEXT) | instid1(SALU_CYCLE_1)
	s_or_b32 exec_lo, exec_lo, s14
	s_mov_b32 s14, exec_lo
	s_wait_loadcnt_dscnt 0x909
	v_cmpx_ne_u16_e32 0, v96
	s_cbranch_execz .LBB6_30012
; %bb.30003:                            ;   in Loop: Header=BB6_27928 Depth=3
	v_bfrev_b32_e32 v1, 1
	s_mov_b32 s15, exec_lo
	v_cmpx_ne_u16_e32 0xff80, v96
	s_cbranch_execz .LBB6_30011
; %bb.30004:                            ;   in Loop: Header=BB6_27928 Depth=3
	v_and_b32_e32 v1, 0x7c, v96
	v_and_b32_e32 v3, 3, v96
	s_delay_alu instid0(VALU_DEP_2) | instskip(SKIP_1) | instid1(SALU_CYCLE_1)
	v_cmp_ne_u32_e32 vcc_lo, 0x7c, v1
                                        ; implicit-def: $vgpr1
	s_and_saveexec_b32 s13, vcc_lo
	s_xor_b32 s13, exec_lo, s13
	s_cbranch_execz .LBB6_30008
; %bb.30005:                            ;   in Loop: Header=BB6_27928 Depth=3
	v_and_b32_e32 v1, 0xff, v96
	s_mov_b32 s74, exec_lo
	s_delay_alu instid0(VALU_DEP_1) | instskip(NEXT) | instid1(VALU_DEP_1)
	v_bfe_u32 v1, v1, 2, 5
	v_cmpx_eq_u32_e32 0, v1
	s_cbranch_execz .LBB6_30007
; %bb.30006:                            ;   in Loop: Header=BB6_27928 Depth=3
	v_clz_i32_u32_e32 v1, v3
	s_delay_alu instid0(VALU_DEP_1) | instskip(SKIP_1) | instid1(VALU_DEP_2)
	v_min_u32_e32 v1, 32, v1
	v_mov_b32_e32 v97, v113
	v_subrev_nc_u32_e32 v3, 29, v1
	v_sub_nc_u32_e32 v1, 30, v1
	s_delay_alu instid0(VALU_DEP_2) | instskip(NEXT) | instid1(VALU_DEP_1)
	v_lshlrev_b64_e32 v[6:7], v3, v[96:97]
	v_and_b32_e32 v3, 3, v6
.LBB6_30007:                            ;   in Loop: Header=BB6_27928 Depth=3
	s_or_b32 exec_lo, exec_lo, s74
	v_bfe_i32 v5, v96, 0, 16
                                        ; implicit-def: $vgpr96
	s_delay_alu instid0(VALU_DEP_1) | instskip(NEXT) | instid1(VALU_DEP_1)
	v_and_b32_e32 v5, 0x80000000, v5
	v_lshl_add_u32 v1, v1, 23, v5
	s_delay_alu instid0(VALU_DEP_1) | instskip(NEXT) | instid1(VALU_DEP_1)
	v_lshl_or_b32 v1, v3, 21, v1
                                        ; implicit-def: $vgpr3
	v_add_nc_u32_e32 v1, 0x38000000, v1
.LBB6_30008:                            ;   in Loop: Header=BB6_27928 Depth=3
	s_and_not1_saveexec_b32 s74, s13
; %bb.30009:                            ;   in Loop: Header=BB6_27928 Depth=3
	v_cmp_lt_i16_e64 s13, -1, v96
	v_mov_b32_e32 v1, 0x7f800000
	v_cmp_eq_u32_e32 vcc_lo, 0, v3
	s_delay_alu instid0(VALU_DEP_2) | instskip(NEXT) | instid1(VALU_DEP_1)
	v_cndmask_b32_e64 v1, 0xff800000, v1, s13
	v_cndmask_b32_e32 v1, 0x7f800001, v1, vcc_lo
; %bb.30010:                            ;   in Loop: Header=BB6_27928 Depth=3
	s_or_b32 exec_lo, exec_lo, s74
.LBB6_30011:                            ;   in Loop: Header=BB6_27928 Depth=3
	s_delay_alu instid0(SALU_CYCLE_1)
	s_or_b32 exec_lo, exec_lo, s15
.LBB6_30012:                            ;   in Loop: Header=BB6_27928 Depth=3
	s_delay_alu instid0(SALU_CYCLE_1) | instskip(NEXT) | instid1(VALU_DEP_1)
	s_or_b32 exec_lo, exec_lo, s14
	v_dual_add_f32 v5, v2, v1 :: v_dual_mov_b32 v3, v113
                                        ; implicit-def: $vgpr6
	s_delay_alu instid0(VALU_DEP_1) | instskip(NEXT) | instid1(VALU_DEP_1)
	v_and_b32_e32 v2, 0x7f800000, v5
	v_cmp_ne_u64_e32 vcc_lo, 0x7f800000, v[2:3]
	v_and_b32_e32 v2, 0x7fffff, v5
	s_and_saveexec_b32 s13, vcc_lo
	s_delay_alu instid0(SALU_CYCLE_1)
	s_xor_b32 s14, exec_lo, s13
	s_cbranch_execz .LBB6_30030
; %bb.30013:                            ;   in Loop: Header=BB6_27928 Depth=3
	v_and_b32_e32 v6, 0x7fffffff, v5
	v_dual_mov_b32 v7, v113 :: v_dual_lshrrev_b32 v1, 24, v5
	s_delay_alu instid0(VALU_DEP_1) | instskip(NEXT) | instid1(VALU_DEP_2)
	v_cmp_gt_u64_e32 vcc_lo, 0x47600001, v[6:7]
	v_and_b32_e32 v1, 0x80, v1
                                        ; implicit-def: $vgpr6
	s_and_saveexec_b32 s13, vcc_lo
	s_delay_alu instid0(SALU_CYCLE_1)
	s_xor_b32 s15, exec_lo, s13
	s_cbranch_execz .LBB6_30027
; %bb.30014:                            ;   in Loop: Header=BB6_27928 Depth=3
	v_mov_b32_e32 v6, 0
	s_mov_b32 s74, exec_lo
	v_cmpx_ne_u32_e32 0, v5
	s_cbranch_execz .LBB6_30026
; %bb.30015:                            ;   in Loop: Header=BB6_27928 Depth=3
	v_bfe_u32 v5, v5, 23, 8
	v_or_b32_e32 v7, 0x800000, v2
	s_delay_alu instid0(VALU_DEP_2) | instskip(SKIP_2) | instid1(VALU_DEP_2)
	v_cmp_gt_u32_e64 s13, 0x72, v5
	v_sub_nc_u32_e32 v6, 0x71, v5
	v_cmp_eq_u32_e32 vcc_lo, 0, v5
	v_cndmask_b32_e64 v6, 0, v6, s13
	s_delay_alu instid0(VALU_DEP_1) | instskip(NEXT) | instid1(VALU_DEP_1)
	v_cndmask_b32_e64 v17, v6, 0x70, vcc_lo
	v_dual_cndmask_b32 v2, v7, v2, vcc_lo :: v_dual_add_nc_u32 v6, 21, v17
	v_add_nc_u32_e32 v27, 20, v17
	s_delay_alu instid0(VALU_DEP_2) | instskip(NEXT) | instid1(VALU_DEP_2)
	v_lshlrev_b64_e64 v[6:7], v6, -1
	v_lshlrev_b64_e64 v[38:39], v27, 1
	s_delay_alu instid0(VALU_DEP_2) | instskip(SKIP_1) | instid1(VALU_DEP_4)
	v_bfi_b32 v6, v6, 0, v2
	v_lshrrev_b64 v[2:3], v17, v[2:3]
	v_bfi_b32 v7, v7, 0, 0
	s_delay_alu instid0(VALU_DEP_1) | instskip(NEXT) | instid1(VALU_DEP_3)
	v_cmp_eq_u64_e64 s13, v[6:7], v[38:39]
	v_mov_b64_e32 v[6:7], v[2:3]
	s_and_saveexec_b32 s75, s13
; %bb.30016:                            ;   in Loop: Header=BB6_27928 Depth=3
	v_bfe_u32 v6, v2, 21, 1
	v_mov_b32_e32 v7, v113
	s_delay_alu instid0(VALU_DEP_1) | instskip(NEXT) | instid1(VALU_DEP_1)
	v_add_nc_u64_e32 v[6:7], v[2:3], v[6:7]
	v_add_nc_u64_e32 v[6:7], -1, v[6:7]
; %bb.30017:                            ;   in Loop: Header=BB6_27928 Depth=3
	s_or_b32 exec_lo, exec_lo, s75
	v_add_nc_u32_e32 v3, 0xffffff81, v5
	v_lshrrev_b32_e32 v5, 23, v2
	s_mov_b32 s13, exec_lo
	s_delay_alu instid0(VALU_DEP_2) | instskip(NEXT) | instid1(VALU_DEP_1)
	v_cndmask_b32_e64 v3, v3, 0xffffff82, vcc_lo
	v_add3_u32 v7, v17, v3, v5
	v_and_b32_e32 v3, 0x1fffff, v6
                                        ; implicit-def: $vgpr5
	s_delay_alu instid0(VALU_DEP_1) | instskip(SKIP_1) | instid1(VALU_DEP_2)
	v_dual_add_nc_u32 v6, 14, v7 :: v_dual_add_nc_u32 v2, v3, v2
	v_mov_b32_e32 v3, v113
	v_cmpx_ne_u32_e32 0, v6
	s_xor_b32 s13, exec_lo, s13
; %bb.30018:                            ;   in Loop: Header=BB6_27928 Depth=3
	s_delay_alu instid0(VALU_DEP_2) | instskip(SKIP_1) | instid1(VALU_DEP_1)
	v_cmp_lt_u64_e32 vcc_lo, 0xffffff, v[2:3]
	v_add_nc_u32_e32 v5, 15, v7
	v_cndmask_b32_e32 v5, v6, v5, vcc_lo
	v_cndmask_b32_e64 v6, 0, 1, vcc_lo
	s_delay_alu instid0(VALU_DEP_1)
	v_lshrrev_b64 v[2:3], v6, v[2:3]
; %bb.30019:                            ;   in Loop: Header=BB6_27928 Depth=3
	s_and_not1_saveexec_b32 s13, s13
; %bb.30020:                            ;   in Loop: Header=BB6_27928 Depth=3
	s_delay_alu instid0(VALU_DEP_1)
	v_bfe_u32 v5, v2, 23, 1
; %bb.30021:                            ;   in Loop: Header=BB6_27928 Depth=3
	s_or_b32 exec_lo, exec_lo, s13
	s_delay_alu instid0(VALU_DEP_2) | instskip(NEXT) | instid1(VALU_DEP_2)
	v_lshrrev_b64 v[2:3], 21, v[2:3]
	v_cmp_gt_i32_e32 vcc_lo, 32, v5
	v_cmp_ne_u32_e64 s13, 0, v5
                                        ; implicit-def: $vgpr6
	s_delay_alu instid0(VALU_DEP_3) | instskip(NEXT) | instid1(VALU_DEP_1)
	v_dual_cndmask_b32 v3, 0, v3 :: v_dual_cndmask_b32 v2, 3, v2
	v_cmp_ne_u64_e32 vcc_lo, 0, v[2:3]
	s_or_b32 s13, s13, vcc_lo
	s_delay_alu instid0(SALU_CYCLE_1) | instskip(NEXT) | instid1(SALU_CYCLE_1)
	s_and_saveexec_b32 s75, s13
	s_xor_b32 s13, exec_lo, s75
; %bb.30022:                            ;   in Loop: Header=BB6_27928 Depth=3
	v_min_i32_e32 v3, 31, v5
	s_delay_alu instid0(VALU_DEP_1) | instskip(NEXT) | instid1(VALU_DEP_1)
	v_lshl_or_b32 v1, v3, 2, v1
	v_and_or_b32 v6, v2, 3, v1
                                        ; implicit-def: $vgpr1
; %bb.30023:                            ;   in Loop: Header=BB6_27928 Depth=3
	s_and_not1_saveexec_b32 s13, s13
; %bb.30024:                            ;   in Loop: Header=BB6_27928 Depth=3
	v_mov_b32_e32 v6, v1
; %bb.30025:                            ;   in Loop: Header=BB6_27928 Depth=3
	s_or_b32 exec_lo, exec_lo, s13
.LBB6_30026:                            ;   in Loop: Header=BB6_27928 Depth=3
	s_delay_alu instid0(SALU_CYCLE_1)
	s_or_b32 exec_lo, exec_lo, s74
                                        ; implicit-def: $vgpr1
.LBB6_30027:                            ;   in Loop: Header=BB6_27928 Depth=3
	s_and_not1_saveexec_b32 s13, s15
; %bb.30028:                            ;   in Loop: Header=BB6_27928 Depth=3
	v_or_b32_e32 v6, 0x7b, v1
; %bb.30029:                            ;   in Loop: Header=BB6_27928 Depth=3
	s_or_b32 exec_lo, exec_lo, s13
                                        ; implicit-def: $vgpr5
                                        ; implicit-def: $vgpr2_vgpr3
.LBB6_30030:                            ;   in Loop: Header=BB6_27928 Depth=3
	s_and_not1_saveexec_b32 s13, s14
	s_cbranch_execz .LBB6_30036
; %bb.30031:                            ;   in Loop: Header=BB6_27928 Depth=3
	s_mov_b32 s14, exec_lo
                                        ; implicit-def: $vgpr6
	v_cmpx_ne_u64_e32 0, v[2:3]
	s_xor_b32 s14, exec_lo, s14
; %bb.30032:                            ;   in Loop: Header=BB6_27928 Depth=3
	v_lshrrev_b32_e32 v1, 24, v5
                                        ; implicit-def: $vgpr5
	s_delay_alu instid0(VALU_DEP_1)
	v_or_b32_e32 v6, 0x7f, v1
; %bb.30033:                            ;   in Loop: Header=BB6_27928 Depth=3
	s_and_not1_saveexec_b32 s14, s14
; %bb.30034:                            ;   in Loop: Header=BB6_27928 Depth=3
	v_cmp_lt_i32_e32 vcc_lo, -1, v5
	v_cndmask_b32_e64 v6, -4, 0x7c, vcc_lo
; %bb.30035:                            ;   in Loop: Header=BB6_27928 Depth=3
	s_or_b32 exec_lo, exec_lo, s14
.LBB6_30036:                            ;   in Loop: Header=BB6_27928 Depth=3
	s_delay_alu instid0(SALU_CYCLE_1) | instskip(SKIP_3) | instid1(VALU_DEP_2)
	s_or_b32 exec_lo, exec_lo, s13
	v_and_b32_e32 v5, 0xff, v74
	v_dual_mov_b32 v1, 0 :: v_dual_mov_b32 v2, 0
	s_mov_b32 s14, exec_lo
	v_cmpx_ne_u16_e32 0, v5
	s_cbranch_execz .LBB6_30046
; %bb.30037:                            ;   in Loop: Header=BB6_27928 Depth=3
	v_bfrev_b32_e32 v2, 1
	s_mov_b32 s15, exec_lo
	v_cmpx_ne_u16_e32 0x80, v5
	s_cbranch_execz .LBB6_30045
; %bb.30038:                            ;   in Loop: Header=BB6_27928 Depth=3
	v_and_b32_e32 v2, 0x7c, v74
	v_and_b32_e32 v3, 3, v74
	s_delay_alu instid0(VALU_DEP_2) | instskip(SKIP_1) | instid1(SALU_CYCLE_1)
	v_cmp_ne_u32_e32 vcc_lo, 0x7c, v2
                                        ; implicit-def: $vgpr2
	s_and_saveexec_b32 s13, vcc_lo
	s_xor_b32 s13, exec_lo, s13
	s_cbranch_execz .LBB6_30042
; %bb.30039:                            ;   in Loop: Header=BB6_27928 Depth=3
	v_bfe_u32 v2, v5, 2, 5
	s_mov_b32 s74, exec_lo
	s_delay_alu instid0(VALU_DEP_1)
	v_cmpx_eq_u32_e32 0, v2
	s_cbranch_execz .LBB6_30041
; %bb.30040:                            ;   in Loop: Header=BB6_27928 Depth=3
	v_clz_i32_u32_e32 v2, v3
	s_delay_alu instid0(VALU_DEP_1) | instskip(SKIP_1) | instid1(VALU_DEP_2)
	v_min_u32_e32 v2, 32, v2
	v_mov_b32_e32 v75, v113
	v_subrev_nc_u32_e32 v3, 29, v2
	v_sub_nc_u32_e32 v2, 30, v2
	s_delay_alu instid0(VALU_DEP_2) | instskip(NEXT) | instid1(VALU_DEP_1)
	v_lshlrev_b64_e32 v[38:39], v3, v[74:75]
	v_and_b32_e32 v3, 3, v38
.LBB6_30041:                            ;   in Loop: Header=BB6_27928 Depth=3
	s_or_b32 exec_lo, exec_lo, s74
	v_lshlrev_b32_e32 v5, 24, v74
                                        ; implicit-def: $vgpr74
	s_delay_alu instid0(VALU_DEP_1) | instskip(NEXT) | instid1(VALU_DEP_1)
	v_and_b32_e32 v5, 0x80000000, v5
	v_lshl_add_u32 v2, v2, 23, v5
	s_delay_alu instid0(VALU_DEP_1) | instskip(NEXT) | instid1(VALU_DEP_1)
	v_lshl_or_b32 v2, v3, 21, v2
                                        ; implicit-def: $vgpr3
	v_add_nc_u32_e32 v2, 0x38000000, v2
.LBB6_30042:                            ;   in Loop: Header=BB6_27928 Depth=3
	s_and_not1_saveexec_b32 s74, s13
; %bb.30043:                            ;   in Loop: Header=BB6_27928 Depth=3
	v_bfe_i32 v2, v74, 0, 8
	v_cmp_eq_u32_e32 vcc_lo, 0, v3
	s_delay_alu instid0(VALU_DEP_2) | instskip(SKIP_1) | instid1(VALU_DEP_1)
	v_cmp_lt_i16_e64 s13, -1, v2
	v_mov_b32_e32 v2, 0x7f800000
	v_cndmask_b32_e64 v2, 0xff800000, v2, s13
	s_delay_alu instid0(VALU_DEP_1)
	v_cndmask_b32_e32 v2, 0x7f800001, v2, vcc_lo
; %bb.30044:                            ;   in Loop: Header=BB6_27928 Depth=3
	s_or_b32 exec_lo, exec_lo, s74
.LBB6_30045:                            ;   in Loop: Header=BB6_27928 Depth=3
	s_delay_alu instid0(SALU_CYCLE_1)
	s_or_b32 exec_lo, exec_lo, s15
.LBB6_30046:                            ;   in Loop: Header=BB6_27928 Depth=3
	s_delay_alu instid0(SALU_CYCLE_1) | instskip(NEXT) | instid1(SALU_CYCLE_1)
	s_or_b32 exec_lo, exec_lo, s14
	s_mov_b32 s14, exec_lo
	s_wait_loadcnt_dscnt 0x808
	v_cmpx_ne_u16_e32 0, v0
	s_cbranch_execz .LBB6_30056
; %bb.30047:                            ;   in Loop: Header=BB6_27928 Depth=3
	v_bfrev_b32_e32 v1, 1
	s_mov_b32 s15, exec_lo
	v_cmpx_ne_u16_e32 0xff80, v0
	s_cbranch_execz .LBB6_30055
; %bb.30048:                            ;   in Loop: Header=BB6_27928 Depth=3
	v_and_b32_e32 v1, 0x7c, v0
	v_and_b32_e32 v3, 3, v0
	s_delay_alu instid0(VALU_DEP_2) | instskip(SKIP_1) | instid1(SALU_CYCLE_1)
	v_cmp_ne_u32_e32 vcc_lo, 0x7c, v1
                                        ; implicit-def: $vgpr1
	s_and_saveexec_b32 s13, vcc_lo
	s_xor_b32 s13, exec_lo, s13
	s_cbranch_execz .LBB6_30052
; %bb.30049:                            ;   in Loop: Header=BB6_27928 Depth=3
	v_and_b32_e32 v1, 0xff, v0
	s_mov_b32 s74, exec_lo
	s_delay_alu instid0(VALU_DEP_1) | instskip(NEXT) | instid1(VALU_DEP_1)
	v_bfe_u32 v1, v1, 2, 5
	v_cmpx_eq_u32_e32 0, v1
; %bb.30050:                            ;   in Loop: Header=BB6_27928 Depth=3
	v_clz_i32_u32_e32 v1, v3
	s_delay_alu instid0(VALU_DEP_1) | instskip(SKIP_1) | instid1(VALU_DEP_2)
	v_min_u32_e32 v3, 32, v1
	v_mov_b32_e32 v1, v113
	v_subrev_nc_u32_e32 v5, 29, v3
	s_delay_alu instid0(VALU_DEP_1) | instskip(NEXT) | instid1(VALU_DEP_1)
	v_lshlrev_b64_e32 v[38:39], v5, v[0:1]
	v_dual_sub_nc_u32 v1, 30, v3 :: v_dual_bitop2_b32 v3, 3, v38 bitop3:0x40
; %bb.30051:                            ;   in Loop: Header=BB6_27928 Depth=3
	s_or_b32 exec_lo, exec_lo, s74
	v_bfe_i32 v0, v0, 0, 16
	s_delay_alu instid0(VALU_DEP_1) | instskip(NEXT) | instid1(VALU_DEP_1)
	v_and_b32_e32 v0, 0x80000000, v0
	v_lshl_add_u32 v0, v1, 23, v0
	s_delay_alu instid0(VALU_DEP_1) | instskip(NEXT) | instid1(VALU_DEP_1)
	v_lshl_or_b32 v0, v3, 21, v0
                                        ; implicit-def: $vgpr3
	v_add_nc_u32_e32 v1, 0x38000000, v0
                                        ; implicit-def: $vgpr0
.LBB6_30052:                            ;   in Loop: Header=BB6_27928 Depth=3
	s_and_not1_saveexec_b32 s74, s13
; %bb.30053:                            ;   in Loop: Header=BB6_27928 Depth=3
	v_cmp_lt_i16_e64 s13, -1, v0
	v_mov_b32_e32 v0, 0x7f800000
	v_cmp_eq_u32_e32 vcc_lo, 0, v3
	s_delay_alu instid0(VALU_DEP_2) | instskip(NEXT) | instid1(VALU_DEP_1)
	v_cndmask_b32_e64 v0, 0xff800000, v0, s13
	v_cndmask_b32_e32 v1, 0x7f800001, v0, vcc_lo
; %bb.30054:                            ;   in Loop: Header=BB6_27928 Depth=3
	s_or_b32 exec_lo, exec_lo, s74
.LBB6_30055:                            ;   in Loop: Header=BB6_27928 Depth=3
	s_delay_alu instid0(SALU_CYCLE_1)
	s_or_b32 exec_lo, exec_lo, s15
.LBB6_30056:                            ;   in Loop: Header=BB6_27928 Depth=3
	s_delay_alu instid0(SALU_CYCLE_1) | instskip(NEXT) | instid1(VALU_DEP_1)
	s_or_b32 exec_lo, exec_lo, s14
	v_dual_add_f32 v2, v2, v1 :: v_dual_mov_b32 v1, v113
                                        ; implicit-def: $vgpr7
	s_delay_alu instid0(VALU_DEP_1) | instskip(NEXT) | instid1(VALU_DEP_1)
	v_and_b32_e32 v0, 0x7f800000, v2
	v_cmp_ne_u64_e32 vcc_lo, 0x7f800000, v[0:1]
	v_and_b32_e32 v0, 0x7fffff, v2
	s_and_saveexec_b32 s13, vcc_lo
	s_delay_alu instid0(SALU_CYCLE_1)
	s_xor_b32 s14, exec_lo, s13
	s_cbranch_execz .LBB6_30074
; %bb.30057:                            ;   in Loop: Header=BB6_27928 Depth=3
	v_dual_mov_b32 v39, v113 :: v_dual_lshrrev_b32 v3, 24, v2
	v_and_b32_e32 v38, 0x7fffffff, v2
                                        ; implicit-def: $vgpr7
	s_mov_b32 s13, exec_lo
	s_delay_alu instid0(VALU_DEP_2) | instskip(NEXT) | instid1(VALU_DEP_2)
	v_and_b32_e32 v5, 0x80, v3
	v_cmpx_gt_u64_e32 0x47600001, v[38:39]
	s_xor_b32 s15, exec_lo, s13
	s_cbranch_execz .LBB6_30071
; %bb.30058:                            ;   in Loop: Header=BB6_27928 Depth=3
	v_mov_b32_e32 v7, 0
	s_mov_b32 s74, exec_lo
	v_cmpx_ne_u32_e32 0, v2
	s_cbranch_execz .LBB6_30070
; %bb.30059:                            ;   in Loop: Header=BB6_27928 Depth=3
	v_bfe_u32 v7, v2, 23, 8
	v_or_b32_e32 v3, 0x800000, v0
	s_delay_alu instid0(VALU_DEP_2) | instskip(SKIP_2) | instid1(VALU_DEP_2)
	v_cmp_gt_u32_e64 s13, 0x72, v7
	v_sub_nc_u32_e32 v2, 0x71, v7
	v_cmp_eq_u32_e32 vcc_lo, 0, v7
	v_dual_cndmask_b32 v2, 0, v2, s13 :: v_dual_cndmask_b32 v0, v3, v0, vcc_lo
	s_delay_alu instid0(VALU_DEP_1) | instskip(NEXT) | instid1(VALU_DEP_1)
	v_cndmask_b32_e64 v17, v2, 0x70, vcc_lo
	v_dual_add_nc_u32 v2, 21, v17 :: v_dual_add_nc_u32 v27, 20, v17
	s_delay_alu instid0(VALU_DEP_1) | instskip(NEXT) | instid1(VALU_DEP_2)
	v_lshlrev_b64_e64 v[2:3], v2, -1
	v_lshlrev_b64_e64 v[38:39], v27, 1
	s_delay_alu instid0(VALU_DEP_2) | instskip(SKIP_1) | instid1(VALU_DEP_4)
	v_bfi_b32 v2, v2, 0, v0
	v_lshrrev_b64 v[0:1], v17, v[0:1]
	v_bfi_b32 v3, v3, 0, 0
	s_delay_alu instid0(VALU_DEP_1) | instskip(NEXT) | instid1(VALU_DEP_3)
	v_cmp_eq_u64_e64 s13, v[2:3], v[38:39]
	v_mov_b64_e32 v[2:3], v[0:1]
	s_and_saveexec_b32 s75, s13
; %bb.30060:                            ;   in Loop: Header=BB6_27928 Depth=3
	v_bfe_u32 v2, v0, 21, 1
	v_mov_b32_e32 v3, v113
	s_delay_alu instid0(VALU_DEP_1) | instskip(NEXT) | instid1(VALU_DEP_1)
	v_add_nc_u64_e32 v[2:3], v[0:1], v[2:3]
	v_add_nc_u64_e32 v[2:3], -1, v[2:3]
; %bb.30061:                            ;   in Loop: Header=BB6_27928 Depth=3
	s_or_b32 exec_lo, exec_lo, s75
	v_add_nc_u32_e32 v1, 0xffffff81, v7
	v_lshrrev_b32_e32 v3, 23, v0
	s_mov_b32 s13, exec_lo
	s_delay_alu instid0(VALU_DEP_2) | instskip(NEXT) | instid1(VALU_DEP_1)
	v_cndmask_b32_e64 v1, v1, 0xffffff82, vcc_lo
	v_add3_u32 v7, v17, v1, v3
	v_and_b32_e32 v1, 0x1fffff, v2
                                        ; implicit-def: $vgpr2
	s_delay_alu instid0(VALU_DEP_1) | instskip(SKIP_1) | instid1(VALU_DEP_2)
	v_dual_add_nc_u32 v3, 14, v7 :: v_dual_add_nc_u32 v0, v1, v0
	v_mov_b32_e32 v1, v113
	v_cmpx_ne_u32_e32 0, v3
	s_xor_b32 s13, exec_lo, s13
; %bb.30062:                            ;   in Loop: Header=BB6_27928 Depth=3
	s_delay_alu instid0(VALU_DEP_2) | instskip(SKIP_1) | instid1(VALU_DEP_1)
	v_cmp_lt_u64_e32 vcc_lo, 0xffffff, v[0:1]
	v_add_nc_u32_e32 v2, 15, v7
	v_cndmask_b32_e32 v2, v3, v2, vcc_lo
	v_cndmask_b32_e64 v3, 0, 1, vcc_lo
	s_delay_alu instid0(VALU_DEP_1)
	v_lshrrev_b64 v[0:1], v3, v[0:1]
; %bb.30063:                            ;   in Loop: Header=BB6_27928 Depth=3
	s_and_not1_saveexec_b32 s13, s13
; %bb.30064:                            ;   in Loop: Header=BB6_27928 Depth=3
	s_delay_alu instid0(VALU_DEP_1)
	v_bfe_u32 v2, v0, 23, 1
; %bb.30065:                            ;   in Loop: Header=BB6_27928 Depth=3
	s_or_b32 exec_lo, exec_lo, s13
	s_delay_alu instid0(VALU_DEP_2) | instskip(NEXT) | instid1(VALU_DEP_2)
	v_lshrrev_b64 v[0:1], 21, v[0:1]
	v_cmp_gt_i32_e32 vcc_lo, 32, v2
	v_cmp_ne_u32_e64 s13, 0, v2
                                        ; implicit-def: $vgpr7
	s_delay_alu instid0(VALU_DEP_3) | instskip(NEXT) | instid1(VALU_DEP_1)
	v_dual_cndmask_b32 v1, 0, v1 :: v_dual_cndmask_b32 v0, 3, v0
	v_cmp_ne_u64_e32 vcc_lo, 0, v[0:1]
	s_or_b32 s13, s13, vcc_lo
	s_delay_alu instid0(SALU_CYCLE_1) | instskip(NEXT) | instid1(SALU_CYCLE_1)
	s_and_saveexec_b32 s75, s13
	s_xor_b32 s13, exec_lo, s75
; %bb.30066:                            ;   in Loop: Header=BB6_27928 Depth=3
	v_min_i32_e32 v1, 31, v2
	s_delay_alu instid0(VALU_DEP_1) | instskip(NEXT) | instid1(VALU_DEP_1)
	v_lshl_or_b32 v1, v1, 2, v5
                                        ; implicit-def: $vgpr5
	v_and_or_b32 v7, v0, 3, v1
; %bb.30067:                            ;   in Loop: Header=BB6_27928 Depth=3
	s_and_not1_saveexec_b32 s13, s13
; %bb.30068:                            ;   in Loop: Header=BB6_27928 Depth=3
	v_mov_b32_e32 v7, v5
; %bb.30069:                            ;   in Loop: Header=BB6_27928 Depth=3
	s_or_b32 exec_lo, exec_lo, s13
.LBB6_30070:                            ;   in Loop: Header=BB6_27928 Depth=3
	s_delay_alu instid0(SALU_CYCLE_1)
	s_or_b32 exec_lo, exec_lo, s74
                                        ; implicit-def: $vgpr5
.LBB6_30071:                            ;   in Loop: Header=BB6_27928 Depth=3
	s_and_not1_saveexec_b32 s13, s15
; %bb.30072:                            ;   in Loop: Header=BB6_27928 Depth=3
	v_or_b32_e32 v7, 0x7b, v5
; %bb.30073:                            ;   in Loop: Header=BB6_27928 Depth=3
	s_or_b32 exec_lo, exec_lo, s13
                                        ; implicit-def: $vgpr2
                                        ; implicit-def: $vgpr0_vgpr1
.LBB6_30074:                            ;   in Loop: Header=BB6_27928 Depth=3
	s_and_not1_saveexec_b32 s13, s14
	s_cbranch_execz .LBB6_30080
; %bb.30075:                            ;   in Loop: Header=BB6_27928 Depth=3
	s_mov_b32 s14, exec_lo
                                        ; implicit-def: $vgpr7
	v_cmpx_ne_u64_e32 0, v[0:1]
	s_xor_b32 s14, exec_lo, s14
; %bb.30076:                            ;   in Loop: Header=BB6_27928 Depth=3
	v_lshrrev_b32_e32 v0, 24, v2
                                        ; implicit-def: $vgpr2
	s_delay_alu instid0(VALU_DEP_1)
	v_or_b32_e32 v7, 0x7f, v0
; %bb.30077:                            ;   in Loop: Header=BB6_27928 Depth=3
	s_and_not1_saveexec_b32 s14, s14
; %bb.30078:                            ;   in Loop: Header=BB6_27928 Depth=3
	v_cmp_lt_i32_e32 vcc_lo, -1, v2
	v_cndmask_b32_e64 v7, -4, 0x7c, vcc_lo
; %bb.30079:                            ;   in Loop: Header=BB6_27928 Depth=3
	s_or_b32 exec_lo, exec_lo, s14
.LBB6_30080:                            ;   in Loop: Header=BB6_27928 Depth=3
	s_delay_alu instid0(SALU_CYCLE_1) | instskip(SKIP_3) | instid1(VALU_DEP_2)
	s_or_b32 exec_lo, exec_lo, s13
	v_and_b32_e32 v3, 0xff, v72
	v_dual_mov_b32 v0, 0 :: v_dual_mov_b32 v1, 0
	s_mov_b32 s14, exec_lo
	v_cmpx_ne_u16_e32 0, v3
	s_cbranch_execz .LBB6_30090
; %bb.30081:                            ;   in Loop: Header=BB6_27928 Depth=3
	v_bfrev_b32_e32 v1, 1
	s_mov_b32 s15, exec_lo
	v_cmpx_ne_u16_e32 0x80, v3
	s_cbranch_execz .LBB6_30089
; %bb.30082:                            ;   in Loop: Header=BB6_27928 Depth=3
	v_and_b32_e32 v1, 0x7c, v72
	v_and_b32_e32 v2, 3, v72
	s_delay_alu instid0(VALU_DEP_2) | instskip(SKIP_1) | instid1(SALU_CYCLE_1)
	v_cmp_ne_u32_e32 vcc_lo, 0x7c, v1
                                        ; implicit-def: $vgpr1
	s_and_saveexec_b32 s13, vcc_lo
	s_xor_b32 s13, exec_lo, s13
	s_cbranch_execz .LBB6_30086
; %bb.30083:                            ;   in Loop: Header=BB6_27928 Depth=3
	v_bfe_u32 v1, v3, 2, 5
	s_mov_b32 s74, exec_lo
	s_delay_alu instid0(VALU_DEP_1)
	v_cmpx_eq_u32_e32 0, v1
	s_cbranch_execz .LBB6_30085
; %bb.30084:                            ;   in Loop: Header=BB6_27928 Depth=3
	v_clz_i32_u32_e32 v1, v2
	s_delay_alu instid0(VALU_DEP_1) | instskip(SKIP_1) | instid1(VALU_DEP_2)
	v_min_u32_e32 v1, 32, v1
	v_mov_b32_e32 v73, v113
	v_subrev_nc_u32_e32 v2, 29, v1
	v_sub_nc_u32_e32 v1, 30, v1
	s_delay_alu instid0(VALU_DEP_2) | instskip(NEXT) | instid1(VALU_DEP_1)
	v_lshlrev_b64_e32 v[2:3], v2, v[72:73]
	v_and_b32_e32 v2, 3, v2
.LBB6_30085:                            ;   in Loop: Header=BB6_27928 Depth=3
	s_or_b32 exec_lo, exec_lo, s74
	v_lshlrev_b32_e32 v3, 24, v72
                                        ; implicit-def: $vgpr72
	s_delay_alu instid0(VALU_DEP_1) | instskip(NEXT) | instid1(VALU_DEP_1)
	v_and_b32_e32 v3, 0x80000000, v3
	v_lshl_add_u32 v1, v1, 23, v3
	s_delay_alu instid0(VALU_DEP_1) | instskip(NEXT) | instid1(VALU_DEP_1)
	v_lshl_or_b32 v1, v2, 21, v1
                                        ; implicit-def: $vgpr2
	v_add_nc_u32_e32 v1, 0x38000000, v1
.LBB6_30086:                            ;   in Loop: Header=BB6_27928 Depth=3
	s_and_not1_saveexec_b32 s74, s13
; %bb.30087:                            ;   in Loop: Header=BB6_27928 Depth=3
	v_bfe_i32 v1, v72, 0, 8
	v_cmp_eq_u32_e32 vcc_lo, 0, v2
	s_delay_alu instid0(VALU_DEP_2) | instskip(SKIP_1) | instid1(VALU_DEP_1)
	v_cmp_lt_i16_e64 s13, -1, v1
	v_mov_b32_e32 v1, 0x7f800000
	v_cndmask_b32_e64 v1, 0xff800000, v1, s13
	s_delay_alu instid0(VALU_DEP_1)
	v_cndmask_b32_e32 v1, 0x7f800001, v1, vcc_lo
; %bb.30088:                            ;   in Loop: Header=BB6_27928 Depth=3
	s_or_b32 exec_lo, exec_lo, s74
.LBB6_30089:                            ;   in Loop: Header=BB6_27928 Depth=3
	s_delay_alu instid0(SALU_CYCLE_1)
	s_or_b32 exec_lo, exec_lo, s15
.LBB6_30090:                            ;   in Loop: Header=BB6_27928 Depth=3
	s_delay_alu instid0(SALU_CYCLE_1) | instskip(NEXT) | instid1(SALU_CYCLE_1)
	s_or_b32 exec_lo, exec_lo, s14
	s_mov_b32 s14, exec_lo
	s_wait_loadcnt_dscnt 0x707
	v_cmpx_ne_u16_e32 0, v84
	s_cbranch_execz .LBB6_30100
; %bb.30091:                            ;   in Loop: Header=BB6_27928 Depth=3
	v_bfrev_b32_e32 v0, 1
	s_mov_b32 s15, exec_lo
	v_cmpx_ne_u16_e32 0xff80, v84
	s_cbranch_execz .LBB6_30099
; %bb.30092:                            ;   in Loop: Header=BB6_27928 Depth=3
	v_and_b32_e32 v0, 0x7c, v84
	v_and_b32_e32 v2, 3, v84
	s_delay_alu instid0(VALU_DEP_2) | instskip(SKIP_1) | instid1(SALU_CYCLE_1)
	v_cmp_ne_u32_e32 vcc_lo, 0x7c, v0
                                        ; implicit-def: $vgpr0
	s_and_saveexec_b32 s13, vcc_lo
	s_xor_b32 s13, exec_lo, s13
	s_cbranch_execz .LBB6_30096
; %bb.30093:                            ;   in Loop: Header=BB6_27928 Depth=3
	v_and_b32_e32 v0, 0xff, v84
	s_mov_b32 s74, exec_lo
	s_delay_alu instid0(VALU_DEP_1) | instskip(NEXT) | instid1(VALU_DEP_1)
	v_bfe_u32 v0, v0, 2, 5
	v_cmpx_eq_u32_e32 0, v0
	s_cbranch_execz .LBB6_30095
; %bb.30094:                            ;   in Loop: Header=BB6_27928 Depth=3
	v_clz_i32_u32_e32 v0, v2
	s_delay_alu instid0(VALU_DEP_1) | instskip(SKIP_1) | instid1(VALU_DEP_2)
	v_min_u32_e32 v0, 32, v0
	v_mov_b32_e32 v85, v113
	v_subrev_nc_u32_e32 v2, 29, v0
	v_sub_nc_u32_e32 v0, 30, v0
	s_delay_alu instid0(VALU_DEP_2) | instskip(NEXT) | instid1(VALU_DEP_1)
	v_lshlrev_b64_e32 v[2:3], v2, v[84:85]
	v_and_b32_e32 v2, 3, v2
.LBB6_30095:                            ;   in Loop: Header=BB6_27928 Depth=3
	s_or_b32 exec_lo, exec_lo, s74
	v_bfe_i32 v3, v84, 0, 16
                                        ; implicit-def: $vgpr84
	s_delay_alu instid0(VALU_DEP_1) | instskip(NEXT) | instid1(VALU_DEP_1)
	v_and_b32_e32 v3, 0x80000000, v3
	v_lshl_add_u32 v0, v0, 23, v3
	s_delay_alu instid0(VALU_DEP_1) | instskip(NEXT) | instid1(VALU_DEP_1)
	v_lshl_or_b32 v0, v2, 21, v0
                                        ; implicit-def: $vgpr2
	v_add_nc_u32_e32 v0, 0x38000000, v0
.LBB6_30096:                            ;   in Loop: Header=BB6_27928 Depth=3
	s_and_not1_saveexec_b32 s74, s13
; %bb.30097:                            ;   in Loop: Header=BB6_27928 Depth=3
	v_cmp_lt_i16_e64 s13, -1, v84
	v_mov_b32_e32 v0, 0x7f800000
	v_cmp_eq_u32_e32 vcc_lo, 0, v2
	s_delay_alu instid0(VALU_DEP_2) | instskip(NEXT) | instid1(VALU_DEP_1)
	v_cndmask_b32_e64 v0, 0xff800000, v0, s13
	v_cndmask_b32_e32 v0, 0x7f800001, v0, vcc_lo
; %bb.30098:                            ;   in Loop: Header=BB6_27928 Depth=3
	s_or_b32 exec_lo, exec_lo, s74
.LBB6_30099:                            ;   in Loop: Header=BB6_27928 Depth=3
	s_delay_alu instid0(SALU_CYCLE_1)
	s_or_b32 exec_lo, exec_lo, s15
.LBB6_30100:                            ;   in Loop: Header=BB6_27928 Depth=3
	s_delay_alu instid0(SALU_CYCLE_1) | instskip(NEXT) | instid1(VALU_DEP_1)
	s_or_b32 exec_lo, exec_lo, s14
	v_add_f32_e32 v2, v1, v0
	v_mov_b32_e32 v1, v113
                                        ; implicit-def: $vgpr37
	s_delay_alu instid0(VALU_DEP_2) | instskip(NEXT) | instid1(VALU_DEP_1)
	v_and_b32_e32 v0, 0x7f800000, v2
	v_cmp_ne_u64_e32 vcc_lo, 0x7f800000, v[0:1]
	v_and_b32_e32 v0, 0x7fffff, v2
	s_and_saveexec_b32 s13, vcc_lo
	s_delay_alu instid0(SALU_CYCLE_1)
	s_xor_b32 s14, exec_lo, s13
	s_cbranch_execz .LBB6_30118
; %bb.30101:                            ;   in Loop: Header=BB6_27928 Depth=3
	v_dual_mov_b32 v39, v113 :: v_dual_lshrrev_b32 v3, 24, v2
	v_and_b32_e32 v38, 0x7fffffff, v2
                                        ; implicit-def: $vgpr37
	s_mov_b32 s13, exec_lo
	s_delay_alu instid0(VALU_DEP_2) | instskip(NEXT) | instid1(VALU_DEP_2)
	v_and_b32_e32 v5, 0x80, v3
	v_cmpx_gt_u64_e32 0x47600001, v[38:39]
	s_xor_b32 s15, exec_lo, s13
	s_cbranch_execz .LBB6_30115
; %bb.30102:                            ;   in Loop: Header=BB6_27928 Depth=3
	v_mov_b32_e32 v37, 0
	s_mov_b32 s74, exec_lo
	v_cmpx_ne_u32_e32 0, v2
	s_cbranch_execz .LBB6_30114
; %bb.30103:                            ;   in Loop: Header=BB6_27928 Depth=3
	v_bfe_u32 v17, v2, 23, 8
	v_or_b32_e32 v3, 0x800000, v0
	s_delay_alu instid0(VALU_DEP_2) | instskip(SKIP_2) | instid1(VALU_DEP_2)
	v_cmp_gt_u32_e64 s13, 0x72, v17
	v_sub_nc_u32_e32 v2, 0x71, v17
	v_cmp_eq_u32_e32 vcc_lo, 0, v17
	v_dual_cndmask_b32 v2, 0, v2, s13 :: v_dual_cndmask_b32 v0, v3, v0, vcc_lo
	s_delay_alu instid0(VALU_DEP_1) | instskip(NEXT) | instid1(VALU_DEP_1)
	v_cndmask_b32_e64 v27, v2, 0x70, vcc_lo
	v_dual_add_nc_u32 v2, 21, v27 :: v_dual_add_nc_u32 v37, 20, v27
	s_delay_alu instid0(VALU_DEP_1) | instskip(NEXT) | instid1(VALU_DEP_2)
	v_lshlrev_b64_e64 v[2:3], v2, -1
	v_lshlrev_b64_e64 v[38:39], v37, 1
	s_delay_alu instid0(VALU_DEP_2) | instskip(SKIP_1) | instid1(VALU_DEP_4)
	v_bfi_b32 v2, v2, 0, v0
	v_lshrrev_b64 v[0:1], v27, v[0:1]
	v_bfi_b32 v3, v3, 0, 0
	s_delay_alu instid0(VALU_DEP_1) | instskip(NEXT) | instid1(VALU_DEP_3)
	v_cmp_eq_u64_e64 s13, v[2:3], v[38:39]
	v_mov_b64_e32 v[2:3], v[0:1]
	s_and_saveexec_b32 s75, s13
; %bb.30104:                            ;   in Loop: Header=BB6_27928 Depth=3
	v_bfe_u32 v2, v0, 21, 1
	v_mov_b32_e32 v3, v113
	s_delay_alu instid0(VALU_DEP_1) | instskip(NEXT) | instid1(VALU_DEP_1)
	v_add_nc_u64_e32 v[2:3], v[0:1], v[2:3]
	v_add_nc_u64_e32 v[2:3], -1, v[2:3]
; %bb.30105:                            ;   in Loop: Header=BB6_27928 Depth=3
	s_or_b32 exec_lo, exec_lo, s75
	v_add_nc_u32_e32 v1, 0xffffff81, v17
	v_lshrrev_b32_e32 v3, 23, v0
	s_mov_b32 s13, exec_lo
	s_delay_alu instid0(VALU_DEP_2) | instskip(NEXT) | instid1(VALU_DEP_1)
	v_cndmask_b32_e64 v1, v1, 0xffffff82, vcc_lo
	v_add3_u32 v17, v27, v1, v3
	v_and_b32_e32 v1, 0x1fffff, v2
                                        ; implicit-def: $vgpr2
	s_delay_alu instid0(VALU_DEP_1) | instskip(SKIP_1) | instid1(VALU_DEP_2)
	v_dual_add_nc_u32 v3, 14, v17 :: v_dual_add_nc_u32 v0, v1, v0
	v_mov_b32_e32 v1, v113
	v_cmpx_ne_u32_e32 0, v3
	s_xor_b32 s13, exec_lo, s13
; %bb.30106:                            ;   in Loop: Header=BB6_27928 Depth=3
	s_delay_alu instid0(VALU_DEP_2) | instskip(SKIP_1) | instid1(VALU_DEP_1)
	v_cmp_lt_u64_e32 vcc_lo, 0xffffff, v[0:1]
	v_add_nc_u32_e32 v2, 15, v17
	v_cndmask_b32_e32 v2, v3, v2, vcc_lo
	v_cndmask_b32_e64 v3, 0, 1, vcc_lo
	s_delay_alu instid0(VALU_DEP_1)
	v_lshrrev_b64 v[0:1], v3, v[0:1]
; %bb.30107:                            ;   in Loop: Header=BB6_27928 Depth=3
	s_and_not1_saveexec_b32 s13, s13
; %bb.30108:                            ;   in Loop: Header=BB6_27928 Depth=3
	s_delay_alu instid0(VALU_DEP_1)
	v_bfe_u32 v2, v0, 23, 1
; %bb.30109:                            ;   in Loop: Header=BB6_27928 Depth=3
	s_or_b32 exec_lo, exec_lo, s13
	s_delay_alu instid0(VALU_DEP_2) | instskip(NEXT) | instid1(VALU_DEP_2)
	v_lshrrev_b64 v[0:1], 21, v[0:1]
	v_cmp_gt_i32_e32 vcc_lo, 32, v2
	v_cmp_ne_u32_e64 s13, 0, v2
                                        ; implicit-def: $vgpr37
	s_delay_alu instid0(VALU_DEP_3) | instskip(NEXT) | instid1(VALU_DEP_1)
	v_dual_cndmask_b32 v1, 0, v1 :: v_dual_cndmask_b32 v0, 3, v0
	v_cmp_ne_u64_e32 vcc_lo, 0, v[0:1]
	s_or_b32 s13, s13, vcc_lo
	s_delay_alu instid0(SALU_CYCLE_1) | instskip(NEXT) | instid1(SALU_CYCLE_1)
	s_and_saveexec_b32 s75, s13
	s_xor_b32 s13, exec_lo, s75
; %bb.30110:                            ;   in Loop: Header=BB6_27928 Depth=3
	v_min_i32_e32 v1, 31, v2
	s_delay_alu instid0(VALU_DEP_1) | instskip(NEXT) | instid1(VALU_DEP_1)
	v_lshl_or_b32 v1, v1, 2, v5
                                        ; implicit-def: $vgpr5
	v_and_or_b32 v37, v0, 3, v1
; %bb.30111:                            ;   in Loop: Header=BB6_27928 Depth=3
	s_and_not1_saveexec_b32 s13, s13
; %bb.30112:                            ;   in Loop: Header=BB6_27928 Depth=3
	v_mov_b32_e32 v37, v5
; %bb.30113:                            ;   in Loop: Header=BB6_27928 Depth=3
	s_or_b32 exec_lo, exec_lo, s13
.LBB6_30114:                            ;   in Loop: Header=BB6_27928 Depth=3
	s_delay_alu instid0(SALU_CYCLE_1)
	s_or_b32 exec_lo, exec_lo, s74
                                        ; implicit-def: $vgpr5
.LBB6_30115:                            ;   in Loop: Header=BB6_27928 Depth=3
	s_and_not1_saveexec_b32 s13, s15
; %bb.30116:                            ;   in Loop: Header=BB6_27928 Depth=3
	v_or_b32_e32 v37, 0x7b, v5
; %bb.30117:                            ;   in Loop: Header=BB6_27928 Depth=3
	s_or_b32 exec_lo, exec_lo, s13
                                        ; implicit-def: $vgpr2
                                        ; implicit-def: $vgpr0_vgpr1
.LBB6_30118:                            ;   in Loop: Header=BB6_27928 Depth=3
	s_and_not1_saveexec_b32 s13, s14
	s_cbranch_execz .LBB6_30124
; %bb.30119:                            ;   in Loop: Header=BB6_27928 Depth=3
	s_mov_b32 s14, exec_lo
                                        ; implicit-def: $vgpr37
	v_cmpx_ne_u64_e32 0, v[0:1]
	s_xor_b32 s14, exec_lo, s14
; %bb.30120:                            ;   in Loop: Header=BB6_27928 Depth=3
	v_lshrrev_b32_e32 v0, 24, v2
                                        ; implicit-def: $vgpr2
	s_delay_alu instid0(VALU_DEP_1)
	v_or_b32_e32 v37, 0x7f, v0
; %bb.30121:                            ;   in Loop: Header=BB6_27928 Depth=3
	s_and_not1_saveexec_b32 s14, s14
; %bb.30122:                            ;   in Loop: Header=BB6_27928 Depth=3
	v_cmp_lt_i32_e32 vcc_lo, -1, v2
	v_cndmask_b32_e64 v37, -4, 0x7c, vcc_lo
; %bb.30123:                            ;   in Loop: Header=BB6_27928 Depth=3
	s_or_b32 exec_lo, exec_lo, s14
.LBB6_30124:                            ;   in Loop: Header=BB6_27928 Depth=3
	s_delay_alu instid0(SALU_CYCLE_1)
	s_or_b32 exec_lo, exec_lo, s13
	scratch_load_b64 v[0:1], off, s33 offset:256 ; 8-byte Folded Reload
	s_mov_b32 s14, exec_lo
	s_wait_loadcnt 0x0
	v_mov_b32_e32 v1, 0
	v_and_b32_e32 v3, 0xff, v0
	v_mov_b32_e32 v0, 0
	s_wait_xcnt 0x0
	s_delay_alu instid0(VALU_DEP_2)
	v_cmpx_ne_u16_e32 0, v3
	s_cbranch_execz .LBB6_30134
; %bb.30125:                            ;   in Loop: Header=BB6_27928 Depth=3
	v_bfrev_b32_e32 v1, 1
	s_mov_b32 s15, exec_lo
	v_cmpx_ne_u16_e32 0x80, v3
	s_cbranch_execz .LBB6_30133
; %bb.30126:                            ;   in Loop: Header=BB6_27928 Depth=3
	scratch_load_b64 v[38:39], off, s33 offset:256 ; 8-byte Folded Reload
	s_wait_loadcnt 0x0
	v_mov_b32_e32 v2, v38
	s_delay_alu instid0(VALU_DEP_1) | instskip(SKIP_1) | instid1(VALU_DEP_2)
	v_and_b32_e32 v1, 0x7c, v2
	v_and_b32_e32 v2, 3, v2
	v_cmp_ne_u32_e32 vcc_lo, 0x7c, v1
                                        ; implicit-def: $vgpr1
	s_wait_xcnt 0x0
	s_and_saveexec_b32 s13, vcc_lo
	s_delay_alu instid0(SALU_CYCLE_1)
	s_xor_b32 s13, exec_lo, s13
	s_cbranch_execz .LBB6_30130
; %bb.30127:                            ;   in Loop: Header=BB6_27928 Depth=3
	v_bfe_u32 v1, v3, 2, 5
	s_mov_b32 s74, exec_lo
	s_delay_alu instid0(VALU_DEP_1)
	v_cmpx_eq_u32_e32 0, v1
	s_cbranch_execz .LBB6_30129
; %bb.30128:                            ;   in Loop: Header=BB6_27928 Depth=3
	scratch_load_b64 v[38:39], off, s33 offset:256 th:TH_LOAD_LU ; 8-byte Folded Reload
	v_clz_i32_u32_e32 v1, v2
	s_wait_loadcnt 0x0
	v_mov_b32_e32 v39, v113
	s_delay_alu instid0(VALU_DEP_2) | instskip(NEXT) | instid1(VALU_DEP_1)
	v_min_u32_e32 v1, 32, v1
	v_subrev_nc_u32_e32 v2, 29, v1
	v_mov_b32_e32 v50, v38
	s_delay_alu instid0(VALU_DEP_2)
	v_lshlrev_b64_e32 v[2:3], v2, v[38:39]
	v_sub_nc_u32_e32 v1, 30, v1
	scratch_store_b64 off, v[50:51], s33 offset:256 ; 8-byte Folded Spill
	v_and_b32_e32 v2, 3, v2
.LBB6_30129:                            ;   in Loop: Header=BB6_27928 Depth=3
	s_wait_xcnt 0x0
	s_or_b32 exec_lo, exec_lo, s74
	scratch_load_b64 v[38:39], off, s33 offset:256 th:TH_LOAD_LU ; 8-byte Folded Reload
	s_wait_loadcnt 0x0
	v_lshlrev_b32_e32 v3, 24, v38
                                        ; implicit-def: $vgpr38
	scratch_store_b64 off, v[38:39], s33 offset:256 ; 8-byte Folded Spill
	v_and_b32_e32 v3, 0x80000000, v3
	s_delay_alu instid0(VALU_DEP_1) | instskip(NEXT) | instid1(VALU_DEP_1)
	v_lshl_add_u32 v1, v1, 23, v3
	v_lshl_or_b32 v1, v2, 21, v1
                                        ; implicit-def: $vgpr2
	s_delay_alu instid0(VALU_DEP_1)
	v_add_nc_u32_e32 v1, 0x38000000, v1
.LBB6_30130:                            ;   in Loop: Header=BB6_27928 Depth=3
	s_wait_xcnt 0x0
	s_and_not1_saveexec_b32 s74, s13
	s_cbranch_execz .LBB6_30132
; %bb.30131:                            ;   in Loop: Header=BB6_27928 Depth=3
	v_cmp_eq_u32_e32 vcc_lo, 0, v2
	scratch_load_b64 v[2:3], off, s33 offset:256 th:TH_LOAD_LU ; 8-byte Folded Reload
	s_wait_loadcnt 0x0
	v_bfe_i32 v1, v2, 0, 8
	s_delay_alu instid0(VALU_DEP_1) | instskip(SKIP_1) | instid1(VALU_DEP_1)
	v_cmp_lt_i16_e64 s13, -1, v1
	v_mov_b32_e32 v1, 0x7f800000
	v_cndmask_b32_e64 v1, 0xff800000, v1, s13
	s_delay_alu instid0(VALU_DEP_1)
	v_cndmask_b32_e32 v1, 0x7f800001, v1, vcc_lo
.LBB6_30132:                            ;   in Loop: Header=BB6_27928 Depth=3
	s_wait_xcnt 0x0
	s_or_b32 exec_lo, exec_lo, s74
.LBB6_30133:                            ;   in Loop: Header=BB6_27928 Depth=3
	s_delay_alu instid0(SALU_CYCLE_1)
	s_or_b32 exec_lo, exec_lo, s15
.LBB6_30134:                            ;   in Loop: Header=BB6_27928 Depth=3
	s_delay_alu instid0(SALU_CYCLE_1) | instskip(NEXT) | instid1(SALU_CYCLE_1)
	s_or_b32 exec_lo, exec_lo, s14
	s_mov_b32 s14, exec_lo
	s_wait_dscnt 0x6
	v_cmpx_ne_u16_e32 0, v64
	s_cbranch_execz .LBB6_30144
; %bb.30135:                            ;   in Loop: Header=BB6_27928 Depth=3
	v_bfrev_b32_e32 v0, 1
	s_mov_b32 s15, exec_lo
	v_cmpx_ne_u16_e32 0xff80, v64
	s_cbranch_execz .LBB6_30143
; %bb.30136:                            ;   in Loop: Header=BB6_27928 Depth=3
	v_and_b32_e32 v0, 0x7c, v64
	v_and_b32_e32 v2, 3, v64
	s_delay_alu instid0(VALU_DEP_2) | instskip(SKIP_1) | instid1(SALU_CYCLE_1)
	v_cmp_ne_u32_e32 vcc_lo, 0x7c, v0
                                        ; implicit-def: $vgpr0
	s_and_saveexec_b32 s13, vcc_lo
	s_xor_b32 s13, exec_lo, s13
	s_cbranch_execz .LBB6_30140
; %bb.30137:                            ;   in Loop: Header=BB6_27928 Depth=3
	v_and_b32_e32 v0, 0xff, v64
	s_mov_b32 s74, exec_lo
	s_delay_alu instid0(VALU_DEP_1) | instskip(NEXT) | instid1(VALU_DEP_1)
	v_bfe_u32 v0, v0, 2, 5
	v_cmpx_eq_u32_e32 0, v0
	s_cbranch_execz .LBB6_30139
; %bb.30138:                            ;   in Loop: Header=BB6_27928 Depth=3
	v_clz_i32_u32_e32 v0, v2
	s_delay_alu instid0(VALU_DEP_1) | instskip(SKIP_1) | instid1(VALU_DEP_2)
	v_min_u32_e32 v0, 32, v0
	v_mov_b32_e32 v65, v113
	v_subrev_nc_u32_e32 v2, 29, v0
	v_sub_nc_u32_e32 v0, 30, v0
	s_delay_alu instid0(VALU_DEP_2) | instskip(NEXT) | instid1(VALU_DEP_1)
	v_lshlrev_b64_e32 v[2:3], v2, v[64:65]
	v_and_b32_e32 v2, 3, v2
.LBB6_30139:                            ;   in Loop: Header=BB6_27928 Depth=3
	s_or_b32 exec_lo, exec_lo, s74
	v_bfe_i32 v3, v64, 0, 16
                                        ; implicit-def: $vgpr64
	s_delay_alu instid0(VALU_DEP_1) | instskip(NEXT) | instid1(VALU_DEP_1)
	v_and_b32_e32 v3, 0x80000000, v3
	v_lshl_add_u32 v0, v0, 23, v3
	s_delay_alu instid0(VALU_DEP_1) | instskip(NEXT) | instid1(VALU_DEP_1)
	v_lshl_or_b32 v0, v2, 21, v0
                                        ; implicit-def: $vgpr2
	v_add_nc_u32_e32 v0, 0x38000000, v0
.LBB6_30140:                            ;   in Loop: Header=BB6_27928 Depth=3
	s_and_not1_saveexec_b32 s74, s13
; %bb.30141:                            ;   in Loop: Header=BB6_27928 Depth=3
	v_cmp_lt_i16_e64 s13, -1, v64
	v_mov_b32_e32 v0, 0x7f800000
	v_cmp_eq_u32_e32 vcc_lo, 0, v2
	s_delay_alu instid0(VALU_DEP_2) | instskip(NEXT) | instid1(VALU_DEP_1)
	v_cndmask_b32_e64 v0, 0xff800000, v0, s13
	v_cndmask_b32_e32 v0, 0x7f800001, v0, vcc_lo
; %bb.30142:                            ;   in Loop: Header=BB6_27928 Depth=3
	s_or_b32 exec_lo, exec_lo, s74
.LBB6_30143:                            ;   in Loop: Header=BB6_27928 Depth=3
	s_delay_alu instid0(SALU_CYCLE_1)
	s_or_b32 exec_lo, exec_lo, s15
.LBB6_30144:                            ;   in Loop: Header=BB6_27928 Depth=3
	s_delay_alu instid0(SALU_CYCLE_1) | instskip(NEXT) | instid1(VALU_DEP_1)
	s_or_b32 exec_lo, exec_lo, s14
	v_add_f32_e32 v2, v1, v0
	v_mov_b32_e32 v1, v113
                                        ; implicit-def: $vgpr38
	s_delay_alu instid0(VALU_DEP_2) | instskip(NEXT) | instid1(VALU_DEP_1)
	v_and_b32_e32 v0, 0x7f800000, v2
	v_cmp_ne_u64_e32 vcc_lo, 0x7f800000, v[0:1]
	v_and_b32_e32 v0, 0x7fffff, v2
	s_and_saveexec_b32 s13, vcc_lo
	s_delay_alu instid0(SALU_CYCLE_1)
	s_xor_b32 s14, exec_lo, s13
	s_cbranch_execz .LBB6_30162
; %bb.30145:                            ;   in Loop: Header=BB6_27928 Depth=3
	v_and_b32_e32 v38, 0x7fffffff, v2
	v_dual_mov_b32 v39, v113 :: v_dual_lshrrev_b32 v3, 24, v2
	s_delay_alu instid0(VALU_DEP_1) | instskip(NEXT) | instid1(VALU_DEP_2)
	v_cmp_gt_u64_e32 vcc_lo, 0x47600001, v[38:39]
	v_and_b32_e32 v5, 0x80, v3
                                        ; implicit-def: $vgpr38
	s_and_saveexec_b32 s13, vcc_lo
	s_delay_alu instid0(SALU_CYCLE_1)
	s_xor_b32 s15, exec_lo, s13
	s_cbranch_execz .LBB6_30159
; %bb.30146:                            ;   in Loop: Header=BB6_27928 Depth=3
	v_mov_b32_e32 v38, 0
	s_mov_b32 s74, exec_lo
	v_cmpx_ne_u32_e32 0, v2
	s_cbranch_execz .LBB6_30158
; %bb.30147:                            ;   in Loop: Header=BB6_27928 Depth=3
	v_bfe_u32 v17, v2, 23, 8
	v_or_b32_e32 v3, 0x800000, v0
	s_delay_alu instid0(VALU_DEP_2) | instskip(SKIP_2) | instid1(VALU_DEP_2)
	v_cmp_gt_u32_e64 s13, 0x72, v17
	v_sub_nc_u32_e32 v2, 0x71, v17
	v_cmp_eq_u32_e32 vcc_lo, 0, v17
	v_dual_cndmask_b32 v2, 0, v2, s13 :: v_dual_cndmask_b32 v0, v3, v0, vcc_lo
	s_delay_alu instid0(VALU_DEP_1) | instskip(NEXT) | instid1(VALU_DEP_1)
	v_cndmask_b32_e64 v27, v2, 0x70, vcc_lo
	v_dual_add_nc_u32 v2, 21, v27 :: v_dual_add_nc_u32 v38, 20, v27
	s_delay_alu instid0(VALU_DEP_1) | instskip(NEXT) | instid1(VALU_DEP_2)
	v_lshlrev_b64_e64 v[2:3], v2, -1
	v_lshlrev_b64_e64 v[38:39], v38, 1
	s_delay_alu instid0(VALU_DEP_2) | instskip(SKIP_1) | instid1(VALU_DEP_4)
	v_bfi_b32 v2, v2, 0, v0
	v_lshrrev_b64 v[0:1], v27, v[0:1]
	v_bfi_b32 v3, v3, 0, 0
	s_delay_alu instid0(VALU_DEP_1) | instskip(NEXT) | instid1(VALU_DEP_3)
	v_cmp_eq_u64_e64 s13, v[2:3], v[38:39]
	v_mov_b64_e32 v[2:3], v[0:1]
	s_and_saveexec_b32 s75, s13
; %bb.30148:                            ;   in Loop: Header=BB6_27928 Depth=3
	v_bfe_u32 v2, v0, 21, 1
	v_mov_b32_e32 v3, v113
	s_delay_alu instid0(VALU_DEP_1) | instskip(NEXT) | instid1(VALU_DEP_1)
	v_add_nc_u64_e32 v[2:3], v[0:1], v[2:3]
	v_add_nc_u64_e32 v[2:3], -1, v[2:3]
; %bb.30149:                            ;   in Loop: Header=BB6_27928 Depth=3
	s_or_b32 exec_lo, exec_lo, s75
	v_add_nc_u32_e32 v1, 0xffffff81, v17
	v_lshrrev_b32_e32 v3, 23, v0
	s_mov_b32 s13, exec_lo
	s_delay_alu instid0(VALU_DEP_2) | instskip(NEXT) | instid1(VALU_DEP_1)
	v_cndmask_b32_e64 v1, v1, 0xffffff82, vcc_lo
	v_add3_u32 v17, v27, v1, v3
	v_and_b32_e32 v1, 0x1fffff, v2
                                        ; implicit-def: $vgpr2
	s_delay_alu instid0(VALU_DEP_1) | instskip(SKIP_1) | instid1(VALU_DEP_2)
	v_dual_add_nc_u32 v3, 14, v17 :: v_dual_add_nc_u32 v0, v1, v0
	v_mov_b32_e32 v1, v113
	v_cmpx_ne_u32_e32 0, v3
	s_xor_b32 s13, exec_lo, s13
; %bb.30150:                            ;   in Loop: Header=BB6_27928 Depth=3
	s_delay_alu instid0(VALU_DEP_2) | instskip(SKIP_1) | instid1(VALU_DEP_1)
	v_cmp_lt_u64_e32 vcc_lo, 0xffffff, v[0:1]
	v_add_nc_u32_e32 v2, 15, v17
	v_cndmask_b32_e32 v2, v3, v2, vcc_lo
	v_cndmask_b32_e64 v3, 0, 1, vcc_lo
	s_delay_alu instid0(VALU_DEP_1)
	v_lshrrev_b64 v[0:1], v3, v[0:1]
; %bb.30151:                            ;   in Loop: Header=BB6_27928 Depth=3
	s_and_not1_saveexec_b32 s13, s13
; %bb.30152:                            ;   in Loop: Header=BB6_27928 Depth=3
	s_delay_alu instid0(VALU_DEP_1)
	v_bfe_u32 v2, v0, 23, 1
; %bb.30153:                            ;   in Loop: Header=BB6_27928 Depth=3
	s_or_b32 exec_lo, exec_lo, s13
	s_delay_alu instid0(VALU_DEP_2) | instskip(NEXT) | instid1(VALU_DEP_2)
	v_lshrrev_b64 v[0:1], 21, v[0:1]
	v_cmp_gt_i32_e32 vcc_lo, 32, v2
	v_cmp_ne_u32_e64 s13, 0, v2
                                        ; implicit-def: $vgpr38
	s_delay_alu instid0(VALU_DEP_3) | instskip(NEXT) | instid1(VALU_DEP_1)
	v_dual_cndmask_b32 v1, 0, v1 :: v_dual_cndmask_b32 v0, 3, v0
	v_cmp_ne_u64_e32 vcc_lo, 0, v[0:1]
	s_or_b32 s13, s13, vcc_lo
	s_delay_alu instid0(SALU_CYCLE_1) | instskip(NEXT) | instid1(SALU_CYCLE_1)
	s_and_saveexec_b32 s75, s13
	s_xor_b32 s13, exec_lo, s75
; %bb.30154:                            ;   in Loop: Header=BB6_27928 Depth=3
	v_min_i32_e32 v1, 31, v2
	s_delay_alu instid0(VALU_DEP_1) | instskip(NEXT) | instid1(VALU_DEP_1)
	v_lshl_or_b32 v1, v1, 2, v5
                                        ; implicit-def: $vgpr5
	v_and_or_b32 v38, v0, 3, v1
; %bb.30155:                            ;   in Loop: Header=BB6_27928 Depth=3
	s_and_not1_saveexec_b32 s13, s13
; %bb.30156:                            ;   in Loop: Header=BB6_27928 Depth=3
	v_mov_b32_e32 v38, v5
; %bb.30157:                            ;   in Loop: Header=BB6_27928 Depth=3
	s_or_b32 exec_lo, exec_lo, s13
.LBB6_30158:                            ;   in Loop: Header=BB6_27928 Depth=3
	s_delay_alu instid0(SALU_CYCLE_1)
	s_or_b32 exec_lo, exec_lo, s74
                                        ; implicit-def: $vgpr5
.LBB6_30159:                            ;   in Loop: Header=BB6_27928 Depth=3
	s_and_not1_saveexec_b32 s13, s15
; %bb.30160:                            ;   in Loop: Header=BB6_27928 Depth=3
	v_or_b32_e32 v38, 0x7b, v5
; %bb.30161:                            ;   in Loop: Header=BB6_27928 Depth=3
	s_or_b32 exec_lo, exec_lo, s13
                                        ; implicit-def: $vgpr2
                                        ; implicit-def: $vgpr0_vgpr1
.LBB6_30162:                            ;   in Loop: Header=BB6_27928 Depth=3
	s_and_not1_saveexec_b32 s13, s14
	s_cbranch_execz .LBB6_30168
; %bb.30163:                            ;   in Loop: Header=BB6_27928 Depth=3
	s_mov_b32 s14, exec_lo
                                        ; implicit-def: $vgpr38
	v_cmpx_ne_u64_e32 0, v[0:1]
	s_xor_b32 s14, exec_lo, s14
; %bb.30164:                            ;   in Loop: Header=BB6_27928 Depth=3
	v_lshrrev_b32_e32 v0, 24, v2
                                        ; implicit-def: $vgpr2
	s_delay_alu instid0(VALU_DEP_1)
	v_or_b32_e32 v38, 0x7f, v0
; %bb.30165:                            ;   in Loop: Header=BB6_27928 Depth=3
	s_and_not1_saveexec_b32 s14, s14
; %bb.30166:                            ;   in Loop: Header=BB6_27928 Depth=3
	v_cmp_lt_i32_e32 vcc_lo, -1, v2
	v_cndmask_b32_e64 v38, -4, 0x7c, vcc_lo
; %bb.30167:                            ;   in Loop: Header=BB6_27928 Depth=3
	s_or_b32 exec_lo, exec_lo, s14
.LBB6_30168:                            ;   in Loop: Header=BB6_27928 Depth=3
	s_delay_alu instid0(SALU_CYCLE_1)
	s_or_b32 exec_lo, exec_lo, s13
	scratch_load_b64 v[0:1], off, s33 offset:248 ; 8-byte Folded Reload
	s_mov_b32 s14, exec_lo
	s_wait_loadcnt 0x0
	v_mov_b32_e32 v1, 0
	v_and_b32_e32 v3, 0xff, v0
	v_mov_b32_e32 v0, 0
	s_wait_xcnt 0x0
	s_delay_alu instid0(VALU_DEP_2)
	v_cmpx_ne_u16_e32 0, v3
	s_cbranch_execz .LBB6_30178
; %bb.30169:                            ;   in Loop: Header=BB6_27928 Depth=3
	v_bfrev_b32_e32 v1, 1
	s_mov_b32 s15, exec_lo
	v_cmpx_ne_u16_e32 0x80, v3
	s_cbranch_execz .LBB6_30177
; %bb.30170:                            ;   in Loop: Header=BB6_27928 Depth=3
	scratch_load_b64 v[50:51], off, s33 offset:248 ; 8-byte Folded Reload
	s_wait_loadcnt 0x0
	v_mov_b32_e32 v2, v50
	s_delay_alu instid0(VALU_DEP_1) | instskip(SKIP_1) | instid1(VALU_DEP_2)
	v_and_b32_e32 v1, 0x7c, v2
	v_and_b32_e32 v2, 3, v2
	v_cmp_ne_u32_e32 vcc_lo, 0x7c, v1
                                        ; implicit-def: $vgpr1
	s_wait_xcnt 0x0
	s_and_saveexec_b32 s13, vcc_lo
	s_delay_alu instid0(SALU_CYCLE_1)
	s_xor_b32 s13, exec_lo, s13
	s_cbranch_execz .LBB6_30174
; %bb.30171:                            ;   in Loop: Header=BB6_27928 Depth=3
	v_bfe_u32 v1, v3, 2, 5
	s_mov_b32 s74, exec_lo
	s_delay_alu instid0(VALU_DEP_1)
	v_cmpx_eq_u32_e32 0, v1
	s_cbranch_execz .LBB6_30173
; %bb.30172:                            ;   in Loop: Header=BB6_27928 Depth=3
	scratch_load_b64 v[50:51], off, s33 offset:248 th:TH_LOAD_LU ; 8-byte Folded Reload
	v_clz_i32_u32_e32 v1, v2
	s_wait_loadcnt 0x0
	v_mov_b32_e32 v51, v113
	s_delay_alu instid0(VALU_DEP_2) | instskip(NEXT) | instid1(VALU_DEP_1)
	v_min_u32_e32 v1, 32, v1
	v_subrev_nc_u32_e32 v2, 29, v1
	v_mov_b32_e32 v52, v50
	s_delay_alu instid0(VALU_DEP_2)
	v_lshlrev_b64_e32 v[2:3], v2, v[50:51]
	v_sub_nc_u32_e32 v1, 30, v1
	scratch_store_b64 off, v[52:53], s33 offset:248 ; 8-byte Folded Spill
	v_and_b32_e32 v2, 3, v2
.LBB6_30173:                            ;   in Loop: Header=BB6_27928 Depth=3
	s_wait_xcnt 0x0
	s_or_b32 exec_lo, exec_lo, s74
	scratch_load_b64 v[50:51], off, s33 offset:248 th:TH_LOAD_LU ; 8-byte Folded Reload
	s_wait_loadcnt 0x0
	v_lshlrev_b32_e32 v3, 24, v50
                                        ; implicit-def: $vgpr50
	scratch_store_b64 off, v[50:51], s33 offset:248 ; 8-byte Folded Spill
	v_and_b32_e32 v3, 0x80000000, v3
	s_delay_alu instid0(VALU_DEP_1) | instskip(NEXT) | instid1(VALU_DEP_1)
	v_lshl_add_u32 v1, v1, 23, v3
	v_lshl_or_b32 v1, v2, 21, v1
                                        ; implicit-def: $vgpr2
	s_delay_alu instid0(VALU_DEP_1)
	v_add_nc_u32_e32 v1, 0x38000000, v1
.LBB6_30174:                            ;   in Loop: Header=BB6_27928 Depth=3
	s_wait_xcnt 0x0
	s_and_not1_saveexec_b32 s74, s13
	s_cbranch_execz .LBB6_30176
; %bb.30175:                            ;   in Loop: Header=BB6_27928 Depth=3
	v_cmp_eq_u32_e32 vcc_lo, 0, v2
	scratch_load_b64 v[2:3], off, s33 offset:248 th:TH_LOAD_LU ; 8-byte Folded Reload
	s_wait_loadcnt 0x0
	v_bfe_i32 v1, v2, 0, 8
	s_delay_alu instid0(VALU_DEP_1) | instskip(SKIP_1) | instid1(VALU_DEP_1)
	v_cmp_lt_i16_e64 s13, -1, v1
	v_mov_b32_e32 v1, 0x7f800000
	v_cndmask_b32_e64 v1, 0xff800000, v1, s13
	s_delay_alu instid0(VALU_DEP_1)
	v_cndmask_b32_e32 v1, 0x7f800001, v1, vcc_lo
.LBB6_30176:                            ;   in Loop: Header=BB6_27928 Depth=3
	s_wait_xcnt 0x0
	s_or_b32 exec_lo, exec_lo, s74
.LBB6_30177:                            ;   in Loop: Header=BB6_27928 Depth=3
	s_delay_alu instid0(SALU_CYCLE_1)
	s_or_b32 exec_lo, exec_lo, s15
.LBB6_30178:                            ;   in Loop: Header=BB6_27928 Depth=3
	s_delay_alu instid0(SALU_CYCLE_1) | instskip(NEXT) | instid1(SALU_CYCLE_1)
	s_or_b32 exec_lo, exec_lo, s14
	s_mov_b32 s14, exec_lo
	s_wait_dscnt 0x5
	v_cmpx_ne_u16_e32 0, v4
	s_cbranch_execz .LBB6_30188
; %bb.30179:                            ;   in Loop: Header=BB6_27928 Depth=3
	v_bfrev_b32_e32 v0, 1
	s_mov_b32 s15, exec_lo
	v_cmpx_ne_u16_e32 0xff80, v4
	s_cbranch_execz .LBB6_30187
; %bb.30180:                            ;   in Loop: Header=BB6_27928 Depth=3
	v_and_b32_e32 v0, 0x7c, v4
	v_and_b32_e32 v2, 3, v4
	s_delay_alu instid0(VALU_DEP_2) | instskip(SKIP_1) | instid1(SALU_CYCLE_1)
	v_cmp_ne_u32_e32 vcc_lo, 0x7c, v0
                                        ; implicit-def: $vgpr0
	s_and_saveexec_b32 s13, vcc_lo
	s_xor_b32 s13, exec_lo, s13
	s_cbranch_execz .LBB6_30184
; %bb.30181:                            ;   in Loop: Header=BB6_27928 Depth=3
	v_and_b32_e32 v0, 0xff, v4
	s_mov_b32 s74, exec_lo
	s_delay_alu instid0(VALU_DEP_1) | instskip(NEXT) | instid1(VALU_DEP_1)
	v_bfe_u32 v0, v0, 2, 5
	v_cmpx_eq_u32_e32 0, v0
	s_cbranch_execz .LBB6_30183
; %bb.30182:                            ;   in Loop: Header=BB6_27928 Depth=3
	v_clz_i32_u32_e32 v0, v2
	s_delay_alu instid0(VALU_DEP_1) | instskip(SKIP_1) | instid1(VALU_DEP_2)
	v_min_u32_e32 v0, 32, v0
	v_mov_b32_e32 v5, v113
	v_subrev_nc_u32_e32 v2, 29, v0
	v_sub_nc_u32_e32 v0, 30, v0
	s_delay_alu instid0(VALU_DEP_2) | instskip(NEXT) | instid1(VALU_DEP_1)
	v_lshlrev_b64_e32 v[2:3], v2, v[4:5]
	v_and_b32_e32 v2, 3, v2
.LBB6_30183:                            ;   in Loop: Header=BB6_27928 Depth=3
	s_or_b32 exec_lo, exec_lo, s74
	v_bfe_i32 v3, v4, 0, 16
                                        ; implicit-def: $vgpr4
	s_delay_alu instid0(VALU_DEP_1) | instskip(NEXT) | instid1(VALU_DEP_1)
	v_and_b32_e32 v3, 0x80000000, v3
	v_lshl_add_u32 v0, v0, 23, v3
	s_delay_alu instid0(VALU_DEP_1) | instskip(NEXT) | instid1(VALU_DEP_1)
	v_lshl_or_b32 v0, v2, 21, v0
                                        ; implicit-def: $vgpr2
	v_add_nc_u32_e32 v0, 0x38000000, v0
.LBB6_30184:                            ;   in Loop: Header=BB6_27928 Depth=3
	s_and_not1_saveexec_b32 s74, s13
; %bb.30185:                            ;   in Loop: Header=BB6_27928 Depth=3
	v_cmp_lt_i16_e64 s13, -1, v4
	v_mov_b32_e32 v0, 0x7f800000
	v_cmp_eq_u32_e32 vcc_lo, 0, v2
	s_delay_alu instid0(VALU_DEP_2) | instskip(NEXT) | instid1(VALU_DEP_1)
	v_cndmask_b32_e64 v0, 0xff800000, v0, s13
	v_cndmask_b32_e32 v0, 0x7f800001, v0, vcc_lo
; %bb.30186:                            ;   in Loop: Header=BB6_27928 Depth=3
	s_or_b32 exec_lo, exec_lo, s74
.LBB6_30187:                            ;   in Loop: Header=BB6_27928 Depth=3
	s_delay_alu instid0(SALU_CYCLE_1)
	s_or_b32 exec_lo, exec_lo, s15
.LBB6_30188:                            ;   in Loop: Header=BB6_27928 Depth=3
	s_delay_alu instid0(SALU_CYCLE_1) | instskip(NEXT) | instid1(VALU_DEP_1)
	s_or_b32 exec_lo, exec_lo, s14
	v_add_f32_e32 v2, v1, v0
	v_mov_b32_e32 v1, v113
                                        ; implicit-def: $vgpr4
	s_delay_alu instid0(VALU_DEP_2) | instskip(NEXT) | instid1(VALU_DEP_1)
	v_and_b32_e32 v0, 0x7f800000, v2
	v_cmp_ne_u64_e32 vcc_lo, 0x7f800000, v[0:1]
	v_and_b32_e32 v0, 0x7fffff, v2
	s_and_saveexec_b32 s13, vcc_lo
	s_delay_alu instid0(SALU_CYCLE_1)
	s_xor_b32 s14, exec_lo, s13
	s_cbranch_execz .LBB6_30206
; %bb.30189:                            ;   in Loop: Header=BB6_27928 Depth=3
	v_and_b32_e32 v4, 0x7fffffff, v2
	v_dual_mov_b32 v5, v113 :: v_dual_lshrrev_b32 v3, 24, v2
	s_delay_alu instid0(VALU_DEP_1) | instskip(NEXT) | instid1(VALU_DEP_2)
	v_cmp_gt_u64_e32 vcc_lo, 0x47600001, v[4:5]
	v_and_b32_e32 v5, 0x80, v3
                                        ; implicit-def: $vgpr4
	s_and_saveexec_b32 s13, vcc_lo
	s_delay_alu instid0(SALU_CYCLE_1)
	s_xor_b32 s15, exec_lo, s13
	s_cbranch_execz .LBB6_30203
; %bb.30190:                            ;   in Loop: Header=BB6_27928 Depth=3
	v_mov_b32_e32 v4, 0
	s_mov_b32 s74, exec_lo
	v_cmpx_ne_u32_e32 0, v2
	s_cbranch_execz .LBB6_30202
; %bb.30191:                            ;   in Loop: Header=BB6_27928 Depth=3
	v_bfe_u32 v4, v2, 23, 8
	v_or_b32_e32 v3, 0x800000, v0
	s_delay_alu instid0(VALU_DEP_2) | instskip(SKIP_2) | instid1(VALU_DEP_2)
	v_cmp_gt_u32_e64 s13, 0x72, v4
	v_sub_nc_u32_e32 v2, 0x71, v4
	v_cmp_eq_u32_e32 vcc_lo, 0, v4
	v_dual_cndmask_b32 v2, 0, v2, s13 :: v_dual_cndmask_b32 v0, v3, v0, vcc_lo
	s_delay_alu instid0(VALU_DEP_1) | instskip(NEXT) | instid1(VALU_DEP_1)
	v_cndmask_b32_e64 v17, v2, 0x70, vcc_lo
	v_dual_add_nc_u32 v2, 21, v17 :: v_dual_add_nc_u32 v27, 20, v17
	s_delay_alu instid0(VALU_DEP_1) | instskip(NEXT) | instid1(VALU_DEP_2)
	v_lshlrev_b64_e64 v[2:3], v2, -1
	v_lshlrev_b64_e64 v[50:51], v27, 1
	s_delay_alu instid0(VALU_DEP_2) | instskip(SKIP_1) | instid1(VALU_DEP_4)
	v_bfi_b32 v2, v2, 0, v0
	v_lshrrev_b64 v[0:1], v17, v[0:1]
	v_bfi_b32 v3, v3, 0, 0
	s_delay_alu instid0(VALU_DEP_1) | instskip(NEXT) | instid1(VALU_DEP_3)
	v_cmp_eq_u64_e64 s13, v[2:3], v[50:51]
	v_mov_b64_e32 v[2:3], v[0:1]
	s_and_saveexec_b32 s75, s13
; %bb.30192:                            ;   in Loop: Header=BB6_27928 Depth=3
	v_bfe_u32 v2, v0, 21, 1
	v_mov_b32_e32 v3, v113
	s_delay_alu instid0(VALU_DEP_1) | instskip(NEXT) | instid1(VALU_DEP_1)
	v_add_nc_u64_e32 v[2:3], v[0:1], v[2:3]
	v_add_nc_u64_e32 v[2:3], -1, v[2:3]
; %bb.30193:                            ;   in Loop: Header=BB6_27928 Depth=3
	s_or_b32 exec_lo, exec_lo, s75
	v_add_nc_u32_e32 v1, 0xffffff81, v4
	v_lshrrev_b32_e32 v3, 23, v0
	s_mov_b32 s13, exec_lo
	s_delay_alu instid0(VALU_DEP_2) | instskip(NEXT) | instid1(VALU_DEP_1)
	v_cndmask_b32_e64 v1, v1, 0xffffff82, vcc_lo
	v_add3_u32 v4, v17, v1, v3
	v_and_b32_e32 v1, 0x1fffff, v2
                                        ; implicit-def: $vgpr2
	s_delay_alu instid0(VALU_DEP_2) | instskip(NEXT) | instid1(VALU_DEP_2)
	v_add_nc_u32_e32 v3, 14, v4
	v_add_nc_u32_e32 v0, v1, v0
	v_mov_b32_e32 v1, v113
	s_delay_alu instid0(VALU_DEP_3)
	v_cmpx_ne_u32_e32 0, v3
	s_xor_b32 s13, exec_lo, s13
; %bb.30194:                            ;   in Loop: Header=BB6_27928 Depth=3
	s_delay_alu instid0(VALU_DEP_2) | instskip(SKIP_1) | instid1(VALU_DEP_1)
	v_cmp_lt_u64_e32 vcc_lo, 0xffffff, v[0:1]
	v_add_nc_u32_e32 v2, 15, v4
	v_cndmask_b32_e32 v2, v3, v2, vcc_lo
	v_cndmask_b32_e64 v3, 0, 1, vcc_lo
	s_delay_alu instid0(VALU_DEP_1)
	v_lshrrev_b64 v[0:1], v3, v[0:1]
; %bb.30195:                            ;   in Loop: Header=BB6_27928 Depth=3
	s_and_not1_saveexec_b32 s13, s13
; %bb.30196:                            ;   in Loop: Header=BB6_27928 Depth=3
	s_delay_alu instid0(VALU_DEP_1)
	v_bfe_u32 v2, v0, 23, 1
; %bb.30197:                            ;   in Loop: Header=BB6_27928 Depth=3
	s_or_b32 exec_lo, exec_lo, s13
	s_delay_alu instid0(VALU_DEP_2) | instskip(NEXT) | instid1(VALU_DEP_2)
	v_lshrrev_b64 v[0:1], 21, v[0:1]
	v_cmp_gt_i32_e32 vcc_lo, 32, v2
	v_cmp_ne_u32_e64 s13, 0, v2
                                        ; implicit-def: $vgpr4
	s_delay_alu instid0(VALU_DEP_3) | instskip(NEXT) | instid1(VALU_DEP_1)
	v_dual_cndmask_b32 v1, 0, v1 :: v_dual_cndmask_b32 v0, 3, v0
	v_cmp_ne_u64_e32 vcc_lo, 0, v[0:1]
	s_or_b32 s13, s13, vcc_lo
	s_delay_alu instid0(SALU_CYCLE_1) | instskip(NEXT) | instid1(SALU_CYCLE_1)
	s_and_saveexec_b32 s75, s13
	s_xor_b32 s13, exec_lo, s75
; %bb.30198:                            ;   in Loop: Header=BB6_27928 Depth=3
	v_min_i32_e32 v1, 31, v2
	s_delay_alu instid0(VALU_DEP_1) | instskip(NEXT) | instid1(VALU_DEP_1)
	v_lshl_or_b32 v1, v1, 2, v5
                                        ; implicit-def: $vgpr5
	v_and_or_b32 v4, v0, 3, v1
; %bb.30199:                            ;   in Loop: Header=BB6_27928 Depth=3
	s_and_not1_saveexec_b32 s13, s13
; %bb.30200:                            ;   in Loop: Header=BB6_27928 Depth=3
	v_mov_b32_e32 v4, v5
; %bb.30201:                            ;   in Loop: Header=BB6_27928 Depth=3
	s_or_b32 exec_lo, exec_lo, s13
.LBB6_30202:                            ;   in Loop: Header=BB6_27928 Depth=3
	s_delay_alu instid0(SALU_CYCLE_1)
	s_or_b32 exec_lo, exec_lo, s74
                                        ; implicit-def: $vgpr5
.LBB6_30203:                            ;   in Loop: Header=BB6_27928 Depth=3
	s_and_not1_saveexec_b32 s13, s15
; %bb.30204:                            ;   in Loop: Header=BB6_27928 Depth=3
	v_or_b32_e32 v4, 0x7b, v5
; %bb.30205:                            ;   in Loop: Header=BB6_27928 Depth=3
	s_or_b32 exec_lo, exec_lo, s13
                                        ; implicit-def: $vgpr2
                                        ; implicit-def: $vgpr0_vgpr1
.LBB6_30206:                            ;   in Loop: Header=BB6_27928 Depth=3
	s_and_not1_saveexec_b32 s13, s14
	s_cbranch_execz .LBB6_30212
; %bb.30207:                            ;   in Loop: Header=BB6_27928 Depth=3
	s_mov_b32 s14, exec_lo
                                        ; implicit-def: $vgpr4
	v_cmpx_ne_u64_e32 0, v[0:1]
	s_xor_b32 s14, exec_lo, s14
; %bb.30208:                            ;   in Loop: Header=BB6_27928 Depth=3
	v_lshrrev_b32_e32 v0, 24, v2
                                        ; implicit-def: $vgpr2
	s_delay_alu instid0(VALU_DEP_1)
	v_or_b32_e32 v4, 0x7f, v0
; %bb.30209:                            ;   in Loop: Header=BB6_27928 Depth=3
	s_and_not1_saveexec_b32 s14, s14
; %bb.30210:                            ;   in Loop: Header=BB6_27928 Depth=3
	v_cmp_lt_i32_e32 vcc_lo, -1, v2
	v_cndmask_b32_e64 v4, -4, 0x7c, vcc_lo
; %bb.30211:                            ;   in Loop: Header=BB6_27928 Depth=3
	s_or_b32 exec_lo, exec_lo, s14
.LBB6_30212:                            ;   in Loop: Header=BB6_27928 Depth=3
	s_delay_alu instid0(SALU_CYCLE_1)
	s_or_b32 exec_lo, exec_lo, s13
	scratch_load_b64 v[0:1], off, s33 offset:240 ; 8-byte Folded Reload
	s_mov_b32 s14, exec_lo
	s_wait_loadcnt 0x0
	v_mov_b32_e32 v1, 0
	v_and_b32_e32 v3, 0xff, v0
	v_mov_b32_e32 v0, 0
	s_wait_xcnt 0x0
	s_delay_alu instid0(VALU_DEP_2)
	v_cmpx_ne_u16_e32 0, v3
	s_cbranch_execz .LBB6_30222
; %bb.30213:                            ;   in Loop: Header=BB6_27928 Depth=3
	v_bfrev_b32_e32 v1, 1
	s_mov_b32 s15, exec_lo
	v_cmpx_ne_u16_e32 0x80, v3
	s_cbranch_execz .LBB6_30221
; %bb.30214:                            ;   in Loop: Header=BB6_27928 Depth=3
	scratch_load_b64 v[50:51], off, s33 offset:240 ; 8-byte Folded Reload
	s_wait_loadcnt 0x0
	v_mov_b32_e32 v2, v50
	s_delay_alu instid0(VALU_DEP_1) | instskip(SKIP_1) | instid1(VALU_DEP_2)
	v_and_b32_e32 v1, 0x7c, v2
	v_and_b32_e32 v2, 3, v2
	v_cmp_ne_u32_e32 vcc_lo, 0x7c, v1
                                        ; implicit-def: $vgpr1
	s_wait_xcnt 0x0
	s_and_saveexec_b32 s13, vcc_lo
	s_delay_alu instid0(SALU_CYCLE_1)
	s_xor_b32 s13, exec_lo, s13
	s_cbranch_execz .LBB6_30218
; %bb.30215:                            ;   in Loop: Header=BB6_27928 Depth=3
	v_bfe_u32 v1, v3, 2, 5
	s_mov_b32 s74, exec_lo
	s_delay_alu instid0(VALU_DEP_1)
	v_cmpx_eq_u32_e32 0, v1
	s_cbranch_execz .LBB6_30217
; %bb.30216:                            ;   in Loop: Header=BB6_27928 Depth=3
	scratch_load_b64 v[50:51], off, s33 offset:240 th:TH_LOAD_LU ; 8-byte Folded Reload
	v_clz_i32_u32_e32 v1, v2
	s_wait_loadcnt 0x0
	v_mov_b32_e32 v51, v113
	s_delay_alu instid0(VALU_DEP_2) | instskip(NEXT) | instid1(VALU_DEP_1)
	v_min_u32_e32 v1, 32, v1
	v_subrev_nc_u32_e32 v2, 29, v1
	v_mov_b32_e32 v52, v50
	s_delay_alu instid0(VALU_DEP_2)
	v_lshlrev_b64_e32 v[2:3], v2, v[50:51]
	v_sub_nc_u32_e32 v1, 30, v1
	scratch_store_b64 off, v[52:53], s33 offset:240 ; 8-byte Folded Spill
	v_and_b32_e32 v2, 3, v2
.LBB6_30217:                            ;   in Loop: Header=BB6_27928 Depth=3
	s_wait_xcnt 0x0
	s_or_b32 exec_lo, exec_lo, s74
	scratch_load_b64 v[50:51], off, s33 offset:240 th:TH_LOAD_LU ; 8-byte Folded Reload
	s_wait_loadcnt 0x0
	v_lshlrev_b32_e32 v3, 24, v50
                                        ; implicit-def: $vgpr50
	scratch_store_b64 off, v[50:51], s33 offset:240 ; 8-byte Folded Spill
	v_and_b32_e32 v3, 0x80000000, v3
	s_delay_alu instid0(VALU_DEP_1) | instskip(NEXT) | instid1(VALU_DEP_1)
	v_lshl_add_u32 v1, v1, 23, v3
	v_lshl_or_b32 v1, v2, 21, v1
                                        ; implicit-def: $vgpr2
	s_delay_alu instid0(VALU_DEP_1)
	v_add_nc_u32_e32 v1, 0x38000000, v1
.LBB6_30218:                            ;   in Loop: Header=BB6_27928 Depth=3
	s_wait_xcnt 0x0
	s_and_not1_saveexec_b32 s74, s13
	s_cbranch_execz .LBB6_30220
; %bb.30219:                            ;   in Loop: Header=BB6_27928 Depth=3
	v_cmp_eq_u32_e32 vcc_lo, 0, v2
	scratch_load_b64 v[2:3], off, s33 offset:240 th:TH_LOAD_LU ; 8-byte Folded Reload
	s_wait_loadcnt 0x0
	v_bfe_i32 v1, v2, 0, 8
	s_delay_alu instid0(VALU_DEP_1) | instskip(SKIP_1) | instid1(VALU_DEP_1)
	v_cmp_lt_i16_e64 s13, -1, v1
	v_mov_b32_e32 v1, 0x7f800000
	v_cndmask_b32_e64 v1, 0xff800000, v1, s13
	s_delay_alu instid0(VALU_DEP_1)
	v_cndmask_b32_e32 v1, 0x7f800001, v1, vcc_lo
.LBB6_30220:                            ;   in Loop: Header=BB6_27928 Depth=3
	s_wait_xcnt 0x0
	s_or_b32 exec_lo, exec_lo, s74
.LBB6_30221:                            ;   in Loop: Header=BB6_27928 Depth=3
	s_delay_alu instid0(SALU_CYCLE_1)
	s_or_b32 exec_lo, exec_lo, s15
.LBB6_30222:                            ;   in Loop: Header=BB6_27928 Depth=3
	s_delay_alu instid0(SALU_CYCLE_1) | instskip(NEXT) | instid1(SALU_CYCLE_1)
	s_or_b32 exec_lo, exec_lo, s14
	s_mov_b32 s14, exec_lo
	s_wait_dscnt 0x4
	v_cmpx_ne_u16_e32 0, v26
	s_cbranch_execz .LBB6_30232
; %bb.30223:                            ;   in Loop: Header=BB6_27928 Depth=3
	v_bfrev_b32_e32 v0, 1
	s_mov_b32 s15, exec_lo
	v_cmpx_ne_u16_e32 0xff80, v26
	s_cbranch_execz .LBB6_30231
; %bb.30224:                            ;   in Loop: Header=BB6_27928 Depth=3
	v_and_b32_e32 v0, 0x7c, v26
	v_and_b32_e32 v2, 3, v26
	s_delay_alu instid0(VALU_DEP_2) | instskip(SKIP_1) | instid1(SALU_CYCLE_1)
	v_cmp_ne_u32_e32 vcc_lo, 0x7c, v0
                                        ; implicit-def: $vgpr0
	s_and_saveexec_b32 s13, vcc_lo
	s_xor_b32 s13, exec_lo, s13
	s_cbranch_execz .LBB6_30228
; %bb.30225:                            ;   in Loop: Header=BB6_27928 Depth=3
	v_and_b32_e32 v0, 0xff, v26
	s_mov_b32 s74, exec_lo
	s_delay_alu instid0(VALU_DEP_1) | instskip(NEXT) | instid1(VALU_DEP_1)
	v_bfe_u32 v0, v0, 2, 5
	v_cmpx_eq_u32_e32 0, v0
	s_cbranch_execz .LBB6_30227
; %bb.30226:                            ;   in Loop: Header=BB6_27928 Depth=3
	v_clz_i32_u32_e32 v0, v2
	s_delay_alu instid0(VALU_DEP_1) | instskip(SKIP_1) | instid1(VALU_DEP_2)
	v_min_u32_e32 v0, 32, v0
	v_mov_b32_e32 v27, v113
	v_subrev_nc_u32_e32 v2, 29, v0
	v_sub_nc_u32_e32 v0, 30, v0
	s_delay_alu instid0(VALU_DEP_2) | instskip(NEXT) | instid1(VALU_DEP_1)
	v_lshlrev_b64_e32 v[2:3], v2, v[26:27]
	v_and_b32_e32 v2, 3, v2
.LBB6_30227:                            ;   in Loop: Header=BB6_27928 Depth=3
	s_or_b32 exec_lo, exec_lo, s74
	v_bfe_i32 v3, v26, 0, 16
                                        ; implicit-def: $vgpr26
	s_delay_alu instid0(VALU_DEP_1) | instskip(NEXT) | instid1(VALU_DEP_1)
	v_and_b32_e32 v3, 0x80000000, v3
	v_lshl_add_u32 v0, v0, 23, v3
	s_delay_alu instid0(VALU_DEP_1) | instskip(NEXT) | instid1(VALU_DEP_1)
	v_lshl_or_b32 v0, v2, 21, v0
                                        ; implicit-def: $vgpr2
	v_add_nc_u32_e32 v0, 0x38000000, v0
.LBB6_30228:                            ;   in Loop: Header=BB6_27928 Depth=3
	s_and_not1_saveexec_b32 s74, s13
; %bb.30229:                            ;   in Loop: Header=BB6_27928 Depth=3
	v_cmp_lt_i16_e64 s13, -1, v26
	v_mov_b32_e32 v0, 0x7f800000
	v_cmp_eq_u32_e32 vcc_lo, 0, v2
	s_delay_alu instid0(VALU_DEP_2) | instskip(NEXT) | instid1(VALU_DEP_1)
	v_cndmask_b32_e64 v0, 0xff800000, v0, s13
	v_cndmask_b32_e32 v0, 0x7f800001, v0, vcc_lo
; %bb.30230:                            ;   in Loop: Header=BB6_27928 Depth=3
	s_or_b32 exec_lo, exec_lo, s74
.LBB6_30231:                            ;   in Loop: Header=BB6_27928 Depth=3
	s_delay_alu instid0(SALU_CYCLE_1)
	s_or_b32 exec_lo, exec_lo, s15
.LBB6_30232:                            ;   in Loop: Header=BB6_27928 Depth=3
	s_delay_alu instid0(SALU_CYCLE_1) | instskip(NEXT) | instid1(VALU_DEP_1)
	s_or_b32 exec_lo, exec_lo, s14
	v_add_f32_e32 v2, v1, v0
	v_mov_b32_e32 v1, v113
                                        ; implicit-def: $vgpr5
	s_delay_alu instid0(VALU_DEP_2) | instskip(NEXT) | instid1(VALU_DEP_1)
	v_and_b32_e32 v0, 0x7f800000, v2
	v_cmp_ne_u64_e32 vcc_lo, 0x7f800000, v[0:1]
	v_and_b32_e32 v0, 0x7fffff, v2
	s_and_saveexec_b32 s13, vcc_lo
	s_delay_alu instid0(SALU_CYCLE_1)
	s_xor_b32 s14, exec_lo, s13
	s_cbranch_execz .LBB6_30250
; %bb.30233:                            ;   in Loop: Header=BB6_27928 Depth=3
	v_dual_mov_b32 v27, v113 :: v_dual_lshrrev_b32 v3, 24, v2
	v_and_b32_e32 v26, 0x7fffffff, v2
                                        ; implicit-def: $vgpr5
	s_mov_b32 s13, exec_lo
	s_delay_alu instid0(VALU_DEP_2) | instskip(NEXT) | instid1(VALU_DEP_2)
	v_and_b32_e32 v17, 0x80, v3
	v_cmpx_gt_u64_e32 0x47600001, v[26:27]
	s_xor_b32 s15, exec_lo, s13
	s_cbranch_execz .LBB6_30247
; %bb.30234:                            ;   in Loop: Header=BB6_27928 Depth=3
	v_mov_b32_e32 v5, 0
	s_mov_b32 s74, exec_lo
	v_cmpx_ne_u32_e32 0, v2
	s_cbranch_execz .LBB6_30246
; %bb.30235:                            ;   in Loop: Header=BB6_27928 Depth=3
	v_bfe_u32 v5, v2, 23, 8
	v_or_b32_e32 v3, 0x800000, v0
	s_delay_alu instid0(VALU_DEP_2) | instskip(SKIP_2) | instid1(VALU_DEP_2)
	v_cmp_gt_u32_e64 s13, 0x72, v5
	v_sub_nc_u32_e32 v2, 0x71, v5
	v_cmp_eq_u32_e32 vcc_lo, 0, v5
	v_dual_cndmask_b32 v2, 0, v2, s13 :: v_dual_cndmask_b32 v0, v3, v0, vcc_lo
	s_delay_alu instid0(VALU_DEP_1) | instskip(NEXT) | instid1(VALU_DEP_1)
	v_cndmask_b32_e64 v26, v2, 0x70, vcc_lo
	v_dual_add_nc_u32 v2, 21, v26 :: v_dual_add_nc_u32 v27, 20, v26
	s_delay_alu instid0(VALU_DEP_1) | instskip(NEXT) | instid1(VALU_DEP_2)
	v_lshlrev_b64_e64 v[2:3], v2, -1
	v_lshlrev_b64_e64 v[50:51], v27, 1
	s_delay_alu instid0(VALU_DEP_2) | instskip(SKIP_1) | instid1(VALU_DEP_4)
	v_bfi_b32 v2, v2, 0, v0
	v_lshrrev_b64 v[0:1], v26, v[0:1]
	v_bfi_b32 v3, v3, 0, 0
	s_delay_alu instid0(VALU_DEP_1) | instskip(NEXT) | instid1(VALU_DEP_3)
	v_cmp_eq_u64_e64 s13, v[2:3], v[50:51]
	v_mov_b64_e32 v[2:3], v[0:1]
	s_and_saveexec_b32 s75, s13
; %bb.30236:                            ;   in Loop: Header=BB6_27928 Depth=3
	v_bfe_u32 v2, v0, 21, 1
	v_mov_b32_e32 v3, v113
	s_delay_alu instid0(VALU_DEP_1) | instskip(NEXT) | instid1(VALU_DEP_1)
	v_add_nc_u64_e32 v[2:3], v[0:1], v[2:3]
	v_add_nc_u64_e32 v[2:3], -1, v[2:3]
; %bb.30237:                            ;   in Loop: Header=BB6_27928 Depth=3
	s_or_b32 exec_lo, exec_lo, s75
	v_add_nc_u32_e32 v1, 0xffffff81, v5
	v_lshrrev_b32_e32 v3, 23, v0
	s_mov_b32 s13, exec_lo
	s_delay_alu instid0(VALU_DEP_2) | instskip(NEXT) | instid1(VALU_DEP_1)
	v_cndmask_b32_e64 v1, v1, 0xffffff82, vcc_lo
	v_add3_u32 v5, v26, v1, v3
	v_and_b32_e32 v1, 0x1fffff, v2
                                        ; implicit-def: $vgpr2
	s_delay_alu instid0(VALU_DEP_1) | instskip(SKIP_1) | instid1(VALU_DEP_2)
	v_dual_add_nc_u32 v3, 14, v5 :: v_dual_add_nc_u32 v0, v1, v0
	v_mov_b32_e32 v1, v113
	v_cmpx_ne_u32_e32 0, v3
	s_xor_b32 s13, exec_lo, s13
; %bb.30238:                            ;   in Loop: Header=BB6_27928 Depth=3
	s_delay_alu instid0(VALU_DEP_2) | instskip(SKIP_1) | instid1(VALU_DEP_1)
	v_cmp_lt_u64_e32 vcc_lo, 0xffffff, v[0:1]
	v_add_nc_u32_e32 v2, 15, v5
	v_cndmask_b32_e32 v2, v3, v2, vcc_lo
	v_cndmask_b32_e64 v3, 0, 1, vcc_lo
	s_delay_alu instid0(VALU_DEP_1)
	v_lshrrev_b64 v[0:1], v3, v[0:1]
; %bb.30239:                            ;   in Loop: Header=BB6_27928 Depth=3
	s_and_not1_saveexec_b32 s13, s13
; %bb.30240:                            ;   in Loop: Header=BB6_27928 Depth=3
	s_delay_alu instid0(VALU_DEP_1)
	v_bfe_u32 v2, v0, 23, 1
; %bb.30241:                            ;   in Loop: Header=BB6_27928 Depth=3
	s_or_b32 exec_lo, exec_lo, s13
	s_delay_alu instid0(VALU_DEP_2) | instskip(NEXT) | instid1(VALU_DEP_2)
	v_lshrrev_b64 v[0:1], 21, v[0:1]
	v_cmp_gt_i32_e32 vcc_lo, 32, v2
	v_cmp_ne_u32_e64 s13, 0, v2
                                        ; implicit-def: $vgpr5
	s_delay_alu instid0(VALU_DEP_3) | instskip(NEXT) | instid1(VALU_DEP_1)
	v_dual_cndmask_b32 v1, 0, v1 :: v_dual_cndmask_b32 v0, 3, v0
	v_cmp_ne_u64_e32 vcc_lo, 0, v[0:1]
	s_or_b32 s13, s13, vcc_lo
	s_delay_alu instid0(SALU_CYCLE_1) | instskip(NEXT) | instid1(SALU_CYCLE_1)
	s_and_saveexec_b32 s75, s13
	s_xor_b32 s13, exec_lo, s75
; %bb.30242:                            ;   in Loop: Header=BB6_27928 Depth=3
	v_min_i32_e32 v1, 31, v2
	s_delay_alu instid0(VALU_DEP_1) | instskip(NEXT) | instid1(VALU_DEP_1)
	v_lshl_or_b32 v1, v1, 2, v17
                                        ; implicit-def: $vgpr17
	v_and_or_b32 v5, v0, 3, v1
; %bb.30243:                            ;   in Loop: Header=BB6_27928 Depth=3
	s_and_not1_saveexec_b32 s13, s13
; %bb.30244:                            ;   in Loop: Header=BB6_27928 Depth=3
	v_mov_b32_e32 v5, v17
; %bb.30245:                            ;   in Loop: Header=BB6_27928 Depth=3
	s_or_b32 exec_lo, exec_lo, s13
.LBB6_30246:                            ;   in Loop: Header=BB6_27928 Depth=3
	s_delay_alu instid0(SALU_CYCLE_1)
	s_or_b32 exec_lo, exec_lo, s74
                                        ; implicit-def: $vgpr17
.LBB6_30247:                            ;   in Loop: Header=BB6_27928 Depth=3
	s_and_not1_saveexec_b32 s13, s15
; %bb.30248:                            ;   in Loop: Header=BB6_27928 Depth=3
	v_or_b32_e32 v5, 0x7b, v17
; %bb.30249:                            ;   in Loop: Header=BB6_27928 Depth=3
	s_or_b32 exec_lo, exec_lo, s13
                                        ; implicit-def: $vgpr2
                                        ; implicit-def: $vgpr0_vgpr1
.LBB6_30250:                            ;   in Loop: Header=BB6_27928 Depth=3
	s_and_not1_saveexec_b32 s13, s14
	s_cbranch_execz .LBB6_30256
; %bb.30251:                            ;   in Loop: Header=BB6_27928 Depth=3
	s_mov_b32 s14, exec_lo
                                        ; implicit-def: $vgpr5
	v_cmpx_ne_u64_e32 0, v[0:1]
	s_xor_b32 s14, exec_lo, s14
; %bb.30252:                            ;   in Loop: Header=BB6_27928 Depth=3
	v_lshrrev_b32_e32 v0, 24, v2
                                        ; implicit-def: $vgpr2
	s_delay_alu instid0(VALU_DEP_1)
	v_or_b32_e32 v5, 0x7f, v0
; %bb.30253:                            ;   in Loop: Header=BB6_27928 Depth=3
	s_and_not1_saveexec_b32 s14, s14
; %bb.30254:                            ;   in Loop: Header=BB6_27928 Depth=3
	v_cmp_lt_i32_e32 vcc_lo, -1, v2
	v_cndmask_b32_e64 v5, -4, 0x7c, vcc_lo
; %bb.30255:                            ;   in Loop: Header=BB6_27928 Depth=3
	s_or_b32 exec_lo, exec_lo, s14
.LBB6_30256:                            ;   in Loop: Header=BB6_27928 Depth=3
	s_delay_alu instid0(SALU_CYCLE_1)
	s_or_b32 exec_lo, exec_lo, s13
	scratch_load_b64 v[0:1], off, s33 offset:232 ; 8-byte Folded Reload
	s_mov_b32 s14, exec_lo
	s_wait_loadcnt 0x0
	v_mov_b32_e32 v1, 0
	v_and_b32_e32 v3, 0xff, v0
	v_mov_b32_e32 v0, 0
	s_wait_xcnt 0x0
	s_delay_alu instid0(VALU_DEP_2)
	v_cmpx_ne_u16_e32 0, v3
	s_cbranch_execz .LBB6_30266
; %bb.30257:                            ;   in Loop: Header=BB6_27928 Depth=3
	v_bfrev_b32_e32 v1, 1
	s_mov_b32 s15, exec_lo
	v_cmpx_ne_u16_e32 0x80, v3
	s_cbranch_execz .LBB6_30265
; %bb.30258:                            ;   in Loop: Header=BB6_27928 Depth=3
	scratch_load_b64 v[26:27], off, s33 offset:232 ; 8-byte Folded Reload
	s_wait_loadcnt 0x0
	v_mov_b32_e32 v2, v26
	s_delay_alu instid0(VALU_DEP_1) | instskip(SKIP_1) | instid1(VALU_DEP_2)
	v_and_b32_e32 v1, 0x7c, v2
	v_and_b32_e32 v2, 3, v2
	v_cmp_ne_u32_e32 vcc_lo, 0x7c, v1
                                        ; implicit-def: $vgpr1
	s_wait_xcnt 0x0
	s_and_saveexec_b32 s13, vcc_lo
	s_delay_alu instid0(SALU_CYCLE_1)
	s_xor_b32 s13, exec_lo, s13
	s_cbranch_execz .LBB6_30262
; %bb.30259:                            ;   in Loop: Header=BB6_27928 Depth=3
	v_bfe_u32 v1, v3, 2, 5
	s_mov_b32 s74, exec_lo
	s_delay_alu instid0(VALU_DEP_1)
	v_cmpx_eq_u32_e32 0, v1
	s_cbranch_execz .LBB6_30261
; %bb.30260:                            ;   in Loop: Header=BB6_27928 Depth=3
	scratch_load_b64 v[26:27], off, s33 offset:232 th:TH_LOAD_LU ; 8-byte Folded Reload
	v_clz_i32_u32_e32 v1, v2
	s_wait_loadcnt 0x0
	v_mov_b32_e32 v27, v113
	s_delay_alu instid0(VALU_DEP_2) | instskip(NEXT) | instid1(VALU_DEP_1)
	v_min_u32_e32 v1, 32, v1
	v_subrev_nc_u32_e32 v2, 29, v1
	v_mov_b32_e32 v50, v26
	s_delay_alu instid0(VALU_DEP_2)
	v_lshlrev_b64_e32 v[2:3], v2, v[26:27]
	v_sub_nc_u32_e32 v1, 30, v1
	scratch_store_b64 off, v[50:51], s33 offset:232 ; 8-byte Folded Spill
	v_and_b32_e32 v2, 3, v2
.LBB6_30261:                            ;   in Loop: Header=BB6_27928 Depth=3
	s_wait_xcnt 0x0
	s_or_b32 exec_lo, exec_lo, s74
	scratch_load_b64 v[26:27], off, s33 offset:232 th:TH_LOAD_LU ; 8-byte Folded Reload
	s_wait_loadcnt 0x0
	v_lshlrev_b32_e32 v3, 24, v26
                                        ; implicit-def: $vgpr26
	scratch_store_b64 off, v[26:27], s33 offset:232 ; 8-byte Folded Spill
	v_and_b32_e32 v3, 0x80000000, v3
	s_delay_alu instid0(VALU_DEP_1) | instskip(NEXT) | instid1(VALU_DEP_1)
	v_lshl_add_u32 v1, v1, 23, v3
	v_lshl_or_b32 v1, v2, 21, v1
                                        ; implicit-def: $vgpr2
	s_delay_alu instid0(VALU_DEP_1)
	v_add_nc_u32_e32 v1, 0x38000000, v1
.LBB6_30262:                            ;   in Loop: Header=BB6_27928 Depth=3
	s_wait_xcnt 0x0
	s_and_not1_saveexec_b32 s74, s13
	s_cbranch_execz .LBB6_30264
; %bb.30263:                            ;   in Loop: Header=BB6_27928 Depth=3
	v_cmp_eq_u32_e32 vcc_lo, 0, v2
	scratch_load_b64 v[2:3], off, s33 offset:232 th:TH_LOAD_LU ; 8-byte Folded Reload
	s_wait_loadcnt 0x0
	v_bfe_i32 v1, v2, 0, 8
	s_delay_alu instid0(VALU_DEP_1) | instskip(SKIP_1) | instid1(VALU_DEP_1)
	v_cmp_lt_i16_e64 s13, -1, v1
	v_mov_b32_e32 v1, 0x7f800000
	v_cndmask_b32_e64 v1, 0xff800000, v1, s13
	s_delay_alu instid0(VALU_DEP_1)
	v_cndmask_b32_e32 v1, 0x7f800001, v1, vcc_lo
.LBB6_30264:                            ;   in Loop: Header=BB6_27928 Depth=3
	s_wait_xcnt 0x0
	s_or_b32 exec_lo, exec_lo, s74
.LBB6_30265:                            ;   in Loop: Header=BB6_27928 Depth=3
	s_delay_alu instid0(SALU_CYCLE_1)
	s_or_b32 exec_lo, exec_lo, s15
.LBB6_30266:                            ;   in Loop: Header=BB6_27928 Depth=3
	s_delay_alu instid0(SALU_CYCLE_1) | instskip(NEXT) | instid1(SALU_CYCLE_1)
	s_or_b32 exec_lo, exec_lo, s14
	s_mov_b32 s14, exec_lo
	s_wait_dscnt 0x3
	v_cmpx_ne_u16_e32 0, v94
	s_cbranch_execz .LBB6_30276
; %bb.30267:                            ;   in Loop: Header=BB6_27928 Depth=3
	v_bfrev_b32_e32 v0, 1
	s_mov_b32 s15, exec_lo
	v_cmpx_ne_u16_e32 0xff80, v94
	s_cbranch_execz .LBB6_30275
; %bb.30268:                            ;   in Loop: Header=BB6_27928 Depth=3
	v_and_b32_e32 v0, 0x7c, v94
	v_and_b32_e32 v2, 3, v94
	s_delay_alu instid0(VALU_DEP_2) | instskip(SKIP_1) | instid1(SALU_CYCLE_1)
	v_cmp_ne_u32_e32 vcc_lo, 0x7c, v0
                                        ; implicit-def: $vgpr0
	s_and_saveexec_b32 s13, vcc_lo
	s_xor_b32 s13, exec_lo, s13
	s_cbranch_execz .LBB6_30272
; %bb.30269:                            ;   in Loop: Header=BB6_27928 Depth=3
	v_and_b32_e32 v0, 0xff, v94
	s_mov_b32 s74, exec_lo
	s_delay_alu instid0(VALU_DEP_1) | instskip(NEXT) | instid1(VALU_DEP_1)
	v_bfe_u32 v0, v0, 2, 5
	v_cmpx_eq_u32_e32 0, v0
	s_cbranch_execz .LBB6_30271
; %bb.30270:                            ;   in Loop: Header=BB6_27928 Depth=3
	v_clz_i32_u32_e32 v0, v2
	s_delay_alu instid0(VALU_DEP_1) | instskip(SKIP_1) | instid1(VALU_DEP_2)
	v_min_u32_e32 v0, 32, v0
	v_mov_b32_e32 v95, v113
	v_subrev_nc_u32_e32 v2, 29, v0
	v_sub_nc_u32_e32 v0, 30, v0
	s_delay_alu instid0(VALU_DEP_2) | instskip(NEXT) | instid1(VALU_DEP_1)
	v_lshlrev_b64_e32 v[2:3], v2, v[94:95]
	v_and_b32_e32 v2, 3, v2
.LBB6_30271:                            ;   in Loop: Header=BB6_27928 Depth=3
	s_or_b32 exec_lo, exec_lo, s74
	v_bfe_i32 v3, v94, 0, 16
                                        ; implicit-def: $vgpr94
	s_delay_alu instid0(VALU_DEP_1) | instskip(NEXT) | instid1(VALU_DEP_1)
	v_and_b32_e32 v3, 0x80000000, v3
	v_lshl_add_u32 v0, v0, 23, v3
	s_delay_alu instid0(VALU_DEP_1) | instskip(NEXT) | instid1(VALU_DEP_1)
	v_lshl_or_b32 v0, v2, 21, v0
                                        ; implicit-def: $vgpr2
	v_add_nc_u32_e32 v0, 0x38000000, v0
.LBB6_30272:                            ;   in Loop: Header=BB6_27928 Depth=3
	s_and_not1_saveexec_b32 s74, s13
; %bb.30273:                            ;   in Loop: Header=BB6_27928 Depth=3
	v_cmp_lt_i16_e64 s13, -1, v94
	v_mov_b32_e32 v0, 0x7f800000
	v_cmp_eq_u32_e32 vcc_lo, 0, v2
	s_delay_alu instid0(VALU_DEP_2) | instskip(NEXT) | instid1(VALU_DEP_1)
	v_cndmask_b32_e64 v0, 0xff800000, v0, s13
	v_cndmask_b32_e32 v0, 0x7f800001, v0, vcc_lo
; %bb.30274:                            ;   in Loop: Header=BB6_27928 Depth=3
	s_or_b32 exec_lo, exec_lo, s74
.LBB6_30275:                            ;   in Loop: Header=BB6_27928 Depth=3
	s_delay_alu instid0(SALU_CYCLE_1)
	s_or_b32 exec_lo, exec_lo, s15
.LBB6_30276:                            ;   in Loop: Header=BB6_27928 Depth=3
	s_delay_alu instid0(SALU_CYCLE_1) | instskip(NEXT) | instid1(VALU_DEP_1)
	s_or_b32 exec_lo, exec_lo, s14
	v_add_f32_e32 v2, v1, v0
	v_mov_b32_e32 v1, v113
                                        ; implicit-def: $vgpr26
	s_delay_alu instid0(VALU_DEP_2) | instskip(NEXT) | instid1(VALU_DEP_1)
	v_and_b32_e32 v0, 0x7f800000, v2
	v_cmp_ne_u64_e32 vcc_lo, 0x7f800000, v[0:1]
	v_and_b32_e32 v0, 0x7fffff, v2
	s_and_saveexec_b32 s13, vcc_lo
	s_delay_alu instid0(SALU_CYCLE_1)
	s_xor_b32 s14, exec_lo, s13
	s_cbranch_execz .LBB6_30294
; %bb.30277:                            ;   in Loop: Header=BB6_27928 Depth=3
	v_and_b32_e32 v26, 0x7fffffff, v2
	v_dual_mov_b32 v27, v113 :: v_dual_lshrrev_b32 v3, 24, v2
	s_delay_alu instid0(VALU_DEP_1) | instskip(NEXT) | instid1(VALU_DEP_2)
	v_cmp_gt_u64_e32 vcc_lo, 0x47600001, v[26:27]
	v_and_b32_e32 v17, 0x80, v3
                                        ; implicit-def: $vgpr26
	s_and_saveexec_b32 s13, vcc_lo
	s_delay_alu instid0(SALU_CYCLE_1)
	s_xor_b32 s15, exec_lo, s13
	s_cbranch_execz .LBB6_30291
; %bb.30278:                            ;   in Loop: Header=BB6_27928 Depth=3
	v_mov_b32_e32 v26, 0
	s_mov_b32 s74, exec_lo
	v_cmpx_ne_u32_e32 0, v2
	s_cbranch_execz .LBB6_30290
; %bb.30279:                            ;   in Loop: Header=BB6_27928 Depth=3
	v_bfe_u32 v26, v2, 23, 8
	v_or_b32_e32 v3, 0x800000, v0
	s_delay_alu instid0(VALU_DEP_2) | instskip(SKIP_2) | instid1(VALU_DEP_2)
	v_cmp_gt_u32_e64 s13, 0x72, v26
	v_sub_nc_u32_e32 v2, 0x71, v26
	v_cmp_eq_u32_e32 vcc_lo, 0, v26
	v_dual_cndmask_b32 v2, 0, v2, s13 :: v_dual_cndmask_b32 v0, v3, v0, vcc_lo
	s_delay_alu instid0(VALU_DEP_1) | instskip(NEXT) | instid1(VALU_DEP_1)
	v_cndmask_b32_e64 v27, v2, 0x70, vcc_lo
	v_dual_add_nc_u32 v2, 21, v27 :: v_dual_add_nc_u32 v39, 20, v27
	s_delay_alu instid0(VALU_DEP_1) | instskip(NEXT) | instid1(VALU_DEP_2)
	v_lshlrev_b64_e64 v[2:3], v2, -1
	v_lshlrev_b64_e64 v[50:51], v39, 1
	s_delay_alu instid0(VALU_DEP_2) | instskip(SKIP_1) | instid1(VALU_DEP_4)
	v_bfi_b32 v2, v2, 0, v0
	v_lshrrev_b64 v[0:1], v27, v[0:1]
	v_bfi_b32 v3, v3, 0, 0
	s_delay_alu instid0(VALU_DEP_1) | instskip(NEXT) | instid1(VALU_DEP_3)
	v_cmp_eq_u64_e64 s13, v[2:3], v[50:51]
	v_mov_b64_e32 v[2:3], v[0:1]
	s_and_saveexec_b32 s75, s13
; %bb.30280:                            ;   in Loop: Header=BB6_27928 Depth=3
	v_bfe_u32 v2, v0, 21, 1
	v_mov_b32_e32 v3, v113
	s_delay_alu instid0(VALU_DEP_1) | instskip(NEXT) | instid1(VALU_DEP_1)
	v_add_nc_u64_e32 v[2:3], v[0:1], v[2:3]
	v_add_nc_u64_e32 v[2:3], -1, v[2:3]
; %bb.30281:                            ;   in Loop: Header=BB6_27928 Depth=3
	s_or_b32 exec_lo, exec_lo, s75
	v_add_nc_u32_e32 v1, 0xffffff81, v26
	v_lshrrev_b32_e32 v3, 23, v0
	s_mov_b32 s13, exec_lo
	s_delay_alu instid0(VALU_DEP_2) | instskip(NEXT) | instid1(VALU_DEP_1)
	v_cndmask_b32_e64 v1, v1, 0xffffff82, vcc_lo
	v_add3_u32 v26, v27, v1, v3
	v_and_b32_e32 v1, 0x1fffff, v2
                                        ; implicit-def: $vgpr2
	s_delay_alu instid0(VALU_DEP_1) | instskip(SKIP_1) | instid1(VALU_DEP_2)
	v_dual_add_nc_u32 v3, 14, v26 :: v_dual_add_nc_u32 v0, v1, v0
	v_mov_b32_e32 v1, v113
	v_cmpx_ne_u32_e32 0, v3
	s_xor_b32 s13, exec_lo, s13
; %bb.30282:                            ;   in Loop: Header=BB6_27928 Depth=3
	s_delay_alu instid0(VALU_DEP_2) | instskip(SKIP_1) | instid1(VALU_DEP_1)
	v_cmp_lt_u64_e32 vcc_lo, 0xffffff, v[0:1]
	v_add_nc_u32_e32 v2, 15, v26
	v_cndmask_b32_e32 v2, v3, v2, vcc_lo
	v_cndmask_b32_e64 v3, 0, 1, vcc_lo
	s_delay_alu instid0(VALU_DEP_1)
	v_lshrrev_b64 v[0:1], v3, v[0:1]
; %bb.30283:                            ;   in Loop: Header=BB6_27928 Depth=3
	s_and_not1_saveexec_b32 s13, s13
; %bb.30284:                            ;   in Loop: Header=BB6_27928 Depth=3
	s_delay_alu instid0(VALU_DEP_1)
	v_bfe_u32 v2, v0, 23, 1
; %bb.30285:                            ;   in Loop: Header=BB6_27928 Depth=3
	s_or_b32 exec_lo, exec_lo, s13
	s_delay_alu instid0(VALU_DEP_2) | instskip(NEXT) | instid1(VALU_DEP_2)
	v_lshrrev_b64 v[0:1], 21, v[0:1]
	v_cmp_gt_i32_e32 vcc_lo, 32, v2
	v_cmp_ne_u32_e64 s13, 0, v2
                                        ; implicit-def: $vgpr26
	s_delay_alu instid0(VALU_DEP_3) | instskip(NEXT) | instid1(VALU_DEP_1)
	v_dual_cndmask_b32 v1, 0, v1 :: v_dual_cndmask_b32 v0, 3, v0
	v_cmp_ne_u64_e32 vcc_lo, 0, v[0:1]
	s_or_b32 s13, s13, vcc_lo
	s_delay_alu instid0(SALU_CYCLE_1) | instskip(NEXT) | instid1(SALU_CYCLE_1)
	s_and_saveexec_b32 s75, s13
	s_xor_b32 s13, exec_lo, s75
; %bb.30286:                            ;   in Loop: Header=BB6_27928 Depth=3
	v_min_i32_e32 v1, 31, v2
	s_delay_alu instid0(VALU_DEP_1) | instskip(NEXT) | instid1(VALU_DEP_1)
	v_lshl_or_b32 v1, v1, 2, v17
                                        ; implicit-def: $vgpr17
	v_and_or_b32 v26, v0, 3, v1
; %bb.30287:                            ;   in Loop: Header=BB6_27928 Depth=3
	s_and_not1_saveexec_b32 s13, s13
; %bb.30288:                            ;   in Loop: Header=BB6_27928 Depth=3
	v_mov_b32_e32 v26, v17
; %bb.30289:                            ;   in Loop: Header=BB6_27928 Depth=3
	s_or_b32 exec_lo, exec_lo, s13
.LBB6_30290:                            ;   in Loop: Header=BB6_27928 Depth=3
	s_delay_alu instid0(SALU_CYCLE_1)
	s_or_b32 exec_lo, exec_lo, s74
                                        ; implicit-def: $vgpr17
.LBB6_30291:                            ;   in Loop: Header=BB6_27928 Depth=3
	s_and_not1_saveexec_b32 s13, s15
; %bb.30292:                            ;   in Loop: Header=BB6_27928 Depth=3
	v_or_b32_e32 v26, 0x7b, v17
; %bb.30293:                            ;   in Loop: Header=BB6_27928 Depth=3
	s_or_b32 exec_lo, exec_lo, s13
                                        ; implicit-def: $vgpr2
                                        ; implicit-def: $vgpr0_vgpr1
.LBB6_30294:                            ;   in Loop: Header=BB6_27928 Depth=3
	s_and_not1_saveexec_b32 s13, s14
	s_cbranch_execz .LBB6_30300
; %bb.30295:                            ;   in Loop: Header=BB6_27928 Depth=3
	s_mov_b32 s14, exec_lo
                                        ; implicit-def: $vgpr26
	v_cmpx_ne_u64_e32 0, v[0:1]
	s_xor_b32 s14, exec_lo, s14
; %bb.30296:                            ;   in Loop: Header=BB6_27928 Depth=3
	v_lshrrev_b32_e32 v0, 24, v2
                                        ; implicit-def: $vgpr2
	s_delay_alu instid0(VALU_DEP_1)
	v_or_b32_e32 v26, 0x7f, v0
; %bb.30297:                            ;   in Loop: Header=BB6_27928 Depth=3
	s_and_not1_saveexec_b32 s14, s14
; %bb.30298:                            ;   in Loop: Header=BB6_27928 Depth=3
	v_cmp_lt_i32_e32 vcc_lo, -1, v2
	v_cndmask_b32_e64 v26, -4, 0x7c, vcc_lo
; %bb.30299:                            ;   in Loop: Header=BB6_27928 Depth=3
	s_or_b32 exec_lo, exec_lo, s14
.LBB6_30300:                            ;   in Loop: Header=BB6_27928 Depth=3
	s_delay_alu instid0(SALU_CYCLE_1)
	s_or_b32 exec_lo, exec_lo, s13
	scratch_load_b64 v[0:1], off, s33 offset:224 ; 8-byte Folded Reload
	s_mov_b32 s14, exec_lo
	s_wait_loadcnt 0x0
	v_mov_b32_e32 v1, 0
	v_and_b32_e32 v3, 0xff, v0
	v_mov_b32_e32 v0, 0
	s_wait_xcnt 0x0
	s_delay_alu instid0(VALU_DEP_2)
	v_cmpx_ne_u16_e32 0, v3
	s_cbranch_execz .LBB6_30310
; %bb.30301:                            ;   in Loop: Header=BB6_27928 Depth=3
	v_bfrev_b32_e32 v1, 1
	s_mov_b32 s15, exec_lo
	v_cmpx_ne_u16_e32 0x80, v3
	s_cbranch_execz .LBB6_30309
; %bb.30302:                            ;   in Loop: Header=BB6_27928 Depth=3
	scratch_load_b64 v[50:51], off, s33 offset:224 ; 8-byte Folded Reload
	s_wait_loadcnt 0x0
	v_mov_b32_e32 v2, v50
	s_delay_alu instid0(VALU_DEP_1) | instskip(SKIP_1) | instid1(VALU_DEP_2)
	v_and_b32_e32 v1, 0x7c, v2
	v_and_b32_e32 v2, 3, v2
	v_cmp_ne_u32_e32 vcc_lo, 0x7c, v1
                                        ; implicit-def: $vgpr1
	s_wait_xcnt 0x0
	s_and_saveexec_b32 s13, vcc_lo
	s_delay_alu instid0(SALU_CYCLE_1)
	s_xor_b32 s13, exec_lo, s13
	s_cbranch_execz .LBB6_30306
; %bb.30303:                            ;   in Loop: Header=BB6_27928 Depth=3
	v_bfe_u32 v1, v3, 2, 5
	s_mov_b32 s74, exec_lo
	s_delay_alu instid0(VALU_DEP_1)
	v_cmpx_eq_u32_e32 0, v1
	s_cbranch_execz .LBB6_30305
; %bb.30304:                            ;   in Loop: Header=BB6_27928 Depth=3
	scratch_load_b64 v[50:51], off, s33 offset:224 th:TH_LOAD_LU ; 8-byte Folded Reload
	v_clz_i32_u32_e32 v1, v2
	s_wait_loadcnt 0x0
	v_mov_b32_e32 v51, v113
	s_delay_alu instid0(VALU_DEP_2) | instskip(NEXT) | instid1(VALU_DEP_1)
	v_min_u32_e32 v1, 32, v1
	v_subrev_nc_u32_e32 v2, 29, v1
	v_mov_b32_e32 v52, v50
	s_delay_alu instid0(VALU_DEP_2)
	v_lshlrev_b64_e32 v[2:3], v2, v[50:51]
	v_sub_nc_u32_e32 v1, 30, v1
	scratch_store_b64 off, v[52:53], s33 offset:224 ; 8-byte Folded Spill
	v_and_b32_e32 v2, 3, v2
.LBB6_30305:                            ;   in Loop: Header=BB6_27928 Depth=3
	s_wait_xcnt 0x0
	s_or_b32 exec_lo, exec_lo, s74
	scratch_load_b64 v[50:51], off, s33 offset:224 th:TH_LOAD_LU ; 8-byte Folded Reload
	s_wait_loadcnt 0x0
	v_lshlrev_b32_e32 v3, 24, v50
                                        ; implicit-def: $vgpr50
	scratch_store_b64 off, v[50:51], s33 offset:224 ; 8-byte Folded Spill
	v_and_b32_e32 v3, 0x80000000, v3
	s_delay_alu instid0(VALU_DEP_1) | instskip(NEXT) | instid1(VALU_DEP_1)
	v_lshl_add_u32 v1, v1, 23, v3
	v_lshl_or_b32 v1, v2, 21, v1
                                        ; implicit-def: $vgpr2
	s_delay_alu instid0(VALU_DEP_1)
	v_add_nc_u32_e32 v1, 0x38000000, v1
.LBB6_30306:                            ;   in Loop: Header=BB6_27928 Depth=3
	s_wait_xcnt 0x0
	s_and_not1_saveexec_b32 s74, s13
	s_cbranch_execz .LBB6_30308
; %bb.30307:                            ;   in Loop: Header=BB6_27928 Depth=3
	v_cmp_eq_u32_e32 vcc_lo, 0, v2
	scratch_load_b64 v[2:3], off, s33 offset:224 th:TH_LOAD_LU ; 8-byte Folded Reload
	s_wait_loadcnt 0x0
	v_bfe_i32 v1, v2, 0, 8
	s_delay_alu instid0(VALU_DEP_1) | instskip(SKIP_1) | instid1(VALU_DEP_1)
	v_cmp_lt_i16_e64 s13, -1, v1
	v_mov_b32_e32 v1, 0x7f800000
	v_cndmask_b32_e64 v1, 0xff800000, v1, s13
	s_delay_alu instid0(VALU_DEP_1)
	v_cndmask_b32_e32 v1, 0x7f800001, v1, vcc_lo
.LBB6_30308:                            ;   in Loop: Header=BB6_27928 Depth=3
	s_wait_xcnt 0x0
	s_or_b32 exec_lo, exec_lo, s74
.LBB6_30309:                            ;   in Loop: Header=BB6_27928 Depth=3
	s_delay_alu instid0(SALU_CYCLE_1)
	s_or_b32 exec_lo, exec_lo, s15
.LBB6_30310:                            ;   in Loop: Header=BB6_27928 Depth=3
	s_delay_alu instid0(SALU_CYCLE_1) | instskip(NEXT) | instid1(SALU_CYCLE_1)
	s_or_b32 exec_lo, exec_lo, s14
	s_mov_b32 s13, exec_lo
	s_wait_dscnt 0x2
	v_cmpx_ne_u16_e32 0, v76
	s_cbranch_execz .LBB6_30320
; %bb.30311:                            ;   in Loop: Header=BB6_27928 Depth=3
	v_bfrev_b32_e32 v0, 1
	s_mov_b32 s14, exec_lo
	v_cmpx_ne_u16_e32 0xff80, v76
	s_cbranch_execz .LBB6_30319
; %bb.30312:                            ;   in Loop: Header=BB6_27928 Depth=3
	v_and_b32_e32 v0, 0x7c, v76
	v_and_b32_e32 v2, 3, v76
	s_delay_alu instid0(VALU_DEP_2) | instskip(SKIP_1) | instid1(SALU_CYCLE_1)
	v_cmp_ne_u32_e32 vcc_lo, 0x7c, v0
                                        ; implicit-def: $vgpr0
	s_and_saveexec_b32 s15, vcc_lo
	s_xor_b32 s15, exec_lo, s15
	s_cbranch_execz .LBB6_30316
; %bb.30313:                            ;   in Loop: Header=BB6_27928 Depth=3
	v_and_b32_e32 v0, 0xff, v76
	s_mov_b32 s74, exec_lo
	s_delay_alu instid0(VALU_DEP_1) | instskip(NEXT) | instid1(VALU_DEP_1)
	v_bfe_u32 v0, v0, 2, 5
	v_cmpx_eq_u32_e32 0, v0
	s_cbranch_execz .LBB6_30315
; %bb.30314:                            ;   in Loop: Header=BB6_27928 Depth=3
	v_clz_i32_u32_e32 v0, v2
	s_delay_alu instid0(VALU_DEP_1) | instskip(SKIP_1) | instid1(VALU_DEP_2)
	v_min_u32_e32 v0, 32, v0
	v_mov_b32_e32 v77, v113
	v_subrev_nc_u32_e32 v2, 29, v0
	v_sub_nc_u32_e32 v0, 30, v0
	s_delay_alu instid0(VALU_DEP_2) | instskip(NEXT) | instid1(VALU_DEP_1)
	v_lshlrev_b64_e32 v[2:3], v2, v[76:77]
	v_and_b32_e32 v2, 3, v2
.LBB6_30315:                            ;   in Loop: Header=BB6_27928 Depth=3
	s_or_b32 exec_lo, exec_lo, s74
	v_bfe_i32 v3, v76, 0, 16
                                        ; implicit-def: $vgpr76
	s_delay_alu instid0(VALU_DEP_1) | instskip(NEXT) | instid1(VALU_DEP_1)
	v_and_b32_e32 v3, 0x80000000, v3
	v_lshl_add_u32 v0, v0, 23, v3
	s_delay_alu instid0(VALU_DEP_1) | instskip(NEXT) | instid1(VALU_DEP_1)
	v_lshl_or_b32 v0, v2, 21, v0
                                        ; implicit-def: $vgpr2
	v_add_nc_u32_e32 v0, 0x38000000, v0
.LBB6_30316:                            ;   in Loop: Header=BB6_27928 Depth=3
	s_and_not1_saveexec_b32 s15, s15
; %bb.30317:                            ;   in Loop: Header=BB6_27928 Depth=3
	v_cmp_lt_i16_e32 vcc_lo, -1, v76
	v_mov_b32_e32 v0, 0x7f800000
	s_delay_alu instid0(VALU_DEP_1) | instskip(SKIP_1) | instid1(VALU_DEP_2)
	v_cndmask_b32_e32 v0, 0xff800000, v0, vcc_lo
	v_cmp_eq_u32_e32 vcc_lo, 0, v2
	v_cndmask_b32_e32 v0, 0x7f800001, v0, vcc_lo
; %bb.30318:                            ;   in Loop: Header=BB6_27928 Depth=3
	s_or_b32 exec_lo, exec_lo, s15
.LBB6_30319:                            ;   in Loop: Header=BB6_27928 Depth=3
	s_delay_alu instid0(SALU_CYCLE_1)
	s_or_b32 exec_lo, exec_lo, s14
.LBB6_30320:                            ;   in Loop: Header=BB6_27928 Depth=3
	s_delay_alu instid0(SALU_CYCLE_1) | instskip(NEXT) | instid1(VALU_DEP_1)
	s_or_b32 exec_lo, exec_lo, s13
	v_add_f32_e32 v2, v1, v0
	v_mov_b32_e32 v1, v113
                                        ; implicit-def: $vgpr27
	s_delay_alu instid0(VALU_DEP_2) | instskip(NEXT) | instid1(VALU_DEP_1)
	v_and_b32_e32 v0, 0x7f800000, v2
	v_cmp_ne_u64_e32 vcc_lo, 0x7f800000, v[0:1]
	v_and_b32_e32 v0, 0x7fffff, v2
	s_and_saveexec_b32 s13, vcc_lo
	s_delay_alu instid0(SALU_CYCLE_1)
	s_xor_b32 s14, exec_lo, s13
	s_cbranch_execz .LBB6_30338
; %bb.30321:                            ;   in Loop: Header=BB6_27928 Depth=3
	v_dual_mov_b32 v51, v113 :: v_dual_lshrrev_b32 v3, 24, v2
	v_and_b32_e32 v50, 0x7fffffff, v2
                                        ; implicit-def: $vgpr27
	s_mov_b32 s13, exec_lo
	s_delay_alu instid0(VALU_DEP_2) | instskip(NEXT) | instid1(VALU_DEP_2)
	v_and_b32_e32 v17, 0x80, v3
	v_cmpx_gt_u64_e32 0x47600001, v[50:51]
	s_xor_b32 s15, exec_lo, s13
	s_cbranch_execz .LBB6_30335
; %bb.30322:                            ;   in Loop: Header=BB6_27928 Depth=3
	v_mov_b32_e32 v27, 0
	s_mov_b32 s74, exec_lo
	v_cmpx_ne_u32_e32 0, v2
	s_cbranch_execz .LBB6_30334
; %bb.30323:                            ;   in Loop: Header=BB6_27928 Depth=3
	v_bfe_u32 v27, v2, 23, 8
	v_or_b32_e32 v3, 0x800000, v0
	s_delay_alu instid0(VALU_DEP_2) | instskip(SKIP_2) | instid1(VALU_DEP_2)
	v_cmp_gt_u32_e64 s13, 0x72, v27
	v_sub_nc_u32_e32 v2, 0x71, v27
	v_cmp_eq_u32_e32 vcc_lo, 0, v27
	v_dual_cndmask_b32 v2, 0, v2, s13 :: v_dual_cndmask_b32 v0, v3, v0, vcc_lo
	s_delay_alu instid0(VALU_DEP_1) | instskip(NEXT) | instid1(VALU_DEP_1)
	v_cndmask_b32_e64 v39, v2, 0x70, vcc_lo
	v_dual_add_nc_u32 v2, 21, v39 :: v_dual_add_nc_u32 v50, 20, v39
	s_delay_alu instid0(VALU_DEP_1) | instskip(NEXT) | instid1(VALU_DEP_2)
	v_lshlrev_b64_e64 v[2:3], v2, -1
	v_lshlrev_b64_e64 v[50:51], v50, 1
	s_delay_alu instid0(VALU_DEP_2) | instskip(SKIP_1) | instid1(VALU_DEP_4)
	v_bfi_b32 v2, v2, 0, v0
	v_lshrrev_b64 v[0:1], v39, v[0:1]
	v_bfi_b32 v3, v3, 0, 0
	s_delay_alu instid0(VALU_DEP_1) | instskip(NEXT) | instid1(VALU_DEP_3)
	v_cmp_eq_u64_e64 s13, v[2:3], v[50:51]
	v_mov_b64_e32 v[2:3], v[0:1]
	s_and_saveexec_b32 s75, s13
; %bb.30324:                            ;   in Loop: Header=BB6_27928 Depth=3
	v_bfe_u32 v2, v0, 21, 1
	v_mov_b32_e32 v3, v113
	s_delay_alu instid0(VALU_DEP_1) | instskip(NEXT) | instid1(VALU_DEP_1)
	v_add_nc_u64_e32 v[2:3], v[0:1], v[2:3]
	v_add_nc_u64_e32 v[2:3], -1, v[2:3]
; %bb.30325:                            ;   in Loop: Header=BB6_27928 Depth=3
	s_or_b32 exec_lo, exec_lo, s75
	v_add_nc_u32_e32 v1, 0xffffff81, v27
	v_lshrrev_b32_e32 v3, 23, v0
	s_mov_b32 s13, exec_lo
	s_delay_alu instid0(VALU_DEP_2) | instskip(NEXT) | instid1(VALU_DEP_1)
	v_cndmask_b32_e64 v1, v1, 0xffffff82, vcc_lo
	v_add3_u32 v27, v39, v1, v3
	v_and_b32_e32 v1, 0x1fffff, v2
                                        ; implicit-def: $vgpr2
	s_delay_alu instid0(VALU_DEP_1) | instskip(SKIP_1) | instid1(VALU_DEP_2)
	v_dual_add_nc_u32 v3, 14, v27 :: v_dual_add_nc_u32 v0, v1, v0
	v_mov_b32_e32 v1, v113
	v_cmpx_ne_u32_e32 0, v3
	s_xor_b32 s13, exec_lo, s13
; %bb.30326:                            ;   in Loop: Header=BB6_27928 Depth=3
	s_delay_alu instid0(VALU_DEP_2) | instskip(SKIP_1) | instid1(VALU_DEP_1)
	v_cmp_lt_u64_e32 vcc_lo, 0xffffff, v[0:1]
	v_add_nc_u32_e32 v2, 15, v27
	v_cndmask_b32_e32 v2, v3, v2, vcc_lo
	v_cndmask_b32_e64 v3, 0, 1, vcc_lo
	s_delay_alu instid0(VALU_DEP_1)
	v_lshrrev_b64 v[0:1], v3, v[0:1]
; %bb.30327:                            ;   in Loop: Header=BB6_27928 Depth=3
	s_and_not1_saveexec_b32 s13, s13
; %bb.30328:                            ;   in Loop: Header=BB6_27928 Depth=3
	s_delay_alu instid0(VALU_DEP_1)
	v_bfe_u32 v2, v0, 23, 1
; %bb.30329:                            ;   in Loop: Header=BB6_27928 Depth=3
	s_or_b32 exec_lo, exec_lo, s13
	s_delay_alu instid0(VALU_DEP_2) | instskip(NEXT) | instid1(VALU_DEP_2)
	v_lshrrev_b64 v[0:1], 21, v[0:1]
	v_cmp_gt_i32_e32 vcc_lo, 32, v2
	v_cmp_ne_u32_e64 s13, 0, v2
                                        ; implicit-def: $vgpr27
	s_delay_alu instid0(VALU_DEP_3) | instskip(NEXT) | instid1(VALU_DEP_1)
	v_dual_cndmask_b32 v1, 0, v1 :: v_dual_cndmask_b32 v0, 3, v0
	v_cmp_ne_u64_e32 vcc_lo, 0, v[0:1]
	s_or_b32 s13, s13, vcc_lo
	s_delay_alu instid0(SALU_CYCLE_1) | instskip(NEXT) | instid1(SALU_CYCLE_1)
	s_and_saveexec_b32 s75, s13
	s_xor_b32 s13, exec_lo, s75
; %bb.30330:                            ;   in Loop: Header=BB6_27928 Depth=3
	v_min_i32_e32 v1, 31, v2
	s_delay_alu instid0(VALU_DEP_1) | instskip(NEXT) | instid1(VALU_DEP_1)
	v_lshl_or_b32 v1, v1, 2, v17
                                        ; implicit-def: $vgpr17
	v_and_or_b32 v27, v0, 3, v1
; %bb.30331:                            ;   in Loop: Header=BB6_27928 Depth=3
	s_and_not1_saveexec_b32 s13, s13
; %bb.30332:                            ;   in Loop: Header=BB6_27928 Depth=3
	v_mov_b32_e32 v27, v17
; %bb.30333:                            ;   in Loop: Header=BB6_27928 Depth=3
	s_or_b32 exec_lo, exec_lo, s13
.LBB6_30334:                            ;   in Loop: Header=BB6_27928 Depth=3
	s_delay_alu instid0(SALU_CYCLE_1)
	s_or_b32 exec_lo, exec_lo, s74
                                        ; implicit-def: $vgpr17
.LBB6_30335:                            ;   in Loop: Header=BB6_27928 Depth=3
	s_and_not1_saveexec_b32 s13, s15
; %bb.30336:                            ;   in Loop: Header=BB6_27928 Depth=3
	v_or_b32_e32 v27, 0x7b, v17
; %bb.30337:                            ;   in Loop: Header=BB6_27928 Depth=3
	s_or_b32 exec_lo, exec_lo, s13
                                        ; implicit-def: $vgpr2
                                        ; implicit-def: $vgpr0_vgpr1
.LBB6_30338:                            ;   in Loop: Header=BB6_27928 Depth=3
	s_and_not1_saveexec_b32 s13, s14
	s_cbranch_execz .LBB6_30344
; %bb.30339:                            ;   in Loop: Header=BB6_27928 Depth=3
	s_mov_b32 s14, exec_lo
                                        ; implicit-def: $vgpr27
	v_cmpx_ne_u64_e32 0, v[0:1]
	s_xor_b32 s14, exec_lo, s14
; %bb.30340:                            ;   in Loop: Header=BB6_27928 Depth=3
	v_lshrrev_b32_e32 v0, 24, v2
                                        ; implicit-def: $vgpr2
	s_delay_alu instid0(VALU_DEP_1)
	v_or_b32_e32 v27, 0x7f, v0
; %bb.30341:                            ;   in Loop: Header=BB6_27928 Depth=3
	s_and_not1_saveexec_b32 s14, s14
; %bb.30342:                            ;   in Loop: Header=BB6_27928 Depth=3
	v_cmp_lt_i32_e32 vcc_lo, -1, v2
	v_cndmask_b32_e64 v27, -4, 0x7c, vcc_lo
; %bb.30343:                            ;   in Loop: Header=BB6_27928 Depth=3
	s_or_b32 exec_lo, exec_lo, s14
.LBB6_30344:                            ;   in Loop: Header=BB6_27928 Depth=3
	s_delay_alu instid0(SALU_CYCLE_1)
	s_or_b32 exec_lo, exec_lo, s13
	scratch_load_b64 v[0:1], off, s33 offset:216 ; 8-byte Folded Reload
	s_mov_b32 s14, exec_lo
	s_wait_loadcnt 0x0
	v_mov_b32_e32 v1, 0
	v_and_b32_e32 v3, 0xff, v0
	v_mov_b32_e32 v0, 0
	s_wait_xcnt 0x0
	s_delay_alu instid0(VALU_DEP_2)
	v_cmpx_ne_u16_e32 0, v3
	s_cbranch_execz .LBB6_30354
; %bb.30345:                            ;   in Loop: Header=BB6_27928 Depth=3
	v_bfrev_b32_e32 v1, 1
	s_mov_b32 s15, exec_lo
	v_cmpx_ne_u16_e32 0x80, v3
	s_cbranch_execz .LBB6_30353
; %bb.30346:                            ;   in Loop: Header=BB6_27928 Depth=3
	scratch_load_b64 v[50:51], off, s33 offset:216 ; 8-byte Folded Reload
	s_wait_loadcnt 0x0
	v_mov_b32_e32 v2, v50
	s_delay_alu instid0(VALU_DEP_1) | instskip(SKIP_1) | instid1(VALU_DEP_2)
	v_and_b32_e32 v1, 0x7c, v2
	v_and_b32_e32 v2, 3, v2
	v_cmp_ne_u32_e32 vcc_lo, 0x7c, v1
                                        ; implicit-def: $vgpr1
	s_wait_xcnt 0x0
	s_and_saveexec_b32 s13, vcc_lo
	s_delay_alu instid0(SALU_CYCLE_1)
	s_xor_b32 s13, exec_lo, s13
	s_cbranch_execz .LBB6_30350
; %bb.30347:                            ;   in Loop: Header=BB6_27928 Depth=3
	v_bfe_u32 v1, v3, 2, 5
	s_mov_b32 s74, exec_lo
	s_delay_alu instid0(VALU_DEP_1)
	v_cmpx_eq_u32_e32 0, v1
	s_cbranch_execz .LBB6_30349
; %bb.30348:                            ;   in Loop: Header=BB6_27928 Depth=3
	scratch_load_b64 v[50:51], off, s33 offset:216 th:TH_LOAD_LU ; 8-byte Folded Reload
	v_clz_i32_u32_e32 v1, v2
	s_wait_loadcnt 0x0
	v_mov_b32_e32 v51, v113
	s_delay_alu instid0(VALU_DEP_2) | instskip(NEXT) | instid1(VALU_DEP_1)
	v_min_u32_e32 v1, 32, v1
	v_subrev_nc_u32_e32 v2, 29, v1
	v_mov_b32_e32 v52, v50
	s_delay_alu instid0(VALU_DEP_2)
	v_lshlrev_b64_e32 v[2:3], v2, v[50:51]
	v_sub_nc_u32_e32 v1, 30, v1
	scratch_store_b64 off, v[52:53], s33 offset:216 ; 8-byte Folded Spill
	v_and_b32_e32 v2, 3, v2
.LBB6_30349:                            ;   in Loop: Header=BB6_27928 Depth=3
	s_wait_xcnt 0x0
	s_or_b32 exec_lo, exec_lo, s74
	scratch_load_b64 v[50:51], off, s33 offset:216 th:TH_LOAD_LU ; 8-byte Folded Reload
	s_wait_loadcnt 0x0
	v_lshlrev_b32_e32 v3, 24, v50
                                        ; implicit-def: $vgpr50
	scratch_store_b64 off, v[50:51], s33 offset:216 ; 8-byte Folded Spill
	v_and_b32_e32 v3, 0x80000000, v3
	s_delay_alu instid0(VALU_DEP_1) | instskip(NEXT) | instid1(VALU_DEP_1)
	v_lshl_add_u32 v1, v1, 23, v3
	v_lshl_or_b32 v1, v2, 21, v1
                                        ; implicit-def: $vgpr2
	s_delay_alu instid0(VALU_DEP_1)
	v_add_nc_u32_e32 v1, 0x38000000, v1
.LBB6_30350:                            ;   in Loop: Header=BB6_27928 Depth=3
	s_wait_xcnt 0x0
	s_and_not1_saveexec_b32 s74, s13
	s_cbranch_execz .LBB6_30352
; %bb.30351:                            ;   in Loop: Header=BB6_27928 Depth=3
	v_cmp_eq_u32_e32 vcc_lo, 0, v2
	scratch_load_b64 v[2:3], off, s33 offset:216 th:TH_LOAD_LU ; 8-byte Folded Reload
	s_wait_loadcnt 0x0
	v_bfe_i32 v1, v2, 0, 8
	s_delay_alu instid0(VALU_DEP_1) | instskip(SKIP_1) | instid1(VALU_DEP_1)
	v_cmp_lt_i16_e64 s13, -1, v1
	v_mov_b32_e32 v1, 0x7f800000
	v_cndmask_b32_e64 v1, 0xff800000, v1, s13
	s_delay_alu instid0(VALU_DEP_1)
	v_cndmask_b32_e32 v1, 0x7f800001, v1, vcc_lo
.LBB6_30352:                            ;   in Loop: Header=BB6_27928 Depth=3
	s_wait_xcnt 0x0
	s_or_b32 exec_lo, exec_lo, s74
.LBB6_30353:                            ;   in Loop: Header=BB6_27928 Depth=3
	s_delay_alu instid0(SALU_CYCLE_1)
	s_or_b32 exec_lo, exec_lo, s15
.LBB6_30354:                            ;   in Loop: Header=BB6_27928 Depth=3
	s_delay_alu instid0(SALU_CYCLE_1) | instskip(NEXT) | instid1(SALU_CYCLE_1)
	s_or_b32 exec_lo, exec_lo, s14
	s_mov_b32 s13, exec_lo
	s_wait_dscnt 0x1
	v_cmpx_ne_u16_e32 0, v60
	s_cbranch_execz .LBB6_30364
; %bb.30355:                            ;   in Loop: Header=BB6_27928 Depth=3
	v_bfrev_b32_e32 v0, 1
	s_mov_b32 s14, exec_lo
	v_cmpx_ne_u16_e32 0xff80, v60
	s_cbranch_execz .LBB6_30363
; %bb.30356:                            ;   in Loop: Header=BB6_27928 Depth=3
	v_and_b32_e32 v0, 0x7c, v60
	v_and_b32_e32 v2, 3, v60
	s_delay_alu instid0(VALU_DEP_2) | instskip(SKIP_1) | instid1(SALU_CYCLE_1)
	v_cmp_ne_u32_e32 vcc_lo, 0x7c, v0
                                        ; implicit-def: $vgpr0
	s_and_saveexec_b32 s15, vcc_lo
	s_xor_b32 s15, exec_lo, s15
	s_cbranch_execz .LBB6_30360
; %bb.30357:                            ;   in Loop: Header=BB6_27928 Depth=3
	v_and_b32_e32 v0, 0xff, v60
	s_mov_b32 s74, exec_lo
	s_delay_alu instid0(VALU_DEP_1) | instskip(NEXT) | instid1(VALU_DEP_1)
	v_bfe_u32 v0, v0, 2, 5
	v_cmpx_eq_u32_e32 0, v0
	s_cbranch_execz .LBB6_30359
; %bb.30358:                            ;   in Loop: Header=BB6_27928 Depth=3
	v_clz_i32_u32_e32 v0, v2
	s_delay_alu instid0(VALU_DEP_1) | instskip(SKIP_1) | instid1(VALU_DEP_2)
	v_min_u32_e32 v0, 32, v0
	v_mov_b32_e32 v61, v113
	v_subrev_nc_u32_e32 v2, 29, v0
	v_sub_nc_u32_e32 v0, 30, v0
	s_delay_alu instid0(VALU_DEP_2)
	v_lshlrev_b64_e32 v[2:3], v2, v[60:61]
	scratch_load_b32 v61, off, s33 offset:452 ; 4-byte Folded Reload
	v_and_b32_e32 v2, 3, v2
.LBB6_30359:                            ;   in Loop: Header=BB6_27928 Depth=3
	s_wait_xcnt 0x0
	s_or_b32 exec_lo, exec_lo, s74
	v_bfe_i32 v3, v60, 0, 16
                                        ; implicit-def: $vgpr60
	s_delay_alu instid0(VALU_DEP_1) | instskip(NEXT) | instid1(VALU_DEP_1)
	v_and_b32_e32 v3, 0x80000000, v3
	v_lshl_add_u32 v0, v0, 23, v3
	s_delay_alu instid0(VALU_DEP_1) | instskip(NEXT) | instid1(VALU_DEP_1)
	v_lshl_or_b32 v0, v2, 21, v0
                                        ; implicit-def: $vgpr2
	v_add_nc_u32_e32 v0, 0x38000000, v0
.LBB6_30360:                            ;   in Loop: Header=BB6_27928 Depth=3
	s_and_not1_saveexec_b32 s15, s15
; %bb.30361:                            ;   in Loop: Header=BB6_27928 Depth=3
	v_cmp_lt_i16_e32 vcc_lo, -1, v60
	v_mov_b32_e32 v0, 0x7f800000
	s_delay_alu instid0(VALU_DEP_1) | instskip(SKIP_1) | instid1(VALU_DEP_2)
	v_cndmask_b32_e32 v0, 0xff800000, v0, vcc_lo
	v_cmp_eq_u32_e32 vcc_lo, 0, v2
	v_cndmask_b32_e32 v0, 0x7f800001, v0, vcc_lo
; %bb.30362:                            ;   in Loop: Header=BB6_27928 Depth=3
	s_or_b32 exec_lo, exec_lo, s15
.LBB6_30363:                            ;   in Loop: Header=BB6_27928 Depth=3
	s_delay_alu instid0(SALU_CYCLE_1)
	s_or_b32 exec_lo, exec_lo, s14
.LBB6_30364:                            ;   in Loop: Header=BB6_27928 Depth=3
	s_delay_alu instid0(SALU_CYCLE_1) | instskip(NEXT) | instid1(VALU_DEP_1)
	s_or_b32 exec_lo, exec_lo, s13
	v_add_f32_e32 v2, v1, v0
	v_mov_b32_e32 v1, v113
                                        ; implicit-def: $vgpr39
	s_delay_alu instid0(VALU_DEP_2) | instskip(NEXT) | instid1(VALU_DEP_1)
	v_and_b32_e32 v0, 0x7f800000, v2
	v_cmp_ne_u64_e32 vcc_lo, 0x7f800000, v[0:1]
	v_and_b32_e32 v0, 0x7fffff, v2
	s_and_saveexec_b32 s13, vcc_lo
	s_delay_alu instid0(SALU_CYCLE_1)
	s_xor_b32 s14, exec_lo, s13
	s_cbranch_execz .LBB6_30382
; %bb.30365:                            ;   in Loop: Header=BB6_27928 Depth=3
	v_dual_mov_b32 v51, v113 :: v_dual_lshrrev_b32 v3, 24, v2
	v_and_b32_e32 v50, 0x7fffffff, v2
                                        ; implicit-def: $vgpr39
	s_mov_b32 s13, exec_lo
	s_delay_alu instid0(VALU_DEP_2) | instskip(NEXT) | instid1(VALU_DEP_2)
	v_and_b32_e32 v17, 0x80, v3
	v_cmpx_gt_u64_e32 0x47600001, v[50:51]
	s_xor_b32 s15, exec_lo, s13
	s_cbranch_execz .LBB6_30379
; %bb.30366:                            ;   in Loop: Header=BB6_27928 Depth=3
	v_mov_b32_e32 v39, 0
	s_mov_b32 s74, exec_lo
	v_cmpx_ne_u32_e32 0, v2
	s_cbranch_execz .LBB6_30378
; %bb.30367:                            ;   in Loop: Header=BB6_27928 Depth=3
	v_bfe_u32 v39, v2, 23, 8
	v_or_b32_e32 v3, 0x800000, v0
	s_delay_alu instid0(VALU_DEP_2) | instskip(SKIP_2) | instid1(VALU_DEP_2)
	v_cmp_gt_u32_e64 s13, 0x72, v39
	v_sub_nc_u32_e32 v2, 0x71, v39
	v_cmp_eq_u32_e32 vcc_lo, 0, v39
	v_dual_cndmask_b32 v2, 0, v2, s13 :: v_dual_cndmask_b32 v0, v3, v0, vcc_lo
	s_delay_alu instid0(VALU_DEP_1) | instskip(NEXT) | instid1(VALU_DEP_1)
	v_cndmask_b32_e64 v50, v2, 0x70, vcc_lo
	v_dual_add_nc_u32 v2, 21, v50 :: v_dual_add_nc_u32 v51, 20, v50
	s_delay_alu instid0(VALU_DEP_1) | instskip(NEXT) | instid1(VALU_DEP_2)
	v_lshlrev_b64_e64 v[2:3], v2, -1
	v_lshlrev_b64_e64 v[52:53], v51, 1
	s_delay_alu instid0(VALU_DEP_2) | instskip(SKIP_1) | instid1(VALU_DEP_4)
	v_bfi_b32 v2, v2, 0, v0
	v_lshrrev_b64 v[0:1], v50, v[0:1]
	v_bfi_b32 v3, v3, 0, 0
	s_delay_alu instid0(VALU_DEP_1) | instskip(NEXT) | instid1(VALU_DEP_3)
	v_cmp_eq_u64_e64 s13, v[2:3], v[52:53]
	v_mov_b64_e32 v[2:3], v[0:1]
	s_and_saveexec_b32 s75, s13
; %bb.30368:                            ;   in Loop: Header=BB6_27928 Depth=3
	v_bfe_u32 v2, v0, 21, 1
	v_mov_b32_e32 v3, v113
	s_delay_alu instid0(VALU_DEP_1) | instskip(NEXT) | instid1(VALU_DEP_1)
	v_add_nc_u64_e32 v[2:3], v[0:1], v[2:3]
	v_add_nc_u64_e32 v[2:3], -1, v[2:3]
; %bb.30369:                            ;   in Loop: Header=BB6_27928 Depth=3
	s_or_b32 exec_lo, exec_lo, s75
	v_add_nc_u32_e32 v1, 0xffffff81, v39
	v_lshrrev_b32_e32 v3, 23, v0
	s_mov_b32 s13, exec_lo
	s_delay_alu instid0(VALU_DEP_2) | instskip(NEXT) | instid1(VALU_DEP_1)
	v_cndmask_b32_e64 v1, v1, 0xffffff82, vcc_lo
	v_add3_u32 v39, v50, v1, v3
	v_and_b32_e32 v1, 0x1fffff, v2
                                        ; implicit-def: $vgpr2
	s_delay_alu instid0(VALU_DEP_1) | instskip(SKIP_1) | instid1(VALU_DEP_2)
	v_dual_add_nc_u32 v3, 14, v39 :: v_dual_add_nc_u32 v0, v1, v0
	v_mov_b32_e32 v1, v113
	v_cmpx_ne_u32_e32 0, v3
	s_xor_b32 s13, exec_lo, s13
; %bb.30370:                            ;   in Loop: Header=BB6_27928 Depth=3
	s_delay_alu instid0(VALU_DEP_2) | instskip(SKIP_1) | instid1(VALU_DEP_1)
	v_cmp_lt_u64_e32 vcc_lo, 0xffffff, v[0:1]
	v_add_nc_u32_e32 v2, 15, v39
	v_cndmask_b32_e32 v2, v3, v2, vcc_lo
	v_cndmask_b32_e64 v3, 0, 1, vcc_lo
	s_delay_alu instid0(VALU_DEP_1)
	v_lshrrev_b64 v[0:1], v3, v[0:1]
; %bb.30371:                            ;   in Loop: Header=BB6_27928 Depth=3
	s_and_not1_saveexec_b32 s13, s13
; %bb.30372:                            ;   in Loop: Header=BB6_27928 Depth=3
	s_delay_alu instid0(VALU_DEP_1)
	v_bfe_u32 v2, v0, 23, 1
; %bb.30373:                            ;   in Loop: Header=BB6_27928 Depth=3
	s_or_b32 exec_lo, exec_lo, s13
	s_delay_alu instid0(VALU_DEP_2) | instskip(NEXT) | instid1(VALU_DEP_2)
	v_lshrrev_b64 v[0:1], 21, v[0:1]
	v_cmp_gt_i32_e32 vcc_lo, 32, v2
	v_cmp_ne_u32_e64 s13, 0, v2
                                        ; implicit-def: $vgpr39
	s_delay_alu instid0(VALU_DEP_3) | instskip(NEXT) | instid1(VALU_DEP_1)
	v_dual_cndmask_b32 v1, 0, v1 :: v_dual_cndmask_b32 v0, 3, v0
	v_cmp_ne_u64_e32 vcc_lo, 0, v[0:1]
	s_or_b32 s13, s13, vcc_lo
	s_delay_alu instid0(SALU_CYCLE_1) | instskip(NEXT) | instid1(SALU_CYCLE_1)
	s_and_saveexec_b32 s75, s13
	s_xor_b32 s13, exec_lo, s75
; %bb.30374:                            ;   in Loop: Header=BB6_27928 Depth=3
	v_min_i32_e32 v1, 31, v2
	s_delay_alu instid0(VALU_DEP_1) | instskip(NEXT) | instid1(VALU_DEP_1)
	v_lshl_or_b32 v1, v1, 2, v17
                                        ; implicit-def: $vgpr17
	v_and_or_b32 v39, v0, 3, v1
; %bb.30375:                            ;   in Loop: Header=BB6_27928 Depth=3
	s_and_not1_saveexec_b32 s13, s13
; %bb.30376:                            ;   in Loop: Header=BB6_27928 Depth=3
	v_mov_b32_e32 v39, v17
; %bb.30377:                            ;   in Loop: Header=BB6_27928 Depth=3
	s_or_b32 exec_lo, exec_lo, s13
.LBB6_30378:                            ;   in Loop: Header=BB6_27928 Depth=3
	s_delay_alu instid0(SALU_CYCLE_1)
	s_or_b32 exec_lo, exec_lo, s74
                                        ; implicit-def: $vgpr17
.LBB6_30379:                            ;   in Loop: Header=BB6_27928 Depth=3
	s_and_not1_saveexec_b32 s13, s15
; %bb.30380:                            ;   in Loop: Header=BB6_27928 Depth=3
	v_or_b32_e32 v39, 0x7b, v17
; %bb.30381:                            ;   in Loop: Header=BB6_27928 Depth=3
	s_or_b32 exec_lo, exec_lo, s13
                                        ; implicit-def: $vgpr2
                                        ; implicit-def: $vgpr0_vgpr1
.LBB6_30382:                            ;   in Loop: Header=BB6_27928 Depth=3
	s_and_not1_saveexec_b32 s13, s14
	s_cbranch_execz .LBB6_30388
; %bb.30383:                            ;   in Loop: Header=BB6_27928 Depth=3
	s_mov_b32 s14, exec_lo
                                        ; implicit-def: $vgpr39
	v_cmpx_ne_u64_e32 0, v[0:1]
	s_xor_b32 s14, exec_lo, s14
; %bb.30384:                            ;   in Loop: Header=BB6_27928 Depth=3
	v_lshrrev_b32_e32 v0, 24, v2
                                        ; implicit-def: $vgpr2
	s_delay_alu instid0(VALU_DEP_1)
	v_or_b32_e32 v39, 0x7f, v0
; %bb.30385:                            ;   in Loop: Header=BB6_27928 Depth=3
	s_and_not1_saveexec_b32 s14, s14
; %bb.30386:                            ;   in Loop: Header=BB6_27928 Depth=3
	v_cmp_lt_i32_e32 vcc_lo, -1, v2
	v_cndmask_b32_e64 v39, -4, 0x7c, vcc_lo
; %bb.30387:                            ;   in Loop: Header=BB6_27928 Depth=3
	s_or_b32 exec_lo, exec_lo, s14
.LBB6_30388:                            ;   in Loop: Header=BB6_27928 Depth=3
	s_delay_alu instid0(SALU_CYCLE_1) | instskip(SKIP_3) | instid1(VALU_DEP_2)
	s_or_b32 exec_lo, exec_lo, s13
	v_and_b32_e32 v3, 0xff, v62
	v_dual_mov_b32 v0, 0 :: v_dual_mov_b32 v1, 0
	s_mov_b32 s13, exec_lo
	v_cmpx_ne_u16_e32 0, v3
	s_cbranch_execz .LBB6_30398
; %bb.30389:                            ;   in Loop: Header=BB6_27928 Depth=3
	v_bfrev_b32_e32 v1, 1
	s_mov_b32 s14, exec_lo
	v_cmpx_ne_u16_e32 0x80, v3
	s_cbranch_execz .LBB6_30397
; %bb.30390:                            ;   in Loop: Header=BB6_27928 Depth=3
	v_and_b32_e32 v1, 0x7c, v62
	v_and_b32_e32 v2, 3, v62
	s_delay_alu instid0(VALU_DEP_2) | instskip(SKIP_1) | instid1(SALU_CYCLE_1)
	v_cmp_ne_u32_e32 vcc_lo, 0x7c, v1
                                        ; implicit-def: $vgpr1
	s_and_saveexec_b32 s15, vcc_lo
	s_xor_b32 s15, exec_lo, s15
	s_cbranch_execz .LBB6_30394
; %bb.30391:                            ;   in Loop: Header=BB6_27928 Depth=3
	v_bfe_u32 v1, v3, 2, 5
	s_mov_b32 s74, exec_lo
	s_delay_alu instid0(VALU_DEP_1)
	v_cmpx_eq_u32_e32 0, v1
	s_cbranch_execz .LBB6_30393
; %bb.30392:                            ;   in Loop: Header=BB6_27928 Depth=3
	v_clz_i32_u32_e32 v1, v2
	s_delay_alu instid0(VALU_DEP_1) | instskip(SKIP_1) | instid1(VALU_DEP_2)
	v_min_u32_e32 v1, 32, v1
	v_mov_b32_e32 v63, v113
	v_subrev_nc_u32_e32 v2, 29, v1
	v_sub_nc_u32_e32 v1, 30, v1
	s_delay_alu instid0(VALU_DEP_2) | instskip(NEXT) | instid1(VALU_DEP_1)
	v_lshlrev_b64_e32 v[2:3], v2, v[62:63]
	v_and_b32_e32 v2, 3, v2
.LBB6_30393:                            ;   in Loop: Header=BB6_27928 Depth=3
	s_or_b32 exec_lo, exec_lo, s74
	v_lshlrev_b32_e32 v3, 24, v62
                                        ; implicit-def: $vgpr62
	s_delay_alu instid0(VALU_DEP_1) | instskip(NEXT) | instid1(VALU_DEP_1)
	v_and_b32_e32 v3, 0x80000000, v3
	v_lshl_add_u32 v1, v1, 23, v3
	s_delay_alu instid0(VALU_DEP_1) | instskip(NEXT) | instid1(VALU_DEP_1)
	v_lshl_or_b32 v1, v2, 21, v1
                                        ; implicit-def: $vgpr2
	v_add_nc_u32_e32 v1, 0x38000000, v1
.LBB6_30394:                            ;   in Loop: Header=BB6_27928 Depth=3
	s_and_not1_saveexec_b32 s15, s15
; %bb.30395:                            ;   in Loop: Header=BB6_27928 Depth=3
	v_bfe_i32 v1, v62, 0, 8
	s_delay_alu instid0(VALU_DEP_1) | instskip(SKIP_1) | instid1(VALU_DEP_1)
	v_cmp_lt_i16_e32 vcc_lo, -1, v1
	v_mov_b32_e32 v1, 0x7f800000
	v_cndmask_b32_e32 v1, 0xff800000, v1, vcc_lo
	v_cmp_eq_u32_e32 vcc_lo, 0, v2
	s_delay_alu instid0(VALU_DEP_2)
	v_cndmask_b32_e32 v1, 0x7f800001, v1, vcc_lo
; %bb.30396:                            ;   in Loop: Header=BB6_27928 Depth=3
	s_or_b32 exec_lo, exec_lo, s15
.LBB6_30397:                            ;   in Loop: Header=BB6_27928 Depth=3
	s_delay_alu instid0(SALU_CYCLE_1)
	s_or_b32 exec_lo, exec_lo, s14
.LBB6_30398:                            ;   in Loop: Header=BB6_27928 Depth=3
	s_delay_alu instid0(SALU_CYCLE_1) | instskip(NEXT) | instid1(SALU_CYCLE_1)
	s_or_b32 exec_lo, exec_lo, s13
	s_mov_b32 s13, exec_lo
	s_wait_dscnt 0x0
	v_cmpx_ne_u16_e32 0, v16
	s_cbranch_execz .LBB6_30408
; %bb.30399:                            ;   in Loop: Header=BB6_27928 Depth=3
	v_bfrev_b32_e32 v0, 1
	s_mov_b32 s14, exec_lo
	v_cmpx_ne_u16_e32 0xff80, v16
	s_cbranch_execz .LBB6_30407
; %bb.30400:                            ;   in Loop: Header=BB6_27928 Depth=3
	v_and_b32_e32 v0, 0x7c, v16
	v_and_b32_e32 v2, 3, v16
	s_delay_alu instid0(VALU_DEP_2) | instskip(SKIP_1) | instid1(SALU_CYCLE_1)
	v_cmp_ne_u32_e32 vcc_lo, 0x7c, v0
                                        ; implicit-def: $vgpr0
	s_and_saveexec_b32 s15, vcc_lo
	s_xor_b32 s15, exec_lo, s15
	s_cbranch_execz .LBB6_30404
; %bb.30401:                            ;   in Loop: Header=BB6_27928 Depth=3
	v_and_b32_e32 v0, 0xff, v16
	s_mov_b32 s74, exec_lo
	s_delay_alu instid0(VALU_DEP_1) | instskip(NEXT) | instid1(VALU_DEP_1)
	v_bfe_u32 v0, v0, 2, 5
	v_cmpx_eq_u32_e32 0, v0
	s_cbranch_execz .LBB6_30403
; %bb.30402:                            ;   in Loop: Header=BB6_27928 Depth=3
	v_clz_i32_u32_e32 v0, v2
	s_delay_alu instid0(VALU_DEP_1) | instskip(SKIP_1) | instid1(VALU_DEP_2)
	v_min_u32_e32 v0, 32, v0
	v_mov_b32_e32 v17, v113
	v_subrev_nc_u32_e32 v2, 29, v0
	v_sub_nc_u32_e32 v0, 30, v0
	s_delay_alu instid0(VALU_DEP_2) | instskip(NEXT) | instid1(VALU_DEP_1)
	v_lshlrev_b64_e32 v[2:3], v2, v[16:17]
	v_and_b32_e32 v2, 3, v2
.LBB6_30403:                            ;   in Loop: Header=BB6_27928 Depth=3
	s_or_b32 exec_lo, exec_lo, s74
	v_bfe_i32 v3, v16, 0, 16
                                        ; implicit-def: $vgpr16
	s_delay_alu instid0(VALU_DEP_1) | instskip(NEXT) | instid1(VALU_DEP_1)
	v_and_b32_e32 v3, 0x80000000, v3
	v_lshl_add_u32 v0, v0, 23, v3
	s_delay_alu instid0(VALU_DEP_1) | instskip(NEXT) | instid1(VALU_DEP_1)
	v_lshl_or_b32 v0, v2, 21, v0
                                        ; implicit-def: $vgpr2
	v_add_nc_u32_e32 v0, 0x38000000, v0
.LBB6_30404:                            ;   in Loop: Header=BB6_27928 Depth=3
	s_and_not1_saveexec_b32 s15, s15
; %bb.30405:                            ;   in Loop: Header=BB6_27928 Depth=3
	v_cmp_lt_i16_e32 vcc_lo, -1, v16
	v_mov_b32_e32 v0, 0x7f800000
	s_delay_alu instid0(VALU_DEP_1) | instskip(SKIP_1) | instid1(VALU_DEP_2)
	v_cndmask_b32_e32 v0, 0xff800000, v0, vcc_lo
	v_cmp_eq_u32_e32 vcc_lo, 0, v2
	v_cndmask_b32_e32 v0, 0x7f800001, v0, vcc_lo
; %bb.30406:                            ;   in Loop: Header=BB6_27928 Depth=3
	s_or_b32 exec_lo, exec_lo, s15
.LBB6_30407:                            ;   in Loop: Header=BB6_27928 Depth=3
	s_delay_alu instid0(SALU_CYCLE_1)
	s_or_b32 exec_lo, exec_lo, s14
.LBB6_30408:                            ;   in Loop: Header=BB6_27928 Depth=3
	s_delay_alu instid0(SALU_CYCLE_1) | instskip(NEXT) | instid1(VALU_DEP_1)
	s_or_b32 exec_lo, exec_lo, s13
	v_add_f32_e32 v3, v1, v0
	v_mov_b32_e32 v1, v113
                                        ; implicit-def: $vgpr2
	s_delay_alu instid0(VALU_DEP_2) | instskip(NEXT) | instid1(VALU_DEP_1)
	v_and_b32_e32 v0, 0x7f800000, v3
	v_cmp_ne_u64_e32 vcc_lo, 0x7f800000, v[0:1]
	v_and_b32_e32 v0, 0x7fffff, v3
	s_and_saveexec_b32 s13, vcc_lo
	s_delay_alu instid0(SALU_CYCLE_1)
	s_xor_b32 s14, exec_lo, s13
	s_cbranch_execz .LBB6_30426
; %bb.30409:                            ;   in Loop: Header=BB6_27928 Depth=3
	v_and_b32_e32 v16, 0x7fffffff, v3
	v_dual_mov_b32 v17, v113 :: v_dual_lshrrev_b32 v2, 24, v3
	s_delay_alu instid0(VALU_DEP_1) | instskip(NEXT) | instid1(VALU_DEP_2)
	v_cmp_gt_u64_e32 vcc_lo, 0x47600001, v[16:17]
	v_and_b32_e32 v16, 0x80, v2
                                        ; implicit-def: $vgpr2
	s_and_saveexec_b32 s13, vcc_lo
	s_delay_alu instid0(SALU_CYCLE_1)
	s_xor_b32 s15, exec_lo, s13
	s_cbranch_execz .LBB6_30423
; %bb.30410:                            ;   in Loop: Header=BB6_27928 Depth=3
	v_mov_b32_e32 v2, 0
	s_mov_b32 s74, exec_lo
	v_cmpx_ne_u32_e32 0, v3
	s_cbranch_execz .LBB6_30422
; %bb.30411:                            ;   in Loop: Header=BB6_27928 Depth=3
	v_bfe_u32 v17, v3, 23, 8
	v_or_b32_e32 v3, 0x800000, v0
	s_delay_alu instid0(VALU_DEP_2) | instskip(SKIP_2) | instid1(VALU_DEP_2)
	v_cmp_gt_u32_e64 s13, 0x72, v17
	v_sub_nc_u32_e32 v2, 0x71, v17
	v_cmp_eq_u32_e32 vcc_lo, 0, v17
	v_dual_cndmask_b32 v2, 0, v2, s13 :: v_dual_cndmask_b32 v0, v3, v0, vcc_lo
	s_delay_alu instid0(VALU_DEP_1) | instskip(NEXT) | instid1(VALU_DEP_1)
	v_cndmask_b32_e64 v50, v2, 0x70, vcc_lo
	v_dual_add_nc_u32 v2, 21, v50 :: v_dual_add_nc_u32 v51, 20, v50
	s_delay_alu instid0(VALU_DEP_1) | instskip(NEXT) | instid1(VALU_DEP_2)
	v_lshlrev_b64_e64 v[2:3], v2, -1
	v_lshlrev_b64_e64 v[52:53], v51, 1
	s_delay_alu instid0(VALU_DEP_2) | instskip(SKIP_1) | instid1(VALU_DEP_4)
	v_bfi_b32 v2, v2, 0, v0
	v_lshrrev_b64 v[0:1], v50, v[0:1]
	v_bfi_b32 v3, v3, 0, 0
	s_delay_alu instid0(VALU_DEP_1) | instskip(NEXT) | instid1(VALU_DEP_3)
	v_cmp_eq_u64_e64 s13, v[2:3], v[52:53]
	v_mov_b64_e32 v[2:3], v[0:1]
	s_and_saveexec_b32 s75, s13
; %bb.30412:                            ;   in Loop: Header=BB6_27928 Depth=3
	v_bfe_u32 v2, v0, 21, 1
	v_mov_b32_e32 v3, v113
	s_delay_alu instid0(VALU_DEP_1) | instskip(NEXT) | instid1(VALU_DEP_1)
	v_add_nc_u64_e32 v[2:3], v[0:1], v[2:3]
	v_add_nc_u64_e32 v[2:3], -1, v[2:3]
; %bb.30413:                            ;   in Loop: Header=BB6_27928 Depth=3
	s_or_b32 exec_lo, exec_lo, s75
	v_add_nc_u32_e32 v1, 0xffffff81, v17
	v_lshrrev_b32_e32 v3, 23, v0
	s_mov_b32 s13, exec_lo
	s_delay_alu instid0(VALU_DEP_2) | instskip(NEXT) | instid1(VALU_DEP_1)
	v_cndmask_b32_e64 v1, v1, 0xffffff82, vcc_lo
	v_add3_u32 v17, v50, v1, v3
	v_and_b32_e32 v1, 0x1fffff, v2
                                        ; implicit-def: $vgpr3
	s_delay_alu instid0(VALU_DEP_1) | instskip(SKIP_1) | instid1(VALU_DEP_2)
	v_dual_add_nc_u32 v2, 14, v17 :: v_dual_add_nc_u32 v0, v1, v0
	v_mov_b32_e32 v1, v113
	v_cmpx_ne_u32_e32 0, v2
	s_xor_b32 s13, exec_lo, s13
; %bb.30414:                            ;   in Loop: Header=BB6_27928 Depth=3
	s_delay_alu instid0(VALU_DEP_2) | instskip(SKIP_1) | instid1(VALU_DEP_1)
	v_cmp_lt_u64_e32 vcc_lo, 0xffffff, v[0:1]
	v_add_nc_u32_e32 v3, 15, v17
	v_cndmask_b32_e32 v3, v2, v3, vcc_lo
	v_cndmask_b32_e64 v2, 0, 1, vcc_lo
	s_delay_alu instid0(VALU_DEP_1)
	v_lshrrev_b64 v[0:1], v2, v[0:1]
; %bb.30415:                            ;   in Loop: Header=BB6_27928 Depth=3
	s_and_not1_saveexec_b32 s13, s13
; %bb.30416:                            ;   in Loop: Header=BB6_27928 Depth=3
	s_delay_alu instid0(VALU_DEP_1)
	v_bfe_u32 v3, v0, 23, 1
; %bb.30417:                            ;   in Loop: Header=BB6_27928 Depth=3
	s_or_b32 exec_lo, exec_lo, s13
	s_delay_alu instid0(VALU_DEP_2) | instskip(NEXT) | instid1(VALU_DEP_2)
	v_lshrrev_b64 v[0:1], 21, v[0:1]
	v_cmp_gt_i32_e32 vcc_lo, 32, v3
	v_cmp_ne_u32_e64 s13, 0, v3
                                        ; implicit-def: $vgpr2
	s_delay_alu instid0(VALU_DEP_3) | instskip(NEXT) | instid1(VALU_DEP_1)
	v_dual_cndmask_b32 v1, 0, v1 :: v_dual_cndmask_b32 v0, 3, v0
	v_cmp_ne_u64_e32 vcc_lo, 0, v[0:1]
	s_or_b32 s13, s13, vcc_lo
	s_delay_alu instid0(SALU_CYCLE_1) | instskip(NEXT) | instid1(SALU_CYCLE_1)
	s_and_saveexec_b32 s75, s13
	s_xor_b32 s13, exec_lo, s75
; %bb.30418:                            ;   in Loop: Header=BB6_27928 Depth=3
	v_min_i32_e32 v1, 31, v3
	s_delay_alu instid0(VALU_DEP_1) | instskip(NEXT) | instid1(VALU_DEP_1)
	v_lshl_or_b32 v1, v1, 2, v16
                                        ; implicit-def: $vgpr16
	v_and_or_b32 v2, v0, 3, v1
; %bb.30419:                            ;   in Loop: Header=BB6_27928 Depth=3
	s_and_not1_saveexec_b32 s13, s13
; %bb.30420:                            ;   in Loop: Header=BB6_27928 Depth=3
	v_mov_b32_e32 v2, v16
; %bb.30421:                            ;   in Loop: Header=BB6_27928 Depth=3
	s_or_b32 exec_lo, exec_lo, s13
.LBB6_30422:                            ;   in Loop: Header=BB6_27928 Depth=3
	s_delay_alu instid0(SALU_CYCLE_1)
	s_or_b32 exec_lo, exec_lo, s74
                                        ; implicit-def: $vgpr16
.LBB6_30423:                            ;   in Loop: Header=BB6_27928 Depth=3
	s_and_not1_saveexec_b32 s13, s15
; %bb.30424:                            ;   in Loop: Header=BB6_27928 Depth=3
	v_or_b32_e32 v2, 0x7b, v16
; %bb.30425:                            ;   in Loop: Header=BB6_27928 Depth=3
	s_or_b32 exec_lo, exec_lo, s13
                                        ; implicit-def: $vgpr3
                                        ; implicit-def: $vgpr0_vgpr1
.LBB6_30426:                            ;   in Loop: Header=BB6_27928 Depth=3
	s_and_not1_saveexec_b32 s13, s14
	s_cbranch_execz .LBB6_27927
; %bb.30427:                            ;   in Loop: Header=BB6_27928 Depth=3
	s_mov_b32 s14, exec_lo
                                        ; implicit-def: $vgpr2
	v_cmpx_ne_u64_e32 0, v[0:1]
	s_xor_b32 s14, exec_lo, s14
; %bb.30428:                            ;   in Loop: Header=BB6_27928 Depth=3
	v_lshrrev_b32_e32 v0, 24, v3
                                        ; implicit-def: $vgpr3
	s_delay_alu instid0(VALU_DEP_1)
	v_or_b32_e32 v2, 0x7f, v0
; %bb.30429:                            ;   in Loop: Header=BB6_27928 Depth=3
	s_and_not1_saveexec_b32 s14, s14
	s_cbranch_execz .LBB6_27926
; %bb.30430:                            ;   in Loop: Header=BB6_27928 Depth=3
	v_cmp_lt_i32_e32 vcc_lo, -1, v3
	v_cndmask_b32_e64 v2, -4, 0x7c, vcc_lo
	s_branch .LBB6_27926
.LBB6_30431:                            ;   in Loop: Header=BB6_14108 Depth=2
	s_or_b32 exec_lo, exec_lo, s73
	s_clause 0x3
	scratch_load_b32 v8, off, s33 offset:344
	scratch_load_b32 v4, off, s33 offset:444
	;; [unrolled: 1-line block ×4, first 2 shown]
.LBB6_30432:                            ;   in Loop: Header=BB6_14108 Depth=2
	s_wait_xcnt 0x0
	s_or_b32 exec_lo, exec_lo, s43
	s_wait_loadcnt 0x0
	v_lshlrev_b32_e32 v0, 10, v1
	s_delay_alu instid0(VALU_DEP_1)
	v_cmp_ne_u32_e32 vcc_lo, v126, v0
	s_and_b32 exec_lo, exec_lo, vcc_lo
	s_cbranch_execz .LBB6_30522
; %bb.30433:                            ;   in Loop: Header=BB6_14108 Depth=2
	v_dual_lshlrev_b32 v1, 5, v3 :: v_dual_lshlrev_b32 v2, 5, v112
	s_delay_alu instid0(VALU_DEP_1) | instskip(NEXT) | instid1(VALU_DEP_1)
	v_sub_nc_u32_e32 v1, v4, v1
	v_sub_nc_u32_e32 v1, v1, v2
	s_delay_alu instid0(VALU_DEP_1) | instskip(NEXT) | instid1(VALU_DEP_1)
	v_add_nc_u32_e32 v0, v0, v1
	v_sub_nc_u32_e32 v10, v126, v0
	s_delay_alu instid0(VALU_DEP_1)
	v_cmp_lt_i32_e32 vcc_lo, 0, v10
	s_and_b32 exec_lo, exec_lo, vcc_lo
	s_cbranch_execz .LBB6_30522
; %bb.30434:                            ;   in Loop: Header=BB6_14108 Depth=2
	s_trap 2
	ds_load_b128 v[2:5], v0
	ds_load_b64 v[6:7], v0
	v_add_nc_u32_e32 v8, v0, v8
	s_mov_b32 s43, 0
	s_delay_alu instid0(VALU_DEP_1) | instskip(SKIP_1) | instid1(VALU_DEP_1)
	v_ashrrev_i32_e32 v9, 31, v8
	s_wait_dscnt 0x1
	v_add_nc_u64_e32 v[0:1], v[2:3], v[8:9]
	v_add_nc_u64_e32 v[2:3], v[4:5], v[8:9]
	s_wait_dscnt 0x0
	v_add_nc_u64_e32 v[4:5], v[6:7], v[8:9]
	s_branch .LBB6_30437
.LBB6_30435:                            ;   in Loop: Header=BB6_30437 Depth=3
	s_or_b32 exec_lo, exec_lo, s14
.LBB6_30436:                            ;   in Loop: Header=BB6_30437 Depth=3
	s_delay_alu instid0(SALU_CYCLE_1)
	s_or_b32 exec_lo, exec_lo, s13
	scratch_load_b64 v[6:7], off, s33 offset:288 ; 8-byte Folded Reload
	flat_store_b8 v[4:5], v8 th:TH_STORE_NT
	s_wait_loadcnt 0x0
	v_sub_nc_u32_e32 v10, v10, v6
	v_add_nc_u64_e32 v[0:1], v[0:1], v[6:7]
	v_add_nc_u64_e32 v[2:3], v[2:3], v[6:7]
	s_wait_xcnt 0x0
	v_add_nc_u64_e32 v[4:5], v[4:5], v[6:7]
	v_cmp_gt_i32_e32 vcc_lo, 1, v10
	s_or_b32 s43, vcc_lo, s43
	s_delay_alu instid0(SALU_CYCLE_1)
	s_and_not1_b32 exec_lo, exec_lo, s43
	s_cbranch_execz .LBB6_30522
.LBB6_30437:                            ;   Parent Loop BB6_47 Depth=1
                                        ;     Parent Loop BB6_14108 Depth=2
                                        ; =>    This Inner Loop Header: Depth=3
	s_trap 2
	ds_load_b64 v[6:7], v0
	s_mov_b32 s13, 0
	s_wait_dscnt 0x0
	v_and_b32_e32 v8, 0xff, v6
	v_readfirstlane_b32 s14, v6
	v_readfirstlane_b32 s15, v7
	s_delay_alu instid0(VALU_DEP_3)
	v_cmp_eq_u32_e32 vcc_lo, 0, v8
	s_cbranch_vccnz .LBB6_30445
; %bb.30438:                            ;   in Loop: Header=BB6_30437 Depth=3
	s_bfe_i32 s74, s14, 0x80000
	s_delay_alu instid0(SALU_CYCLE_1) | instskip(NEXT) | instid1(SALU_CYCLE_1)
	s_and_b32 s13, 0xffff, s74
	s_cmp_eq_u32 s13, 0xff80
	s_brev_b32 s13, 1
	s_cbranch_scc1 .LBB6_30445
; %bb.30439:                            ;   in Loop: Header=BB6_30437 Depth=3
	s_and_b32 s13, s14, 0x7c
	s_and_b32 s73, s14, 3
	s_mov_b32 s75, -1
	s_cmp_lg_u32 s13, 0x7c
	s_sext_i32_i16 s74, s74
                                        ; implicit-def: $sgpr13
	s_cbranch_scc0 .LBB6_30443
; %bb.30440:                            ;   in Loop: Header=BB6_30437 Depth=3
	s_bfe_u32 s13, s14, 0x50002
	s_mov_b32 s75, s73
	s_cmp_lg_u32 s13, 0
	s_cbranch_scc1 .LBB6_30442
; %bb.30441:                            ;   in Loop: Header=BB6_30437 Depth=3
	s_clz_i32_u32 s13, s73
	s_delay_alu instid0(SALU_CYCLE_1) | instskip(NEXT) | instid1(SALU_CYCLE_1)
	s_min_u32 s13, s13, 32
	s_sub_co_i32 s75, s13, 29
	s_sub_co_i32 s13, 30, s13
	s_lshl_b64 s[14:15], s[14:15], s75
	s_delay_alu instid0(SALU_CYCLE_1)
	s_and_b32 s75, s14, 3
.LBB6_30442:                            ;   in Loop: Header=BB6_30437 Depth=3
	s_and_b32 s14, s74, 0x80000000
	s_lshl_b32 s13, s13, 23
	s_lshl_b32 s15, s75, 21
	s_add_co_i32 s13, s13, s14
	s_mov_b32 s75, 0
	s_or_b32 s13, s13, s15
	s_delay_alu instid0(SALU_CYCLE_1)
	s_add_co_i32 s13, s13, 0x38000000
.LBB6_30443:                            ;   in Loop: Header=BB6_30437 Depth=3
	s_and_b32 vcc_lo, exec_lo, s75
	s_cbranch_vccz .LBB6_30445
; %bb.30444:                            ;   in Loop: Header=BB6_30437 Depth=3
	s_cmp_gt_i32 s74, -1
	s_cselect_b32 s13, s47, 0xff800000
	s_cmp_eq_u32 s73, 0
	s_cselect_b32 s13, s13, 0x7f800001
.LBB6_30445:                            ;   in Loop: Header=BB6_30437 Depth=3
	flat_load_i8 v6, v[0:1] th:TH_LOAD_NT
	v_mov_b32_e32 v8, 0
	s_mov_b32 s14, exec_lo
	s_wait_loadcnt_dscnt 0x0
	s_wait_xcnt 0x0
	v_cmpx_ne_u16_e32 0, v6
	s_cbranch_execz .LBB6_30455
; %bb.30446:                            ;   in Loop: Header=BB6_30437 Depth=3
	v_bfrev_b32_e32 v8, 1
	s_mov_b32 s15, exec_lo
	v_cmpx_ne_u16_e32 0xff80, v6
	s_cbranch_execz .LBB6_30454
; %bb.30447:                            ;   in Loop: Header=BB6_30437 Depth=3
	v_and_b32_e32 v8, 0x7c, v6
	v_and_b32_e32 v7, 3, v6
	s_delay_alu instid0(VALU_DEP_2) | instskip(SKIP_1) | instid1(SALU_CYCLE_1)
	v_cmp_ne_u32_e32 vcc_lo, 0x7c, v8
                                        ; implicit-def: $vgpr8
	s_and_saveexec_b32 s73, vcc_lo
	s_xor_b32 s73, exec_lo, s73
	s_cbranch_execz .LBB6_30451
; %bb.30448:                            ;   in Loop: Header=BB6_30437 Depth=3
	v_and_b32_e32 v8, 0xff, v6
	s_mov_b32 s74, exec_lo
	s_delay_alu instid0(VALU_DEP_1) | instskip(NEXT) | instid1(VALU_DEP_1)
	v_bfe_u32 v8, v8, 2, 5
	v_cmpx_eq_u32_e32 0, v8
	s_cbranch_execz .LBB6_30450
; %bb.30449:                            ;   in Loop: Header=BB6_30437 Depth=3
	v_clz_i32_u32_e32 v7, v7
	s_delay_alu instid0(VALU_DEP_1) | instskip(SKIP_1) | instid1(VALU_DEP_2)
	v_min_u32_e32 v8, 32, v7
	v_mov_b32_e32 v7, v113
	v_subrev_nc_u32_e32 v9, 29, v8
	v_sub_nc_u32_e32 v8, 30, v8
	s_delay_alu instid0(VALU_DEP_2) | instskip(NEXT) | instid1(VALU_DEP_1)
	v_lshlrev_b64_e32 v[12:13], v9, v[6:7]
	v_and_b32_e32 v7, 3, v12
.LBB6_30450:                            ;   in Loop: Header=BB6_30437 Depth=3
	s_or_b32 exec_lo, exec_lo, s74
	v_bfe_i32 v6, v6, 0, 16
	s_delay_alu instid0(VALU_DEP_1) | instskip(NEXT) | instid1(VALU_DEP_1)
	v_and_b32_e32 v6, 0x80000000, v6
	v_lshl_add_u32 v6, v8, 23, v6
	s_delay_alu instid0(VALU_DEP_1) | instskip(NEXT) | instid1(VALU_DEP_1)
	v_lshl_or_b32 v6, v7, 21, v6
                                        ; implicit-def: $vgpr7
	v_add_nc_u32_e32 v8, 0x38000000, v6
                                        ; implicit-def: $vgpr6
.LBB6_30451:                            ;   in Loop: Header=BB6_30437 Depth=3
	s_and_not1_saveexec_b32 s73, s73
; %bb.30452:                            ;   in Loop: Header=BB6_30437 Depth=3
	v_cmp_lt_i16_e32 vcc_lo, -1, v6
	v_mov_b32_e32 v6, 0x7f800000
	s_delay_alu instid0(VALU_DEP_1) | instskip(SKIP_1) | instid1(VALU_DEP_2)
	v_cndmask_b32_e32 v6, 0xff800000, v6, vcc_lo
	v_cmp_eq_u32_e32 vcc_lo, 0, v7
	v_cndmask_b32_e32 v8, 0x7f800001, v6, vcc_lo
; %bb.30453:                            ;   in Loop: Header=BB6_30437 Depth=3
	s_or_b32 exec_lo, exec_lo, s73
.LBB6_30454:                            ;   in Loop: Header=BB6_30437 Depth=3
	s_delay_alu instid0(SALU_CYCLE_1)
	s_or_b32 exec_lo, exec_lo, s15
.LBB6_30455:                            ;   in Loop: Header=BB6_30437 Depth=3
	s_delay_alu instid0(SALU_CYCLE_1) | instskip(NEXT) | instid1(VALU_DEP_1)
	s_or_b32 exec_lo, exec_lo, s14
	v_dual_mul_f32 v7, s13, v8 :: v_dual_mov_b32 v9, v113
                                        ; implicit-def: $vgpr6
	s_delay_alu instid0(VALU_DEP_1) | instskip(NEXT) | instid1(VALU_DEP_1)
	v_and_b32_e32 v8, 0x7f800000, v7
	v_cmp_ne_u64_e32 vcc_lo, 0x7f800000, v[8:9]
	v_and_b32_e32 v8, 0x7fffff, v7
	s_and_saveexec_b32 s13, vcc_lo
	s_delay_alu instid0(SALU_CYCLE_1)
	s_xor_b32 s14, exec_lo, s13
	s_cbranch_execz .LBB6_30473
; %bb.30456:                            ;   in Loop: Header=BB6_30437 Depth=3
	v_dual_mov_b32 v13, v113 :: v_dual_lshrrev_b32 v6, 24, v7
	v_and_b32_e32 v12, 0x7fffffff, v7
	s_mov_b32 s13, exec_lo
	s_delay_alu instid0(VALU_DEP_2) | instskip(NEXT) | instid1(VALU_DEP_2)
	v_and_b32_e32 v11, 0x80, v6
                                        ; implicit-def: $vgpr6
	v_cmpx_gt_u64_e32 0x47600001, v[12:13]
	s_xor_b32 s15, exec_lo, s13
	s_cbranch_execz .LBB6_30470
; %bb.30457:                            ;   in Loop: Header=BB6_30437 Depth=3
	v_mov_b32_e32 v6, 0
	s_mov_b32 s73, exec_lo
	v_cmpx_ne_u32_e32 0, v7
	s_cbranch_execz .LBB6_30469
; %bb.30458:                            ;   in Loop: Header=BB6_30437 Depth=3
	v_bfe_u32 v12, v7, 23, 8
	v_or_b32_e32 v14, 0x800000, v8
	s_mov_b32 s74, exec_lo
	s_delay_alu instid0(VALU_DEP_2) | instskip(SKIP_1) | instid1(VALU_DEP_2)
	v_sub_nc_u32_e32 v6, 0x71, v12
	v_cmp_gt_u32_e32 vcc_lo, 0x72, v12
	v_cndmask_b32_e32 v6, 0, v6, vcc_lo
	v_cmp_eq_u32_e32 vcc_lo, 0, v12
	s_delay_alu instid0(VALU_DEP_2) | instskip(NEXT) | instid1(VALU_DEP_1)
	v_cndmask_b32_e64 v13, v6, 0x70, vcc_lo
	v_dual_cndmask_b32 v8, v14, v8, vcc_lo :: v_dual_add_nc_u32 v6, 21, v13
	v_add_nc_u32_e32 v15, 20, v13
	s_delay_alu instid0(VALU_DEP_2) | instskip(NEXT) | instid1(VALU_DEP_2)
	v_lshlrev_b64_e64 v[6:7], v6, -1
	v_lshlrev_b64_e64 v[14:15], v15, 1
	s_delay_alu instid0(VALU_DEP_2) | instskip(NEXT) | instid1(VALU_DEP_3)
	v_bfi_b32 v17, v7, 0, 0
	v_bfi_b32 v16, v6, 0, v8
	v_lshrrev_b64 v[6:7], v13, v[8:9]
	s_delay_alu instid0(VALU_DEP_1) | instskip(NEXT) | instid1(VALU_DEP_3)
	v_mov_b64_e32 v[8:9], v[6:7]
	v_cmpx_eq_u64_e64 v[16:17], v[14:15]
; %bb.30459:                            ;   in Loop: Header=BB6_30437 Depth=3
	v_bfe_u32 v8, v6, 21, 1
	v_mov_b32_e32 v9, v113
	s_delay_alu instid0(VALU_DEP_1) | instskip(NEXT) | instid1(VALU_DEP_1)
	v_add_nc_u64_e32 v[8:9], v[6:7], v[8:9]
	v_add_nc_u64_e32 v[8:9], -1, v[8:9]
; %bb.30460:                            ;   in Loop: Header=BB6_30437 Depth=3
	s_or_b32 exec_lo, exec_lo, s74
	v_add_nc_u32_e32 v7, 0xffffff81, v12
	v_lshrrev_b32_e32 v9, 23, v6
	s_mov_b32 s13, exec_lo
                                        ; implicit-def: $vgpr12
	s_delay_alu instid0(VALU_DEP_2) | instskip(NEXT) | instid1(VALU_DEP_1)
	v_cndmask_b32_e64 v7, v7, 0xffffff82, vcc_lo
	v_add3_u32 v9, v13, v7, v9
	v_and_b32_e32 v7, 0x1fffff, v8
	s_delay_alu instid0(VALU_DEP_1) | instskip(SKIP_1) | instid1(VALU_DEP_2)
	v_dual_add_nc_u32 v8, 14, v9 :: v_dual_add_nc_u32 v6, v7, v6
	v_mov_b32_e32 v7, v113
	v_cmpx_ne_u32_e32 0, v8
	s_xor_b32 s13, exec_lo, s13
; %bb.30461:                            ;   in Loop: Header=BB6_30437 Depth=3
	s_delay_alu instid0(VALU_DEP_2) | instskip(SKIP_1) | instid1(VALU_DEP_1)
	v_cmp_lt_u64_e32 vcc_lo, 0xffffff, v[6:7]
	v_add_nc_u32_e32 v9, 15, v9
	v_cndmask_b32_e32 v12, v8, v9, vcc_lo
	v_cndmask_b32_e64 v8, 0, 1, vcc_lo
	s_delay_alu instid0(VALU_DEP_1)
	v_lshrrev_b64 v[6:7], v8, v[6:7]
; %bb.30462:                            ;   in Loop: Header=BB6_30437 Depth=3
	s_and_not1_saveexec_b32 s13, s13
; %bb.30463:                            ;   in Loop: Header=BB6_30437 Depth=3
	s_delay_alu instid0(VALU_DEP_1)
	v_bfe_u32 v12, v6, 23, 1
; %bb.30464:                            ;   in Loop: Header=BB6_30437 Depth=3
	s_or_b32 exec_lo, exec_lo, s13
	s_delay_alu instid0(VALU_DEP_2) | instskip(NEXT) | instid1(VALU_DEP_2)
	v_lshrrev_b64 v[6:7], 21, v[6:7]
	v_cmp_gt_i32_e32 vcc_lo, 32, v12
	v_cmp_ne_u32_e64 s13, 0, v12
	s_delay_alu instid0(VALU_DEP_3) | instskip(NEXT) | instid1(VALU_DEP_1)
	v_dual_cndmask_b32 v9, 0, v7 :: v_dual_cndmask_b32 v8, 3, v6
                                        ; implicit-def: $vgpr6
	v_cmp_ne_u64_e32 vcc_lo, 0, v[8:9]
	s_or_b32 s13, s13, vcc_lo
	s_delay_alu instid0(SALU_CYCLE_1) | instskip(NEXT) | instid1(SALU_CYCLE_1)
	s_and_saveexec_b32 s74, s13
	s_xor_b32 s13, exec_lo, s74
; %bb.30465:                            ;   in Loop: Header=BB6_30437 Depth=3
	v_min_i32_e32 v6, 31, v12
	s_delay_alu instid0(VALU_DEP_1) | instskip(NEXT) | instid1(VALU_DEP_1)
	v_lshl_or_b32 v6, v6, 2, v11
                                        ; implicit-def: $vgpr11
	v_and_or_b32 v6, v8, 3, v6
; %bb.30466:                            ;   in Loop: Header=BB6_30437 Depth=3
	s_and_not1_saveexec_b32 s13, s13
; %bb.30467:                            ;   in Loop: Header=BB6_30437 Depth=3
	v_mov_b32_e32 v6, v11
; %bb.30468:                            ;   in Loop: Header=BB6_30437 Depth=3
	s_or_b32 exec_lo, exec_lo, s13
.LBB6_30469:                            ;   in Loop: Header=BB6_30437 Depth=3
	s_delay_alu instid0(SALU_CYCLE_1)
	s_or_b32 exec_lo, exec_lo, s73
                                        ; implicit-def: $vgpr11
.LBB6_30470:                            ;   in Loop: Header=BB6_30437 Depth=3
	s_and_not1_saveexec_b32 s13, s15
; %bb.30471:                            ;   in Loop: Header=BB6_30437 Depth=3
	v_or_b32_e32 v6, 0x7b, v11
; %bb.30472:                            ;   in Loop: Header=BB6_30437 Depth=3
	s_or_b32 exec_lo, exec_lo, s13
                                        ; implicit-def: $vgpr7
                                        ; implicit-def: $vgpr8_vgpr9
.LBB6_30473:                            ;   in Loop: Header=BB6_30437 Depth=3
	s_and_not1_saveexec_b32 s13, s14
	s_cbranch_execz .LBB6_30479
; %bb.30474:                            ;   in Loop: Header=BB6_30437 Depth=3
	s_mov_b32 s14, exec_lo
                                        ; implicit-def: $vgpr6
	v_cmpx_ne_u64_e32 0, v[8:9]
	s_xor_b32 s14, exec_lo, s14
; %bb.30475:                            ;   in Loop: Header=BB6_30437 Depth=3
	v_lshrrev_b32_e32 v6, 24, v7
                                        ; implicit-def: $vgpr7
	s_delay_alu instid0(VALU_DEP_1)
	v_or_b32_e32 v6, 0x7f, v6
; %bb.30476:                            ;   in Loop: Header=BB6_30437 Depth=3
	s_and_not1_saveexec_b32 s14, s14
; %bb.30477:                            ;   in Loop: Header=BB6_30437 Depth=3
	v_cmp_lt_i32_e32 vcc_lo, -1, v7
	v_cndmask_b32_e64 v6, -4, 0x7c, vcc_lo
; %bb.30478:                            ;   in Loop: Header=BB6_30437 Depth=3
	s_or_b32 exec_lo, exec_lo, s14
.LBB6_30479:                            ;   in Loop: Header=BB6_30437 Depth=3
	s_delay_alu instid0(SALU_CYCLE_1)
	s_or_b32 exec_lo, exec_lo, s13
	flat_load_i8 v8, v[2:3] th:TH_LOAD_NT
	v_and_b32_e32 v12, 0xff, v6
	v_dual_mov_b32 v9, 0 :: v_dual_mov_b32 v7, 0
	s_mov_b32 s13, exec_lo
	s_wait_xcnt 0x0
	s_delay_alu instid0(VALU_DEP_2)
	v_cmpx_ne_u16_e32 0, v12
	s_cbranch_execz .LBB6_30489
; %bb.30480:                            ;   in Loop: Header=BB6_30437 Depth=3
	v_bfrev_b32_e32 v7, 1
	s_mov_b32 s14, exec_lo
	v_cmpx_ne_u16_e32 0x80, v12
	s_cbranch_execz .LBB6_30488
; %bb.30481:                            ;   in Loop: Header=BB6_30437 Depth=3
	v_and_b32_e32 v7, 0x7c, v6
	v_and_b32_e32 v11, 3, v6
	s_delay_alu instid0(VALU_DEP_2) | instskip(SKIP_1) | instid1(SALU_CYCLE_1)
	v_cmp_ne_u32_e32 vcc_lo, 0x7c, v7
                                        ; implicit-def: $vgpr7
	s_and_saveexec_b32 s15, vcc_lo
	s_xor_b32 s15, exec_lo, s15
	s_cbranch_execz .LBB6_30485
; %bb.30482:                            ;   in Loop: Header=BB6_30437 Depth=3
	v_bfe_u32 v7, v12, 2, 5
	s_mov_b32 s73, exec_lo
	s_delay_alu instid0(VALU_DEP_1)
	v_cmpx_eq_u32_e32 0, v7
; %bb.30483:                            ;   in Loop: Header=BB6_30437 Depth=3
	v_clz_i32_u32_e32 v7, v11
	s_delay_alu instid0(VALU_DEP_1) | instskip(SKIP_1) | instid1(VALU_DEP_2)
	v_min_u32_e32 v11, 32, v7
	v_mov_b32_e32 v7, v113
	v_subrev_nc_u32_e32 v12, 29, v11
	s_delay_alu instid0(VALU_DEP_1) | instskip(NEXT) | instid1(VALU_DEP_1)
	v_lshlrev_b64_e32 v[12:13], v12, v[6:7]
	v_dual_sub_nc_u32 v7, 30, v11 :: v_dual_bitop2_b32 v11, 3, v12 bitop3:0x40
; %bb.30484:                            ;   in Loop: Header=BB6_30437 Depth=3
	s_or_b32 exec_lo, exec_lo, s73
	v_lshlrev_b32_e32 v6, 24, v6
	s_delay_alu instid0(VALU_DEP_1) | instskip(NEXT) | instid1(VALU_DEP_1)
	v_and_b32_e32 v6, 0x80000000, v6
	v_lshl_add_u32 v6, v7, 23, v6
	s_delay_alu instid0(VALU_DEP_1) | instskip(NEXT) | instid1(VALU_DEP_1)
	v_lshl_or_b32 v6, v11, 21, v6
                                        ; implicit-def: $vgpr11
	v_add_nc_u32_e32 v7, 0x38000000, v6
                                        ; implicit-def: $vgpr6
.LBB6_30485:                            ;   in Loop: Header=BB6_30437 Depth=3
	s_and_not1_saveexec_b32 s15, s15
; %bb.30486:                            ;   in Loop: Header=BB6_30437 Depth=3
	v_bfe_i32 v6, v6, 0, 8
	s_delay_alu instid0(VALU_DEP_1) | instskip(SKIP_1) | instid1(VALU_DEP_1)
	v_cmp_lt_i16_e32 vcc_lo, -1, v6
	v_mov_b32_e32 v6, 0x7f800000
	v_cndmask_b32_e32 v6, 0xff800000, v6, vcc_lo
	v_cmp_eq_u32_e32 vcc_lo, 0, v11
	s_delay_alu instid0(VALU_DEP_2)
	v_cndmask_b32_e32 v7, 0x7f800001, v6, vcc_lo
; %bb.30487:                            ;   in Loop: Header=BB6_30437 Depth=3
	s_or_b32 exec_lo, exec_lo, s15
.LBB6_30488:                            ;   in Loop: Header=BB6_30437 Depth=3
	s_delay_alu instid0(SALU_CYCLE_1)
	s_or_b32 exec_lo, exec_lo, s14
.LBB6_30489:                            ;   in Loop: Header=BB6_30437 Depth=3
	s_delay_alu instid0(SALU_CYCLE_1) | instskip(NEXT) | instid1(SALU_CYCLE_1)
	s_or_b32 exec_lo, exec_lo, s13
	s_mov_b32 s13, exec_lo
	s_wait_loadcnt_dscnt 0x0
	v_cmpx_ne_u16_e32 0, v8
	s_cbranch_execz .LBB6_30499
; %bb.30490:                            ;   in Loop: Header=BB6_30437 Depth=3
	v_bfrev_b32_e32 v9, 1
	s_mov_b32 s14, exec_lo
	v_cmpx_ne_u16_e32 0xff80, v8
	s_cbranch_execz .LBB6_30498
; %bb.30491:                            ;   in Loop: Header=BB6_30437 Depth=3
	v_and_b32_e32 v9, 0x7c, v8
	v_and_b32_e32 v6, 3, v8
	s_delay_alu instid0(VALU_DEP_2) | instskip(SKIP_1) | instid1(SALU_CYCLE_1)
	v_cmp_ne_u32_e32 vcc_lo, 0x7c, v9
                                        ; implicit-def: $vgpr9
	s_and_saveexec_b32 s15, vcc_lo
	s_xor_b32 s15, exec_lo, s15
	s_cbranch_execz .LBB6_30495
; %bb.30492:                            ;   in Loop: Header=BB6_30437 Depth=3
	v_and_b32_e32 v9, 0xff, v8
	s_mov_b32 s73, exec_lo
	s_delay_alu instid0(VALU_DEP_1) | instskip(NEXT) | instid1(VALU_DEP_1)
	v_bfe_u32 v9, v9, 2, 5
	v_cmpx_eq_u32_e32 0, v9
; %bb.30493:                            ;   in Loop: Header=BB6_30437 Depth=3
	v_clz_i32_u32_e32 v6, v6
	v_mov_b32_e32 v9, v113
	s_delay_alu instid0(VALU_DEP_2) | instskip(NEXT) | instid1(VALU_DEP_1)
	v_min_u32_e32 v6, 32, v6
	v_subrev_nc_u32_e32 v11, 29, v6
	s_delay_alu instid0(VALU_DEP_1) | instskip(NEXT) | instid1(VALU_DEP_1)
	v_lshlrev_b64_e32 v[12:13], v11, v[8:9]
	v_dual_sub_nc_u32 v9, 30, v6 :: v_dual_bitop2_b32 v6, 3, v12 bitop3:0x40
; %bb.30494:                            ;   in Loop: Header=BB6_30437 Depth=3
	s_or_b32 exec_lo, exec_lo, s73
	v_bfe_i32 v8, v8, 0, 16
	s_delay_alu instid0(VALU_DEP_1) | instskip(NEXT) | instid1(VALU_DEP_1)
	v_and_b32_e32 v8, 0x80000000, v8
	v_lshl_add_u32 v8, v9, 23, v8
	s_delay_alu instid0(VALU_DEP_1) | instskip(NEXT) | instid1(VALU_DEP_1)
	v_lshl_or_b32 v6, v6, 21, v8
                                        ; implicit-def: $vgpr8
	v_add_nc_u32_e32 v9, 0x38000000, v6
                                        ; implicit-def: $vgpr6
.LBB6_30495:                            ;   in Loop: Header=BB6_30437 Depth=3
	s_and_not1_saveexec_b32 s15, s15
; %bb.30496:                            ;   in Loop: Header=BB6_30437 Depth=3
	v_cmp_lt_i16_e32 vcc_lo, -1, v8
	v_mov_b32_e32 v8, 0x7f800000
	s_delay_alu instid0(VALU_DEP_1) | instskip(SKIP_1) | instid1(VALU_DEP_2)
	v_cndmask_b32_e32 v8, 0xff800000, v8, vcc_lo
	v_cmp_eq_u32_e32 vcc_lo, 0, v6
	v_cndmask_b32_e32 v9, 0x7f800001, v8, vcc_lo
; %bb.30497:                            ;   in Loop: Header=BB6_30437 Depth=3
	s_or_b32 exec_lo, exec_lo, s15
.LBB6_30498:                            ;   in Loop: Header=BB6_30437 Depth=3
	s_delay_alu instid0(SALU_CYCLE_1)
	s_or_b32 exec_lo, exec_lo, s14
.LBB6_30499:                            ;   in Loop: Header=BB6_30437 Depth=3
	s_delay_alu instid0(SALU_CYCLE_1) | instskip(NEXT) | instid1(VALU_DEP_1)
	s_or_b32 exec_lo, exec_lo, s13
	v_dual_add_f32 v9, v7, v9 :: v_dual_mov_b32 v7, v113
                                        ; implicit-def: $vgpr8
	s_delay_alu instid0(VALU_DEP_1) | instskip(NEXT) | instid1(VALU_DEP_1)
	v_and_b32_e32 v6, 0x7f800000, v9
	v_cmp_ne_u64_e32 vcc_lo, 0x7f800000, v[6:7]
	v_and_b32_e32 v6, 0x7fffff, v9
	s_and_saveexec_b32 s13, vcc_lo
	s_delay_alu instid0(SALU_CYCLE_1)
	s_xor_b32 s14, exec_lo, s13
	s_cbranch_execz .LBB6_30517
; %bb.30500:                            ;   in Loop: Header=BB6_30437 Depth=3
	v_dual_mov_b32 v13, v113 :: v_dual_lshrrev_b32 v8, 24, v9
	v_and_b32_e32 v12, 0x7fffffff, v9
	s_mov_b32 s13, exec_lo
	s_delay_alu instid0(VALU_DEP_2) | instskip(NEXT) | instid1(VALU_DEP_2)
	v_and_b32_e32 v11, 0x80, v8
                                        ; implicit-def: $vgpr8
	v_cmpx_gt_u64_e32 0x47600001, v[12:13]
	s_xor_b32 s15, exec_lo, s13
	s_cbranch_execz .LBB6_30514
; %bb.30501:                            ;   in Loop: Header=BB6_30437 Depth=3
	v_mov_b32_e32 v8, 0
	s_mov_b32 s73, exec_lo
	v_cmpx_ne_u32_e32 0, v9
	s_cbranch_execz .LBB6_30513
; %bb.30502:                            ;   in Loop: Header=BB6_30437 Depth=3
	v_bfe_u32 v12, v9, 23, 8
	v_or_b32_e32 v14, 0x800000, v6
	s_delay_alu instid0(VALU_DEP_2) | instskip(SKIP_1) | instid1(VALU_DEP_2)
	v_sub_nc_u32_e32 v8, 0x71, v12
	v_cmp_gt_u32_e32 vcc_lo, 0x72, v12
	v_cndmask_b32_e32 v8, 0, v8, vcc_lo
	v_cmp_eq_u32_e32 vcc_lo, 0, v12
	s_delay_alu instid0(VALU_DEP_2) | instskip(NEXT) | instid1(VALU_DEP_1)
	v_cndmask_b32_e64 v13, v8, 0x70, vcc_lo
	v_dual_cndmask_b32 v6, v14, v6, vcc_lo :: v_dual_add_nc_u32 v8, 21, v13
	v_add_nc_u32_e32 v15, 20, v13
	s_delay_alu instid0(VALU_DEP_2) | instskip(NEXT) | instid1(VALU_DEP_2)
	v_lshlrev_b64_e64 v[8:9], v8, -1
	v_lshlrev_b64_e64 v[14:15], v15, 1
	s_delay_alu instid0(VALU_DEP_2) | instskip(SKIP_1) | instid1(VALU_DEP_4)
	v_bfi_b32 v8, v8, 0, v6
	v_lshrrev_b64 v[6:7], v13, v[6:7]
	v_bfi_b32 v9, v9, 0, 0
	s_delay_alu instid0(VALU_DEP_1) | instskip(NEXT) | instid1(VALU_DEP_3)
	v_cmp_eq_u64_e64 s13, v[8:9], v[14:15]
	v_mov_b64_e32 v[8:9], v[6:7]
	s_and_saveexec_b32 s74, s13
; %bb.30503:                            ;   in Loop: Header=BB6_30437 Depth=3
	v_bfe_u32 v8, v6, 21, 1
	v_mov_b32_e32 v9, v113
	s_delay_alu instid0(VALU_DEP_1) | instskip(NEXT) | instid1(VALU_DEP_1)
	v_add_nc_u64_e32 v[8:9], v[6:7], v[8:9]
	v_add_nc_u64_e32 v[8:9], -1, v[8:9]
; %bb.30504:                            ;   in Loop: Header=BB6_30437 Depth=3
	s_or_b32 exec_lo, exec_lo, s74
	v_add_nc_u32_e32 v7, 0xffffff81, v12
	v_lshrrev_b32_e32 v9, 23, v6
	s_mov_b32 s13, exec_lo
	s_delay_alu instid0(VALU_DEP_2) | instskip(NEXT) | instid1(VALU_DEP_1)
	v_cndmask_b32_e64 v7, v7, 0xffffff82, vcc_lo
	v_add3_u32 v12, v13, v7, v9
	v_and_b32_e32 v7, 0x1fffff, v8
                                        ; implicit-def: $vgpr9
	s_delay_alu instid0(VALU_DEP_1) | instskip(SKIP_1) | instid1(VALU_DEP_2)
	v_dual_add_nc_u32 v8, 14, v12 :: v_dual_add_nc_u32 v6, v7, v6
	v_mov_b32_e32 v7, v113
	v_cmpx_ne_u32_e32 0, v8
	s_xor_b32 s13, exec_lo, s13
; %bb.30505:                            ;   in Loop: Header=BB6_30437 Depth=3
	s_delay_alu instid0(VALU_DEP_2) | instskip(SKIP_1) | instid1(VALU_DEP_1)
	v_cmp_lt_u64_e32 vcc_lo, 0xffffff, v[6:7]
	v_add_nc_u32_e32 v9, 15, v12
	v_cndmask_b32_e32 v9, v8, v9, vcc_lo
	v_cndmask_b32_e64 v8, 0, 1, vcc_lo
	s_delay_alu instid0(VALU_DEP_1)
	v_lshrrev_b64 v[6:7], v8, v[6:7]
; %bb.30506:                            ;   in Loop: Header=BB6_30437 Depth=3
	s_and_not1_saveexec_b32 s13, s13
; %bb.30507:                            ;   in Loop: Header=BB6_30437 Depth=3
	s_delay_alu instid0(VALU_DEP_1)
	v_bfe_u32 v9, v6, 23, 1
; %bb.30508:                            ;   in Loop: Header=BB6_30437 Depth=3
	s_or_b32 exec_lo, exec_lo, s13
	s_delay_alu instid0(VALU_DEP_2) | instskip(NEXT) | instid1(VALU_DEP_2)
	v_lshrrev_b64 v[6:7], 21, v[6:7]
	v_cmp_gt_i32_e32 vcc_lo, 32, v9
	v_cmp_ne_u32_e64 s13, 0, v9
                                        ; implicit-def: $vgpr8
	s_delay_alu instid0(VALU_DEP_3) | instskip(NEXT) | instid1(VALU_DEP_1)
	v_dual_cndmask_b32 v7, 0, v7 :: v_dual_cndmask_b32 v6, 3, v6
	v_cmp_ne_u64_e32 vcc_lo, 0, v[6:7]
	s_or_b32 s13, s13, vcc_lo
	s_delay_alu instid0(SALU_CYCLE_1) | instskip(NEXT) | instid1(SALU_CYCLE_1)
	s_and_saveexec_b32 s74, s13
	s_xor_b32 s13, exec_lo, s74
; %bb.30509:                            ;   in Loop: Header=BB6_30437 Depth=3
	v_min_i32_e32 v7, 31, v9
	s_delay_alu instid0(VALU_DEP_1) | instskip(NEXT) | instid1(VALU_DEP_1)
	v_lshl_or_b32 v7, v7, 2, v11
                                        ; implicit-def: $vgpr11
	v_and_or_b32 v8, v6, 3, v7
; %bb.30510:                            ;   in Loop: Header=BB6_30437 Depth=3
	s_and_not1_saveexec_b32 s13, s13
; %bb.30511:                            ;   in Loop: Header=BB6_30437 Depth=3
	v_mov_b32_e32 v8, v11
; %bb.30512:                            ;   in Loop: Header=BB6_30437 Depth=3
	s_or_b32 exec_lo, exec_lo, s13
.LBB6_30513:                            ;   in Loop: Header=BB6_30437 Depth=3
	s_delay_alu instid0(SALU_CYCLE_1)
	s_or_b32 exec_lo, exec_lo, s73
                                        ; implicit-def: $vgpr11
.LBB6_30514:                            ;   in Loop: Header=BB6_30437 Depth=3
	s_and_not1_saveexec_b32 s13, s15
; %bb.30515:                            ;   in Loop: Header=BB6_30437 Depth=3
	v_or_b32_e32 v8, 0x7b, v11
; %bb.30516:                            ;   in Loop: Header=BB6_30437 Depth=3
	s_or_b32 exec_lo, exec_lo, s13
                                        ; implicit-def: $vgpr9
                                        ; implicit-def: $vgpr6_vgpr7
.LBB6_30517:                            ;   in Loop: Header=BB6_30437 Depth=3
	s_and_not1_saveexec_b32 s13, s14
	s_cbranch_execz .LBB6_30436
; %bb.30518:                            ;   in Loop: Header=BB6_30437 Depth=3
	s_mov_b32 s14, exec_lo
                                        ; implicit-def: $vgpr8
	v_cmpx_ne_u64_e32 0, v[6:7]
	s_xor_b32 s14, exec_lo, s14
; %bb.30519:                            ;   in Loop: Header=BB6_30437 Depth=3
	v_lshrrev_b32_e32 v6, 24, v9
                                        ; implicit-def: $vgpr9
	s_delay_alu instid0(VALU_DEP_1)
	v_or_b32_e32 v8, 0x7f, v6
; %bb.30520:                            ;   in Loop: Header=BB6_30437 Depth=3
	s_and_not1_saveexec_b32 s14, s14
	s_cbranch_execz .LBB6_30435
; %bb.30521:                            ;   in Loop: Header=BB6_30437 Depth=3
	v_cmp_lt_i32_e32 vcc_lo, -1, v9
	v_cndmask_b32_e64 v8, -4, 0x7c, vcc_lo
	s_branch .LBB6_30435
.LBB6_30522:                            ;   in Loop: Header=BB6_14108 Depth=2
	s_or_b32 exec_lo, exec_lo, s42
.LBB6_30523:                            ;   in Loop: Header=BB6_14108 Depth=2
	scratch_load_b32 v0, off, s33 offset:432 th:TH_LOAD_LU ; 4-byte Folded Reload
	s_wait_loadcnt 0x0
	v_cmp_lt_i32_e64 s13, 0, v0
	s_wait_xcnt 0x0
	s_and_saveexec_b32 s14, s2
	s_cbranch_execnz .LBB6_30524
; %bb.31240:                            ;   in Loop: Header=BB6_14108 Depth=2
	s_add_pc_i64 .LBB6_14184-.Lpost_addpc90
.Lpost_addpc90:
.LBB6_30524:                            ;   in Loop: Header=BB6_14108 Depth=2
	s_and_saveexec_b32 s15, s3
	s_delay_alu instid0(SALU_CYCLE_1)
	s_xor_b32 s15, exec_lo, s15
	s_cbranch_execz .LBB6_30539
; %bb.30525:                            ;   in Loop: Header=BB6_14108 Depth=2
	s_and_saveexec_b32 s42, s6
	s_cbranch_execz .LBB6_30538
; %bb.30526:                            ;   in Loop: Header=BB6_14108 Depth=2
	s_mov_b32 s73, exec_lo
	s_mov_b32 s43, exec_lo
	v_mbcnt_lo_u32_b32 v0, s73, 0
	global_wb scope:SCOPE_DEV
	s_wait_storecnt 0x0
	s_wait_loadcnt_dscnt 0x0
	global_inv scope:SCOPE_DEV
	v_cmpx_eq_u32_e32 0, v0
	s_cbranch_execz .LBB6_30528
; %bb.30527:                            ;   in Loop: Header=BB6_14108 Depth=2
	s_bcnt1_i32_b32 s73, s73
	s_delay_alu instid0(SALU_CYCLE_1)
	v_dual_mov_b32 v1, v113 :: v_dual_mov_b32 v0, s73
	s_wait_loadcnt 0x0
	ds_add_u64 v0, v[0:1]
	s_trap 2
.LBB6_30528:                            ;   in Loop: Header=BB6_14108 Depth=2
	s_or_b32 exec_lo, exec_lo, s43
	s_trap 2
	ds_load_b64 v[0:1], v0
	s_wait_dscnt 0x0
	s_clause 0x1
	scratch_load_b64 v[2:3], off, s33 offset:208 th:TH_LOAD_LU
	scratch_load_b64 v[4:5], off, s33 offset:272
	s_mov_b32 s43, exec_lo
	s_wait_loadcnt 0x0
	v_add_nc_u64_e32 v[2:3], v[2:3], v[4:5]
	scratch_store_b64 off, v[2:3], s33 offset:208 ; 8-byte Folded Spill
	s_wait_xcnt 0x0
	v_cmpx_lt_u64_e64 v[0:1], v[2:3]
	s_cbranch_execz .LBB6_30537
; %bb.30529:                            ;   in Loop: Header=BB6_14108 Depth=2
	s_mov_b32 s73, 0
	s_mov_b32 s76, 0
                                        ; implicit-def: $sgpr74
                                        ; implicit-def: $sgpr75
	s_branch .LBB6_30531
.LBB6_30530:                            ;   in Loop: Header=BB6_30531 Depth=3
	s_wait_xcnt 0x0
	s_or_b32 exec_lo, exec_lo, s78
	s_delay_alu instid0(SALU_CYCLE_1) | instskip(NEXT) | instid1(SALU_CYCLE_1)
	s_and_b32 s77, exec_lo, s79
	s_or_b32 s73, s77, s73
	s_and_not1_b32 s74, s74, exec_lo
	s_and_b32 s77, s75, exec_lo
	s_delay_alu instid0(SALU_CYCLE_1)
	s_or_b32 s74, s74, s77
	s_and_not1_b32 exec_lo, exec_lo, s73
	s_cbranch_execz .LBB6_30535
.LBB6_30531:                            ;   Parent Loop BB6_47 Depth=1
                                        ;     Parent Loop BB6_14108 Depth=2
                                        ; =>    This Inner Loop Header: Depth=3
	s_add_co_i32 s76, s76, 1
	s_delay_alu instid0(SALU_CYCLE_1) | instskip(SKIP_1) | instid1(SALU_CYCLE_1)
	s_cmp_lg_u32 s76, 0x2710
	s_cselect_b32 s77, -1, 0
	s_and_b32 vcc_lo, exec_lo, s77
	s_cbranch_vccz .LBB6_30533
; %bb.30532:                            ;   in Loop: Header=BB6_30531 Depth=3
	s_mov_b32 s79, -1
	s_or_b32 s75, s75, exec_lo
	s_and_saveexec_b32 s78, s77
	s_cbranch_execz .LBB6_30530
	s_branch .LBB6_30534
.LBB6_30533:                            ;   in Loop: Header=BB6_30531 Depth=3
	s_trap 2
	ds_load_b64 v[0:1], v0
	s_and_not1_b32 s77, s77, exec_lo
	s_mov_b32 s76, 0
	s_wait_storecnt_dscnt 0x0
	flat_load_b32 v0, v[0:1] scope:SCOPE_SYS
	s_wait_loadcnt_dscnt 0x0
	global_inv scope:SCOPE_SYS
	v_cmp_eq_u32_e32 vcc_lo, 0, v0
	s_and_b32 s78, vcc_lo, exec_lo
	s_delay_alu instid0(SALU_CYCLE_1)
	s_or_b32 s77, s77, s78
	s_mov_b32 s79, -1
	s_or_b32 s75, s75, exec_lo
	s_wait_xcnt 0x0
	s_and_saveexec_b32 s78, s77
	s_cbranch_execz .LBB6_30530
.LBB6_30534:                            ;   in Loop: Header=BB6_30531 Depth=3
	s_sleep 1
	s_trap 2
	ds_load_b64 v[0:1], v0
	s_wait_dscnt 0x0
	scratch_load_b64 v[2:3], off, s33 offset:208 ; 8-byte Folded Reload
	s_and_not1_b32 s75, s75, exec_lo
	s_wait_loadcnt 0x0
	v_cmp_ge_u64_e32 vcc_lo, v[0:1], v[2:3]
	s_or_not1_b32 s79, vcc_lo, exec_lo
	s_branch .LBB6_30530
.LBB6_30535:                            ;   in Loop: Header=BB6_14108 Depth=2
	s_or_b32 exec_lo, exec_lo, s73
	s_and_saveexec_b32 s73, s74
	s_delay_alu instid0(SALU_CYCLE_1)
	s_xor_b32 s73, exec_lo, s73
	s_cbranch_execz .LBB6_30537
; %bb.30536:                            ;   in Loop: Header=BB6_14108 Depth=2
	v_mov_b32_e32 v0, 1
	ds_store_b32 v0, v0
	s_trap 2
.LBB6_30537:                            ;   in Loop: Header=BB6_14108 Depth=2
	s_or_b32 exec_lo, exec_lo, s43
	;;#ASMSTART
	s_wakeup
	;;#ASMEND
.LBB6_30538:                            ;   in Loop: Header=BB6_14108 Depth=2
	s_or_b32 exec_lo, exec_lo, s42
.LBB6_30539:                            ;   in Loop: Header=BB6_14108 Depth=2
	s_and_not1_saveexec_b32 s15, s15
	s_cbranch_execz .LBB6_30541
; %bb.30540:                            ;   in Loop: Header=BB6_14108 Depth=2
	global_wb scope:SCOPE_DEV
	s_wait_storecnt 0x0
	s_wait_loadcnt_dscnt 0x0
	global_inv scope:SCOPE_DEV
	s_barrier_signal -1
	s_barrier_wait -1
.LBB6_30541:                            ;   in Loop: Header=BB6_14108 Depth=2
	s_or_b32 exec_lo, exec_lo, s15
	s_delay_alu instid0(SALU_CYCLE_1) | instskip(SKIP_1) | instid1(SALU_CYCLE_1)
	s_or_b32 exec_lo, exec_lo, s14
                                        ; implicit-def: $vgpr0
	s_and_saveexec_b32 s14, s12
	s_xor_b32 s14, exec_lo, s14
	s_cbranch_execz .LBB6_30542
; %bb.31242:                            ;   in Loop: Header=BB6_14108 Depth=2
	s_add_pc_i64 .LBB6_14185-.Lpost_addpc91
.Lpost_addpc91:
.LBB6_30542:                            ;   in Loop: Header=BB6_14108 Depth=2
	s_and_not1_saveexec_b32 s13, s14
	s_cbranch_execz .LBB6_30561
.LBB6_30543:                            ;   in Loop: Header=BB6_14108 Depth=2
	s_and_saveexec_b32 s14, s3
	s_delay_alu instid0(SALU_CYCLE_1)
	s_xor_b32 s14, exec_lo, s14
	s_cbranch_execz .LBB6_30558
; %bb.30544:                            ;   in Loop: Header=BB6_14108 Depth=2
	s_and_saveexec_b32 s15, s6
	s_cbranch_execz .LBB6_30557
; %bb.30545:                            ;   in Loop: Header=BB6_14108 Depth=2
	s_mov_b32 s43, exec_lo
	s_mov_b32 s42, exec_lo
	v_mbcnt_lo_u32_b32 v0, s43, 0
	;;#ASMSTART
	s_waitcnt lgkmcnt(0) vmcnt(0)
	;;#ASMEND
	s_delay_alu instid0(VALU_DEP_1)
	v_cmpx_eq_u32_e32 0, v0
	s_cbranch_execz .LBB6_30547
; %bb.30546:                            ;   in Loop: Header=BB6_14108 Depth=2
	s_bcnt1_i32_b32 s43, s43
	s_delay_alu instid0(SALU_CYCLE_1)
	v_dual_mov_b32 v1, v113 :: v_dual_mov_b32 v0, s43
	s_wait_storecnt 0x0
	s_wait_loadcnt_dscnt 0x0
	ds_add_u64 v0, v[0:1]
	s_trap 2
.LBB6_30547:                            ;   in Loop: Header=BB6_14108 Depth=2
	s_or_b32 exec_lo, exec_lo, s42
	s_trap 2
	ds_load_b64 v[0:1], v0
	s_wait_dscnt 0x0
	s_clause 0x1
	scratch_load_b64 v[2:3], off, s33 offset:208 th:TH_LOAD_LU
	scratch_load_b64 v[4:5], off, s33 offset:272
	s_mov_b32 s42, exec_lo
	s_wait_loadcnt 0x0
	v_add_nc_u64_e32 v[2:3], v[2:3], v[4:5]
	scratch_store_b64 off, v[2:3], s33 offset:208 ; 8-byte Folded Spill
	s_wait_xcnt 0x0
	v_cmpx_lt_u64_e64 v[0:1], v[2:3]
	s_cbranch_execz .LBB6_30556
; %bb.30548:                            ;   in Loop: Header=BB6_14108 Depth=2
	s_mov_b32 s43, 0
	s_mov_b32 s75, 0
                                        ; implicit-def: $sgpr73
                                        ; implicit-def: $sgpr74
	s_branch .LBB6_30550
.LBB6_30549:                            ;   in Loop: Header=BB6_30550 Depth=3
	s_wait_xcnt 0x0
	s_or_b32 exec_lo, exec_lo, s77
	s_delay_alu instid0(SALU_CYCLE_1) | instskip(NEXT) | instid1(SALU_CYCLE_1)
	s_and_b32 s76, exec_lo, s78
	s_or_b32 s43, s76, s43
	s_and_not1_b32 s73, s73, exec_lo
	s_and_b32 s76, s74, exec_lo
	s_delay_alu instid0(SALU_CYCLE_1)
	s_or_b32 s73, s73, s76
	s_and_not1_b32 exec_lo, exec_lo, s43
	s_cbranch_execz .LBB6_30554
.LBB6_30550:                            ;   Parent Loop BB6_47 Depth=1
                                        ;     Parent Loop BB6_14108 Depth=2
                                        ; =>    This Inner Loop Header: Depth=3
	s_add_co_i32 s75, s75, 1
	s_delay_alu instid0(SALU_CYCLE_1) | instskip(SKIP_1) | instid1(SALU_CYCLE_1)
	s_cmp_lg_u32 s75, 0x2710
	s_cselect_b32 s76, -1, 0
	s_and_b32 vcc_lo, exec_lo, s76
	s_cbranch_vccz .LBB6_30552
; %bb.30551:                            ;   in Loop: Header=BB6_30550 Depth=3
	s_mov_b32 s78, -1
	s_or_b32 s74, s74, exec_lo
	s_and_saveexec_b32 s77, s76
	s_cbranch_execz .LBB6_30549
	s_branch .LBB6_30553
.LBB6_30552:                            ;   in Loop: Header=BB6_30550 Depth=3
	s_trap 2
	ds_load_b64 v[0:1], v0
	s_and_not1_b32 s76, s76, exec_lo
	s_mov_b32 s75, 0
	s_wait_storecnt_dscnt 0x0
	flat_load_b32 v0, v[0:1] scope:SCOPE_SYS
	s_wait_loadcnt_dscnt 0x0
	global_inv scope:SCOPE_SYS
	v_cmp_eq_u32_e32 vcc_lo, 0, v0
	s_and_b32 s77, vcc_lo, exec_lo
	s_delay_alu instid0(SALU_CYCLE_1)
	s_or_b32 s76, s76, s77
	s_mov_b32 s78, -1
	s_or_b32 s74, s74, exec_lo
	s_wait_xcnt 0x0
	s_and_saveexec_b32 s77, s76
	s_cbranch_execz .LBB6_30549
.LBB6_30553:                            ;   in Loop: Header=BB6_30550 Depth=3
	s_sleep 1
	s_trap 2
	ds_load_b64 v[0:1], v0
	s_wait_dscnt 0x0
	scratch_load_b64 v[2:3], off, s33 offset:208 ; 8-byte Folded Reload
	s_and_not1_b32 s74, s74, exec_lo
	s_wait_loadcnt 0x0
	v_cmp_ge_u64_e32 vcc_lo, v[0:1], v[2:3]
	s_or_not1_b32 s78, vcc_lo, exec_lo
	s_branch .LBB6_30549
.LBB6_30554:                            ;   in Loop: Header=BB6_14108 Depth=2
	s_or_b32 exec_lo, exec_lo, s43
	s_and_saveexec_b32 s43, s73
	s_delay_alu instid0(SALU_CYCLE_1)
	s_xor_b32 s43, exec_lo, s43
	s_cbranch_execz .LBB6_30556
; %bb.30555:                            ;   in Loop: Header=BB6_14108 Depth=2
	v_mov_b32_e32 v0, 1
	ds_store_b32 v0, v0
	s_trap 2
.LBB6_30556:                            ;   in Loop: Header=BB6_14108 Depth=2
	s_or_b32 exec_lo, exec_lo, s42
	;;#ASMSTART
	s_wakeup
	;;#ASMEND
.LBB6_30557:                            ;   in Loop: Header=BB6_14108 Depth=2
	s_or_b32 exec_lo, exec_lo, s15
.LBB6_30558:                            ;   in Loop: Header=BB6_14108 Depth=2
	s_and_not1_saveexec_b32 s14, s14
	s_cbranch_execz .LBB6_30560
; %bb.30559:                            ;   in Loop: Header=BB6_14108 Depth=2
	;;#ASMSTART
	s_waitcnt lgkmcnt(0) vmcnt(0)
	;;#ASMEND
	s_barrier_signal -1
	s_barrier_wait -1
.LBB6_30560:                            ;   in Loop: Header=BB6_14108 Depth=2
	s_or_b32 exec_lo, exec_lo, s14
	scratch_load_b32 v0, off, s33 offset:204 ; 4-byte Folded Reload
	s_wait_loadcnt 0x0
	v_and_b32_e32 v0, 16, v0
.LBB6_30561:                            ;   in Loop: Header=BB6_14108 Depth=2
	s_wait_xcnt 0x0
	s_or_b32 exec_lo, exec_lo, s13
	s_delay_alu instid0(VALU_DEP_1) | instskip(SKIP_1) | instid1(SALU_CYCLE_1)
	v_cmp_ne_u32_e32 vcc_lo, 0, v0
	s_xor_b32 s13, s4, -1
	s_and_b32 s14, vcc_lo, s13
	s_delay_alu instid0(SALU_CYCLE_1)
	s_and_saveexec_b32 s13, s14
	s_cbranch_execz .LBB6_30563
; %bb.30562:                            ;   in Loop: Header=BB6_14108 Depth=2
	scratch_load_b64 v[0:1], off, s33 offset:328 ; 8-byte Folded Reload
	v_mov_b32_e32 v2, 1
	global_wb scope:SCOPE_SYS
	s_wait_storecnt 0x0
	s_wait_xcnt 0x0
	s_wait_loadcnt_dscnt 0x0
	flat_store_b32 v[0:1], v2 scope:SCOPE_SYS
.LBB6_30563:                            ;   in Loop: Header=BB6_14108 Depth=2
	s_wait_xcnt 0x0
	s_or_b32 exec_lo, exec_lo, s13
	scratch_load_b32 v0, off, s33 offset:204 ; 4-byte Folded Reload
	s_mov_b32 s13, exec_lo
	s_wait_loadcnt 0x0
	v_and_b32_e32 v0, 48, v0
	s_wait_xcnt 0x0
	s_delay_alu instid0(VALU_DEP_1)
	v_cmpx_ne_u32_e32 0, v0
	s_cbranch_execnz .LBB6_30564
; %bb.31244:                            ;   in Loop: Header=BB6_14108 Depth=2
	s_add_pc_i64 .LBB6_14107-.Lpost_addpc92
.Lpost_addpc92:
.LBB6_30564:                            ;   in Loop: Header=BB6_14108 Depth=2
	s_clause 0x1
	scratch_load_b64 v[2:3], off, s33 offset:264 th:TH_LOAD_LU
	scratch_load_b64 v[0:1], off, s33 offset:196
	s_wait_loadcnt 0x1
	v_add_nc_u64_e32 v[2:3], 2, v[2:3]
	scratch_store_b64 off, v[2:3], s33 offset:264 ; 8-byte Folded Spill
	global_wb scope:SCOPE_SYS
	s_wait_storecnt 0x0
	s_wait_xcnt 0x0
	s_wait_loadcnt_dscnt 0x0
	flat_store_b64 v[0:1], v[2:3] scope:SCOPE_SYS
; %bb.31164:                            ;   in Loop: Header=BB6_14108 Depth=2
	s_add_pc_i64 .LBB6_14107-.Lpost_addpc52
.Lpost_addpc52:
.LBB6_30565:                            ;   in Loop: Header=BB6_47 Depth=1
	s_or_b32 exec_lo, exec_lo, s29
.LBB6_30566:                            ;   in Loop: Header=BB6_47 Depth=1
	s_delay_alu instid0(SALU_CYCLE_1) | instskip(NEXT) | instid1(SALU_CYCLE_1)
	s_or_b32 exec_lo, exec_lo, s18
	s_mov_b32 s14, exec_lo
	v_cmpx_gt_i32_e32 2, v2
	s_cbranch_execz .LBB6_30642
; %bb.30567:                            ;   in Loop: Header=BB6_47 Depth=1
	s_clause 0x1
	scratch_load_b64 v[10:11], off, s33 offset:412
	scratch_load_b64 v[0:1], off, s33 offset:352
	v_cmp_eq_u32_e64 s18, 0, v2
	s_mov_b32 s15, 0
	s_branch .LBB6_30569
.LBB6_30568:                            ;   in Loop: Header=BB6_30569 Depth=2
	s_wait_xcnt 0x0
	s_or_b32 exec_lo, exec_lo, s13
	v_mov_b32_e32 v0, v12
	s_mov_b32 s18, 0
	s_delay_alu instid0(VALU_DEP_1)
	v_add_nc_u32_e32 v0, v10, v0
	s_and_not1_b32 exec_lo, exec_lo, s15
	s_cbranch_execz .LBB6_30641
.LBB6_30569:                            ;   Parent Loop BB6_47 Depth=1
                                        ; =>  This Loop Header: Depth=2
                                        ;       Child Loop BB6_30575 Depth 3
                                        ;       Child Loop BB6_30603 Depth 3
	;; [unrolled: 1-line block ×3, first 2 shown]
	s_wait_loadcnt 0x0
	scratch_load_b32 v1, off, s33 offset:204 ; 4-byte Folded Reload
	v_dual_mov_b32 v12, v0 :: v_dual_sub_nc_u32 v0, v61, v0
	s_mov_b32 s29, exec_lo
	s_delay_alu instid0(VALU_DEP_1) | instskip(SKIP_3) | instid1(VALU_DEP_1)
	v_min_i32_e32 v10, v10, v0
	s_wait_loadcnt 0x0
	v_and_b32_e32 v1, 12, v1
	s_wait_xcnt 0x0
	v_cmpx_ne_u32_e32 0, v1
	s_cbranch_execz .LBB6_30595
; %bb.30570:                            ;   in Loop: Header=BB6_30569 Depth=2
	scratch_load_b32 v0, off, s33 offset:204 ; 4-byte Folded Reload
	s_mov_b32 s42, exec_lo
	s_wait_loadcnt 0x0
	v_dual_mov_b32 v3, v113 :: v_dual_bitop2_b32 v2, 8, v0 bitop3:0x40
	scratch_load_b64 v[0:1], off, s33 offset:188 ; 8-byte Folded Reload
	s_wait_loadcnt 0x0
	v_add_nc_u64_e32 v[4:5], v[0:1], v[2:3]
	scratch_load_b64 v[0:1], off, s33 offset:264 ; 8-byte Folded Reload
	s_wait_loadcnt 0x0
	v_add_nc_u64_e32 v[0:1], 2, v[0:1]
	s_wait_xcnt 0x0
	s_delay_alu instid0(VALU_DEP_1)
	v_cmpx_lt_u64_e64 v[4:5], v[0:1]
	s_cbranch_execz .LBB6_30582
; %bb.30571:                            ;   in Loop: Header=BB6_30569 Depth=2
	scratch_load_b32 v4, off, s33 offset:204 ; 4-byte Folded Reload
	s_mov_b32 s43, 0
	s_mov_b32 s74, 0
                                        ; implicit-def: $sgpr63
                                        ; implicit-def: $sgpr72
                                        ; implicit-def: $sgpr73
	s_wait_loadcnt 0x0
	v_and_b32_e32 v4, 64, v4
	s_delay_alu instid0(VALU_DEP_1)
	v_cmp_eq_u32_e32 vcc_lo, 0, v4
	s_branch .LBB6_30575
.LBB6_30572:                            ;   in Loop: Header=BB6_30575 Depth=3
	scratch_load_b64 v[6:7], off, s33 offset:188 ; 8-byte Folded Reload
	s_or_b32 s77, s77, exec_lo
	s_wait_loadcnt 0x0
	v_add_nc_u64_e32 v[6:7], v[6:7], v[2:3]
	s_delay_alu instid0(VALU_DEP_1)
	v_cmp_ge_u64_e64 s13, v[6:7], v[0:1]
	s_or_not1_b32 s76, s13, exec_lo
.LBB6_30573:                            ;   in Loop: Header=BB6_30575 Depth=3
	s_wait_xcnt 0x0
	s_or_b32 exec_lo, exec_lo, s79
	s_delay_alu instid0(SALU_CYCLE_1)
	s_and_not1_b32 s13, s73, exec_lo
	s_and_b32 s73, s77, exec_lo
	s_and_not1_b32 s72, s72, exec_lo
	s_and_b32 s76, s76, exec_lo
	s_or_b32 s73, s13, s73
	s_or_b32 s72, s72, s76
.LBB6_30574:                            ;   in Loop: Header=BB6_30575 Depth=3
	s_or_b32 exec_lo, exec_lo, s75
	s_delay_alu instid0(SALU_CYCLE_1) | instskip(NEXT) | instid1(SALU_CYCLE_1)
	s_and_b32 s13, exec_lo, s72
	s_or_b32 s43, s13, s43
	s_and_not1_b32 s13, s63, exec_lo
	s_and_b32 s63, s73, exec_lo
	s_delay_alu instid0(SALU_CYCLE_1)
	s_or_b32 s63, s13, s63
	s_and_not1_b32 exec_lo, exec_lo, s43
	s_cbranch_execz .LBB6_30579
.LBB6_30575:                            ;   Parent Loop BB6_47 Depth=1
                                        ;     Parent Loop BB6_30569 Depth=2
                                        ; =>    This Inner Loop Header: Depth=3
	s_sleep 1
	scratch_load_b64 v[4:5], off, s33 offset:196 ; 8-byte Folded Reload
	s_or_b32 s73, s73, exec_lo
	s_or_b32 s72, s72, exec_lo
	s_wait_loadcnt 0x0
	flat_load_b64 v[4:5], v[4:5] scope:SCOPE_SYS
	s_wait_loadcnt_dscnt 0x0
	scratch_store_b64 off, v[4:5], s33 offset:188 ; 8-byte Folded Spill
                                        ; implicit-def: $vgpr4
	s_wait_xcnt 0x0
	s_and_saveexec_b32 s75, vcc_lo
	s_cbranch_execz .LBB6_30574
; %bb.30576:                            ;   in Loop: Header=BB6_30575 Depth=3
	s_cmp_lt_i32 s74, 0x270f
	s_mov_b32 s76, -1
	s_cselect_b32 s78, -1, 0
	s_cmp_gt_i32 s74, 0x270e
	s_cbranch_scc0 .LBB6_30578
; %bb.30577:                            ;   in Loop: Header=BB6_30575 Depth=3
	s_trap 2
	ds_load_b64 v[4:5], v0
	s_and_not1_b32 s74, s78, exec_lo
	s_mov_b32 s77, 0
	s_wait_storecnt_dscnt 0x0
	flat_load_b32 v4, v[4:5] scope:SCOPE_SYS
	s_wait_loadcnt_dscnt 0x0
	global_inv scope:SCOPE_SYS
	v_cmp_eq_u32_e64 s13, 0, v4
	s_and_b32 s13, s13, exec_lo
	s_delay_alu instid0(SALU_CYCLE_1)
	s_or_b32 s78, s74, s13
	s_mov_b32 s74, 0
	s_wait_xcnt 0x0
	s_and_saveexec_b32 s79, s78
	s_cbranch_execz .LBB6_30573
	s_branch .LBB6_30572
.LBB6_30578:                            ;   in Loop: Header=BB6_30575 Depth=3
	s_add_co_i32 s74, s74, 1
	s_mov_b32 s77, -1
                                        ; implicit-def: $vgpr4
	s_and_saveexec_b32 s79, s78
	s_cbranch_execz .LBB6_30573
	s_branch .LBB6_30572
.LBB6_30579:                            ;   in Loop: Header=BB6_30569 Depth=2
	s_or_b32 exec_lo, exec_lo, s43
	s_xor_b32 s13, s63, -1
	s_delay_alu instid0(SALU_CYCLE_1) | instskip(NEXT) | instid1(SALU_CYCLE_1)
	s_and_saveexec_b32 s43, s13
	s_xor_b32 s13, exec_lo, s43
	s_cbranch_execz .LBB6_30581
; %bb.30580:                            ;   in Loop: Header=BB6_30569 Depth=2
	scratch_load_b32 v3, off, s33 offset:204 ; 4-byte Folded Reload
	s_wait_loadcnt 0x0
	v_or_b32_e32 v3, 64, v3
	scratch_store_b32 off, v3, s33 offset:204 ; 4-byte Folded Spill
	s_wait_storecnt 0x0
	ds_store_b32 v0, v4
	s_trap 2
.LBB6_30581:                            ;   in Loop: Header=BB6_30569 Depth=2
	s_wait_xcnt 0x0
	s_or_b32 exec_lo, exec_lo, s13
.LBB6_30582:                            ;   in Loop: Header=BB6_30569 Depth=2
	s_delay_alu instid0(SALU_CYCLE_1)
	s_or_b32 exec_lo, exec_lo, s42
	scratch_load_b32 v3, off, s33 offset:204 ; 4-byte Folded Reload
	s_mov_b32 s13, exec_lo
	;;#ASMSTART
	s_wakeup
	;;#ASMEND
                                        ; implicit-def: $vgpr4_vgpr5
	s_wait_loadcnt 0x0
	v_and_b32_e32 v3, 0x108, v3
	s_wait_xcnt 0x0
	s_delay_alu instid0(VALU_DEP_1)
	v_cmpx_ne_u32_e32 0x108, v3
	s_xor_b32 s13, exec_lo, s13
	s_cbranch_execz .LBB6_30584
; %bb.30583:                            ;   in Loop: Header=BB6_30569 Depth=2
	scratch_load_b64 v[4:5], off, s33 offset:264 th:TH_LOAD_LU ; 8-byte Folded Reload
                                        ; implicit-def: $vgpr6_vgpr7
                                        ; kill: killed $vgpr6_vgpr7
	s_wait_loadcnt 0x0
	v_dual_mov_b32 v5, v113 :: v_dual_bitop2_b32 v4, 7, v4 bitop3:0x40
.LBB6_30584:                            ;   in Loop: Header=BB6_30569 Depth=2
	s_wait_xcnt 0x0
	s_and_not1_saveexec_b32 s13, s13
	s_cbranch_execz .LBB6_30586
; %bb.30585:                            ;   in Loop: Header=BB6_30569 Depth=2
	s_clause 0x1
	scratch_load_b64 v[4:5], off, s33 offset:264 th:TH_LOAD_LU
	scratch_load_b128 v[6:9], off, s33 offset:312
	s_wait_loadcnt 0x0
	v_dual_mov_b32 v8, v10 :: v_dual_mov_b32 v5, v113
	s_delay_alu instid0(VALU_DEP_1) | instskip(SKIP_1) | instid1(VALU_DEP_1)
	v_ashrrev_i32_e32 v9, 31, v8
	v_and_b32_e32 v4, 7, v4
	v_mad_nc_u64_u32 v[6:7], v4, 24, v[6:7]
	flat_store_b64 v[6:7], v[8:9] offset:8
.LBB6_30586:                            ;   in Loop: Header=BB6_30569 Depth=2
	s_wait_xcnt 0x0
	s_or_b32 exec_lo, exec_lo, s13
	scratch_load_b32 v3, off, s33 offset:204 ; 4-byte Folded Reload
	s_mov_b32 s13, -1
	s_mov_b32 s42, exec_lo
                                        ; implicit-def: $vgpr6_vgpr7
	s_wait_loadcnt 0x0
	v_and_b32_e32 v3, 0x100, v3
	s_wait_xcnt 0x0
	s_delay_alu instid0(VALU_DEP_1)
	v_cmpx_ne_u32_e32 0, v3
	s_cbranch_execz .LBB6_30590
; %bb.30587:                            ;   in Loop: Header=BB6_30569 Depth=2
	scratch_load_b128 v[6:9], off, s33 offset:312 ; 16-byte Folded Reload
	s_mov_b32 s43, exec_lo
	s_wait_loadcnt 0x0
	v_mad_nc_u64_u32 v[8:9], v4, 24, v[6:7]
                                        ; implicit-def: $vgpr6_vgpr7
	s_delay_alu instid0(VALU_DEP_1)
	v_mad_u32 v9, v5, 24, v9
	flat_load_b32 v3, v[8:9]
	s_wait_loadcnt_dscnt 0x0
	v_cmp_ne_u32_e32 vcc_lo, 1, v3
	s_wait_xcnt 0x0
	v_cmpx_eq_u32_e32 1, v3
	s_cbranch_execz .LBB6_30589
; %bb.30588:                            ;   in Loop: Header=BB6_30569 Depth=2
	flat_load_b32 v6, v[8:9] offset:4 scope:SCOPE_SYS
	s_wait_loadcnt_dscnt 0x0
	v_ashrrev_i32_e32 v7, 31, v6
.LBB6_30589:                            ;   in Loop: Header=BB6_30569 Depth=2
	s_wait_xcnt 0x0
	s_or_b32 exec_lo, exec_lo, s43
	s_delay_alu instid0(SALU_CYCLE_1)
	s_or_not1_b32 s13, vcc_lo, exec_lo
.LBB6_30590:                            ;   in Loop: Header=BB6_30569 Depth=2
	s_or_b32 exec_lo, exec_lo, s42
	s_and_saveexec_b32 s42, s13
	s_cbranch_execz .LBB6_30592
; %bb.30591:                            ;   in Loop: Header=BB6_30569 Depth=2
	scratch_load_b64 v[6:7], off, s33 offset:360 ; 8-byte Folded Reload
	s_wait_loadcnt 0x0
	v_mul_u64_e32 v[6:7], v[4:5], v[6:7]
.LBB6_30592:                            ;   in Loop: Header=BB6_30569 Depth=2
	s_wait_xcnt 0x0
	s_or_b32 exec_lo, exec_lo, s42
	v_cmp_eq_u32_e32 vcc_lo, 0, v2
	v_mov_b32_e32 v2, 0x90
	s_mov_b32 s13, exec_lo
	s_delay_alu instid0(VALU_DEP_1)
	v_cndmask_b32_e32 v4, 0xd0, v2, vcc_lo
	scratch_load_b32 v2, off, s33 offset:204 ; 4-byte Folded Reload
	v_add_nc_u32_e32 v4, v0, v4
	s_wait_loadcnt 0x0
	v_and_b32_e32 v5, 0x2000, v2
	scratch_load_b64 v[2:3], off, s33 offset:304 ; 8-byte Folded Reload
	s_wait_loadcnt 0x0
	v_add_nc_u64_e32 v[2:3], v[2:3], v[6:7]
	ds_store_b64 v4, v[2:3] offset:584
	s_wait_xcnt 0x0
	v_cmpx_ne_u32_e32 0, v5
	s_cbranch_execz .LBB6_30594
; %bb.30593:                            ;   in Loop: Header=BB6_30569 Depth=2
	ds_load_b64 v[2:3], v0 offset:872
	s_wait_dscnt 0x0
	v_add_nc_u64_e32 v[2:3], 1, v[2:3]
	ds_store_b64 v0, v[2:3] offset:872
.LBB6_30594:                            ;   in Loop: Header=BB6_30569 Depth=2
	s_or_b32 exec_lo, exec_lo, s13
	scratch_store_b64 off, v[0:1], s33 offset:264 ; 8-byte Folded Spill
.LBB6_30595:                            ;   in Loop: Header=BB6_30569 Depth=2
	s_wait_xcnt 0x0
	s_or_b32 exec_lo, exec_lo, s29
	s_xor_b32 s13, s18, -1
	s_delay_alu instid0(SALU_CYCLE_1) | instskip(NEXT) | instid1(SALU_CYCLE_1)
	s_and_b32 s13, exec_lo, s13
	s_or_b32 s15, s13, s15
	s_and_saveexec_b32 s13, s2
	s_cbranch_execz .LBB6_30614
; %bb.30596:                            ;   in Loop: Header=BB6_30569 Depth=2
	s_and_saveexec_b32 s18, s3
	s_delay_alu instid0(SALU_CYCLE_1)
	s_xor_b32 s18, exec_lo, s18
	s_cbranch_execz .LBB6_30611
; %bb.30597:                            ;   in Loop: Header=BB6_30569 Depth=2
	s_and_saveexec_b32 s29, s6
	s_cbranch_execz .LBB6_30610
; %bb.30598:                            ;   in Loop: Header=BB6_30569 Depth=2
	s_mov_b32 s43, exec_lo
	s_mov_b32 s42, exec_lo
	v_mbcnt_lo_u32_b32 v0, s43, 0
	global_wb scope:SCOPE_DEV
	s_wait_storecnt_dscnt 0x0
	global_inv scope:SCOPE_DEV
	v_cmpx_eq_u32_e32 0, v0
	s_cbranch_execz .LBB6_30600
; %bb.30599:                            ;   in Loop: Header=BB6_30569 Depth=2
	s_bcnt1_i32_b32 s43, s43
	s_delay_alu instid0(SALU_CYCLE_1)
	v_dual_mov_b32 v1, v113 :: v_dual_mov_b32 v0, s43
	s_wait_loadcnt 0x0
	ds_add_u64 v0, v[0:1]
	s_trap 2
.LBB6_30600:                            ;   in Loop: Header=BB6_30569 Depth=2
	s_or_b32 exec_lo, exec_lo, s42
	s_trap 2
	ds_load_b64 v[0:1], v0
	s_wait_dscnt 0x0
	s_clause 0x1
	scratch_load_b64 v[2:3], off, s33 offset:208 th:TH_LOAD_LU
	scratch_load_b64 v[4:5], off, s33 offset:272
	s_mov_b32 s42, exec_lo
	s_wait_loadcnt 0x0
	v_add_nc_u64_e32 v[2:3], v[2:3], v[4:5]
	scratch_store_b64 off, v[2:3], s33 offset:208 ; 8-byte Folded Spill
	s_wait_xcnt 0x0
	v_cmpx_lt_u64_e64 v[0:1], v[2:3]
	s_cbranch_execz .LBB6_30609
; %bb.30601:                            ;   in Loop: Header=BB6_30569 Depth=2
	s_mov_b32 s43, 0
	s_mov_b32 s73, 0
                                        ; implicit-def: $sgpr63
                                        ; implicit-def: $sgpr72
	s_branch .LBB6_30603
.LBB6_30602:                            ;   in Loop: Header=BB6_30603 Depth=3
	s_wait_xcnt 0x0
	s_or_b32 exec_lo, exec_lo, s75
	s_delay_alu instid0(SALU_CYCLE_1) | instskip(NEXT) | instid1(SALU_CYCLE_1)
	s_and_b32 s74, exec_lo, s76
	s_or_b32 s43, s74, s43
	s_and_not1_b32 s63, s63, exec_lo
	s_and_b32 s74, s72, exec_lo
	s_delay_alu instid0(SALU_CYCLE_1)
	s_or_b32 s63, s63, s74
	s_and_not1_b32 exec_lo, exec_lo, s43
	s_cbranch_execz .LBB6_30607
.LBB6_30603:                            ;   Parent Loop BB6_47 Depth=1
                                        ;     Parent Loop BB6_30569 Depth=2
                                        ; =>    This Inner Loop Header: Depth=3
	s_add_co_i32 s73, s73, 1
	s_delay_alu instid0(SALU_CYCLE_1) | instskip(SKIP_1) | instid1(SALU_CYCLE_1)
	s_cmp_lg_u32 s73, 0x2710
	s_cselect_b32 s74, -1, 0
	s_and_b32 vcc_lo, exec_lo, s74
	s_cbranch_vccz .LBB6_30605
; %bb.30604:                            ;   in Loop: Header=BB6_30603 Depth=3
	s_mov_b32 s76, -1
	s_or_b32 s72, s72, exec_lo
	s_and_saveexec_b32 s75, s74
	s_cbranch_execz .LBB6_30602
	s_branch .LBB6_30606
.LBB6_30605:                            ;   in Loop: Header=BB6_30603 Depth=3
	s_trap 2
	ds_load_b64 v[0:1], v0
	s_and_not1_b32 s74, s74, exec_lo
	s_mov_b32 s73, 0
	s_wait_storecnt_dscnt 0x0
	flat_load_b32 v0, v[0:1] scope:SCOPE_SYS
	s_wait_loadcnt_dscnt 0x0
	global_inv scope:SCOPE_SYS
	v_cmp_eq_u32_e32 vcc_lo, 0, v0
	s_and_b32 s75, vcc_lo, exec_lo
	s_delay_alu instid0(SALU_CYCLE_1)
	s_or_b32 s74, s74, s75
	s_mov_b32 s76, -1
	s_or_b32 s72, s72, exec_lo
	s_wait_xcnt 0x0
	s_and_saveexec_b32 s75, s74
	s_cbranch_execz .LBB6_30602
.LBB6_30606:                            ;   in Loop: Header=BB6_30603 Depth=3
	s_sleep 1
	s_trap 2
	ds_load_b64 v[0:1], v0
	s_wait_dscnt 0x0
	scratch_load_b64 v[2:3], off, s33 offset:208 ; 8-byte Folded Reload
	s_and_not1_b32 s72, s72, exec_lo
	s_wait_loadcnt 0x0
	v_cmp_ge_u64_e32 vcc_lo, v[0:1], v[2:3]
	s_or_not1_b32 s76, vcc_lo, exec_lo
	s_branch .LBB6_30602
.LBB6_30607:                            ;   in Loop: Header=BB6_30569 Depth=2
	s_or_b32 exec_lo, exec_lo, s43
	s_and_saveexec_b32 s43, s63
	s_delay_alu instid0(SALU_CYCLE_1)
	s_xor_b32 s43, exec_lo, s43
	s_cbranch_execz .LBB6_30609
; %bb.30608:                            ;   in Loop: Header=BB6_30569 Depth=2
	v_mov_b32_e32 v0, 1
	ds_store_b32 v0, v0
	s_trap 2
.LBB6_30609:                            ;   in Loop: Header=BB6_30569 Depth=2
	s_or_b32 exec_lo, exec_lo, s42
	;;#ASMSTART
	s_wakeup
	;;#ASMEND
.LBB6_30610:                            ;   in Loop: Header=BB6_30569 Depth=2
	s_or_b32 exec_lo, exec_lo, s29
.LBB6_30611:                            ;   in Loop: Header=BB6_30569 Depth=2
	s_and_not1_saveexec_b32 s18, s18
	s_cbranch_execz .LBB6_30613
; %bb.30612:                            ;   in Loop: Header=BB6_30569 Depth=2
	global_wb scope:SCOPE_DEV
	s_wait_storecnt 0x0
	s_wait_loadcnt_dscnt 0x0
	global_inv scope:SCOPE_DEV
	s_barrier_signal -1
	s_barrier_wait -1
.LBB6_30613:                            ;   in Loop: Header=BB6_30569 Depth=2
	s_or_b32 exec_lo, exec_lo, s18
.LBB6_30614:                            ;   in Loop: Header=BB6_30569 Depth=2
	s_delay_alu instid0(SALU_CYCLE_1) | instskip(SKIP_1) | instid1(SALU_CYCLE_1)
	s_or_b32 exec_lo, exec_lo, s13
                                        ; implicit-def: $vgpr0
	s_and_saveexec_b32 s13, s12
	s_xor_b32 s18, exec_lo, s13
	s_cbranch_execz .LBB6_30618
; %bb.30615:                            ;   in Loop: Header=BB6_30569 Depth=2
	s_trap 2
	scratch_load_b32 v1, off, s33 offset:204 ; 4-byte Folded Reload
	ds_load_b32 v0, v0
	v_cmp_lt_i32_e32 vcc_lo, 0, v10
	s_wait_dscnt 0x0
	v_readfirstlane_b32 s13, v0
	s_cmp_eq_u32 s13, 0
	s_cselect_b32 s29, -1, 0
	s_delay_alu instid0(SALU_CYCLE_1) | instskip(SKIP_2) | instid1(VALU_DEP_1)
	s_and_b32 s29, vcc_lo, s29
	s_wait_loadcnt 0x0
	v_and_b32_e32 v0, 16, v1
	v_cmp_ne_u32_e64 s13, 0, v0
	v_and_b32_e32 v0, 16, v1
	s_and_b32 s29, s13, s29
	s_wait_xcnt 0x0
	s_and_saveexec_b32 s13, s29
	s_cbranch_execz .LBB6_30617
; %bb.30616:                            ;   in Loop: Header=BB6_30569 Depth=2
	v_mov_b32_e32 v0, 1
	global_wb scope:SCOPE_SYS
	s_wait_storecnt 0x0
	global_inv scope:SCOPE_SYS
.LBB6_30617:                            ;   in Loop: Header=BB6_30569 Depth=2
	s_or_b32 exec_lo, exec_lo, s13
	s_and_not1_saveexec_b32 s13, s18
	s_cbranch_execz .LBB6_30637
	s_branch .LBB6_30619
.LBB6_30618:                            ;   in Loop: Header=BB6_30569 Depth=2
	s_and_not1_saveexec_b32 s13, s18
	s_cbranch_execz .LBB6_30637
.LBB6_30619:                            ;   in Loop: Header=BB6_30569 Depth=2
	s_and_saveexec_b32 s18, s3
	s_delay_alu instid0(SALU_CYCLE_1)
	s_xor_b32 s18, exec_lo, s18
	s_cbranch_execz .LBB6_30634
; %bb.30620:                            ;   in Loop: Header=BB6_30569 Depth=2
	s_and_saveexec_b32 s29, s6
	s_cbranch_execz .LBB6_30633
; %bb.30621:                            ;   in Loop: Header=BB6_30569 Depth=2
	s_mov_b32 s43, exec_lo
	s_mov_b32 s42, exec_lo
	v_mbcnt_lo_u32_b32 v0, s43, 0
	;;#ASMSTART
	s_waitcnt lgkmcnt(0) vmcnt(0)
	;;#ASMEND
	s_delay_alu instid0(VALU_DEP_1)
	v_cmpx_eq_u32_e32 0, v0
	s_cbranch_execz .LBB6_30623
; %bb.30622:                            ;   in Loop: Header=BB6_30569 Depth=2
	s_bcnt1_i32_b32 s43, s43
	s_delay_alu instid0(SALU_CYCLE_1)
	v_dual_mov_b32 v1, v113 :: v_dual_mov_b32 v0, s43
	s_wait_storecnt 0x0
	s_wait_loadcnt_dscnt 0x0
	ds_add_u64 v0, v[0:1]
	s_trap 2
.LBB6_30623:                            ;   in Loop: Header=BB6_30569 Depth=2
	s_or_b32 exec_lo, exec_lo, s42
	s_trap 2
	ds_load_b64 v[0:1], v0
	s_wait_dscnt 0x0
	s_clause 0x1
	scratch_load_b64 v[2:3], off, s33 offset:208 th:TH_LOAD_LU
	scratch_load_b64 v[4:5], off, s33 offset:272
	s_mov_b32 s42, exec_lo
	s_wait_loadcnt 0x0
	v_add_nc_u64_e32 v[2:3], v[2:3], v[4:5]
	scratch_store_b64 off, v[2:3], s33 offset:208 ; 8-byte Folded Spill
	s_wait_xcnt 0x0
	v_cmpx_lt_u64_e64 v[0:1], v[2:3]
	s_cbranch_execz .LBB6_30632
; %bb.30624:                            ;   in Loop: Header=BB6_30569 Depth=2
	s_mov_b32 s43, 0
	s_mov_b32 s73, 0
                                        ; implicit-def: $sgpr63
                                        ; implicit-def: $sgpr72
	s_branch .LBB6_30626
.LBB6_30625:                            ;   in Loop: Header=BB6_30626 Depth=3
	s_wait_xcnt 0x0
	s_or_b32 exec_lo, exec_lo, s75
	s_delay_alu instid0(SALU_CYCLE_1) | instskip(NEXT) | instid1(SALU_CYCLE_1)
	s_and_b32 s74, exec_lo, s76
	s_or_b32 s43, s74, s43
	s_and_not1_b32 s63, s63, exec_lo
	s_and_b32 s74, s72, exec_lo
	s_delay_alu instid0(SALU_CYCLE_1)
	s_or_b32 s63, s63, s74
	s_and_not1_b32 exec_lo, exec_lo, s43
	s_cbranch_execz .LBB6_30630
.LBB6_30626:                            ;   Parent Loop BB6_47 Depth=1
                                        ;     Parent Loop BB6_30569 Depth=2
                                        ; =>    This Inner Loop Header: Depth=3
	s_add_co_i32 s73, s73, 1
	s_delay_alu instid0(SALU_CYCLE_1) | instskip(SKIP_1) | instid1(SALU_CYCLE_1)
	s_cmp_lg_u32 s73, 0x2710
	s_cselect_b32 s74, -1, 0
	s_and_b32 vcc_lo, exec_lo, s74
	s_cbranch_vccz .LBB6_30628
; %bb.30627:                            ;   in Loop: Header=BB6_30626 Depth=3
	s_mov_b32 s76, -1
	s_or_b32 s72, s72, exec_lo
	s_and_saveexec_b32 s75, s74
	s_cbranch_execz .LBB6_30625
	s_branch .LBB6_30629
.LBB6_30628:                            ;   in Loop: Header=BB6_30626 Depth=3
	s_trap 2
	ds_load_b64 v[0:1], v0
	s_and_not1_b32 s74, s74, exec_lo
	s_mov_b32 s73, 0
	s_wait_storecnt_dscnt 0x0
	flat_load_b32 v0, v[0:1] scope:SCOPE_SYS
	s_wait_loadcnt_dscnt 0x0
	global_inv scope:SCOPE_SYS
	v_cmp_eq_u32_e32 vcc_lo, 0, v0
	s_and_b32 s75, vcc_lo, exec_lo
	s_delay_alu instid0(SALU_CYCLE_1)
	s_or_b32 s74, s74, s75
	s_mov_b32 s76, -1
	s_or_b32 s72, s72, exec_lo
	s_wait_xcnt 0x0
	s_and_saveexec_b32 s75, s74
	s_cbranch_execz .LBB6_30625
.LBB6_30629:                            ;   in Loop: Header=BB6_30626 Depth=3
	s_sleep 1
	s_trap 2
	ds_load_b64 v[0:1], v0
	s_wait_dscnt 0x0
	scratch_load_b64 v[2:3], off, s33 offset:208 ; 8-byte Folded Reload
	s_and_not1_b32 s72, s72, exec_lo
	s_wait_loadcnt 0x0
	v_cmp_ge_u64_e32 vcc_lo, v[0:1], v[2:3]
	s_or_not1_b32 s76, vcc_lo, exec_lo
	s_branch .LBB6_30625
.LBB6_30630:                            ;   in Loop: Header=BB6_30569 Depth=2
	s_or_b32 exec_lo, exec_lo, s43
	s_and_saveexec_b32 s43, s63
	s_delay_alu instid0(SALU_CYCLE_1)
	s_xor_b32 s43, exec_lo, s43
	s_cbranch_execz .LBB6_30632
; %bb.30631:                            ;   in Loop: Header=BB6_30569 Depth=2
	v_mov_b32_e32 v0, 1
	ds_store_b32 v0, v0
	s_trap 2
.LBB6_30632:                            ;   in Loop: Header=BB6_30569 Depth=2
	s_or_b32 exec_lo, exec_lo, s42
	;;#ASMSTART
	s_wakeup
	;;#ASMEND
.LBB6_30633:                            ;   in Loop: Header=BB6_30569 Depth=2
	s_or_b32 exec_lo, exec_lo, s29
.LBB6_30634:                            ;   in Loop: Header=BB6_30569 Depth=2
	s_and_not1_saveexec_b32 s18, s18
	s_cbranch_execz .LBB6_30636
; %bb.30635:                            ;   in Loop: Header=BB6_30569 Depth=2
	;;#ASMSTART
	s_waitcnt lgkmcnt(0) vmcnt(0)
	;;#ASMEND
	s_barrier_signal -1
	s_barrier_wait -1
.LBB6_30636:                            ;   in Loop: Header=BB6_30569 Depth=2
	s_or_b32 exec_lo, exec_lo, s18
	scratch_load_b32 v0, off, s33 offset:204 ; 4-byte Folded Reload
	s_wait_loadcnt 0x0
	v_and_b32_e32 v0, 16, v0
.LBB6_30637:                            ;   in Loop: Header=BB6_30569 Depth=2
	s_wait_xcnt 0x0
	s_or_b32 exec_lo, exec_lo, s13
	s_delay_alu instid0(VALU_DEP_1) | instskip(SKIP_1) | instid1(SALU_CYCLE_1)
	v_cmp_ne_u32_e32 vcc_lo, 0, v0
	s_xor_b32 s13, s4, -1
	s_and_b32 s18, vcc_lo, s13
	s_delay_alu instid0(SALU_CYCLE_1)
	s_and_saveexec_b32 s13, s18
	s_cbranch_execz .LBB6_30639
; %bb.30638:                            ;   in Loop: Header=BB6_30569 Depth=2
	scratch_load_b64 v[0:1], off, s33 offset:328 ; 8-byte Folded Reload
	v_mov_b32_e32 v2, 1
	global_wb scope:SCOPE_SYS
	s_wait_storecnt 0x0
	s_wait_xcnt 0x0
	s_wait_loadcnt_dscnt 0x0
	flat_store_b32 v[0:1], v2 scope:SCOPE_SYS
.LBB6_30639:                            ;   in Loop: Header=BB6_30569 Depth=2
	s_wait_xcnt 0x0
	s_or_b32 exec_lo, exec_lo, s13
	scratch_load_b32 v0, off, s33 offset:204 ; 4-byte Folded Reload
	s_mov_b32 s13, exec_lo
	s_wait_loadcnt 0x0
	v_and_b32_e32 v0, 48, v0
	s_wait_xcnt 0x0
	s_delay_alu instid0(VALU_DEP_1)
	v_cmpx_ne_u32_e32 0, v0
	s_cbranch_execz .LBB6_30568
; %bb.30640:                            ;   in Loop: Header=BB6_30569 Depth=2
	s_clause 0x1
	scratch_load_b64 v[2:3], off, s33 offset:264 th:TH_LOAD_LU
	scratch_load_b64 v[0:1], off, s33 offset:196
	s_wait_loadcnt 0x1
	v_add_nc_u64_e32 v[2:3], 2, v[2:3]
	scratch_store_b64 off, v[2:3], s33 offset:264 ; 8-byte Folded Spill
	global_wb scope:SCOPE_SYS
	s_wait_storecnt 0x0
	s_wait_xcnt 0x0
	s_wait_loadcnt_dscnt 0x0
	flat_store_b64 v[0:1], v[2:3] scope:SCOPE_SYS
	s_branch .LBB6_30568
.LBB6_30641:                            ;   in Loop: Header=BB6_47 Depth=1
	s_or_b32 exec_lo, exec_lo, s15
.LBB6_30642:                            ;   in Loop: Header=BB6_47 Depth=1
	s_delay_alu instid0(SALU_CYCLE_1) | instskip(NEXT) | instid1(SALU_CYCLE_1)
	s_or_b32 exec_lo, exec_lo, s14
	s_and_not1_b32 vcc_lo, exec_lo, s57
	s_cbranch_vccnz .LBB6_30899
; %bb.30643:                            ;   in Loop: Header=BB6_47 Depth=1
	s_mov_b32 s18, 1
.LBB6_30644:                            ;   Parent Loop BB6_47 Depth=1
                                        ; =>  This Loop Header: Depth=2
                                        ;       Child Loop BB6_30647 Depth 3
                                        ;         Child Loop BB6_30655 Depth 4
                                        ;         Child Loop BB6_30683 Depth 4
	;; [unrolled: 1-line block ×5, first 2 shown]
                                        ;           Child Loop BB6_30735 Depth 5
                                        ;         Child Loop BB6_30742 Depth 4
                                        ;         Child Loop BB6_30747 Depth 4
                                        ;           Child Loop BB6_30748 Depth 5
                                        ;         Child Loop BB6_30760 Depth 4
                                        ;         Child Loop BB6_30765 Depth 4
	;; [unrolled: 1-line block ×6, first 2 shown]
                                        ;       Child Loop BB6_30824 Depth 3
                                        ;         Child Loop BB6_30830 Depth 4
                                        ;         Child Loop BB6_30858 Depth 4
	;; [unrolled: 1-line block ×3, first 2 shown]
	s_clause 0x1
	scratch_load_b64 v[4:5], off, s33 offset:516
	scratch_load_b64 v[0:1], off, s33 offset:508
	s_sub_co_i32 s13, s46, s18
	s_mov_b32 s63, 0
	s_cmp_ge_i32 s13, s16
	s_cselect_b32 s14, s16, 0
	s_delay_alu instid0(SALU_CYCLE_1) | instskip(NEXT) | instid1(SALU_CYCLE_1)
	s_sub_co_i32 s14, s13, s14
	s_ashr_i32 s15, s14, 31
	s_wait_loadcnt 0x1
	v_mul_u64_e32 v[2:3], s[14:15], v[4:5]
	s_wait_loadcnt 0x0
	s_delay_alu instid0(VALU_DEP_1) | instskip(NEXT) | instid1(VALU_DEP_1)
	v_sub_nc_u64_e32 v[0:1], v[0:1], v[2:3]
	v_min_i64 v[0:1], v[4:5], v[0:1]
	s_delay_alu instid0(VALU_DEP_1) | instskip(SKIP_1) | instid1(VALU_DEP_2)
	v_max_i32_e32 v22, 0, v0
	v_cmp_lt_i32_e32 vcc_lo, 0, v0
	v_add_nc_u32_e32 v1, 31, v22
	s_and_b32 s13, s60, vcc_lo
	s_delay_alu instid0(VALU_DEP_1) | instskip(NEXT) | instid1(VALU_DEP_1)
	v_lshrrev_b32_e32 v1, 1, v1
	v_and_b32_e32 v4, 0x3ffffff0, v1
	s_delay_alu instid0(VALU_DEP_1)
	v_dual_mov_b32 v1, 0 :: v_dual_max_i32 v0, s56, v4
	v_mov_b32_e32 v4, 0
	s_wait_xcnt 0x0
	s_and_saveexec_b32 s29, s13
	s_cbranch_execz .LBB6_30821
; %bb.30645:                            ;   in Loop: Header=BB6_30644 Depth=2
	scratch_load_b64 v[4:5], off, s33 offset:404 ; 8-byte Folded Reload
	s_mov_b32 s73, 1
	s_mov_b32 s72, -1
	s_wait_loadcnt 0x0
	v_add_nc_u64_e32 v[6:7], v[2:3], v[4:5]
	v_mov_b32_e32 v4, 0
	s_branch .LBB6_30647
.LBB6_30646:                            ;   in Loop: Header=BB6_30647 Depth=3
	s_wait_xcnt 0x0
	s_or_b32 exec_lo, exec_lo, s13
	v_dual_mov_b32 v1, s73 :: v_dual_add_nc_u32 v4, v0, v4
	s_xor_b32 s13, s72, -1
	s_mov_b32 s72, 0
	s_mov_b32 s73, 2
	s_delay_alu instid0(VALU_DEP_1) | instskip(SKIP_1) | instid1(SALU_CYCLE_1)
	v_cmp_ge_i32_e32 vcc_lo, v4, v22
	s_or_b32 s13, s13, vcc_lo
	s_and_b32 s13, exec_lo, s13
	s_delay_alu instid0(SALU_CYCLE_1) | instskip(NEXT) | instid1(SALU_CYCLE_1)
	s_or_b32 s63, s13, s63
	s_and_not1_b32 exec_lo, exec_lo, s63
	s_cbranch_execz .LBB6_30820
.LBB6_30647:                            ;   Parent Loop BB6_47 Depth=1
                                        ;     Parent Loop BB6_30644 Depth=2
                                        ; =>    This Loop Header: Depth=3
                                        ;         Child Loop BB6_30655 Depth 4
                                        ;         Child Loop BB6_30683 Depth 4
	;; [unrolled: 1-line block ×5, first 2 shown]
                                        ;           Child Loop BB6_30735 Depth 5
                                        ;         Child Loop BB6_30742 Depth 4
                                        ;         Child Loop BB6_30747 Depth 4
                                        ;           Child Loop BB6_30748 Depth 5
                                        ;         Child Loop BB6_30760 Depth 4
                                        ;         Child Loop BB6_30765 Depth 4
	;; [unrolled: 1-line block ×6, first 2 shown]
	s_wait_xcnt 0x0
	s_and_saveexec_b32 s13, s0
	s_cbranch_execz .LBB6_30649
; %bb.30648:                            ;   in Loop: Header=BB6_30647 Depth=3
	s_trap 2
	ds_load_b128 v[8:11], v0
	s_wait_dscnt 0x0
	v_add_nc_u64_e32 v[2:3], v[10:11], v[6:7]
	v_cmp_ne_u64_e32 vcc_lo, 0, v[10:11]
	v_ashrrev_i32_e32 v5, 31, v4
	v_add_nc_u64_e32 v[8:9], v[8:9], v[6:7]
	s_delay_alu instid0(VALU_DEP_2) | instskip(NEXT) | instid1(VALU_DEP_1)
	v_add_nc_u64_e32 v[2:3], v[2:3], v[4:5]
	v_cndmask_b32_e32 v3, 0, v3, vcc_lo
	s_delay_alu instid0(VALU_DEP_3) | instskip(NEXT) | instid1(VALU_DEP_3)
	v_add_nc_u64_e32 v[8:9], v[8:9], v[4:5]
	v_cndmask_b32_e32 v2, 0, v2, vcc_lo
	ds_store_b64 v0, v[8:9]
	ds_store_b64 v0, v[2:3]
.LBB6_30649:                            ;   in Loop: Header=BB6_30647 Depth=3
	s_or_b32 exec_lo, exec_lo, s13
	scratch_load_b32 v2, off, s33 offset:204 ; 4-byte Folded Reload
	v_sub_nc_u32_e32 v1, v22, v4
	s_mov_b32 s14, exec_lo
	s_wait_loadcnt 0x0
	v_and_b32_e32 v2, 12, v2
	s_delay_alu instid0(VALU_DEP_2) | instskip(SKIP_1) | instid1(VALU_DEP_2)
	v_min_i32_e32 v0, v0, v1
	s_wait_xcnt 0x0
	v_cmpx_ne_u32_e32 0, v2
	s_cbranch_execz .LBB6_30675
; %bb.30650:                            ;   in Loop: Header=BB6_30647 Depth=3
	s_clause 0x1
	scratch_load_b32 v1, off, s33 offset:204
	scratch_load_b64 v[2:3], off, s33 offset:188
	s_mov_b32 s15, exec_lo
	s_wait_loadcnt 0x1
	v_dual_mov_b32 v9, v113 :: v_dual_bitop2_b32 v8, 8, v1 bitop3:0x40
	s_wait_loadcnt 0x0
	s_delay_alu instid0(VALU_DEP_1) | instskip(SKIP_4) | instid1(VALU_DEP_1)
	v_add_nc_u64_e32 v[10:11], v[2:3], v[8:9]
	scratch_load_b64 v[2:3], off, s33 offset:264 ; 8-byte Folded Reload
	s_wait_loadcnt 0x0
	v_add_nc_u64_e32 v[2:3], 2, v[2:3]
	s_wait_xcnt 0x0
	v_cmpx_lt_u64_e64 v[10:11], v[2:3]
	s_cbranch_execz .LBB6_30662
; %bb.30651:                            ;   in Loop: Header=BB6_30647 Depth=3
	scratch_load_b32 v1, off, s33 offset:204 ; 4-byte Folded Reload
	s_mov_b32 s42, 0
	s_mov_b32 s76, 0
                                        ; implicit-def: $sgpr43
                                        ; implicit-def: $sgpr74
                                        ; implicit-def: $sgpr75
	s_wait_loadcnt 0x0
	v_and_b32_e32 v1, 64, v1
	s_delay_alu instid0(VALU_DEP_1)
	v_cmp_eq_u32_e32 vcc_lo, 0, v1
	s_branch .LBB6_30655
.LBB6_30652:                            ;   in Loop: Header=BB6_30655 Depth=4
	scratch_load_b64 v[10:11], off, s33 offset:188 ; 8-byte Folded Reload
	s_or_b32 s79, s79, exec_lo
	s_wait_loadcnt 0x0
	v_add_nc_u64_e32 v[10:11], v[10:11], v[8:9]
	s_delay_alu instid0(VALU_DEP_1)
	v_cmp_ge_u64_e64 s13, v[10:11], v[2:3]
	s_or_not1_b32 s78, s13, exec_lo
.LBB6_30653:                            ;   in Loop: Header=BB6_30655 Depth=4
	s_wait_xcnt 0x0
	s_or_b32 exec_lo, exec_lo, s89
	s_delay_alu instid0(SALU_CYCLE_1)
	s_and_not1_b32 s13, s75, exec_lo
	s_and_b32 s75, s79, exec_lo
	s_and_not1_b32 s74, s74, exec_lo
	s_and_b32 s78, s78, exec_lo
	s_or_b32 s75, s13, s75
	s_or_b32 s74, s74, s78
.LBB6_30654:                            ;   in Loop: Header=BB6_30655 Depth=4
	s_or_b32 exec_lo, exec_lo, s77
	s_delay_alu instid0(SALU_CYCLE_1) | instskip(NEXT) | instid1(SALU_CYCLE_1)
	s_and_b32 s13, exec_lo, s74
	s_or_b32 s42, s13, s42
	s_and_not1_b32 s13, s43, exec_lo
	s_and_b32 s43, s75, exec_lo
	s_delay_alu instid0(SALU_CYCLE_1)
	s_or_b32 s43, s13, s43
	s_and_not1_b32 exec_lo, exec_lo, s42
	s_cbranch_execz .LBB6_30659
.LBB6_30655:                            ;   Parent Loop BB6_47 Depth=1
                                        ;     Parent Loop BB6_30644 Depth=2
                                        ;       Parent Loop BB6_30647 Depth=3
                                        ; =>      This Inner Loop Header: Depth=4
	s_sleep 1
	scratch_load_b64 v[10:11], off, s33 offset:196 ; 8-byte Folded Reload
	s_or_b32 s75, s75, exec_lo
	s_or_b32 s74, s74, exec_lo
                                        ; implicit-def: $vgpr1
	s_wait_loadcnt 0x0
	flat_load_b64 v[10:11], v[10:11] scope:SCOPE_SYS
	s_wait_loadcnt_dscnt 0x0
	scratch_store_b64 off, v[10:11], s33 offset:188 ; 8-byte Folded Spill
	s_wait_xcnt 0x0
	s_and_saveexec_b32 s77, vcc_lo
	s_cbranch_execz .LBB6_30654
; %bb.30656:                            ;   in Loop: Header=BB6_30655 Depth=4
	s_cmp_lt_i32 s76, 0x270f
	s_mov_b32 s78, -1
	s_cselect_b32 s88, -1, 0
	s_cmp_gt_i32 s76, 0x270e
	s_cbranch_scc0 .LBB6_30658
; %bb.30657:                            ;   in Loop: Header=BB6_30655 Depth=4
	s_trap 2
	ds_load_b64 v[10:11], v0
	s_and_not1_b32 s76, s88, exec_lo
	s_mov_b32 s79, 0
	s_wait_storecnt_dscnt 0x0
	flat_load_b32 v1, v[10:11] scope:SCOPE_SYS
	s_wait_loadcnt_dscnt 0x0
	global_inv scope:SCOPE_SYS
	v_cmp_eq_u32_e64 s13, 0, v1
	s_and_b32 s13, s13, exec_lo
	s_delay_alu instid0(SALU_CYCLE_1)
	s_or_b32 s88, s76, s13
	s_mov_b32 s76, 0
	s_wait_xcnt 0x0
	s_and_saveexec_b32 s89, s88
	s_cbranch_execz .LBB6_30653
	s_branch .LBB6_30652
.LBB6_30658:                            ;   in Loop: Header=BB6_30655 Depth=4
	s_add_co_i32 s76, s76, 1
	s_mov_b32 s79, -1
                                        ; implicit-def: $vgpr1
	s_and_saveexec_b32 s89, s88
	s_cbranch_execz .LBB6_30653
	s_branch .LBB6_30652
.LBB6_30659:                            ;   in Loop: Header=BB6_30647 Depth=3
	s_or_b32 exec_lo, exec_lo, s42
	s_xor_b32 s13, s43, -1
	s_delay_alu instid0(SALU_CYCLE_1) | instskip(NEXT) | instid1(SALU_CYCLE_1)
	s_and_saveexec_b32 s42, s13
	s_xor_b32 s13, exec_lo, s42
	s_cbranch_execz .LBB6_30661
; %bb.30660:                            ;   in Loop: Header=BB6_30647 Depth=3
	scratch_load_b32 v5, off, s33 offset:204 ; 4-byte Folded Reload
	s_wait_loadcnt 0x0
	v_or_b32_e32 v5, 64, v5
	scratch_store_b32 off, v5, s33 offset:204 ; 4-byte Folded Spill
	s_wait_storecnt 0x0
	ds_store_b32 v0, v1
	s_trap 2
.LBB6_30661:                            ;   in Loop: Header=BB6_30647 Depth=3
	s_wait_xcnt 0x0
	s_or_b32 exec_lo, exec_lo, s13
.LBB6_30662:                            ;   in Loop: Header=BB6_30647 Depth=3
	s_delay_alu instid0(SALU_CYCLE_1)
	s_or_b32 exec_lo, exec_lo, s15
	scratch_load_b32 v1, off, s33 offset:204 ; 4-byte Folded Reload
	s_mov_b32 s13, exec_lo
	;;#ASMSTART
	s_wakeup
	;;#ASMEND
                                        ; implicit-def: $vgpr10_vgpr11
	s_wait_loadcnt 0x0
	v_and_b32_e32 v1, 0x108, v1
	s_wait_xcnt 0x0
	s_delay_alu instid0(VALU_DEP_1)
	v_cmpx_ne_u32_e32 0x108, v1
	s_xor_b32 s13, exec_lo, s13
	s_cbranch_execz .LBB6_30664
; %bb.30663:                            ;   in Loop: Header=BB6_30647 Depth=3
	scratch_load_b64 v[10:11], off, s33 offset:264 th:TH_LOAD_LU ; 8-byte Folded Reload
                                        ; implicit-def: $vgpr12_vgpr13
                                        ; kill: killed $vgpr12_vgpr13
	s_wait_loadcnt 0x0
	v_dual_mov_b32 v11, v113 :: v_dual_bitop2_b32 v10, 7, v10 bitop3:0x40
.LBB6_30664:                            ;   in Loop: Header=BB6_30647 Depth=3
	s_wait_xcnt 0x0
	s_and_not1_saveexec_b32 s13, s13
	s_cbranch_execz .LBB6_30666
; %bb.30665:                            ;   in Loop: Header=BB6_30647 Depth=3
	s_clause 0x1
	scratch_load_b64 v[10:11], off, s33 offset:264 th:TH_LOAD_LU
	scratch_load_b128 v[12:15], off, s33 offset:312
	s_wait_loadcnt 0x1
	v_dual_mov_b32 v11, v113 :: v_dual_ashrrev_i32 v1, 31, v0
	v_and_b32_e32 v10, 7, v10
	s_wait_loadcnt 0x0
	s_delay_alu instid0(VALU_DEP_1)
	v_mad_nc_u64_u32 v[12:13], v10, 24, v[12:13]
	flat_store_b64 v[12:13], v[0:1] offset:8
.LBB6_30666:                            ;   in Loop: Header=BB6_30647 Depth=3
	s_wait_xcnt 0x0
	s_or_b32 exec_lo, exec_lo, s13
	scratch_load_b32 v1, off, s33 offset:204 ; 4-byte Folded Reload
	s_mov_b32 s13, -1
	s_mov_b32 s15, exec_lo
                                        ; implicit-def: $vgpr12_vgpr13
	s_wait_loadcnt 0x0
	v_and_b32_e32 v1, 0x100, v1
	s_wait_xcnt 0x0
	s_delay_alu instid0(VALU_DEP_1)
	v_cmpx_ne_u32_e32 0, v1
	s_cbranch_execz .LBB6_30670
; %bb.30667:                            ;   in Loop: Header=BB6_30647 Depth=3
	scratch_load_b128 v[12:15], off, s33 offset:312 ; 16-byte Folded Reload
	s_mov_b32 s42, exec_lo
	s_wait_loadcnt 0x0
	v_mad_nc_u64_u32 v[14:15], v10, 24, v[12:13]
                                        ; implicit-def: $vgpr12_vgpr13
	s_delay_alu instid0(VALU_DEP_1)
	v_mad_u32 v15, v11, 24, v15
	flat_load_b32 v1, v[14:15]
	s_wait_loadcnt_dscnt 0x0
	v_cmp_ne_u32_e32 vcc_lo, 1, v1
	s_wait_xcnt 0x0
	v_cmpx_eq_u32_e32 1, v1
	s_cbranch_execz .LBB6_30669
; %bb.30668:                            ;   in Loop: Header=BB6_30647 Depth=3
	flat_load_b32 v12, v[14:15] offset:4 scope:SCOPE_SYS
	s_wait_loadcnt_dscnt 0x0
	v_ashrrev_i32_e32 v13, 31, v12
.LBB6_30669:                            ;   in Loop: Header=BB6_30647 Depth=3
	s_wait_xcnt 0x0
	s_or_b32 exec_lo, exec_lo, s42
	s_delay_alu instid0(SALU_CYCLE_1)
	s_or_not1_b32 s13, vcc_lo, exec_lo
.LBB6_30670:                            ;   in Loop: Header=BB6_30647 Depth=3
	s_or_b32 exec_lo, exec_lo, s15
	s_and_saveexec_b32 s15, s13
	s_cbranch_execz .LBB6_30672
; %bb.30671:                            ;   in Loop: Header=BB6_30647 Depth=3
	scratch_load_b64 v[12:13], off, s33 offset:360 ; 8-byte Folded Reload
	s_wait_loadcnt 0x0
	v_mul_u64_e32 v[12:13], v[10:11], v[12:13]
.LBB6_30672:                            ;   in Loop: Header=BB6_30647 Depth=3
	s_wait_xcnt 0x0
	s_or_b32 exec_lo, exec_lo, s15
	v_cmp_eq_u32_e32 vcc_lo, 0, v8
	s_clause 0x1
	scratch_load_b32 v5, off, s33 offset:204
	scratch_load_b64 v[8:9], off, s33 offset:304
	v_mov_b32_e32 v1, 0x88
	s_mov_b32 s13, exec_lo
	s_delay_alu instid0(VALU_DEP_1) | instskip(NEXT) | instid1(VALU_DEP_1)
	v_cndmask_b32_e32 v1, 0xd0, v1, vcc_lo
	v_add_nc_u32_e32 v1, v0, v1
	s_wait_loadcnt 0x1
	v_and_b32_e32 v5, 0x2000, v5
	s_wait_loadcnt 0x0
	v_add_nc_u64_e32 v[8:9], v[8:9], v[12:13]
	ds_store_b64 v1, v[8:9] offset:584
	s_wait_xcnt 0x0
	v_cmpx_ne_u32_e32 0, v5
	s_cbranch_execz .LBB6_30674
; %bb.30673:                            ;   in Loop: Header=BB6_30647 Depth=3
	ds_load_b64 v[8:9], v0 offset:872
	s_wait_dscnt 0x0
	v_add_nc_u64_e32 v[8:9], 1, v[8:9]
	ds_store_b64 v0, v[8:9] offset:872
.LBB6_30674:                            ;   in Loop: Header=BB6_30647 Depth=3
	s_or_b32 exec_lo, exec_lo, s13
	scratch_store_b64 off, v[2:3], s33 offset:264 ; 8-byte Folded Spill
.LBB6_30675:                            ;   in Loop: Header=BB6_30647 Depth=3
	s_wait_xcnt 0x0
	s_or_b32 exec_lo, exec_lo, s14
	s_and_saveexec_b32 s13, s2
	s_cbranch_execz .LBB6_30694
; %bb.30676:                            ;   in Loop: Header=BB6_30647 Depth=3
	s_and_saveexec_b32 s14, s3
	s_delay_alu instid0(SALU_CYCLE_1)
	s_xor_b32 s14, exec_lo, s14
	s_cbranch_execz .LBB6_30691
; %bb.30677:                            ;   in Loop: Header=BB6_30647 Depth=3
	s_and_saveexec_b32 s15, s6
	s_cbranch_execz .LBB6_30690
; %bb.30678:                            ;   in Loop: Header=BB6_30647 Depth=3
	s_mov_b32 s43, exec_lo
	s_mov_b32 s42, exec_lo
	v_mbcnt_lo_u32_b32 v1, s43, 0
	global_wb scope:SCOPE_DEV
	s_wait_storecnt_dscnt 0x0
	global_inv scope:SCOPE_DEV
	v_cmpx_eq_u32_e32 0, v1
	s_cbranch_execz .LBB6_30680
; %bb.30679:                            ;   in Loop: Header=BB6_30647 Depth=3
	s_bcnt1_i32_b32 s43, s43
	s_delay_alu instid0(SALU_CYCLE_1)
	v_dual_mov_b32 v3, v113 :: v_dual_mov_b32 v2, s43
	s_wait_loadcnt 0x0
	ds_add_u64 v0, v[2:3]
	s_trap 2
.LBB6_30680:                            ;   in Loop: Header=BB6_30647 Depth=3
	s_or_b32 exec_lo, exec_lo, s42
	s_trap 2
	ds_load_b64 v[2:3], v0
	s_wait_dscnt 0x0
	s_clause 0x1
	scratch_load_b64 v[8:9], off, s33 offset:208 th:TH_LOAD_LU
	scratch_load_b64 v[10:11], off, s33 offset:272
	s_mov_b32 s42, exec_lo
	s_wait_loadcnt 0x0
	v_add_nc_u64_e32 v[8:9], v[8:9], v[10:11]
	scratch_store_b64 off, v[8:9], s33 offset:208 ; 8-byte Folded Spill
	s_wait_xcnt 0x0
	v_cmpx_lt_u64_e64 v[2:3], v[8:9]
	s_cbranch_execz .LBB6_30689
; %bb.30681:                            ;   in Loop: Header=BB6_30647 Depth=3
	s_mov_b32 s43, 0
	s_mov_b32 s76, 0
                                        ; implicit-def: $sgpr74
                                        ; implicit-def: $sgpr75
	s_branch .LBB6_30683
.LBB6_30682:                            ;   in Loop: Header=BB6_30683 Depth=4
	s_wait_xcnt 0x0
	s_or_b32 exec_lo, exec_lo, s78
	s_delay_alu instid0(SALU_CYCLE_1) | instskip(NEXT) | instid1(SALU_CYCLE_1)
	s_and_b32 s77, exec_lo, s79
	s_or_b32 s43, s77, s43
	s_and_not1_b32 s74, s74, exec_lo
	s_and_b32 s77, s75, exec_lo
	s_delay_alu instid0(SALU_CYCLE_1)
	s_or_b32 s74, s74, s77
	s_and_not1_b32 exec_lo, exec_lo, s43
	s_cbranch_execz .LBB6_30687
.LBB6_30683:                            ;   Parent Loop BB6_47 Depth=1
                                        ;     Parent Loop BB6_30644 Depth=2
                                        ;       Parent Loop BB6_30647 Depth=3
                                        ; =>      This Inner Loop Header: Depth=4
	s_add_co_i32 s76, s76, 1
	s_delay_alu instid0(SALU_CYCLE_1) | instskip(SKIP_1) | instid1(SALU_CYCLE_1)
	s_cmp_lg_u32 s76, 0x2710
	s_cselect_b32 s77, -1, 0
	s_and_b32 vcc_lo, exec_lo, s77
	s_cbranch_vccz .LBB6_30685
; %bb.30684:                            ;   in Loop: Header=BB6_30683 Depth=4
	s_mov_b32 s79, -1
	s_or_b32 s75, s75, exec_lo
	s_and_saveexec_b32 s78, s77
	s_cbranch_execz .LBB6_30682
	s_branch .LBB6_30686
.LBB6_30685:                            ;   in Loop: Header=BB6_30683 Depth=4
	s_trap 2
	ds_load_b64 v[2:3], v0
	s_and_not1_b32 s77, s77, exec_lo
	s_mov_b32 s76, 0
	s_wait_storecnt_dscnt 0x0
	flat_load_b32 v1, v[2:3] scope:SCOPE_SYS
	s_wait_loadcnt_dscnt 0x0
	global_inv scope:SCOPE_SYS
	v_cmp_eq_u32_e32 vcc_lo, 0, v1
	s_and_b32 s78, vcc_lo, exec_lo
	s_delay_alu instid0(SALU_CYCLE_1)
	s_or_b32 s77, s77, s78
	s_mov_b32 s79, -1
	s_or_b32 s75, s75, exec_lo
	s_wait_xcnt 0x0
	s_and_saveexec_b32 s78, s77
	s_cbranch_execz .LBB6_30682
.LBB6_30686:                            ;   in Loop: Header=BB6_30683 Depth=4
	s_sleep 1
	s_trap 2
	ds_load_b64 v[2:3], v0
	s_wait_dscnt 0x0
	scratch_load_b64 v[8:9], off, s33 offset:208 ; 8-byte Folded Reload
	s_and_not1_b32 s75, s75, exec_lo
	s_wait_loadcnt 0x0
	v_cmp_ge_u64_e32 vcc_lo, v[2:3], v[8:9]
	s_or_not1_b32 s79, vcc_lo, exec_lo
	s_branch .LBB6_30682
.LBB6_30687:                            ;   in Loop: Header=BB6_30647 Depth=3
	s_or_b32 exec_lo, exec_lo, s43
	s_and_saveexec_b32 s43, s74
	s_delay_alu instid0(SALU_CYCLE_1)
	s_xor_b32 s43, exec_lo, s43
	s_cbranch_execz .LBB6_30689
; %bb.30688:                            ;   in Loop: Header=BB6_30647 Depth=3
	v_mov_b32_e32 v1, 1
	ds_store_b32 v0, v1
	s_trap 2
.LBB6_30689:                            ;   in Loop: Header=BB6_30647 Depth=3
	s_or_b32 exec_lo, exec_lo, s42
	;;#ASMSTART
	s_wakeup
	;;#ASMEND
.LBB6_30690:                            ;   in Loop: Header=BB6_30647 Depth=3
	s_or_b32 exec_lo, exec_lo, s15
.LBB6_30691:                            ;   in Loop: Header=BB6_30647 Depth=3
	s_and_not1_saveexec_b32 s14, s14
	s_cbranch_execz .LBB6_30693
; %bb.30692:                            ;   in Loop: Header=BB6_30647 Depth=3
	global_wb scope:SCOPE_DEV
	s_wait_storecnt 0x0
	s_wait_loadcnt_dscnt 0x0
	global_inv scope:SCOPE_DEV
	s_barrier_signal -1
	s_barrier_wait -1
.LBB6_30693:                            ;   in Loop: Header=BB6_30647 Depth=3
	s_or_b32 exec_lo, exec_lo, s14
.LBB6_30694:                            ;   in Loop: Header=BB6_30647 Depth=3
	s_delay_alu instid0(SALU_CYCLE_1)
	s_or_b32 exec_lo, exec_lo, s13
	s_trap 2
	scratch_load_b32 v2, off, s33 offset:204 ; 4-byte Folded Reload
	ds_load_b32 v1, v0
	s_xor_b32 s13, s1, -1
	s_wait_loadcnt 0x0
	v_and_b32_e32 v2, 0x4000, v2
	s_delay_alu instid0(VALU_DEP_1)
	v_cmp_ne_u32_e32 vcc_lo, 0, v2
	s_and_b32 s14, s13, vcc_lo
	s_wait_xcnt 0x0
	s_and_saveexec_b32 s13, s14
	s_cbranch_execz .LBB6_30713
; %bb.30695:                            ;   in Loop: Header=BB6_30647 Depth=3
	s_and_saveexec_b32 s14, s3
	s_delay_alu instid0(SALU_CYCLE_1)
	s_xor_b32 s14, exec_lo, s14
	s_cbranch_execz .LBB6_30710
; %bb.30696:                            ;   in Loop: Header=BB6_30647 Depth=3
	s_and_saveexec_b32 s15, s6
	s_cbranch_execz .LBB6_30709
; %bb.30697:                            ;   in Loop: Header=BB6_30647 Depth=3
	s_mov_b32 s43, exec_lo
	s_mov_b32 s42, exec_lo
	v_mbcnt_lo_u32_b32 v2, s43, 0
	global_wb scope:SCOPE_DEV
	s_wait_storecnt_dscnt 0x0
	global_inv scope:SCOPE_DEV
	v_cmpx_eq_u32_e32 0, v2
	s_cbranch_execz .LBB6_30699
; %bb.30698:                            ;   in Loop: Header=BB6_30647 Depth=3
	s_bcnt1_i32_b32 s43, s43
	s_delay_alu instid0(SALU_CYCLE_1)
	v_dual_mov_b32 v3, v113 :: v_dual_mov_b32 v2, s43
	s_wait_loadcnt 0x0
	ds_add_u64 v0, v[2:3]
	s_trap 2
.LBB6_30699:                            ;   in Loop: Header=BB6_30647 Depth=3
	s_or_b32 exec_lo, exec_lo, s42
	s_trap 2
	ds_load_b64 v[2:3], v0
	s_wait_dscnt 0x0
	s_clause 0x1
	scratch_load_b64 v[8:9], off, s33 offset:208 th:TH_LOAD_LU
	scratch_load_b64 v[10:11], off, s33 offset:272
	s_mov_b32 s42, exec_lo
	s_wait_loadcnt 0x0
	v_add_nc_u64_e32 v[8:9], v[8:9], v[10:11]
	scratch_store_b64 off, v[8:9], s33 offset:208 ; 8-byte Folded Spill
	s_wait_xcnt 0x0
	v_cmpx_lt_u64_e64 v[2:3], v[8:9]
	s_cbranch_execz .LBB6_30708
; %bb.30700:                            ;   in Loop: Header=BB6_30647 Depth=3
	s_mov_b32 s43, 0
	s_mov_b32 s76, 0
                                        ; implicit-def: $sgpr74
                                        ; implicit-def: $sgpr75
	s_branch .LBB6_30702
.LBB6_30701:                            ;   in Loop: Header=BB6_30702 Depth=4
	s_wait_xcnt 0x0
	s_or_b32 exec_lo, exec_lo, s78
	s_delay_alu instid0(SALU_CYCLE_1) | instskip(NEXT) | instid1(SALU_CYCLE_1)
	s_and_b32 s77, exec_lo, s79
	s_or_b32 s43, s77, s43
	s_and_not1_b32 s74, s74, exec_lo
	s_and_b32 s77, s75, exec_lo
	s_delay_alu instid0(SALU_CYCLE_1)
	s_or_b32 s74, s74, s77
	s_and_not1_b32 exec_lo, exec_lo, s43
	s_cbranch_execz .LBB6_30706
.LBB6_30702:                            ;   Parent Loop BB6_47 Depth=1
                                        ;     Parent Loop BB6_30644 Depth=2
                                        ;       Parent Loop BB6_30647 Depth=3
                                        ; =>      This Inner Loop Header: Depth=4
	s_add_co_i32 s76, s76, 1
	s_delay_alu instid0(SALU_CYCLE_1) | instskip(SKIP_1) | instid1(SALU_CYCLE_1)
	s_cmp_lg_u32 s76, 0x2710
	s_cselect_b32 s77, -1, 0
	s_and_b32 vcc_lo, exec_lo, s77
	s_cbranch_vccz .LBB6_30704
; %bb.30703:                            ;   in Loop: Header=BB6_30702 Depth=4
	s_mov_b32 s79, -1
	s_or_b32 s75, s75, exec_lo
	s_and_saveexec_b32 s78, s77
	s_cbranch_execz .LBB6_30701
	s_branch .LBB6_30705
.LBB6_30704:                            ;   in Loop: Header=BB6_30702 Depth=4
	s_trap 2
	ds_load_b64 v[2:3], v0
	s_and_not1_b32 s77, s77, exec_lo
	s_mov_b32 s76, 0
	s_wait_storecnt_dscnt 0x0
	flat_load_b32 v2, v[2:3] scope:SCOPE_SYS
	s_wait_loadcnt_dscnt 0x0
	global_inv scope:SCOPE_SYS
	v_cmp_eq_u32_e32 vcc_lo, 0, v2
	s_and_b32 s78, vcc_lo, exec_lo
	s_delay_alu instid0(SALU_CYCLE_1)
	s_or_b32 s77, s77, s78
	s_mov_b32 s79, -1
	s_or_b32 s75, s75, exec_lo
	s_wait_xcnt 0x0
	s_and_saveexec_b32 s78, s77
	s_cbranch_execz .LBB6_30701
.LBB6_30705:                            ;   in Loop: Header=BB6_30702 Depth=4
	s_sleep 1
	s_trap 2
	ds_load_b64 v[2:3], v0
	s_wait_dscnt 0x0
	scratch_load_b64 v[8:9], off, s33 offset:208 ; 8-byte Folded Reload
	s_and_not1_b32 s75, s75, exec_lo
	s_wait_loadcnt 0x0
	v_cmp_ge_u64_e32 vcc_lo, v[2:3], v[8:9]
	s_or_not1_b32 s79, vcc_lo, exec_lo
	s_branch .LBB6_30701
.LBB6_30706:                            ;   in Loop: Header=BB6_30647 Depth=3
	s_or_b32 exec_lo, exec_lo, s43
	s_and_saveexec_b32 s43, s74
	s_delay_alu instid0(SALU_CYCLE_1)
	s_xor_b32 s43, exec_lo, s43
	s_cbranch_execz .LBB6_30708
; %bb.30707:                            ;   in Loop: Header=BB6_30647 Depth=3
	v_mov_b32_e32 v2, 1
	ds_store_b32 v0, v2
	s_trap 2
.LBB6_30708:                            ;   in Loop: Header=BB6_30647 Depth=3
	s_or_b32 exec_lo, exec_lo, s42
	;;#ASMSTART
	s_wakeup
	;;#ASMEND
.LBB6_30709:                            ;   in Loop: Header=BB6_30647 Depth=3
	s_or_b32 exec_lo, exec_lo, s15
.LBB6_30710:                            ;   in Loop: Header=BB6_30647 Depth=3
	s_and_not1_saveexec_b32 s14, s14
	s_cbranch_execz .LBB6_30712
; %bb.30711:                            ;   in Loop: Header=BB6_30647 Depth=3
	global_wb scope:SCOPE_DEV
	s_wait_storecnt 0x0
	s_wait_loadcnt_dscnt 0x0
	global_inv scope:SCOPE_DEV
	s_barrier_signal -1
	s_barrier_wait -1
.LBB6_30712:                            ;   in Loop: Header=BB6_30647 Depth=3
	s_or_b32 exec_lo, exec_lo, s14
.LBB6_30713:                            ;   in Loop: Header=BB6_30647 Depth=3
	s_delay_alu instid0(SALU_CYCLE_1)
	s_or_b32 exec_lo, exec_lo, s13
	s_trap 2
	ds_load_b64 v[2:3], v0
	s_wait_dscnt 0x0
	v_cmp_eq_u64_e32 vcc_lo, 0, v[2:3]
	s_cbranch_vccnz .LBB6_30722
; %bb.30714:                            ;   in Loop: Header=BB6_30647 Depth=3
	s_trap 2
	ds_load_b64 v[12:13], v0
	s_wait_dscnt 0x0
	v_cmp_eq_u64_e32 vcc_lo, 0, v[12:13]
	s_cbranch_vccnz .LBB6_30722
; %bb.30715:                            ;   in Loop: Header=BB6_30647 Depth=3
	s_trap 2
	ds_load_b64 v[14:15], v0
	v_cmp_eq_u32_e64 s13, 0, v1
	s_delay_alu instid0(VALU_DEP_1)
	v_cndmask_b32_e64 v1, 0, v0, s13
	s_mov_b32 s13, -1
	s_wait_dscnt 0x0
	v_cmp_ne_u64_e32 vcc_lo, 0, v[14:15]
	s_cbranch_vccz .LBB6_30751
; %bb.30716:                            ;   in Loop: Header=BB6_30647 Depth=3
	s_and_saveexec_b32 s14, s10
	s_cbranch_execz .LBB6_30718
; %bb.30717:                            ;   in Loop: Header=BB6_30647 Depth=3
	ds_load_b32 v5, v0 offset:720
	s_wait_dscnt 0x0
	v_and_b32_e32 v5, 15, v5
	s_delay_alu instid0(VALU_DEP_1)
	v_cmp_eq_u32_e32 vcc_lo, 0, v5
	s_or_not1_b32 s13, vcc_lo, exec_lo
.LBB6_30718:                            ;   in Loop: Header=BB6_30647 Depth=3
	s_or_b32 exec_lo, exec_lo, s14
	s_and_saveexec_b32 s14, s11
	s_cbranch_execz .LBB6_30720
; %bb.30719:                            ;   in Loop: Header=BB6_30647 Depth=3
	ds_load_b32 v5, v0 offset:784
	s_wait_dscnt 0x0
	v_and_b32_e32 v5, 15, v5
	s_delay_alu instid0(VALU_DEP_1) | instskip(SKIP_3) | instid1(SALU_CYCLE_1)
	v_cmp_eq_u32_e32 vcc_lo, 0, v5
	s_and_b32 s15, s13, vcc_lo
	s_and_not1_b32 s13, s13, exec_lo
	s_and_b32 s15, s15, exec_lo
	s_or_b32 s13, s13, s15
.LBB6_30720:                            ;   in Loop: Header=BB6_30647 Depth=3
	s_or_b32 exec_lo, exec_lo, s14
	scratch_load_b32 v17, off, s33 offset:384 ; 4-byte Folded Reload
	s_xor_b32 s13, s13, -1
	v_mov_b32_e32 v16, v1
	v_cndmask_b32_e64 v5, 0, 1, s13
	s_mov_b32 s13, -1
	s_delay_alu instid0(VALU_DEP_1)
	v_cmp_ne_u32_e32 vcc_lo, 0, v5
	v_mov_b32_e32 v5, 0
	s_cbranch_vccz .LBB6_30727
; %bb.30721:                            ;   in Loop: Header=BB6_30647 Depth=3
	s_wait_xcnt 0x0
	s_and_saveexec_b32 s15, s13
	s_cbranch_execnz .LBB6_30740
	s_branch .LBB6_30750
.LBB6_30722:                            ;   in Loop: Header=BB6_30647 Depth=3
	s_mov_b32 s13, 0
	s_and_saveexec_b32 s14, s2
	s_cbranch_execnz .LBB6_30779
.LBB6_30723:                            ;   in Loop: Header=BB6_30647 Depth=3
	s_or_b32 exec_lo, exec_lo, s14
                                        ; implicit-def: $vgpr1
	s_and_saveexec_b32 s14, s12
	s_delay_alu instid0(SALU_CYCLE_1)
	s_xor_b32 s14, exec_lo, s14
	s_cbranch_execz .LBB6_30797
.LBB6_30724:                            ;   in Loop: Header=BB6_30647 Depth=3
	scratch_load_b32 v2, off, s33 offset:204 ; 4-byte Folded Reload
	s_wait_loadcnt 0x0
	v_and_b32_e32 v1, 16, v2
	s_delay_alu instid0(VALU_DEP_1)
	v_cmp_ne_u32_e32 vcc_lo, 0, v1
	v_and_b32_e32 v1, 16, v2
	s_and_b32 s15, vcc_lo, s13
	s_wait_xcnt 0x0
	s_and_saveexec_b32 s13, s15
	s_cbranch_execz .LBB6_30726
; %bb.30725:                            ;   in Loop: Header=BB6_30647 Depth=3
	v_mov_b32_e32 v1, 1
	global_wb scope:SCOPE_SYS
	s_wait_storecnt_dscnt 0x0
	global_inv scope:SCOPE_SYS
.LBB6_30726:                            ;   in Loop: Header=BB6_30647 Depth=3
	s_or_b32 exec_lo, exec_lo, s13
	s_and_not1_saveexec_b32 s13, s14
	s_cbranch_execz .LBB6_30816
	s_branch .LBB6_30798
.LBB6_30727:                            ;   in Loop: Header=BB6_30647 Depth=3
	scratch_load_b32 v8, off, s33 offset:420 ; 4-byte Folded Reload
	v_ashrrev_i32_e32 v5, 31, v1
	s_mov_b32 s13, exec_lo
	s_delay_alu instid0(VALU_DEP_1) | instskip(NEXT) | instid1(VALU_DEP_1)
	v_lshrrev_b32_e32 v5, 21, v5
	v_add_nc_u32_e32 v5, v1, v5
	s_delay_alu instid0(VALU_DEP_1) | instskip(SKIP_1) | instid1(VALU_DEP_1)
	v_ashrrev_i32_e32 v5, 11, v5
	s_wait_loadcnt 0x0
	v_sub_nc_u32_e32 v18, v5, v8
	s_wait_xcnt 0x0
	s_delay_alu instid0(VALU_DEP_1)
	v_cmpx_lt_i32_e32 0, v18
	s_cbranch_execz .LBB6_30731
; %bb.30728:                            ;   in Loop: Header=BB6_30647 Depth=3
	s_clause 0x2
	scratch_load_b64 v[16:17], off, s33 offset:524
	scratch_load_b64 v[20:21], off, s33 offset:272
	;; [unrolled: 1-line block ×3, first 2 shown]
	s_mov_b32 s14, 0
	s_wait_loadcnt 0x2
	v_add_nc_u64_e32 v[8:9], v[2:3], v[16:17]
	v_add_nc_u64_e32 v[10:11], v[12:13], v[16:17]
	;; [unrolled: 1-line block ×3, first 2 shown]
.LBB6_30729:                            ;   Parent Loop BB6_47 Depth=1
                                        ;     Parent Loop BB6_30644 Depth=2
                                        ;       Parent Loop BB6_30647 Depth=3
                                        ; =>      This Inner Loop Header: Depth=4
	s_clause 0x3
	global_load_b128 v[24:27], v[8:9], off th:TH_LOAD_NT
	global_load_b128 v[28:31], v[8:9], off offset:512 th:TH_LOAD_NT
	global_load_b128 v[32:35], v[8:9], off offset:1024 th:TH_LOAD_NT
	;; [unrolled: 1-line block ×3, first 2 shown]
	s_wait_loadcnt 0x5
	v_sub_nc_u32_e32 v18, v18, v20
	s_wait_loadcnt 0x4
	s_wait_xcnt 0x0
	v_add_nc_u64_e32 v[8:9], v[8:9], v[48:49]
	s_wait_loadcnt 0x3
	global_store_b128 v[10:11], v[24:27], off th:TH_STORE_NT
	s_wait_loadcnt 0x2
	global_store_b128 v[10:11], v[28:31], off offset:512 th:TH_STORE_NT
	s_wait_loadcnt 0x1
	global_store_b128 v[10:11], v[32:35], off offset:1024 th:TH_STORE_NT
	;; [unrolled: 2-line block ×3, first 2 shown]
	s_clause 0x3
	global_store_b128 v[16:17], v[24:27], off th:TH_STORE_NT
	global_store_b128 v[16:17], v[28:31], off offset:512 th:TH_STORE_NT
	global_store_b128 v[16:17], v[32:35], off offset:1024 th:TH_STORE_NT
	;; [unrolled: 1-line block ×3, first 2 shown]
	v_cmp_gt_i32_e32 vcc_lo, 1, v18
	s_wait_xcnt 0x4
	v_add_nc_u64_e32 v[10:11], v[10:11], v[48:49]
	s_wait_xcnt 0x0
	v_add_nc_u64_e32 v[16:17], v[16:17], v[48:49]
	s_or_b32 s14, vcc_lo, s14
	s_delay_alu instid0(SALU_CYCLE_1)
	s_and_not1_b32 exec_lo, exec_lo, s14
	s_cbranch_execnz .LBB6_30729
; %bb.30730:                            ;   in Loop: Header=BB6_30647 Depth=3
	s_or_b32 exec_lo, exec_lo, s14
.LBB6_30731:                            ;   in Loop: Header=BB6_30647 Depth=3
	s_delay_alu instid0(SALU_CYCLE_1) | instskip(SKIP_3) | instid1(VALU_DEP_1)
	s_or_b32 exec_lo, exec_lo, s13
	v_dual_lshlrev_b32 v23, 11, v5 :: v_dual_mov_b32 v5, 0
	s_mov_b32 s13, 0
	s_mov_b32 s74, exec_lo
                                        ; implicit-def: $vgpr16
                                        ; implicit-def: $vgpr17
	v_cmpx_ne_u32_e64 v1, v23
	s_cbranch_execz .LBB6_30739
; %bb.30732:                            ;   in Loop: Header=BB6_30647 Depth=3
	scratch_load_b32 v8, off, s33 offset:504 ; 4-byte Folded Reload
	v_dual_lshlrev_b32 v5, 5, v18 :: v_dual_sub_nc_u32 v9, v1, v23
	s_mov_b32 s75, exec_lo
	s_wait_loadcnt 0x0
	s_delay_alu instid0(VALU_DEP_1) | instskip(NEXT) | instid1(VALU_DEP_2)
	v_sub_nc_u32_e32 v5, v8, v5
	v_ashrrev_i32_e32 v10, 31, v9
	s_delay_alu instid0(VALU_DEP_1) | instskip(NEXT) | instid1(VALU_DEP_1)
	v_dual_ashrrev_i32 v8, 31, v5 :: v_dual_lshrrev_b32 v10, 23, v10
	v_lshrrev_b32_e32 v8, 27, v8
	s_delay_alu instid0(VALU_DEP_1) | instskip(NEXT) | instid1(VALU_DEP_3)
	v_add_nc_u32_e32 v8, v5, v8
	v_add_nc_u32_e32 v10, v9, v10
	s_delay_alu instid0(VALU_DEP_2) | instskip(NEXT) | instid1(VALU_DEP_1)
	v_and_b32_e32 v11, 0xffffffe0, v8
	v_dual_sub_nc_u32 v24, v5, v11 :: v_dual_ashrrev_i32 v11, 5, v8
	s_delay_alu instid0(VALU_DEP_3) | instskip(NEXT) | instid1(VALU_DEP_2)
	v_and_b32_e32 v5, 0xfffffe00, v10
	v_dual_ashrrev_i32 v10, 9, v10 :: v_dual_lshlrev_b32 v8, 4, v24
	s_delay_alu instid0(VALU_DEP_2) | instskip(NEXT) | instid1(VALU_DEP_2)
	v_sub_nc_u32_e32 v25, v9, v5
	v_lshl_add_u32 v8, v11, 9, v8
	s_delay_alu instid0(VALU_DEP_2) | instskip(NEXT) | instid1(VALU_DEP_1)
	v_cmp_lt_i32_e64 s13, 15, v25
	v_add_co_ci_u32_e64 v10, null, 0, v10, s13
	s_delay_alu instid0(VALU_DEP_1) | instskip(SKIP_1) | instid1(VALU_DEP_1)
	v_dual_sub_nc_u32 v27, v9, v8 :: v_dual_sub_nc_u32 v26, v10, v11
	s_wait_xcnt 0x0
	v_cmpx_lt_i32_e32 15, v27
	s_cbranch_execz .LBB6_30738
; %bb.30733:                            ;   in Loop: Header=BB6_30647 Depth=3
	v_add_nc_u32_e32 v8, v8, v23
	s_mov_b32 s76, 0
	s_delay_alu instid0(VALU_DEP_1) | instskip(NEXT) | instid1(VALU_DEP_1)
	v_ashrrev_i32_e32 v9, 31, v8
	v_add_nc_u64_e32 v[16:17], v[8:9], v[2:3]
	v_add_nc_u64_e32 v[18:19], v[8:9], v[12:13]
	;; [unrolled: 1-line block ×3, first 2 shown]
.LBB6_30734:                            ;   Parent Loop BB6_47 Depth=1
                                        ;     Parent Loop BB6_30644 Depth=2
                                        ;       Parent Loop BB6_30647 Depth=3
                                        ; =>      This Loop Header: Depth=4
                                        ;           Child Loop BB6_30735 Depth 5
	global_load_b128 v[8:11], v[16:17], off th:TH_LOAD_NT
	s_mov_b64 s[42:43], 0
	s_mov_b32 s77, -1
.LBB6_30735:                            ;   Parent Loop BB6_47 Depth=1
                                        ;     Parent Loop BB6_30644 Depth=2
                                        ;       Parent Loop BB6_30647 Depth=3
                                        ;         Parent Loop BB6_30734 Depth=4
                                        ; =>        This Inner Loop Header: Depth=5
	s_cmp_eq_u32 s42, 1
	s_cselect_b32 vcc_lo, -1, 0
	s_cmp_eq_u32 s42, 0
	s_wait_xcnt 0x0
	v_dual_cndmask_b32 v29, v19, v21 :: v_dual_cndmask_b32 v28, v18, v20
	s_cselect_b32 s14, -1, 0
	s_and_b32 s15, exec_lo, s77
	s_mov_b64 s[42:43], 1
	s_mov_b32 s77, 0
	v_add_nc_u64_e32 v[30:31], 0x200, v[28:29]
	s_wait_loadcnt 0x0
	global_store_b128 v[28:29], v[8:11], off th:TH_STORE_NT
	v_dual_cndmask_b32 v21, v21, v31 :: v_dual_cndmask_b32 v20, v20, v30
	v_dual_cndmask_b32 v19, v19, v31, s14 :: v_dual_cndmask_b32 v18, v18, v30, s14
	s_mov_b32 vcc_lo, s15
	s_cbranch_vccnz .LBB6_30735
; %bb.30736:                            ;   in Loop: Header=BB6_30734 Depth=4
	scratch_load_b64 v[8:9], off, s33 offset:336 ; 8-byte Folded Reload
	s_wait_loadcnt 0x0
	v_sub_nc_u32_e32 v27, v27, v8
	scratch_load_b64 v[8:9], off, s33 offset:388 ; 8-byte Folded Reload
	s_wait_loadcnt 0x0
	v_add_nc_u64_e32 v[18:19], v[18:19], v[8:9]
	v_add_nc_u64_e32 v[20:21], v[20:21], v[8:9]
	scratch_load_b64 v[8:9], off, s33 offset:396 ; 8-byte Folded Reload
	s_wait_loadcnt 0x0
	v_add_nc_u64_e32 v[16:17], v[8:9], v[16:17]
	scratch_load_b64 v[8:9], off, s33 offset:272 ; 8-byte Folded Reload
	s_wait_loadcnt 0x0
	v_sub_nc_u32_e32 v26, v26, v8
	v_cmp_gt_i32_e32 vcc_lo, 16, v27
	s_or_b32 s76, vcc_lo, s76
	s_wait_xcnt 0x0
	s_and_not1_b32 exec_lo, exec_lo, s76
	s_cbranch_execnz .LBB6_30734
; %bb.30737:                            ;   in Loop: Header=BB6_30647 Depth=3
	s_or_b32 exec_lo, exec_lo, s76
.LBB6_30738:                            ;   in Loop: Header=BB6_30647 Depth=3
	s_delay_alu instid0(SALU_CYCLE_1) | instskip(SKIP_4) | instid1(VALU_DEP_1)
	s_or_b32 exec_lo, exec_lo, s75
	scratch_load_b64 v[10:11], off, s33 offset:272 ; 8-byte Folded Reload
	v_cmp_lt_i32_e32 vcc_lo, 0, v26
	s_wait_loadcnt 0x0
	v_dual_cndmask_b32 v10, 0, v10, vcc_lo :: v_dual_bitop2_b32 v8, 15, v1 bitop3:0x40
	v_dual_sub_nc_u32 v9, v25, v8 :: v_dual_cndmask_b32 v16, v25, v8, s13
	s_delay_alu instid0(VALU_DEP_1) | instskip(NEXT) | instid1(VALU_DEP_2)
	v_dual_cndmask_b32 v8, 0, v9, s13 :: v_dual_sub_nc_u32 v9, v10, v26
	v_cmp_ne_u32_e32 vcc_lo, 0, v16
	s_delay_alu instid0(VALU_DEP_2) | instskip(NEXT) | instid1(VALU_DEP_3)
	v_add3_u32 v5, v5, v23, v8
	v_lshl_add_u32 v17, v9, 5, v24
	s_and_b32 s13, vcc_lo, exec_lo
.LBB6_30739:                            ;   in Loop: Header=BB6_30647 Depth=3
	s_wait_xcnt 0x0
	s_or_b32 exec_lo, exec_lo, s74
	s_and_saveexec_b32 s15, s13
	s_cbranch_execz .LBB6_30750
.LBB6_30740:                            ;   in Loop: Header=BB6_30647 Depth=3
	s_wait_loadcnt 0x0
	v_dual_ashrrev_i32 v8, 31, v17 :: v_dual_ashrrev_i32 v9, 31, v16
	s_mov_b32 s13, exec_lo
	s_delay_alu instid0(VALU_DEP_1) | instskip(NEXT) | instid1(VALU_DEP_1)
	v_dual_lshrrev_b32 v8, 27, v8 :: v_dual_lshrrev_b32 v9, 22, v9
	v_dual_add_nc_u32 v8, v17, v8 :: v_dual_add_nc_u32 v9, v16, v9
	s_delay_alu instid0(VALU_DEP_1) | instskip(NEXT) | instid1(VALU_DEP_1)
	v_dual_ashrrev_i32 v18, 5, v8 :: v_dual_ashrrev_i32 v20, 10, v9
	v_sub_nc_u32_e32 v19, v20, v18
	s_delay_alu instid0(VALU_DEP_1)
	v_cmpx_lt_i32_e32 0, v19
	s_cbranch_execz .LBB6_30744
; %bb.30741:                            ;   in Loop: Header=BB6_30647 Depth=3
	s_clause 0x1
	scratch_load_b64 v[70:71], off, s33 offset:272
	scratch_load_b64 v[80:81], off, s33 offset:280
	v_and_b32_e32 v8, 0xffffffe0, v8
	v_lshlrev_b32_e32 v9, 10, v18
	v_add_nc_u64_e32 v[26:27], 0x3e0, v[2:3]
	s_mov_b32 s14, 0
	s_delay_alu instid0(VALU_DEP_3) | instskip(NEXT) | instid1(VALU_DEP_1)
	v_sub_nc_u32_e32 v8, v17, v8
	v_add3_u32 v24, v5, v8, v9
	s_delay_alu instid0(VALU_DEP_1) | instskip(NEXT) | instid1(VALU_DEP_1)
	v_ashrrev_i32_e32 v25, 31, v24
	v_add_nc_u64_e32 v[8:9], v[24:25], v[12:13]
	v_add_nc_u64_e32 v[10:11], v[24:25], v[14:15]
	v_add_nc_u64_e32 v[14:15], v[26:27], v[24:25]
.LBB6_30742:                            ;   Parent Loop BB6_47 Depth=1
                                        ;     Parent Loop BB6_30644 Depth=2
                                        ;       Parent Loop BB6_30647 Depth=3
                                        ; =>      This Inner Loop Header: Depth=4
	s_clause 0x1f
	flat_load_u8 v21, v[14:15] offset:-992 th:TH_LOAD_NT
	flat_load_u8 v23, v[14:15] offset:-960 th:TH_LOAD_NT
	;; [unrolled: 1-line block ×31, first 2 shown]
	flat_load_u8 v69, v[14:15] th:TH_LOAD_NT
	s_wait_loadcnt 0x21
	v_sub_nc_u32_e32 v19, v19, v70
	s_wait_loadcnt 0x20
	s_wait_xcnt 0x0
	v_add_nc_u64_e32 v[14:15], v[14:15], v[80:81]
	s_wait_loadcnt_dscnt 0x1f1f
	flat_store_b8 v[8:9], v21 th:TH_STORE_NT
	s_wait_loadcnt_dscnt 0x1e1f
	flat_store_b8 v[8:9], v23 offset:32 th:TH_STORE_NT
	s_wait_loadcnt_dscnt 0x1d1f
	flat_store_b8 v[8:9], v24 offset:64 th:TH_STORE_NT
	;; [unrolled: 2-line block ×31, first 2 shown]
	s_clause 0x1f
	flat_store_b8 v[10:11], v21 th:TH_STORE_NT
	flat_store_b8 v[10:11], v23 offset:32 th:TH_STORE_NT
	flat_store_b8 v[10:11], v24 offset:64 th:TH_STORE_NT
	;; [unrolled: 1-line block ×31, first 2 shown]
	v_cmp_gt_i32_e32 vcc_lo, 1, v19
	s_wait_xcnt 0x20
	v_add_nc_u64_e32 v[8:9], v[8:9], v[80:81]
	s_wait_xcnt 0x0
	v_add_nc_u64_e32 v[10:11], v[10:11], v[80:81]
	s_or_b32 s14, vcc_lo, s14
	s_delay_alu instid0(SALU_CYCLE_1)
	s_and_not1_b32 exec_lo, exec_lo, s14
	s_cbranch_execnz .LBB6_30742
; %bb.30743:                            ;   in Loop: Header=BB6_30647 Depth=3
	s_or_b32 exec_lo, exec_lo, s14
.LBB6_30744:                            ;   in Loop: Header=BB6_30647 Depth=3
	s_delay_alu instid0(SALU_CYCLE_1) | instskip(SKIP_1) | instid1(VALU_DEP_1)
	s_or_b32 exec_lo, exec_lo, s13
	v_lshlrev_b32_e32 v8, 10, v20
	v_cmp_ne_u32_e32 vcc_lo, v16, v8
	s_and_b32 exec_lo, exec_lo, vcc_lo
	s_cbranch_execz .LBB6_30750
; %bb.30745:                            ;   in Loop: Header=BB6_30647 Depth=3
	v_dual_lshlrev_b32 v9, 5, v18 :: v_dual_lshlrev_b32 v10, 5, v19
	s_delay_alu instid0(VALU_DEP_1) | instskip(NEXT) | instid1(VALU_DEP_1)
	v_sub_nc_u32_e32 v9, v17, v9
	v_sub_nc_u32_e32 v9, v9, v10
	s_delay_alu instid0(VALU_DEP_1) | instskip(NEXT) | instid1(VALU_DEP_1)
	v_add_nc_u32_e32 v8, v8, v9
	v_sub_nc_u32_e32 v16, v16, v8
	s_delay_alu instid0(VALU_DEP_1)
	v_cmp_lt_i32_e32 vcc_lo, 0, v16
	s_and_b32 exec_lo, exec_lo, vcc_lo
	s_cbranch_execz .LBB6_30750
; %bb.30746:                            ;   in Loop: Header=BB6_30647 Depth=3
	s_trap 2
	ds_load_b64 v[10:11], v0
	ds_load_b128 v[18:21], v0
	v_add_nc_u32_e32 v14, v8, v5
	s_mov_b32 s74, 0
	s_delay_alu instid0(VALU_DEP_1) | instskip(SKIP_1) | instid1(VALU_DEP_1)
	v_ashrrev_i32_e32 v15, 31, v14
	s_wait_dscnt 0x1
	v_add_nc_u64_e32 v[8:9], v[10:11], v[14:15]
	s_wait_dscnt 0x0
	v_add_nc_u64_e32 v[10:11], v[18:19], v[14:15]
	v_add_nc_u64_e32 v[14:15], v[20:21], v[14:15]
.LBB6_30747:                            ;   Parent Loop BB6_47 Depth=1
                                        ;     Parent Loop BB6_30644 Depth=2
                                        ;       Parent Loop BB6_30647 Depth=3
                                        ; =>      This Loop Header: Depth=4
                                        ;           Child Loop BB6_30748 Depth 5
	flat_load_u8 v5, v[8:9] th:TH_LOAD_NT
	s_mov_b64 s[42:43], 0
	s_mov_b32 s75, -1
.LBB6_30748:                            ;   Parent Loop BB6_47 Depth=1
                                        ;     Parent Loop BB6_30644 Depth=2
                                        ;       Parent Loop BB6_30647 Depth=3
                                        ;         Parent Loop BB6_30747 Depth=4
                                        ; =>        This Inner Loop Header: Depth=5
	s_cmp_eq_u32 s42, 1
	s_cselect_b32 vcc_lo, -1, 0
	s_cmp_eq_u32 s42, 0
	s_wait_xcnt 0x0
	v_dual_cndmask_b32 v19, v11, v15 :: v_dual_cndmask_b32 v18, v10, v14
	s_cselect_b32 s13, -1, 0
	s_and_b32 s14, exec_lo, s75
	s_mov_b64 s[42:43], 1
	s_mov_b32 s75, 0
	v_add_nc_u64_e32 v[20:21], 32, v[18:19]
	s_wait_loadcnt_dscnt 0x0
	flat_store_b8 v[18:19], v5 th:TH_STORE_NT
	v_dual_cndmask_b32 v15, v15, v21 :: v_dual_cndmask_b32 v14, v14, v20
	v_dual_cndmask_b32 v11, v11, v21, s13 :: v_dual_cndmask_b32 v10, v10, v20, s13
	s_mov_b32 vcc_lo, s14
	s_cbranch_vccnz .LBB6_30748
; %bb.30749:                            ;   in Loop: Header=BB6_30747 Depth=4
	scratch_load_b64 v[18:19], off, s33 offset:288 ; 8-byte Folded Reload
	s_wait_loadcnt 0x0
	v_sub_nc_u32_e32 v16, v16, v18
	scratch_load_b64 v[18:19], off, s33 offset:368 ; 8-byte Folded Reload
	v_cmp_gt_i32_e32 vcc_lo, 1, v16
	s_or_b32 s74, vcc_lo, s74
	s_wait_loadcnt 0x0
	v_add_nc_u64_e32 v[10:11], v[10:11], v[18:19]
	v_add_nc_u64_e32 v[14:15], v[14:15], v[18:19]
	scratch_load_b64 v[18:19], off, s33 offset:376 ; 8-byte Folded Reload
	s_wait_loadcnt 0x0
	v_add_nc_u64_e32 v[8:9], v[18:19], v[8:9]
	s_wait_xcnt 0x0
	s_and_not1_b32 exec_lo, exec_lo, s74
	s_cbranch_execnz .LBB6_30747
.LBB6_30750:                            ;   in Loop: Header=BB6_30647 Depth=3
	s_or_b32 exec_lo, exec_lo, s15
	s_mov_b32 s13, 0
.LBB6_30751:                            ;   in Loop: Header=BB6_30647 Depth=3
	s_delay_alu instid0(SALU_CYCLE_1)
	s_and_b32 vcc_lo, exec_lo, s13
	s_cbranch_vccz .LBB6_30778
; %bb.30752:                            ;   in Loop: Header=BB6_30647 Depth=3
	s_mov_b32 s13, -1
	s_and_saveexec_b32 s14, s10
	s_cbranch_execz .LBB6_30754
; %bb.30753:                            ;   in Loop: Header=BB6_30647 Depth=3
	ds_load_b32 v5, v0 offset:720
	s_wait_dscnt 0x0
	v_and_b32_e32 v5, 15, v5
	s_delay_alu instid0(VALU_DEP_1)
	v_cmp_eq_u32_e32 vcc_lo, 0, v5
	s_or_not1_b32 s13, vcc_lo, exec_lo
.LBB6_30754:                            ;   in Loop: Header=BB6_30647 Depth=3
	s_or_b32 exec_lo, exec_lo, s14
	s_and_saveexec_b32 s14, s7
	s_cbranch_execz .LBB6_30756
; %bb.30755:                            ;   in Loop: Header=BB6_30647 Depth=3
	ds_load_b32 v5, v0 offset:784
	s_wait_dscnt 0x0
	v_and_b32_e32 v5, 15, v5
	s_delay_alu instid0(VALU_DEP_1) | instskip(SKIP_3) | instid1(SALU_CYCLE_1)
	v_cmp_eq_u32_e32 vcc_lo, 0, v5
	s_and_b32 s15, s13, vcc_lo
	s_and_not1_b32 s13, s13, exec_lo
	s_and_b32 s15, s15, exec_lo
	s_or_b32 s13, s13, s15
.LBB6_30756:                            ;   in Loop: Header=BB6_30647 Depth=3
	s_or_b32 exec_lo, exec_lo, s14
	scratch_load_b32 v11, off, s33 offset:384 ; 4-byte Folded Reload
	s_xor_b32 s13, s13, -1
	s_mov_b32 s15, -1
	v_cndmask_b32_e64 v5, 0, 1, s13
	v_mov_b32_e32 v10, v1
	s_delay_alu instid0(VALU_DEP_2)
	v_cmp_ne_u32_e32 vcc_lo, 0, v5
	v_mov_b32_e32 v5, 0
	s_cbranch_vccz .LBB6_30758
; %bb.30757:                            ;   in Loop: Header=BB6_30647 Depth=3
	s_wait_xcnt 0x0
	s_and_saveexec_b32 s13, s15
	s_cbranch_execnz .LBB6_30769
	s_branch .LBB6_30777
.LBB6_30758:                            ;   in Loop: Header=BB6_30647 Depth=3
	scratch_load_b32 v8, off, s33 offset:420 ; 4-byte Folded Reload
	v_ashrrev_i32_e32 v5, 31, v1
	s_mov_b32 s13, exec_lo
	s_delay_alu instid0(VALU_DEP_1) | instskip(NEXT) | instid1(VALU_DEP_1)
	v_lshrrev_b32_e32 v5, 20, v5
	v_add_nc_u32_e32 v5, v1, v5
	s_delay_alu instid0(VALU_DEP_1) | instskip(SKIP_1) | instid1(VALU_DEP_1)
	v_ashrrev_i32_e32 v5, 12, v5
	s_wait_loadcnt 0x0
	v_sub_nc_u32_e32 v15, v5, v8
	s_wait_xcnt 0x0
	s_delay_alu instid0(VALU_DEP_1)
	v_cmpx_lt_i32_e32 0, v15
	s_cbranch_execz .LBB6_30762
; %bb.30759:                            ;   in Loop: Header=BB6_30647 Depth=3
	s_clause 0x2
	scratch_load_b64 v[68:69], off, s33 offset:272
	scratch_load_b64 v[70:71], off, s33 offset:496
	;; [unrolled: 1-line block ×3, first 2 shown]
	v_mov_b64_e32 v[8:9], v[12:13]
	v_mov_b64_e32 v[10:11], v[2:3]
	s_mov_b32 s14, 0
.LBB6_30760:                            ;   Parent Loop BB6_47 Depth=1
                                        ;     Parent Loop BB6_30644 Depth=2
                                        ;       Parent Loop BB6_30647 Depth=3
                                        ; =>      This Inner Loop Header: Depth=4
	s_wait_loadcnt 0x0
	s_delay_alu instid0(VALU_DEP_1)
	v_add_nc_u64_e32 v[20:21], v[80:81], v[10:11]
	v_sub_nc_u32_e32 v15, v15, v68
	v_add_nc_u64_e32 v[10:11], v[10:11], v[70:71]
	s_clause 0x7
	global_load_b128 v[16:19], v[20:21], off th:TH_LOAD_NT
	global_load_b128 v[24:27], v[20:21], off offset:512 th:TH_LOAD_NT
	global_load_b128 v[28:31], v[20:21], off offset:1024 th:TH_LOAD_NT
	;; [unrolled: 1-line block ×7, first 2 shown]
	s_wait_xcnt 0x0
	v_add_nc_u64_e32 v[20:21], v[80:81], v[8:9]
	v_add_nc_u64_e32 v[8:9], v[8:9], v[70:71]
	v_cmp_gt_i32_e32 vcc_lo, 1, v15
	s_wait_loadcnt 0x7
	global_store_b128 v[20:21], v[16:19], off th:TH_STORE_NT
	s_wait_loadcnt 0x6
	global_store_b128 v[20:21], v[24:27], off offset:512 th:TH_STORE_NT
	s_wait_loadcnt 0x5
	global_store_b128 v[20:21], v[28:31], off offset:1024 th:TH_STORE_NT
	s_wait_loadcnt 0x4
	global_store_b128 v[20:21], v[32:35], off offset:1536 th:TH_STORE_NT
	s_wait_loadcnt 0x3
	global_store_b128 v[20:21], v[36:39], off offset:2048 th:TH_STORE_NT
	s_wait_loadcnt 0x2
	global_store_b128 v[20:21], v[48:51], off offset:2560 th:TH_STORE_NT
	s_wait_loadcnt 0x1
	global_store_b128 v[20:21], v[52:55], off offset:3072 th:TH_STORE_NT
	s_wait_loadcnt 0x0
	global_store_b128 v[20:21], v[64:67], off offset:3584 th:TH_STORE_NT
	s_or_b32 s14, vcc_lo, s14
	s_wait_xcnt 0x0
	s_and_not1_b32 exec_lo, exec_lo, s14
	s_cbranch_execnz .LBB6_30760
; %bb.30761:                            ;   in Loop: Header=BB6_30647 Depth=3
	s_or_b32 exec_lo, exec_lo, s14
.LBB6_30762:                            ;   in Loop: Header=BB6_30647 Depth=3
	s_delay_alu instid0(SALU_CYCLE_1) | instskip(SKIP_3) | instid1(VALU_DEP_1)
	s_or_b32 exec_lo, exec_lo, s13
	v_dual_mov_b32 v5, 0 :: v_dual_lshlrev_b32 v14, 12, v5
	s_mov_b32 s15, 0
	s_mov_b32 s14, exec_lo
                                        ; implicit-def: $vgpr10
                                        ; implicit-def: $vgpr11
	v_cmpx_ne_u32_e64 v1, v14
	s_cbranch_execz .LBB6_30768
; %bb.30763:                            ;   in Loop: Header=BB6_30647 Depth=3
	scratch_load_b32 v8, off, s33 offset:504 ; 4-byte Folded Reload
	v_dual_lshlrev_b32 v5, 5, v15 :: v_dual_sub_nc_u32 v9, v1, v14
	s_mov_b32 s15, exec_lo
	s_wait_loadcnt 0x0
	s_delay_alu instid0(VALU_DEP_1) | instskip(NEXT) | instid1(VALU_DEP_2)
	v_sub_nc_u32_e32 v5, v8, v5
	v_ashrrev_i32_e32 v10, 31, v9
	s_delay_alu instid0(VALU_DEP_1) | instskip(NEXT) | instid1(VALU_DEP_1)
	v_dual_ashrrev_i32 v8, 31, v5 :: v_dual_lshrrev_b32 v10, 23, v10
	v_lshrrev_b32_e32 v8, 27, v8
	s_delay_alu instid0(VALU_DEP_1) | instskip(NEXT) | instid1(VALU_DEP_1)
	v_add_nc_u32_e32 v8, v5, v8
	v_dual_add_nc_u32 v15, v9, v10 :: v_dual_ashrrev_i32 v17, 5, v8
	v_and_b32_e32 v11, 0xffffffe0, v8
	s_delay_alu instid0(VALU_DEP_1) | instskip(NEXT) | instid1(VALU_DEP_3)
	v_sub_nc_u32_e32 v11, v5, v11
	v_and_b32_e32 v5, 0xfffffe00, v15
	s_delay_alu instid0(VALU_DEP_1) | instskip(NEXT) | instid1(VALU_DEP_1)
	v_dual_ashrrev_i32 v15, 9, v15 :: v_dual_sub_nc_u32 v10, v9, v5
	v_cmp_lt_i32_e32 vcc_lo, 15, v10
	s_delay_alu instid0(VALU_DEP_2) | instskip(NEXT) | instid1(VALU_DEP_1)
	v_add_co_ci_u32_e64 v15, null, 0, v15, vcc_lo
	v_dual_sub_nc_u32 v15, v15, v17 :: v_dual_lshlrev_b32 v8, 4, v11
	s_delay_alu instid0(VALU_DEP_1) | instskip(NEXT) | instid1(VALU_DEP_1)
	v_lshl_add_u32 v8, v17, 9, v8
	v_sub_nc_u32_e32 v16, v9, v8
	s_wait_xcnt 0x0
	s_delay_alu instid0(VALU_DEP_1)
	v_cmpx_lt_i32_e32 15, v16
	s_cbranch_execz .LBB6_30767
; %bb.30764:                            ;   in Loop: Header=BB6_30647 Depth=3
	s_clause 0x1
	scratch_load_b64 v[26:27], off, s33 offset:272
	scratch_load_b64 v[28:29], off, s33 offset:336
	v_add_nc_u32_e32 v8, v8, v14
	s_mov_b32 s42, 0
	s_delay_alu instid0(VALU_DEP_1)
	v_ashrrev_i32_e32 v9, 31, v8
.LBB6_30765:                            ;   Parent Loop BB6_47 Depth=1
                                        ;     Parent Loop BB6_30644 Depth=2
                                        ;       Parent Loop BB6_30647 Depth=3
                                        ; =>      This Inner Loop Header: Depth=4
	s_delay_alu instid0(VALU_DEP_1) | instskip(SKIP_4) | instid1(VALU_DEP_3)
	v_add_nc_u64_e32 v[18:19], v[2:3], v[8:9]
	s_wait_loadcnt 0x0
	v_dual_sub_nc_u32 v16, v16, v28 :: v_dual_sub_nc_u32 v15, v15, v26
	v_add_nc_u64_e32 v[24:25], v[12:13], v[8:9]
	v_add_nc_u64_e32 v[8:9], v[8:9], v[28:29]
	v_cmp_gt_i32_e64 s13, 16, v16
	global_load_b128 v[18:21], v[18:19], off th:TH_LOAD_NT
	s_or_b32 s42, s13, s42
	s_wait_loadcnt 0x0
	global_store_b128 v[24:25], v[18:21], off th:TH_STORE_NT
	s_wait_xcnt 0x0
	s_and_not1_b32 exec_lo, exec_lo, s42
	s_cbranch_execnz .LBB6_30765
; %bb.30766:                            ;   in Loop: Header=BB6_30647 Depth=3
	s_or_b32 exec_lo, exec_lo, s42
.LBB6_30767:                            ;   in Loop: Header=BB6_30647 Depth=3
	s_delay_alu instid0(SALU_CYCLE_1) | instskip(SKIP_3) | instid1(VALU_DEP_1)
	s_or_b32 exec_lo, exec_lo, s15
	scratch_load_b64 v[16:17], off, s33 offset:272 ; 8-byte Folded Reload
	v_cmp_lt_i32_e64 s13, 0, v15
	s_wait_loadcnt 0x0
	v_dual_cndmask_b32 v16, 0, v16, s13 :: v_dual_bitop2_b32 v8, 15, v1 bitop3:0x40
	s_delay_alu instid0(VALU_DEP_1) | instskip(NEXT) | instid1(VALU_DEP_1)
	v_dual_cndmask_b32 v10, v10, v8 :: v_dual_sub_nc_u32 v9, v10, v8
	v_dual_cndmask_b32 v8, 0, v9 :: v_dual_sub_nc_u32 v9, v16, v15
	s_delay_alu instid0(VALU_DEP_2) | instskip(NEXT) | instid1(VALU_DEP_2)
	v_cmp_ne_u32_e32 vcc_lo, 0, v10
	v_add3_u32 v5, v5, v14, v8
	s_delay_alu instid0(VALU_DEP_3)
	v_lshl_add_u32 v11, v9, 5, v11
	s_and_b32 s15, vcc_lo, exec_lo
.LBB6_30768:                            ;   in Loop: Header=BB6_30647 Depth=3
	s_wait_xcnt 0x0
	s_or_b32 exec_lo, exec_lo, s14
	s_and_saveexec_b32 s13, s15
	s_cbranch_execz .LBB6_30777
.LBB6_30769:                            ;   in Loop: Header=BB6_30647 Depth=3
	s_wait_loadcnt 0x0
	v_dual_ashrrev_i32 v8, 31, v11 :: v_dual_ashrrev_i32 v9, 31, v10
	s_mov_b32 s14, exec_lo
	s_delay_alu instid0(VALU_DEP_1) | instskip(NEXT) | instid1(VALU_DEP_1)
	v_dual_lshrrev_b32 v8, 27, v8 :: v_dual_lshrrev_b32 v9, 22, v9
	v_dual_add_nc_u32 v8, v11, v8 :: v_dual_add_nc_u32 v9, v10, v9
	s_delay_alu instid0(VALU_DEP_1) | instskip(NEXT) | instid1(VALU_DEP_1)
	v_dual_ashrrev_i32 v14, 5, v8 :: v_dual_ashrrev_i32 v16, 10, v9
	v_sub_nc_u32_e32 v15, v16, v14
	s_delay_alu instid0(VALU_DEP_1)
	v_cmpx_lt_i32_e32 0, v15
	s_cbranch_execz .LBB6_30773
; %bb.30770:                            ;   in Loop: Header=BB6_30647 Depth=3
	s_clause 0x1
	scratch_load_b64 v[68:69], off, s33 offset:272
	scratch_load_b64 v[70:71], off, s33 offset:280
	v_and_b32_e32 v8, 0xffffffe0, v8
	s_mov_b32 s15, 0
	s_delay_alu instid0(VALU_DEP_1) | instskip(NEXT) | instid1(VALU_DEP_1)
	v_dual_lshlrev_b32 v9, 10, v14 :: v_dual_sub_nc_u32 v8, v11, v8
	v_add3_u32 v8, v5, v8, v9
	s_delay_alu instid0(VALU_DEP_1)
	v_ashrrev_i32_e32 v9, 31, v8
.LBB6_30771:                            ;   Parent Loop BB6_47 Depth=1
                                        ;     Parent Loop BB6_30644 Depth=2
                                        ;       Parent Loop BB6_30647 Depth=3
                                        ; =>      This Inner Loop Header: Depth=4
	s_delay_alu instid0(VALU_DEP_1)
	v_add_nc_u64_e32 v[18:19], v[8:9], v[2:3]
	s_wait_loadcnt 0x1
	v_sub_nc_u32_e32 v15, v15, v68
	s_wait_loadcnt 0x0
	v_add_nc_u64_e32 v[2:3], v[2:3], v[70:71]
	s_clause 0x1f
	flat_load_u8 v17, v[18:19] th:TH_LOAD_NT
	flat_load_u8 v20, v[18:19] offset:32 th:TH_LOAD_NT
	flat_load_u8 v21, v[18:19] offset:64 th:TH_LOAD_NT
	;; [unrolled: 1-line block ×31, first 2 shown]
	s_wait_xcnt 0x0
	v_add_nc_u64_e32 v[18:19], v[8:9], v[12:13]
	v_add_nc_u64_e32 v[12:13], v[12:13], v[70:71]
	v_cmp_gt_i32_e32 vcc_lo, 1, v15
	s_wait_loadcnt_dscnt 0x1f1f
	flat_store_b8 v[18:19], v17 th:TH_STORE_NT
	s_wait_loadcnt_dscnt 0x1e1f
	flat_store_b8 v[18:19], v20 offset:32 th:TH_STORE_NT
	s_wait_loadcnt_dscnt 0x1d1f
	flat_store_b8 v[18:19], v21 offset:64 th:TH_STORE_NT
	;; [unrolled: 2-line block ×31, first 2 shown]
	s_or_b32 s15, vcc_lo, s15
	s_wait_xcnt 0x0
	s_and_not1_b32 exec_lo, exec_lo, s15
	s_cbranch_execnz .LBB6_30771
; %bb.30772:                            ;   in Loop: Header=BB6_30647 Depth=3
	s_or_b32 exec_lo, exec_lo, s15
.LBB6_30773:                            ;   in Loop: Header=BB6_30647 Depth=3
	s_delay_alu instid0(SALU_CYCLE_1)
	s_or_b32 exec_lo, exec_lo, s14
	v_lshlrev_b32_e32 v2, 10, v16
	scratch_load_b64 v[16:17], off, s33 offset:288 ; 8-byte Folded Reload
	v_cmp_ne_u32_e32 vcc_lo, v10, v2
	s_and_b32 s14, exec_lo, vcc_lo
	s_wait_xcnt 0x0
	s_mov_b32 exec_lo, s14
	s_cbranch_execz .LBB6_30777
; %bb.30774:                            ;   in Loop: Header=BB6_30647 Depth=3
	v_dual_lshlrev_b32 v3, 5, v14 :: v_dual_lshlrev_b32 v8, 5, v15
	s_delay_alu instid0(VALU_DEP_1) | instskip(NEXT) | instid1(VALU_DEP_1)
	v_sub_nc_u32_e32 v3, v11, v3
	v_sub_nc_u32_e32 v3, v3, v8
	s_delay_alu instid0(VALU_DEP_1) | instskip(NEXT) | instid1(VALU_DEP_1)
	v_add_nc_u32_e32 v8, v2, v3
	v_sub_nc_u32_e32 v10, v10, v8
	s_delay_alu instid0(VALU_DEP_1)
	v_cmp_lt_i32_e32 vcc_lo, 0, v10
	s_and_b32 exec_lo, exec_lo, vcc_lo
	s_cbranch_execz .LBB6_30777
; %bb.30775:                            ;   in Loop: Header=BB6_30647 Depth=3
	s_trap 2
	ds_load_b64 v[2:3], v0
	v_add_nc_u32_e32 v8, v8, v5
	s_mov_b32 s14, 0
	s_delay_alu instid0(VALU_DEP_1)
	v_ashrrev_i32_e32 v9, 31, v8
.LBB6_30776:                            ;   Parent Loop BB6_47 Depth=1
                                        ;     Parent Loop BB6_30644 Depth=2
                                        ;       Parent Loop BB6_30647 Depth=3
                                        ; =>      This Inner Loop Header: Depth=4
	s_wait_dscnt 0x0
	s_delay_alu instid0(VALU_DEP_1) | instskip(SKIP_3) | instid1(VALU_DEP_2)
	v_add_nc_u64_e32 v[12:13], v[2:3], v[8:9]
	s_wait_loadcnt 0x0
	v_sub_nc_u32_e32 v10, v10, v16
	v_add_nc_u64_e32 v[8:9], v[8:9], v[16:17]
	v_cmp_gt_i32_e32 vcc_lo, 1, v10
	flat_load_u8 v5, v[12:13] th:TH_LOAD_NT
	s_or_b32 s14, vcc_lo, s14
	s_wait_loadcnt_dscnt 0x0
	flat_store_b8 v[12:13], v5 th:TH_STORE_NT
	s_wait_xcnt 0x0
	s_and_not1_b32 exec_lo, exec_lo, s14
	s_cbranch_execnz .LBB6_30776
.LBB6_30777:                            ;   in Loop: Header=BB6_30647 Depth=3
	s_or_b32 exec_lo, exec_lo, s13
.LBB6_30778:                            ;   in Loop: Header=BB6_30647 Depth=3
	v_cmp_lt_i32_e64 s13, 0, v1
	s_and_saveexec_b32 s14, s2
	s_cbranch_execz .LBB6_30723
.LBB6_30779:                            ;   in Loop: Header=BB6_30647 Depth=3
	s_and_saveexec_b32 s15, s3
	s_delay_alu instid0(SALU_CYCLE_1)
	s_xor_b32 s15, exec_lo, s15
	s_cbranch_execz .LBB6_30794
; %bb.30780:                            ;   in Loop: Header=BB6_30647 Depth=3
	s_and_saveexec_b32 s42, s6
	s_cbranch_execz .LBB6_30793
; %bb.30781:                            ;   in Loop: Header=BB6_30647 Depth=3
	s_mov_b32 s74, exec_lo
	s_mov_b32 s43, exec_lo
	v_mbcnt_lo_u32_b32 v1, s74, 0
	global_wb scope:SCOPE_DEV
	s_wait_storecnt 0x0
	s_wait_loadcnt_dscnt 0x0
	global_inv scope:SCOPE_DEV
	v_cmpx_eq_u32_e32 0, v1
	s_cbranch_execz .LBB6_30783
; %bb.30782:                            ;   in Loop: Header=BB6_30647 Depth=3
	s_bcnt1_i32_b32 s74, s74
	s_delay_alu instid0(SALU_CYCLE_1)
	v_dual_mov_b32 v3, v113 :: v_dual_mov_b32 v2, s74
	s_wait_loadcnt 0x0
	ds_add_u64 v0, v[2:3]
	s_trap 2
.LBB6_30783:                            ;   in Loop: Header=BB6_30647 Depth=3
	s_or_b32 exec_lo, exec_lo, s43
	s_trap 2
	ds_load_b64 v[2:3], v0
	s_wait_dscnt 0x0
	s_clause 0x1
	scratch_load_b64 v[8:9], off, s33 offset:208 th:TH_LOAD_LU
	scratch_load_b64 v[10:11], off, s33 offset:272
	s_mov_b32 s43, exec_lo
	s_wait_loadcnt 0x0
	v_add_nc_u64_e32 v[8:9], v[8:9], v[10:11]
	scratch_store_b64 off, v[8:9], s33 offset:208 ; 8-byte Folded Spill
	s_wait_xcnt 0x0
	v_cmpx_lt_u64_e64 v[2:3], v[8:9]
	s_cbranch_execz .LBB6_30792
; %bb.30784:                            ;   in Loop: Header=BB6_30647 Depth=3
	s_mov_b32 s74, 0
	s_mov_b32 s77, 0
                                        ; implicit-def: $sgpr75
                                        ; implicit-def: $sgpr76
	s_branch .LBB6_30786
.LBB6_30785:                            ;   in Loop: Header=BB6_30786 Depth=4
	s_wait_xcnt 0x0
	s_or_b32 exec_lo, exec_lo, s79
	s_delay_alu instid0(SALU_CYCLE_1) | instskip(NEXT) | instid1(SALU_CYCLE_1)
	s_and_b32 s78, exec_lo, s88
	s_or_b32 s74, s78, s74
	s_and_not1_b32 s75, s75, exec_lo
	s_and_b32 s78, s76, exec_lo
	s_delay_alu instid0(SALU_CYCLE_1)
	s_or_b32 s75, s75, s78
	s_and_not1_b32 exec_lo, exec_lo, s74
	s_cbranch_execz .LBB6_30790
.LBB6_30786:                            ;   Parent Loop BB6_47 Depth=1
                                        ;     Parent Loop BB6_30644 Depth=2
                                        ;       Parent Loop BB6_30647 Depth=3
                                        ; =>      This Inner Loop Header: Depth=4
	s_add_co_i32 s77, s77, 1
	s_delay_alu instid0(SALU_CYCLE_1) | instskip(SKIP_1) | instid1(SALU_CYCLE_1)
	s_cmp_lg_u32 s77, 0x2710
	s_cselect_b32 s78, -1, 0
	s_and_b32 vcc_lo, exec_lo, s78
	s_cbranch_vccz .LBB6_30788
; %bb.30787:                            ;   in Loop: Header=BB6_30786 Depth=4
	s_mov_b32 s88, -1
	s_or_b32 s76, s76, exec_lo
	s_and_saveexec_b32 s79, s78
	s_cbranch_execz .LBB6_30785
	s_branch .LBB6_30789
.LBB6_30788:                            ;   in Loop: Header=BB6_30786 Depth=4
	s_trap 2
	ds_load_b64 v[2:3], v0
	s_and_not1_b32 s78, s78, exec_lo
	s_mov_b32 s77, 0
	s_wait_storecnt_dscnt 0x0
	flat_load_b32 v1, v[2:3] scope:SCOPE_SYS
	s_wait_loadcnt_dscnt 0x0
	global_inv scope:SCOPE_SYS
	v_cmp_eq_u32_e32 vcc_lo, 0, v1
	s_and_b32 s79, vcc_lo, exec_lo
	s_delay_alu instid0(SALU_CYCLE_1)
	s_or_b32 s78, s78, s79
	s_mov_b32 s88, -1
	s_or_b32 s76, s76, exec_lo
	s_wait_xcnt 0x0
	s_and_saveexec_b32 s79, s78
	s_cbranch_execz .LBB6_30785
.LBB6_30789:                            ;   in Loop: Header=BB6_30786 Depth=4
	s_sleep 1
	s_trap 2
	ds_load_b64 v[2:3], v0
	s_wait_dscnt 0x0
	scratch_load_b64 v[8:9], off, s33 offset:208 ; 8-byte Folded Reload
	s_and_not1_b32 s76, s76, exec_lo
	s_wait_loadcnt 0x0
	v_cmp_ge_u64_e32 vcc_lo, v[2:3], v[8:9]
	s_or_not1_b32 s88, vcc_lo, exec_lo
	s_branch .LBB6_30785
.LBB6_30790:                            ;   in Loop: Header=BB6_30647 Depth=3
	s_or_b32 exec_lo, exec_lo, s74
	s_and_saveexec_b32 s74, s75
	s_delay_alu instid0(SALU_CYCLE_1)
	s_xor_b32 s74, exec_lo, s74
	s_cbranch_execz .LBB6_30792
; %bb.30791:                            ;   in Loop: Header=BB6_30647 Depth=3
	v_mov_b32_e32 v1, 1
	ds_store_b32 v0, v1
	s_trap 2
.LBB6_30792:                            ;   in Loop: Header=BB6_30647 Depth=3
	s_or_b32 exec_lo, exec_lo, s43
	;;#ASMSTART
	s_wakeup
	;;#ASMEND
.LBB6_30793:                            ;   in Loop: Header=BB6_30647 Depth=3
	s_or_b32 exec_lo, exec_lo, s42
.LBB6_30794:                            ;   in Loop: Header=BB6_30647 Depth=3
	s_and_not1_saveexec_b32 s15, s15
	s_cbranch_execz .LBB6_30796
; %bb.30795:                            ;   in Loop: Header=BB6_30647 Depth=3
	global_wb scope:SCOPE_DEV
	s_wait_storecnt 0x0
	s_wait_loadcnt_dscnt 0x0
	global_inv scope:SCOPE_DEV
	s_barrier_signal -1
	s_barrier_wait -1
.LBB6_30796:                            ;   in Loop: Header=BB6_30647 Depth=3
	s_or_b32 exec_lo, exec_lo, s15
	s_delay_alu instid0(SALU_CYCLE_1) | instskip(SKIP_1) | instid1(SALU_CYCLE_1)
	s_or_b32 exec_lo, exec_lo, s14
                                        ; implicit-def: $vgpr1
	s_and_saveexec_b32 s14, s12
	s_xor_b32 s14, exec_lo, s14
	s_cbranch_execnz .LBB6_30724
.LBB6_30797:                            ;   in Loop: Header=BB6_30647 Depth=3
	s_and_not1_saveexec_b32 s13, s14
	s_cbranch_execz .LBB6_30816
.LBB6_30798:                            ;   in Loop: Header=BB6_30647 Depth=3
	s_and_saveexec_b32 s14, s3
	s_delay_alu instid0(SALU_CYCLE_1)
	s_xor_b32 s14, exec_lo, s14
	s_cbranch_execz .LBB6_30813
; %bb.30799:                            ;   in Loop: Header=BB6_30647 Depth=3
	s_and_saveexec_b32 s15, s6
	s_cbranch_execz .LBB6_30812
; %bb.30800:                            ;   in Loop: Header=BB6_30647 Depth=3
	s_mov_b32 s43, exec_lo
	s_mov_b32 s42, exec_lo
	v_mbcnt_lo_u32_b32 v1, s43, 0
	;;#ASMSTART
	s_waitcnt lgkmcnt(0) vmcnt(0)
	;;#ASMEND
	s_delay_alu instid0(VALU_DEP_1)
	v_cmpx_eq_u32_e32 0, v1
	s_cbranch_execz .LBB6_30802
; %bb.30801:                            ;   in Loop: Header=BB6_30647 Depth=3
	s_bcnt1_i32_b32 s43, s43
	s_delay_alu instid0(SALU_CYCLE_1)
	v_dual_mov_b32 v3, v113 :: v_dual_mov_b32 v2, s43
	s_wait_storecnt 0x0
	s_wait_loadcnt_dscnt 0x0
	ds_add_u64 v0, v[2:3]
	s_trap 2
.LBB6_30802:                            ;   in Loop: Header=BB6_30647 Depth=3
	s_or_b32 exec_lo, exec_lo, s42
	s_trap 2
	ds_load_b64 v[2:3], v0
	s_wait_dscnt 0x0
	scratch_load_b64 v[8:9], off, s33 offset:208 th:TH_LOAD_LU ; 8-byte Folded Reload
	s_wait_loadcnt 0x1
	scratch_load_b64 v[10:11], off, s33 offset:272 ; 8-byte Folded Reload
	s_mov_b32 s42, exec_lo
	s_wait_loadcnt 0x0
	v_add_nc_u64_e32 v[8:9], v[8:9], v[10:11]
	scratch_store_b64 off, v[8:9], s33 offset:208 ; 8-byte Folded Spill
	s_wait_xcnt 0x0
	v_cmpx_lt_u64_e64 v[2:3], v[8:9]
	s_cbranch_execz .LBB6_30811
; %bb.30803:                            ;   in Loop: Header=BB6_30647 Depth=3
	s_mov_b32 s43, 0
	s_mov_b32 s76, 0
                                        ; implicit-def: $sgpr74
                                        ; implicit-def: $sgpr75
	s_branch .LBB6_30805
.LBB6_30804:                            ;   in Loop: Header=BB6_30805 Depth=4
	s_wait_xcnt 0x0
	s_or_b32 exec_lo, exec_lo, s78
	s_delay_alu instid0(SALU_CYCLE_1) | instskip(NEXT) | instid1(SALU_CYCLE_1)
	s_and_b32 s77, exec_lo, s79
	s_or_b32 s43, s77, s43
	s_and_not1_b32 s74, s74, exec_lo
	s_and_b32 s77, s75, exec_lo
	s_delay_alu instid0(SALU_CYCLE_1)
	s_or_b32 s74, s74, s77
	s_and_not1_b32 exec_lo, exec_lo, s43
	s_cbranch_execz .LBB6_30809
.LBB6_30805:                            ;   Parent Loop BB6_47 Depth=1
                                        ;     Parent Loop BB6_30644 Depth=2
                                        ;       Parent Loop BB6_30647 Depth=3
                                        ; =>      This Inner Loop Header: Depth=4
	s_add_co_i32 s76, s76, 1
	s_delay_alu instid0(SALU_CYCLE_1) | instskip(SKIP_1) | instid1(SALU_CYCLE_1)
	s_cmp_lg_u32 s76, 0x2710
	s_cselect_b32 s77, -1, 0
	s_and_b32 vcc_lo, exec_lo, s77
	s_cbranch_vccz .LBB6_30807
; %bb.30806:                            ;   in Loop: Header=BB6_30805 Depth=4
	s_mov_b32 s79, -1
	s_or_b32 s75, s75, exec_lo
	s_and_saveexec_b32 s78, s77
	s_cbranch_execz .LBB6_30804
	s_branch .LBB6_30808
.LBB6_30807:                            ;   in Loop: Header=BB6_30805 Depth=4
	s_trap 2
	ds_load_b64 v[2:3], v0
	s_and_not1_b32 s77, s77, exec_lo
	s_mov_b32 s76, 0
	s_wait_storecnt_dscnt 0x0
	flat_load_b32 v1, v[2:3] scope:SCOPE_SYS
	s_wait_loadcnt_dscnt 0x0
	global_inv scope:SCOPE_SYS
	v_cmp_eq_u32_e32 vcc_lo, 0, v1
	s_and_b32 s78, vcc_lo, exec_lo
	s_delay_alu instid0(SALU_CYCLE_1)
	s_or_b32 s77, s77, s78
	s_mov_b32 s79, -1
	s_or_b32 s75, s75, exec_lo
	s_wait_xcnt 0x0
	s_and_saveexec_b32 s78, s77
	s_cbranch_execz .LBB6_30804
.LBB6_30808:                            ;   in Loop: Header=BB6_30805 Depth=4
	s_sleep 1
	s_trap 2
	ds_load_b64 v[2:3], v0
	s_wait_dscnt 0x0
	scratch_load_b64 v[8:9], off, s33 offset:208 ; 8-byte Folded Reload
	s_and_not1_b32 s75, s75, exec_lo
	s_wait_loadcnt 0x0
	v_cmp_ge_u64_e32 vcc_lo, v[2:3], v[8:9]
	s_or_not1_b32 s79, vcc_lo, exec_lo
	s_branch .LBB6_30804
.LBB6_30809:                            ;   in Loop: Header=BB6_30647 Depth=3
	s_or_b32 exec_lo, exec_lo, s43
	s_and_saveexec_b32 s43, s74
	s_delay_alu instid0(SALU_CYCLE_1)
	s_xor_b32 s43, exec_lo, s43
	s_cbranch_execz .LBB6_30811
; %bb.30810:                            ;   in Loop: Header=BB6_30647 Depth=3
	v_mov_b32_e32 v1, 1
	ds_store_b32 v0, v1
	s_trap 2
.LBB6_30811:                            ;   in Loop: Header=BB6_30647 Depth=3
	s_or_b32 exec_lo, exec_lo, s42
	;;#ASMSTART
	s_wakeup
	;;#ASMEND
.LBB6_30812:                            ;   in Loop: Header=BB6_30647 Depth=3
	s_or_b32 exec_lo, exec_lo, s15
.LBB6_30813:                            ;   in Loop: Header=BB6_30647 Depth=3
	s_and_not1_saveexec_b32 s14, s14
	s_cbranch_execz .LBB6_30815
; %bb.30814:                            ;   in Loop: Header=BB6_30647 Depth=3
	;;#ASMSTART
	s_waitcnt lgkmcnt(0) vmcnt(0)
	;;#ASMEND
	s_barrier_signal -1
	s_barrier_wait -1
.LBB6_30815:                            ;   in Loop: Header=BB6_30647 Depth=3
	s_or_b32 exec_lo, exec_lo, s14
	scratch_load_b32 v1, off, s33 offset:204 ; 4-byte Folded Reload
	s_wait_loadcnt 0x0
	v_and_b32_e32 v1, 16, v1
.LBB6_30816:                            ;   in Loop: Header=BB6_30647 Depth=3
	s_wait_xcnt 0x0
	s_or_b32 exec_lo, exec_lo, s13
	s_delay_alu instid0(VALU_DEP_1) | instskip(SKIP_1) | instid1(SALU_CYCLE_1)
	v_cmp_ne_u32_e32 vcc_lo, 0, v1
	s_xor_b32 s13, s4, -1
	s_and_b32 s14, vcc_lo, s13
	s_delay_alu instid0(SALU_CYCLE_1)
	s_and_saveexec_b32 s13, s14
	s_cbranch_execz .LBB6_30818
; %bb.30817:                            ;   in Loop: Header=BB6_30647 Depth=3
	scratch_load_b64 v[2:3], off, s33 offset:328 ; 8-byte Folded Reload
	v_mov_b32_e32 v1, 1
	global_wb scope:SCOPE_SYS
	s_wait_storecnt 0x0
	s_wait_xcnt 0x0
	s_wait_loadcnt_dscnt 0x0
	flat_store_b32 v[2:3], v1 scope:SCOPE_SYS
.LBB6_30818:                            ;   in Loop: Header=BB6_30647 Depth=3
	s_wait_xcnt 0x0
	s_or_b32 exec_lo, exec_lo, s13
	scratch_load_b32 v1, off, s33 offset:204 ; 4-byte Folded Reload
	s_mov_b32 s13, exec_lo
	s_wait_loadcnt 0x0
	v_and_b32_e32 v1, 48, v1
	s_wait_xcnt 0x0
	s_delay_alu instid0(VALU_DEP_1)
	v_cmpx_ne_u32_e32 0, v1
	s_cbranch_execz .LBB6_30646
; %bb.30819:                            ;   in Loop: Header=BB6_30647 Depth=3
	s_clause 0x1
	scratch_load_b64 v[8:9], off, s33 offset:264 th:TH_LOAD_LU
	scratch_load_b64 v[2:3], off, s33 offset:196
	s_wait_loadcnt 0x1
	v_add_nc_u64_e32 v[8:9], 2, v[8:9]
	scratch_store_b64 off, v[8:9], s33 offset:264 ; 8-byte Folded Spill
	global_wb scope:SCOPE_SYS
	s_wait_storecnt 0x0
	s_wait_xcnt 0x0
	s_wait_loadcnt_dscnt 0x0
	flat_store_b64 v[2:3], v[8:9] scope:SCOPE_SYS
	s_branch .LBB6_30646
.LBB6_30820:                            ;   in Loop: Header=BB6_30644 Depth=2
	s_or_b32 exec_lo, exec_lo, s63
.LBB6_30821:                            ;   in Loop: Header=BB6_30644 Depth=2
	s_delay_alu instid0(SALU_CYCLE_1) | instskip(NEXT) | instid1(SALU_CYCLE_1)
	s_or_b32 exec_lo, exec_lo, s29
	s_mov_b32 s14, exec_lo
	v_cmpx_gt_i32_e32 2, v1
	s_cbranch_execz .LBB6_30897
; %bb.30822:                            ;   in Loop: Header=BB6_30644 Depth=2
	v_cmp_eq_u32_e64 s29, 0, v1
	s_mov_b32 s15, 0
	s_branch .LBB6_30824
.LBB6_30823:                            ;   in Loop: Header=BB6_30824 Depth=3
	s_wait_xcnt 0x0
	s_or_b32 exec_lo, exec_lo, s13
	v_add_nc_u32_e32 v4, v0, v4
	s_mov_b32 s29, 0
	s_and_not1_b32 exec_lo, exec_lo, s15
	s_cbranch_execz .LBB6_30896
.LBB6_30824:                            ;   Parent Loop BB6_47 Depth=1
                                        ;     Parent Loop BB6_30644 Depth=2
                                        ; =>    This Loop Header: Depth=3
                                        ;         Child Loop BB6_30830 Depth 4
                                        ;         Child Loop BB6_30858 Depth 4
	;; [unrolled: 1-line block ×3, first 2 shown]
	scratch_load_b32 v2, off, s33 offset:204 ; 4-byte Folded Reload
	v_sub_nc_u32_e32 v1, v22, v4
	s_mov_b32 s42, exec_lo
	s_wait_loadcnt 0x0
	v_and_b32_e32 v2, 12, v2
	s_delay_alu instid0(VALU_DEP_2) | instskip(SKIP_1) | instid1(VALU_DEP_2)
	v_min_i32_e32 v0, v0, v1
	s_wait_xcnt 0x0
	v_cmpx_ne_u32_e32 0, v2
	s_cbranch_execz .LBB6_30850
; %bb.30825:                            ;   in Loop: Header=BB6_30824 Depth=3
	s_clause 0x1
	scratch_load_b32 v1, off, s33 offset:204
	scratch_load_b64 v[2:3], off, s33 offset:188
	s_mov_b32 s43, exec_lo
	s_wait_loadcnt 0x1
	v_dual_mov_b32 v7, v113 :: v_dual_bitop2_b32 v6, 8, v1 bitop3:0x40
	s_wait_loadcnt 0x0
	s_delay_alu instid0(VALU_DEP_1) | instskip(SKIP_4) | instid1(VALU_DEP_1)
	v_add_nc_u64_e32 v[8:9], v[2:3], v[6:7]
	scratch_load_b64 v[2:3], off, s33 offset:264 ; 8-byte Folded Reload
	s_wait_loadcnt 0x0
	v_add_nc_u64_e32 v[2:3], 2, v[2:3]
	s_wait_xcnt 0x0
	v_cmpx_lt_u64_e64 v[8:9], v[2:3]
	s_cbranch_execz .LBB6_30837
; %bb.30826:                            ;   in Loop: Header=BB6_30824 Depth=3
	scratch_load_b32 v1, off, s33 offset:204 ; 4-byte Folded Reload
	s_mov_b32 s63, 0
	s_mov_b32 s75, 0
                                        ; implicit-def: $sgpr72
                                        ; implicit-def: $sgpr73
                                        ; implicit-def: $sgpr74
	s_wait_loadcnt 0x0
	v_and_b32_e32 v1, 64, v1
	s_delay_alu instid0(VALU_DEP_1)
	v_cmp_eq_u32_e32 vcc_lo, 0, v1
	s_branch .LBB6_30830
.LBB6_30827:                            ;   in Loop: Header=BB6_30830 Depth=4
	scratch_load_b64 v[8:9], off, s33 offset:188 ; 8-byte Folded Reload
	s_or_b32 s78, s78, exec_lo
	s_wait_loadcnt 0x0
	v_add_nc_u64_e32 v[8:9], v[8:9], v[6:7]
	s_delay_alu instid0(VALU_DEP_1)
	v_cmp_ge_u64_e64 s13, v[8:9], v[2:3]
	s_or_not1_b32 s77, s13, exec_lo
.LBB6_30828:                            ;   in Loop: Header=BB6_30830 Depth=4
	s_wait_xcnt 0x0
	s_or_b32 exec_lo, exec_lo, s88
	s_delay_alu instid0(SALU_CYCLE_1)
	s_and_not1_b32 s13, s74, exec_lo
	s_and_b32 s74, s78, exec_lo
	s_and_not1_b32 s73, s73, exec_lo
	s_and_b32 s77, s77, exec_lo
	s_or_b32 s74, s13, s74
	s_or_b32 s73, s73, s77
.LBB6_30829:                            ;   in Loop: Header=BB6_30830 Depth=4
	s_or_b32 exec_lo, exec_lo, s76
	s_delay_alu instid0(SALU_CYCLE_1) | instskip(NEXT) | instid1(SALU_CYCLE_1)
	s_and_b32 s13, exec_lo, s73
	s_or_b32 s63, s13, s63
	s_and_not1_b32 s13, s72, exec_lo
	s_and_b32 s72, s74, exec_lo
	s_delay_alu instid0(SALU_CYCLE_1)
	s_or_b32 s72, s13, s72
	s_and_not1_b32 exec_lo, exec_lo, s63
	s_cbranch_execz .LBB6_30834
.LBB6_30830:                            ;   Parent Loop BB6_47 Depth=1
                                        ;     Parent Loop BB6_30644 Depth=2
                                        ;       Parent Loop BB6_30824 Depth=3
                                        ; =>      This Inner Loop Header: Depth=4
	s_sleep 1
	scratch_load_b64 v[8:9], off, s33 offset:196 ; 8-byte Folded Reload
	s_or_b32 s74, s74, exec_lo
	s_or_b32 s73, s73, exec_lo
                                        ; implicit-def: $vgpr1
	s_wait_loadcnt 0x0
	flat_load_b64 v[8:9], v[8:9] scope:SCOPE_SYS
	s_wait_loadcnt_dscnt 0x0
	scratch_store_b64 off, v[8:9], s33 offset:188 ; 8-byte Folded Spill
	s_wait_xcnt 0x0
	s_and_saveexec_b32 s76, vcc_lo
	s_cbranch_execz .LBB6_30829
; %bb.30831:                            ;   in Loop: Header=BB6_30830 Depth=4
	s_cmp_lt_i32 s75, 0x270f
	s_mov_b32 s77, -1
	s_cselect_b32 s79, -1, 0
	s_cmp_gt_i32 s75, 0x270e
	s_cbranch_scc0 .LBB6_30833
; %bb.30832:                            ;   in Loop: Header=BB6_30830 Depth=4
	s_trap 2
	ds_load_b64 v[8:9], v0
	s_and_not1_b32 s75, s79, exec_lo
	s_mov_b32 s78, 0
	s_wait_storecnt_dscnt 0x0
	flat_load_b32 v1, v[8:9] scope:SCOPE_SYS
	s_wait_loadcnt_dscnt 0x0
	global_inv scope:SCOPE_SYS
	v_cmp_eq_u32_e64 s13, 0, v1
	s_and_b32 s13, s13, exec_lo
	s_delay_alu instid0(SALU_CYCLE_1)
	s_or_b32 s79, s75, s13
	s_mov_b32 s75, 0
	s_wait_xcnt 0x0
	s_and_saveexec_b32 s88, s79
	s_cbranch_execz .LBB6_30828
	s_branch .LBB6_30827
.LBB6_30833:                            ;   in Loop: Header=BB6_30830 Depth=4
	s_add_co_i32 s75, s75, 1
	s_mov_b32 s78, -1
                                        ; implicit-def: $vgpr1
	s_and_saveexec_b32 s88, s79
	s_cbranch_execz .LBB6_30828
	s_branch .LBB6_30827
.LBB6_30834:                            ;   in Loop: Header=BB6_30824 Depth=3
	s_or_b32 exec_lo, exec_lo, s63
	s_xor_b32 s13, s72, -1
	s_delay_alu instid0(SALU_CYCLE_1) | instskip(NEXT) | instid1(SALU_CYCLE_1)
	s_and_saveexec_b32 s63, s13
	s_xor_b32 s13, exec_lo, s63
	s_cbranch_execz .LBB6_30836
; %bb.30835:                            ;   in Loop: Header=BB6_30824 Depth=3
	scratch_load_b32 v5, off, s33 offset:204 ; 4-byte Folded Reload
	s_wait_loadcnt 0x0
	v_or_b32_e32 v5, 64, v5
	scratch_store_b32 off, v5, s33 offset:204 ; 4-byte Folded Spill
	s_wait_storecnt 0x0
	ds_store_b32 v0, v1
	s_trap 2
.LBB6_30836:                            ;   in Loop: Header=BB6_30824 Depth=3
	s_wait_xcnt 0x0
	s_or_b32 exec_lo, exec_lo, s13
.LBB6_30837:                            ;   in Loop: Header=BB6_30824 Depth=3
	s_delay_alu instid0(SALU_CYCLE_1)
	s_or_b32 exec_lo, exec_lo, s43
	scratch_load_b32 v1, off, s33 offset:204 ; 4-byte Folded Reload
	s_mov_b32 s13, exec_lo
	;;#ASMSTART
	s_wakeup
	;;#ASMEND
                                        ; implicit-def: $vgpr8_vgpr9
	s_wait_loadcnt 0x0
	v_and_b32_e32 v1, 0x108, v1
	s_wait_xcnt 0x0
	s_delay_alu instid0(VALU_DEP_1)
	v_cmpx_ne_u32_e32 0x108, v1
	s_xor_b32 s13, exec_lo, s13
	s_cbranch_execz .LBB6_30839
; %bb.30838:                            ;   in Loop: Header=BB6_30824 Depth=3
	scratch_load_b64 v[8:9], off, s33 offset:264 th:TH_LOAD_LU ; 8-byte Folded Reload
                                        ; implicit-def: $vgpr10_vgpr11
                                        ; kill: killed $vgpr10_vgpr11
	s_wait_loadcnt 0x0
	v_dual_mov_b32 v9, v113 :: v_dual_bitop2_b32 v8, 7, v8 bitop3:0x40
.LBB6_30839:                            ;   in Loop: Header=BB6_30824 Depth=3
	s_wait_xcnt 0x0
	s_and_not1_saveexec_b32 s13, s13
	s_cbranch_execz .LBB6_30841
; %bb.30840:                            ;   in Loop: Header=BB6_30824 Depth=3
	s_clause 0x1
	scratch_load_b64 v[8:9], off, s33 offset:264 th:TH_LOAD_LU
	scratch_load_b128 v[10:13], off, s33 offset:312
	s_wait_loadcnt 0x1
	v_dual_ashrrev_i32 v1, 31, v0 :: v_dual_mov_b32 v9, v113
	v_and_b32_e32 v8, 7, v8
	s_wait_loadcnt 0x0
	s_delay_alu instid0(VALU_DEP_1)
	v_mad_nc_u64_u32 v[10:11], v8, 24, v[10:11]
	flat_store_b64 v[10:11], v[0:1] offset:8
.LBB6_30841:                            ;   in Loop: Header=BB6_30824 Depth=3
	s_wait_xcnt 0x0
	s_or_b32 exec_lo, exec_lo, s13
	scratch_load_b32 v1, off, s33 offset:204 ; 4-byte Folded Reload
	s_mov_b32 s13, -1
	s_mov_b32 s43, exec_lo
                                        ; implicit-def: $vgpr10_vgpr11
	s_wait_loadcnt 0x0
	v_and_b32_e32 v1, 0x100, v1
	s_wait_xcnt 0x0
	s_delay_alu instid0(VALU_DEP_1)
	v_cmpx_ne_u32_e32 0, v1
	s_cbranch_execz .LBB6_30845
; %bb.30842:                            ;   in Loop: Header=BB6_30824 Depth=3
	scratch_load_b128 v[10:13], off, s33 offset:312 ; 16-byte Folded Reload
	s_mov_b32 s63, exec_lo
	s_wait_loadcnt 0x0
	v_mad_nc_u64_u32 v[12:13], v8, 24, v[10:11]
                                        ; implicit-def: $vgpr10_vgpr11
	s_delay_alu instid0(VALU_DEP_1)
	v_mad_u32 v13, v9, 24, v13
	flat_load_b32 v1, v[12:13]
	s_wait_loadcnt_dscnt 0x0
	v_cmp_ne_u32_e32 vcc_lo, 1, v1
	s_wait_xcnt 0x0
	v_cmpx_eq_u32_e32 1, v1
	s_cbranch_execz .LBB6_30844
; %bb.30843:                            ;   in Loop: Header=BB6_30824 Depth=3
	flat_load_b32 v10, v[12:13] offset:4 scope:SCOPE_SYS
	s_wait_loadcnt_dscnt 0x0
	v_ashrrev_i32_e32 v11, 31, v10
.LBB6_30844:                            ;   in Loop: Header=BB6_30824 Depth=3
	s_wait_xcnt 0x0
	s_or_b32 exec_lo, exec_lo, s63
	s_delay_alu instid0(SALU_CYCLE_1)
	s_or_not1_b32 s13, vcc_lo, exec_lo
.LBB6_30845:                            ;   in Loop: Header=BB6_30824 Depth=3
	s_or_b32 exec_lo, exec_lo, s43
	s_and_saveexec_b32 s43, s13
	s_cbranch_execz .LBB6_30847
; %bb.30846:                            ;   in Loop: Header=BB6_30824 Depth=3
	scratch_load_b64 v[10:11], off, s33 offset:360 ; 8-byte Folded Reload
	s_wait_loadcnt 0x0
	v_mul_u64_e32 v[10:11], v[8:9], v[10:11]
.LBB6_30847:                            ;   in Loop: Header=BB6_30824 Depth=3
	s_wait_xcnt 0x0
	s_or_b32 exec_lo, exec_lo, s43
	v_cmp_eq_u32_e32 vcc_lo, 0, v6
	s_clause 0x1
	scratch_load_b32 v5, off, s33 offset:204
	scratch_load_b64 v[6:7], off, s33 offset:304
	v_mov_b32_e32 v1, 0x88
	s_mov_b32 s13, exec_lo
	s_delay_alu instid0(VALU_DEP_1) | instskip(NEXT) | instid1(VALU_DEP_1)
	v_cndmask_b32_e32 v1, 0xd0, v1, vcc_lo
	v_add_nc_u32_e32 v1, v0, v1
	s_wait_loadcnt 0x1
	v_and_b32_e32 v5, 0x2000, v5
	s_wait_loadcnt 0x0
	v_add_nc_u64_e32 v[6:7], v[6:7], v[10:11]
	ds_store_b64 v1, v[6:7] offset:584
	s_wait_xcnt 0x0
	v_cmpx_ne_u32_e32 0, v5
	s_cbranch_execz .LBB6_30849
; %bb.30848:                            ;   in Loop: Header=BB6_30824 Depth=3
	ds_load_b64 v[6:7], v0 offset:872
	s_wait_dscnt 0x0
	v_add_nc_u64_e32 v[6:7], 1, v[6:7]
	ds_store_b64 v0, v[6:7] offset:872
.LBB6_30849:                            ;   in Loop: Header=BB6_30824 Depth=3
	s_or_b32 exec_lo, exec_lo, s13
	scratch_store_b64 off, v[2:3], s33 offset:264 ; 8-byte Folded Spill
.LBB6_30850:                            ;   in Loop: Header=BB6_30824 Depth=3
	s_wait_xcnt 0x0
	s_or_b32 exec_lo, exec_lo, s42
	s_xor_b32 s13, s29, -1
	s_delay_alu instid0(SALU_CYCLE_1) | instskip(NEXT) | instid1(SALU_CYCLE_1)
	s_and_b32 s13, exec_lo, s13
	s_or_b32 s15, s13, s15
	s_and_saveexec_b32 s13, s2
	s_cbranch_execz .LBB6_30869
; %bb.30851:                            ;   in Loop: Header=BB6_30824 Depth=3
	s_and_saveexec_b32 s29, s3
	s_delay_alu instid0(SALU_CYCLE_1)
	s_xor_b32 s29, exec_lo, s29
	s_cbranch_execz .LBB6_30866
; %bb.30852:                            ;   in Loop: Header=BB6_30824 Depth=3
	s_and_saveexec_b32 s42, s6
	s_cbranch_execz .LBB6_30865
; %bb.30853:                            ;   in Loop: Header=BB6_30824 Depth=3
	s_mov_b32 s63, exec_lo
	s_mov_b32 s43, exec_lo
	v_mbcnt_lo_u32_b32 v1, s63, 0
	global_wb scope:SCOPE_DEV
	s_wait_storecnt_dscnt 0x0
	global_inv scope:SCOPE_DEV
	v_cmpx_eq_u32_e32 0, v1
	s_cbranch_execz .LBB6_30855
; %bb.30854:                            ;   in Loop: Header=BB6_30824 Depth=3
	s_bcnt1_i32_b32 s63, s63
	s_delay_alu instid0(SALU_CYCLE_1)
	v_dual_mov_b32 v3, v113 :: v_dual_mov_b32 v2, s63
	s_wait_loadcnt 0x0
	ds_add_u64 v0, v[2:3]
	s_trap 2
.LBB6_30855:                            ;   in Loop: Header=BB6_30824 Depth=3
	s_or_b32 exec_lo, exec_lo, s43
	s_trap 2
	ds_load_b64 v[2:3], v0
	s_wait_dscnt 0x0
	s_clause 0x1
	scratch_load_b64 v[6:7], off, s33 offset:208 th:TH_LOAD_LU
	scratch_load_b64 v[8:9], off, s33 offset:272
	s_mov_b32 s43, exec_lo
	s_wait_loadcnt 0x0
	v_add_nc_u64_e32 v[6:7], v[6:7], v[8:9]
	scratch_store_b64 off, v[6:7], s33 offset:208 ; 8-byte Folded Spill
	s_wait_xcnt 0x0
	v_cmpx_lt_u64_e64 v[2:3], v[6:7]
	s_cbranch_execz .LBB6_30864
; %bb.30856:                            ;   in Loop: Header=BB6_30824 Depth=3
	s_mov_b32 s63, 0
	s_mov_b32 s74, 0
                                        ; implicit-def: $sgpr72
                                        ; implicit-def: $sgpr73
	s_branch .LBB6_30858
.LBB6_30857:                            ;   in Loop: Header=BB6_30858 Depth=4
	s_wait_xcnt 0x0
	s_or_b32 exec_lo, exec_lo, s76
	s_delay_alu instid0(SALU_CYCLE_1) | instskip(NEXT) | instid1(SALU_CYCLE_1)
	s_and_b32 s75, exec_lo, s77
	s_or_b32 s63, s75, s63
	s_and_not1_b32 s72, s72, exec_lo
	s_and_b32 s75, s73, exec_lo
	s_delay_alu instid0(SALU_CYCLE_1)
	s_or_b32 s72, s72, s75
	s_and_not1_b32 exec_lo, exec_lo, s63
	s_cbranch_execz .LBB6_30862
.LBB6_30858:                            ;   Parent Loop BB6_47 Depth=1
                                        ;     Parent Loop BB6_30644 Depth=2
                                        ;       Parent Loop BB6_30824 Depth=3
                                        ; =>      This Inner Loop Header: Depth=4
	s_add_co_i32 s74, s74, 1
	s_delay_alu instid0(SALU_CYCLE_1) | instskip(SKIP_1) | instid1(SALU_CYCLE_1)
	s_cmp_lg_u32 s74, 0x2710
	s_cselect_b32 s75, -1, 0
	s_and_b32 vcc_lo, exec_lo, s75
	s_cbranch_vccz .LBB6_30860
; %bb.30859:                            ;   in Loop: Header=BB6_30858 Depth=4
	s_mov_b32 s77, -1
	s_or_b32 s73, s73, exec_lo
	s_and_saveexec_b32 s76, s75
	s_cbranch_execz .LBB6_30857
	s_branch .LBB6_30861
.LBB6_30860:                            ;   in Loop: Header=BB6_30858 Depth=4
	s_trap 2
	ds_load_b64 v[2:3], v0
	s_and_not1_b32 s75, s75, exec_lo
	s_mov_b32 s74, 0
	s_wait_storecnt_dscnt 0x0
	flat_load_b32 v1, v[2:3] scope:SCOPE_SYS
	s_wait_loadcnt_dscnt 0x0
	global_inv scope:SCOPE_SYS
	v_cmp_eq_u32_e32 vcc_lo, 0, v1
	s_and_b32 s76, vcc_lo, exec_lo
	s_delay_alu instid0(SALU_CYCLE_1)
	s_or_b32 s75, s75, s76
	s_mov_b32 s77, -1
	s_or_b32 s73, s73, exec_lo
	s_wait_xcnt 0x0
	s_and_saveexec_b32 s76, s75
	s_cbranch_execz .LBB6_30857
.LBB6_30861:                            ;   in Loop: Header=BB6_30858 Depth=4
	s_sleep 1
	s_trap 2
	ds_load_b64 v[2:3], v0
	s_wait_dscnt 0x0
	scratch_load_b64 v[6:7], off, s33 offset:208 ; 8-byte Folded Reload
	s_and_not1_b32 s73, s73, exec_lo
	s_wait_loadcnt 0x0
	v_cmp_ge_u64_e32 vcc_lo, v[2:3], v[6:7]
	s_or_not1_b32 s77, vcc_lo, exec_lo
	s_branch .LBB6_30857
.LBB6_30862:                            ;   in Loop: Header=BB6_30824 Depth=3
	s_or_b32 exec_lo, exec_lo, s63
	s_and_saveexec_b32 s63, s72
	s_delay_alu instid0(SALU_CYCLE_1)
	s_xor_b32 s63, exec_lo, s63
	s_cbranch_execz .LBB6_30864
; %bb.30863:                            ;   in Loop: Header=BB6_30824 Depth=3
	v_mov_b32_e32 v1, 1
	ds_store_b32 v0, v1
	s_trap 2
.LBB6_30864:                            ;   in Loop: Header=BB6_30824 Depth=3
	s_or_b32 exec_lo, exec_lo, s43
	;;#ASMSTART
	s_wakeup
	;;#ASMEND
.LBB6_30865:                            ;   in Loop: Header=BB6_30824 Depth=3
	s_or_b32 exec_lo, exec_lo, s42
.LBB6_30866:                            ;   in Loop: Header=BB6_30824 Depth=3
	s_and_not1_saveexec_b32 s29, s29
	s_cbranch_execz .LBB6_30868
; %bb.30867:                            ;   in Loop: Header=BB6_30824 Depth=3
	global_wb scope:SCOPE_DEV
	s_wait_storecnt 0x0
	s_wait_loadcnt_dscnt 0x0
	global_inv scope:SCOPE_DEV
	s_barrier_signal -1
	s_barrier_wait -1
.LBB6_30868:                            ;   in Loop: Header=BB6_30824 Depth=3
	s_or_b32 exec_lo, exec_lo, s29
.LBB6_30869:                            ;   in Loop: Header=BB6_30824 Depth=3
	s_delay_alu instid0(SALU_CYCLE_1) | instskip(SKIP_1) | instid1(SALU_CYCLE_1)
	s_or_b32 exec_lo, exec_lo, s13
                                        ; implicit-def: $vgpr1
	s_and_saveexec_b32 s13, s12
	s_xor_b32 s29, exec_lo, s13
	s_cbranch_execz .LBB6_30873
; %bb.30870:                            ;   in Loop: Header=BB6_30824 Depth=3
	s_trap 2
	scratch_load_b32 v2, off, s33 offset:204 ; 4-byte Folded Reload
	ds_load_b32 v1, v0
	v_cmp_lt_i32_e32 vcc_lo, 0, v0
	s_wait_dscnt 0x0
	v_readfirstlane_b32 s13, v1
	s_cmp_eq_u32 s13, 0
	s_cselect_b32 s42, -1, 0
	s_delay_alu instid0(SALU_CYCLE_1) | instskip(SKIP_2) | instid1(VALU_DEP_1)
	s_and_b32 s42, vcc_lo, s42
	s_wait_loadcnt 0x0
	v_and_b32_e32 v1, 16, v2
	v_cmp_ne_u32_e64 s13, 0, v1
	v_and_b32_e32 v1, 16, v2
	s_and_b32 s42, s13, s42
	s_wait_xcnt 0x0
	s_and_saveexec_b32 s13, s42
	s_cbranch_execz .LBB6_30872
; %bb.30871:                            ;   in Loop: Header=BB6_30824 Depth=3
	v_mov_b32_e32 v1, 1
	global_wb scope:SCOPE_SYS
	s_wait_storecnt 0x0
	global_inv scope:SCOPE_SYS
.LBB6_30872:                            ;   in Loop: Header=BB6_30824 Depth=3
	s_or_b32 exec_lo, exec_lo, s13
	s_and_not1_saveexec_b32 s13, s29
	s_cbranch_execz .LBB6_30892
	s_branch .LBB6_30874
.LBB6_30873:                            ;   in Loop: Header=BB6_30824 Depth=3
	s_and_not1_saveexec_b32 s13, s29
	s_cbranch_execz .LBB6_30892
.LBB6_30874:                            ;   in Loop: Header=BB6_30824 Depth=3
	s_and_saveexec_b32 s29, s3
	s_delay_alu instid0(SALU_CYCLE_1)
	s_xor_b32 s29, exec_lo, s29
	s_cbranch_execz .LBB6_30889
; %bb.30875:                            ;   in Loop: Header=BB6_30824 Depth=3
	s_and_saveexec_b32 s42, s6
	s_cbranch_execz .LBB6_30888
; %bb.30876:                            ;   in Loop: Header=BB6_30824 Depth=3
	s_mov_b32 s63, exec_lo
	s_mov_b32 s43, exec_lo
	v_mbcnt_lo_u32_b32 v1, s63, 0
	;;#ASMSTART
	s_waitcnt lgkmcnt(0) vmcnt(0)
	;;#ASMEND
	s_delay_alu instid0(VALU_DEP_1)
	v_cmpx_eq_u32_e32 0, v1
	s_cbranch_execz .LBB6_30878
; %bb.30877:                            ;   in Loop: Header=BB6_30824 Depth=3
	s_bcnt1_i32_b32 s63, s63
	s_delay_alu instid0(SALU_CYCLE_1)
	v_dual_mov_b32 v3, v113 :: v_dual_mov_b32 v2, s63
	s_wait_storecnt 0x0
	s_wait_loadcnt_dscnt 0x0
	ds_add_u64 v0, v[2:3]
	s_trap 2
.LBB6_30878:                            ;   in Loop: Header=BB6_30824 Depth=3
	s_or_b32 exec_lo, exec_lo, s43
	s_trap 2
	ds_load_b64 v[2:3], v0
	s_wait_dscnt 0x0
	s_clause 0x1
	scratch_load_b64 v[6:7], off, s33 offset:208 th:TH_LOAD_LU
	scratch_load_b64 v[8:9], off, s33 offset:272
	s_mov_b32 s43, exec_lo
	s_wait_loadcnt 0x0
	v_add_nc_u64_e32 v[6:7], v[6:7], v[8:9]
	scratch_store_b64 off, v[6:7], s33 offset:208 ; 8-byte Folded Spill
	s_wait_xcnt 0x0
	v_cmpx_lt_u64_e64 v[2:3], v[6:7]
	s_cbranch_execz .LBB6_30887
; %bb.30879:                            ;   in Loop: Header=BB6_30824 Depth=3
	s_mov_b32 s63, 0
	s_mov_b32 s74, 0
                                        ; implicit-def: $sgpr72
                                        ; implicit-def: $sgpr73
	s_branch .LBB6_30881
.LBB6_30880:                            ;   in Loop: Header=BB6_30881 Depth=4
	s_wait_xcnt 0x0
	s_or_b32 exec_lo, exec_lo, s76
	s_delay_alu instid0(SALU_CYCLE_1) | instskip(NEXT) | instid1(SALU_CYCLE_1)
	s_and_b32 s75, exec_lo, s77
	s_or_b32 s63, s75, s63
	s_and_not1_b32 s72, s72, exec_lo
	s_and_b32 s75, s73, exec_lo
	s_delay_alu instid0(SALU_CYCLE_1)
	s_or_b32 s72, s72, s75
	s_and_not1_b32 exec_lo, exec_lo, s63
	s_cbranch_execz .LBB6_30885
.LBB6_30881:                            ;   Parent Loop BB6_47 Depth=1
                                        ;     Parent Loop BB6_30644 Depth=2
                                        ;       Parent Loop BB6_30824 Depth=3
                                        ; =>      This Inner Loop Header: Depth=4
	s_add_co_i32 s74, s74, 1
	s_delay_alu instid0(SALU_CYCLE_1) | instskip(SKIP_1) | instid1(SALU_CYCLE_1)
	s_cmp_lg_u32 s74, 0x2710
	s_cselect_b32 s75, -1, 0
	s_and_b32 vcc_lo, exec_lo, s75
	s_cbranch_vccz .LBB6_30883
; %bb.30882:                            ;   in Loop: Header=BB6_30881 Depth=4
	s_mov_b32 s77, -1
	s_or_b32 s73, s73, exec_lo
	s_and_saveexec_b32 s76, s75
	s_cbranch_execz .LBB6_30880
	s_branch .LBB6_30884
.LBB6_30883:                            ;   in Loop: Header=BB6_30881 Depth=4
	s_trap 2
	ds_load_b64 v[2:3], v0
	s_and_not1_b32 s75, s75, exec_lo
	s_mov_b32 s74, 0
	s_wait_storecnt_dscnt 0x0
	flat_load_b32 v1, v[2:3] scope:SCOPE_SYS
	s_wait_loadcnt_dscnt 0x0
	global_inv scope:SCOPE_SYS
	v_cmp_eq_u32_e32 vcc_lo, 0, v1
	s_and_b32 s76, vcc_lo, exec_lo
	s_delay_alu instid0(SALU_CYCLE_1)
	s_or_b32 s75, s75, s76
	s_mov_b32 s77, -1
	s_or_b32 s73, s73, exec_lo
	s_wait_xcnt 0x0
	s_and_saveexec_b32 s76, s75
	s_cbranch_execz .LBB6_30880
.LBB6_30884:                            ;   in Loop: Header=BB6_30881 Depth=4
	s_sleep 1
	s_trap 2
	ds_load_b64 v[2:3], v0
	s_wait_dscnt 0x0
	scratch_load_b64 v[6:7], off, s33 offset:208 ; 8-byte Folded Reload
	s_and_not1_b32 s73, s73, exec_lo
	s_wait_loadcnt 0x0
	v_cmp_ge_u64_e32 vcc_lo, v[2:3], v[6:7]
	s_or_not1_b32 s77, vcc_lo, exec_lo
	s_branch .LBB6_30880
.LBB6_30885:                            ;   in Loop: Header=BB6_30824 Depth=3
	s_or_b32 exec_lo, exec_lo, s63
	s_and_saveexec_b32 s63, s72
	s_delay_alu instid0(SALU_CYCLE_1)
	s_xor_b32 s63, exec_lo, s63
	s_cbranch_execz .LBB6_30887
; %bb.30886:                            ;   in Loop: Header=BB6_30824 Depth=3
	v_mov_b32_e32 v1, 1
	ds_store_b32 v0, v1
	s_trap 2
.LBB6_30887:                            ;   in Loop: Header=BB6_30824 Depth=3
	s_or_b32 exec_lo, exec_lo, s43
	;;#ASMSTART
	s_wakeup
	;;#ASMEND
.LBB6_30888:                            ;   in Loop: Header=BB6_30824 Depth=3
	s_or_b32 exec_lo, exec_lo, s42
.LBB6_30889:                            ;   in Loop: Header=BB6_30824 Depth=3
	s_and_not1_saveexec_b32 s29, s29
	s_cbranch_execz .LBB6_30891
; %bb.30890:                            ;   in Loop: Header=BB6_30824 Depth=3
	;;#ASMSTART
	s_waitcnt lgkmcnt(0) vmcnt(0)
	;;#ASMEND
	s_barrier_signal -1
	s_barrier_wait -1
.LBB6_30891:                            ;   in Loop: Header=BB6_30824 Depth=3
	s_or_b32 exec_lo, exec_lo, s29
	scratch_load_b32 v1, off, s33 offset:204 ; 4-byte Folded Reload
	s_wait_loadcnt 0x0
	v_and_b32_e32 v1, 16, v1
.LBB6_30892:                            ;   in Loop: Header=BB6_30824 Depth=3
	s_wait_xcnt 0x0
	s_or_b32 exec_lo, exec_lo, s13
	s_delay_alu instid0(VALU_DEP_1) | instskip(SKIP_1) | instid1(SALU_CYCLE_1)
	v_cmp_ne_u32_e32 vcc_lo, 0, v1
	s_xor_b32 s13, s4, -1
	s_and_b32 s29, vcc_lo, s13
	s_delay_alu instid0(SALU_CYCLE_1)
	s_and_saveexec_b32 s13, s29
	s_cbranch_execz .LBB6_30894
; %bb.30893:                            ;   in Loop: Header=BB6_30824 Depth=3
	scratch_load_b64 v[2:3], off, s33 offset:328 ; 8-byte Folded Reload
	v_mov_b32_e32 v1, 1
	global_wb scope:SCOPE_SYS
	s_wait_storecnt 0x0
	s_wait_xcnt 0x0
	s_wait_loadcnt_dscnt 0x0
	flat_store_b32 v[2:3], v1 scope:SCOPE_SYS
.LBB6_30894:                            ;   in Loop: Header=BB6_30824 Depth=3
	s_wait_xcnt 0x0
	s_or_b32 exec_lo, exec_lo, s13
	scratch_load_b32 v1, off, s33 offset:204 ; 4-byte Folded Reload
	s_mov_b32 s13, exec_lo
	s_wait_loadcnt 0x0
	v_and_b32_e32 v1, 48, v1
	s_wait_xcnt 0x0
	s_delay_alu instid0(VALU_DEP_1)
	v_cmpx_ne_u32_e32 0, v1
	s_cbranch_execz .LBB6_30823
; %bb.30895:                            ;   in Loop: Header=BB6_30824 Depth=3
	s_clause 0x1
	scratch_load_b64 v[6:7], off, s33 offset:264 th:TH_LOAD_LU
	scratch_load_b64 v[2:3], off, s33 offset:196
	s_wait_loadcnt 0x1
	v_add_nc_u64_e32 v[6:7], 2, v[6:7]
	scratch_store_b64 off, v[6:7], s33 offset:264 ; 8-byte Folded Spill
	global_wb scope:SCOPE_SYS
	s_wait_storecnt 0x0
	s_wait_xcnt 0x0
	s_wait_loadcnt_dscnt 0x0
	flat_store_b64 v[2:3], v[6:7] scope:SCOPE_SYS
	s_branch .LBB6_30823
.LBB6_30896:                            ;   in Loop: Header=BB6_30644 Depth=2
	s_or_b32 exec_lo, exec_lo, s15
.LBB6_30897:                            ;   in Loop: Header=BB6_30644 Depth=2
	s_delay_alu instid0(SALU_CYCLE_1)
	s_or_b32 exec_lo, exec_lo, s14
	s_add_co_i32 s13, s18, 1
	s_cmp_eq_u32 s18, s59
	s_cbranch_scc1 .LBB6_30899
; %bb.30898:                            ;   in Loop: Header=BB6_30644 Depth=2
	s_mov_b32 s18, s13
	s_branch .LBB6_30644
.LBB6_30899:                            ;   in Loop: Header=BB6_47 Depth=1
	s_clause 0x1
	scratch_load_b64 v[4:5], off, s33 offset:516
	scratch_load_b64 v[0:1], off, s33 offset:508 th:TH_LOAD_LU
	s_wait_loadcnt 0x1
	v_mul_u64_e32 v[2:3], s[40:41], v[4:5]
	s_wait_loadcnt 0x0
	s_delay_alu instid0(VALU_DEP_1) | instskip(NEXT) | instid1(VALU_DEP_1)
	v_sub_nc_u64_e32 v[0:1], v[0:1], v[2:3]
	v_min_i64 v[0:1], v[4:5], v[0:1]
	s_delay_alu instid0(VALU_DEP_1) | instskip(SKIP_1) | instid1(VALU_DEP_2)
	v_max_i32_e32 v12, 0, v0
	v_cmp_lt_i32_e32 vcc_lo, 0, v0
	v_dual_mov_b32 v0, 0 :: v_dual_add_nc_u32 v1, 31, v12
	s_and_b32 s13, s60, vcc_lo
	s_delay_alu instid0(VALU_DEP_1) | instskip(NEXT) | instid1(VALU_DEP_1)
	v_lshrrev_b32_e32 v1, 1, v1
	v_and_b32_e32 v4, 0x3ffffff0, v1
	s_delay_alu instid0(VALU_DEP_1)
	v_dual_mov_b32 v1, 0 :: v_dual_max_i32 v13, s56, v4
	s_wait_xcnt 0x0
	s_and_saveexec_b32 s14, s13
	s_cbranch_execz .LBB6_31037
; %bb.30900:                            ;   in Loop: Header=BB6_47 Depth=1
	scratch_load_b64 v[0:1], off, s33 offset:404 th:TH_LOAD_LU ; 8-byte Folded Reload
	s_mov_b32 s29, 1
	s_mov_b32 s18, -1
	s_mov_b32 s15, 0
	s_wait_loadcnt 0x0
	v_add_nc_u64_e32 v[4:5], v[2:3], v[0:1]
	v_mov_b32_e32 v0, 0
	s_branch .LBB6_30902
.LBB6_30901:                            ;   in Loop: Header=BB6_30902 Depth=2
	s_wait_xcnt 0x0
	s_or_b32 exec_lo, exec_lo, s13
	v_dual_mov_b32 v1, s29 :: v_dual_add_nc_u32 v0, v13, v0
	s_xor_b32 s13, s18, -1
	s_mov_b32 s18, 0
	s_mov_b32 s29, 2
	s_delay_alu instid0(VALU_DEP_1) | instskip(SKIP_1) | instid1(SALU_CYCLE_1)
	v_cmp_ge_i32_e32 vcc_lo, v0, v12
	s_or_b32 s13, s13, vcc_lo
	s_and_b32 s13, exec_lo, s13
	s_delay_alu instid0(SALU_CYCLE_1) | instskip(NEXT) | instid1(SALU_CYCLE_1)
	s_or_b32 s15, s13, s15
	s_and_not1_b32 exec_lo, exec_lo, s15
	s_cbranch_execz .LBB6_31036
.LBB6_30902:                            ;   Parent Loop BB6_47 Depth=1
                                        ; =>  This Loop Header: Depth=2
                                        ;       Child Loop BB6_30910 Depth 3
                                        ;       Child Loop BB6_30934 Depth 3
	;; [unrolled: 1-line block ×9, first 2 shown]
	s_wait_xcnt 0x0
	s_and_saveexec_b32 s13, s0
	s_cbranch_execz .LBB6_30904
; %bb.30903:                            ;   in Loop: Header=BB6_30902 Depth=2
	s_trap 2
	ds_load_b128 v[6:9], v0
	s_wait_dscnt 0x0
	v_add_nc_u64_e32 v[2:3], v[8:9], v[4:5]
	v_cmp_ne_u64_e32 vcc_lo, 0, v[8:9]
	v_ashrrev_i32_e32 v1, 31, v0
	v_add_nc_u64_e32 v[6:7], v[6:7], v[4:5]
	s_delay_alu instid0(VALU_DEP_2) | instskip(NEXT) | instid1(VALU_DEP_1)
	v_add_nc_u64_e32 v[2:3], v[2:3], v[0:1]
	v_cndmask_b32_e32 v3, 0, v3, vcc_lo
	s_delay_alu instid0(VALU_DEP_3) | instskip(NEXT) | instid1(VALU_DEP_3)
	v_add_nc_u64_e32 v[6:7], v[6:7], v[0:1]
	v_cndmask_b32_e32 v2, 0, v2, vcc_lo
	ds_store_b64 v0, v[6:7]
	ds_store_b64 v0, v[2:3]
.LBB6_30904:                            ;   in Loop: Header=BB6_30902 Depth=2
	s_or_b32 exec_lo, exec_lo, s13
	scratch_load_b32 v1, off, s33 offset:204 ; 4-byte Folded Reload
	s_mov_b32 s42, exec_lo
	s_wait_loadcnt 0x0
	v_and_b32_e32 v1, 4, v1
	s_wait_xcnt 0x0
	s_delay_alu instid0(VALU_DEP_1)
	v_cmpx_ne_u32_e32 0, v1
	s_cbranch_execz .LBB6_30926
; %bb.30905:                            ;   in Loop: Header=BB6_30902 Depth=2
	s_clause 0x1
	scratch_load_b64 v[2:3], off, s33 offset:264
	scratch_load_b64 v[6:7], off, s33 offset:188
	s_mov_b32 s43, exec_lo
	s_wait_loadcnt 0x1
	v_add_nc_u64_e32 v[2:3], 2, v[2:3]
	s_wait_loadcnt 0x0
	s_wait_xcnt 0x0
	s_delay_alu instid0(VALU_DEP_1)
	v_cmpx_lt_u64_e64 v[6:7], v[2:3]
	s_cbranch_execz .LBB6_30917
; %bb.30906:                            ;   in Loop: Header=BB6_30902 Depth=2
	scratch_load_b32 v1, off, s33 offset:204 ; 4-byte Folded Reload
	s_mov_b32 s63, 0
	s_mov_b32 s75, 0
                                        ; implicit-def: $sgpr72
                                        ; implicit-def: $sgpr73
                                        ; implicit-def: $sgpr74
	s_wait_loadcnt 0x0
	v_and_b32_e32 v1, 64, v1
	s_delay_alu instid0(VALU_DEP_1)
	v_cmp_eq_u32_e32 vcc_lo, 0, v1
	s_branch .LBB6_30910
.LBB6_30907:                            ;   in Loop: Header=BB6_30910 Depth=3
	scratch_load_b64 v[6:7], off, s33 offset:188 ; 8-byte Folded Reload
	s_or_b32 s78, s78, exec_lo
	s_wait_loadcnt 0x0
	v_cmp_ge_u64_e64 s13, v[6:7], v[2:3]
	s_or_not1_b32 s77, s13, exec_lo
.LBB6_30908:                            ;   in Loop: Header=BB6_30910 Depth=3
	s_wait_xcnt 0x0
	s_or_b32 exec_lo, exec_lo, s88
	s_delay_alu instid0(SALU_CYCLE_1)
	s_and_not1_b32 s13, s74, exec_lo
	s_and_b32 s74, s78, exec_lo
	s_and_not1_b32 s73, s73, exec_lo
	s_and_b32 s77, s77, exec_lo
	s_or_b32 s74, s13, s74
	s_or_b32 s73, s73, s77
.LBB6_30909:                            ;   in Loop: Header=BB6_30910 Depth=3
	s_or_b32 exec_lo, exec_lo, s76
	s_delay_alu instid0(SALU_CYCLE_1) | instskip(NEXT) | instid1(SALU_CYCLE_1)
	s_and_b32 s13, exec_lo, s73
	s_or_b32 s63, s13, s63
	s_and_not1_b32 s13, s72, exec_lo
	s_and_b32 s72, s74, exec_lo
	s_delay_alu instid0(SALU_CYCLE_1)
	s_or_b32 s72, s13, s72
	s_and_not1_b32 exec_lo, exec_lo, s63
	s_cbranch_execz .LBB6_30914
.LBB6_30910:                            ;   Parent Loop BB6_47 Depth=1
                                        ;     Parent Loop BB6_30902 Depth=2
                                        ; =>    This Inner Loop Header: Depth=3
	s_sleep 1
	scratch_load_b64 v[6:7], off, s33 offset:196 ; 8-byte Folded Reload
	s_or_b32 s74, s74, exec_lo
	s_or_b32 s73, s73, exec_lo
                                        ; implicit-def: $vgpr1
	s_wait_loadcnt 0x0
	flat_load_b64 v[6:7], v[6:7] scope:SCOPE_SYS
	s_wait_loadcnt_dscnt 0x0
	scratch_store_b64 off, v[6:7], s33 offset:188 ; 8-byte Folded Spill
	s_wait_xcnt 0x0
	s_and_saveexec_b32 s76, vcc_lo
	s_cbranch_execz .LBB6_30909
; %bb.30911:                            ;   in Loop: Header=BB6_30910 Depth=3
	s_cmp_lt_i32 s75, 0x270f
	s_mov_b32 s77, -1
	s_cselect_b32 s79, -1, 0
	s_cmp_gt_i32 s75, 0x270e
	s_cbranch_scc0 .LBB6_30913
; %bb.30912:                            ;   in Loop: Header=BB6_30910 Depth=3
	s_trap 2
	ds_load_b64 v[6:7], v0
	s_and_not1_b32 s75, s79, exec_lo
	s_mov_b32 s78, 0
	s_wait_storecnt_dscnt 0x0
	flat_load_b32 v1, v[6:7] scope:SCOPE_SYS
	s_wait_loadcnt_dscnt 0x0
	global_inv scope:SCOPE_SYS
	v_cmp_eq_u32_e64 s13, 0, v1
	s_and_b32 s13, s13, exec_lo
	s_delay_alu instid0(SALU_CYCLE_1)
	s_or_b32 s79, s75, s13
	s_mov_b32 s75, 0
	s_wait_xcnt 0x0
	s_and_saveexec_b32 s88, s79
	s_cbranch_execz .LBB6_30908
	s_branch .LBB6_30907
.LBB6_30913:                            ;   in Loop: Header=BB6_30910 Depth=3
	s_add_co_i32 s75, s75, 1
	s_mov_b32 s78, -1
                                        ; implicit-def: $vgpr1
	s_and_saveexec_b32 s88, s79
	s_cbranch_execz .LBB6_30908
	s_branch .LBB6_30907
.LBB6_30914:                            ;   in Loop: Header=BB6_30902 Depth=2
	s_or_b32 exec_lo, exec_lo, s63
	s_xor_b32 s13, s72, -1
	s_delay_alu instid0(SALU_CYCLE_1) | instskip(NEXT) | instid1(SALU_CYCLE_1)
	s_and_saveexec_b32 s63, s13
	s_xor_b32 s13, exec_lo, s63
	s_cbranch_execz .LBB6_30916
; %bb.30915:                            ;   in Loop: Header=BB6_30902 Depth=2
	scratch_load_b32 v6, off, s33 offset:204 ; 4-byte Folded Reload
	s_wait_loadcnt 0x0
	v_or_b32_e32 v6, 64, v6
	scratch_store_b32 off, v6, s33 offset:204 ; 4-byte Folded Spill
	s_wait_storecnt 0x0
	ds_store_b32 v0, v1
	s_trap 2
.LBB6_30916:                            ;   in Loop: Header=BB6_30902 Depth=2
	s_wait_xcnt 0x0
	s_or_b32 exec_lo, exec_lo, s13
.LBB6_30917:                            ;   in Loop: Header=BB6_30902 Depth=2
	s_delay_alu instid0(SALU_CYCLE_1)
	s_or_b32 exec_lo, exec_lo, s43
	s_clause 0x1
	scratch_load_b32 v1, off, s33 offset:204
	scratch_load_b64 v[6:7], off, s33 offset:264 th:TH_LOAD_LU
	s_mov_b32 s13, -1
	s_mov_b32 s43, exec_lo
	;;#ASMSTART
	s_wakeup
	;;#ASMEND
                                        ; implicit-def: $vgpr8_vgpr9
	s_wait_loadcnt 0x0
	v_mov_b32_e32 v7, v113
	v_and_b32_e32 v1, 0x100, v1
	v_and_b32_e32 v6, 7, v6
	s_wait_xcnt 0x0
	s_delay_alu instid0(VALU_DEP_2)
	v_cmpx_ne_u32_e32 0, v1
	s_cbranch_execz .LBB6_30921
; %bb.30918:                            ;   in Loop: Header=BB6_30902 Depth=2
	scratch_load_b128 v[8:11], off, s33 offset:312 ; 16-byte Folded Reload
	s_mov_b32 s63, exec_lo
	s_wait_loadcnt 0x0
	v_mad_nc_u64_u32 v[10:11], v6, 24, v[8:9]
                                        ; implicit-def: $vgpr8_vgpr9
	flat_load_b32 v1, v[10:11]
	s_wait_loadcnt_dscnt 0x0
	v_cmp_ne_u32_e32 vcc_lo, 1, v1
	s_wait_xcnt 0x0
	v_cmpx_eq_u32_e32 1, v1
	s_cbranch_execz .LBB6_30920
; %bb.30919:                            ;   in Loop: Header=BB6_30902 Depth=2
	flat_load_b32 v8, v[10:11] offset:4 scope:SCOPE_SYS
	s_wait_loadcnt_dscnt 0x0
	v_ashrrev_i32_e32 v9, 31, v8
.LBB6_30920:                            ;   in Loop: Header=BB6_30902 Depth=2
	s_wait_xcnt 0x0
	s_or_b32 exec_lo, exec_lo, s63
	s_delay_alu instid0(SALU_CYCLE_1)
	s_or_not1_b32 s13, vcc_lo, exec_lo
.LBB6_30921:                            ;   in Loop: Header=BB6_30902 Depth=2
	s_or_b32 exec_lo, exec_lo, s43
	s_and_saveexec_b32 s43, s13
	s_cbranch_execz .LBB6_30923
; %bb.30922:                            ;   in Loop: Header=BB6_30902 Depth=2
	scratch_load_b64 v[8:9], off, s33 offset:360 ; 8-byte Folded Reload
	s_wait_loadcnt 0x0
	v_mul_u64_e32 v[8:9], v[6:7], v[8:9]
.LBB6_30923:                            ;   in Loop: Header=BB6_30902 Depth=2
	s_wait_xcnt 0x0
	s_or_b32 exec_lo, exec_lo, s43
	s_clause 0x1
	scratch_load_b32 v1, off, s33 offset:204
	scratch_load_b64 v[6:7], off, s33 offset:304
	s_mov_b32 s13, exec_lo
	s_wait_loadcnt 0x1
	v_and_b32_e32 v1, 0x2000, v1
	s_wait_loadcnt 0x0
	v_add_nc_u64_e32 v[6:7], v[6:7], v[8:9]
	ds_store_b64 v0, v[6:7] offset:720
	s_wait_xcnt 0x0
	v_cmpx_ne_u32_e32 0, v1
	s_cbranch_execz .LBB6_30925
; %bb.30924:                            ;   in Loop: Header=BB6_30902 Depth=2
	ds_load_b64 v[6:7], v0 offset:872
	s_wait_dscnt 0x0
	v_add_nc_u64_e32 v[6:7], 1, v[6:7]
	ds_store_b64 v0, v[6:7] offset:872
.LBB6_30925:                            ;   in Loop: Header=BB6_30902 Depth=2
	s_or_b32 exec_lo, exec_lo, s13
	scratch_store_b64 off, v[2:3], s33 offset:264 ; 8-byte Folded Spill
.LBB6_30926:                            ;   in Loop: Header=BB6_30902 Depth=2
	s_wait_xcnt 0x0
	s_or_b32 exec_lo, exec_lo, s42
	s_and_saveexec_b32 s13, s2
	s_cbranch_execz .LBB6_30945
; %bb.30927:                            ;   in Loop: Header=BB6_30902 Depth=2
	s_and_saveexec_b32 s42, s3
	s_delay_alu instid0(SALU_CYCLE_1)
	s_xor_b32 s42, exec_lo, s42
	s_cbranch_execz .LBB6_30942
; %bb.30928:                            ;   in Loop: Header=BB6_30902 Depth=2
	s_and_saveexec_b32 s43, s6
	s_cbranch_execz .LBB6_30941
; %bb.30929:                            ;   in Loop: Header=BB6_30902 Depth=2
	s_mov_b32 s72, exec_lo
	s_mov_b32 s63, exec_lo
	v_mbcnt_lo_u32_b32 v1, s72, 0
	global_wb scope:SCOPE_DEV
	s_wait_storecnt_dscnt 0x0
	global_inv scope:SCOPE_DEV
	v_cmpx_eq_u32_e32 0, v1
	s_cbranch_execz .LBB6_30931
; %bb.30930:                            ;   in Loop: Header=BB6_30902 Depth=2
	s_bcnt1_i32_b32 s72, s72
	s_delay_alu instid0(SALU_CYCLE_1)
	v_dual_mov_b32 v3, v113 :: v_dual_mov_b32 v2, s72
	s_wait_loadcnt 0x0
	ds_add_u64 v0, v[2:3]
	s_trap 2
.LBB6_30931:                            ;   in Loop: Header=BB6_30902 Depth=2
	s_or_b32 exec_lo, exec_lo, s63
	s_trap 2
	ds_load_b64 v[2:3], v0
	s_wait_dscnt 0x0
	s_clause 0x1
	scratch_load_b64 v[6:7], off, s33 offset:208 th:TH_LOAD_LU
	scratch_load_b64 v[8:9], off, s33 offset:272
	s_mov_b32 s63, exec_lo
	s_wait_loadcnt 0x0
	v_add_nc_u64_e32 v[6:7], v[6:7], v[8:9]
	scratch_store_b64 off, v[6:7], s33 offset:208 ; 8-byte Folded Spill
	s_wait_xcnt 0x0
	v_cmpx_lt_u64_e64 v[2:3], v[6:7]
	s_cbranch_execz .LBB6_30940
; %bb.30932:                            ;   in Loop: Header=BB6_30902 Depth=2
	s_mov_b32 s72, 0
	s_mov_b32 s75, 0
                                        ; implicit-def: $sgpr73
                                        ; implicit-def: $sgpr74
	s_branch .LBB6_30934
.LBB6_30933:                            ;   in Loop: Header=BB6_30934 Depth=3
	s_wait_xcnt 0x0
	s_or_b32 exec_lo, exec_lo, s77
	s_delay_alu instid0(SALU_CYCLE_1) | instskip(NEXT) | instid1(SALU_CYCLE_1)
	s_and_b32 s76, exec_lo, s78
	s_or_b32 s72, s76, s72
	s_and_not1_b32 s73, s73, exec_lo
	s_and_b32 s76, s74, exec_lo
	s_delay_alu instid0(SALU_CYCLE_1)
	s_or_b32 s73, s73, s76
	s_and_not1_b32 exec_lo, exec_lo, s72
	s_cbranch_execz .LBB6_30938
.LBB6_30934:                            ;   Parent Loop BB6_47 Depth=1
                                        ;     Parent Loop BB6_30902 Depth=2
                                        ; =>    This Inner Loop Header: Depth=3
	s_add_co_i32 s75, s75, 1
	s_delay_alu instid0(SALU_CYCLE_1) | instskip(SKIP_1) | instid1(SALU_CYCLE_1)
	s_cmp_lg_u32 s75, 0x2710
	s_cselect_b32 s76, -1, 0
	s_and_b32 vcc_lo, exec_lo, s76
	s_cbranch_vccz .LBB6_30936
; %bb.30935:                            ;   in Loop: Header=BB6_30934 Depth=3
	s_mov_b32 s78, -1
	s_or_b32 s74, s74, exec_lo
	s_and_saveexec_b32 s77, s76
	s_cbranch_execz .LBB6_30933
	s_branch .LBB6_30937
.LBB6_30936:                            ;   in Loop: Header=BB6_30934 Depth=3
	s_trap 2
	ds_load_b64 v[2:3], v0
	s_and_not1_b32 s76, s76, exec_lo
	s_mov_b32 s75, 0
	s_wait_storecnt_dscnt 0x0
	flat_load_b32 v1, v[2:3] scope:SCOPE_SYS
	s_wait_loadcnt_dscnt 0x0
	global_inv scope:SCOPE_SYS
	v_cmp_eq_u32_e32 vcc_lo, 0, v1
	s_and_b32 s77, vcc_lo, exec_lo
	s_delay_alu instid0(SALU_CYCLE_1)
	s_or_b32 s76, s76, s77
	s_mov_b32 s78, -1
	s_or_b32 s74, s74, exec_lo
	s_wait_xcnt 0x0
	s_and_saveexec_b32 s77, s76
	s_cbranch_execz .LBB6_30933
.LBB6_30937:                            ;   in Loop: Header=BB6_30934 Depth=3
	s_sleep 1
	s_trap 2
	ds_load_b64 v[2:3], v0
	s_wait_dscnt 0x0
	scratch_load_b64 v[6:7], off, s33 offset:208 ; 8-byte Folded Reload
	s_and_not1_b32 s74, s74, exec_lo
	s_wait_loadcnt 0x0
	v_cmp_ge_u64_e32 vcc_lo, v[2:3], v[6:7]
	s_or_not1_b32 s78, vcc_lo, exec_lo
	s_branch .LBB6_30933
.LBB6_30938:                            ;   in Loop: Header=BB6_30902 Depth=2
	s_or_b32 exec_lo, exec_lo, s72
	s_and_saveexec_b32 s72, s73
	s_delay_alu instid0(SALU_CYCLE_1)
	s_xor_b32 s72, exec_lo, s72
	s_cbranch_execz .LBB6_30940
; %bb.30939:                            ;   in Loop: Header=BB6_30902 Depth=2
	v_mov_b32_e32 v1, 1
	ds_store_b32 v0, v1
	s_trap 2
.LBB6_30940:                            ;   in Loop: Header=BB6_30902 Depth=2
	s_or_b32 exec_lo, exec_lo, s63
	;;#ASMSTART
	s_wakeup
	;;#ASMEND
.LBB6_30941:                            ;   in Loop: Header=BB6_30902 Depth=2
	s_or_b32 exec_lo, exec_lo, s43
.LBB6_30942:                            ;   in Loop: Header=BB6_30902 Depth=2
	s_and_not1_saveexec_b32 s42, s42
	s_cbranch_execz .LBB6_30944
; %bb.30943:                            ;   in Loop: Header=BB6_30902 Depth=2
	global_wb scope:SCOPE_DEV
	s_wait_storecnt 0x0
	s_wait_loadcnt_dscnt 0x0
	global_inv scope:SCOPE_DEV
	s_barrier_signal -1
	s_barrier_wait -1
.LBB6_30944:                            ;   in Loop: Header=BB6_30902 Depth=2
	s_or_b32 exec_lo, exec_lo, s42
.LBB6_30945:                            ;   in Loop: Header=BB6_30902 Depth=2
	s_delay_alu instid0(SALU_CYCLE_1)
	s_or_b32 exec_lo, exec_lo, s13
	s_trap 2
	scratch_load_b32 v2, off, s33 offset:204 ; 4-byte Folded Reload
	ds_load_b32 v1, v0
	s_xor_b32 s13, s1, -1
	s_wait_loadcnt 0x0
	v_and_b32_e32 v2, 0x4000, v2
	s_delay_alu instid0(VALU_DEP_1)
	v_cmp_ne_u32_e32 vcc_lo, 0, v2
	s_and_b32 s42, s13, vcc_lo
	s_wait_xcnt 0x0
	s_and_saveexec_b32 s13, s42
	s_cbranch_execz .LBB6_30964
; %bb.30946:                            ;   in Loop: Header=BB6_30902 Depth=2
	s_and_saveexec_b32 s42, s3
	s_delay_alu instid0(SALU_CYCLE_1)
	s_xor_b32 s42, exec_lo, s42
	s_cbranch_execz .LBB6_30961
; %bb.30947:                            ;   in Loop: Header=BB6_30902 Depth=2
	s_and_saveexec_b32 s43, s6
	s_cbranch_execz .LBB6_30960
; %bb.30948:                            ;   in Loop: Header=BB6_30902 Depth=2
	s_mov_b32 s72, exec_lo
	s_mov_b32 s63, exec_lo
	v_mbcnt_lo_u32_b32 v2, s72, 0
	global_wb scope:SCOPE_DEV
	s_wait_storecnt_dscnt 0x0
	global_inv scope:SCOPE_DEV
	v_cmpx_eq_u32_e32 0, v2
	s_cbranch_execz .LBB6_30950
; %bb.30949:                            ;   in Loop: Header=BB6_30902 Depth=2
	s_bcnt1_i32_b32 s72, s72
	s_delay_alu instid0(SALU_CYCLE_1)
	v_dual_mov_b32 v3, v113 :: v_dual_mov_b32 v2, s72
	s_wait_loadcnt 0x0
	ds_add_u64 v0, v[2:3]
	s_trap 2
.LBB6_30950:                            ;   in Loop: Header=BB6_30902 Depth=2
	s_or_b32 exec_lo, exec_lo, s63
	s_trap 2
	ds_load_b64 v[2:3], v0
	s_wait_dscnt 0x0
	s_clause 0x1
	scratch_load_b64 v[6:7], off, s33 offset:208 th:TH_LOAD_LU
	scratch_load_b64 v[8:9], off, s33 offset:272
	s_mov_b32 s63, exec_lo
	s_wait_loadcnt 0x0
	v_add_nc_u64_e32 v[6:7], v[6:7], v[8:9]
	scratch_store_b64 off, v[6:7], s33 offset:208 ; 8-byte Folded Spill
	s_wait_xcnt 0x0
	v_cmpx_lt_u64_e64 v[2:3], v[6:7]
	s_cbranch_execz .LBB6_30959
; %bb.30951:                            ;   in Loop: Header=BB6_30902 Depth=2
	s_mov_b32 s72, 0
	s_mov_b32 s75, 0
                                        ; implicit-def: $sgpr73
                                        ; implicit-def: $sgpr74
	s_branch .LBB6_30953
.LBB6_30952:                            ;   in Loop: Header=BB6_30953 Depth=3
	s_wait_xcnt 0x0
	s_or_b32 exec_lo, exec_lo, s77
	s_delay_alu instid0(SALU_CYCLE_1) | instskip(NEXT) | instid1(SALU_CYCLE_1)
	s_and_b32 s76, exec_lo, s78
	s_or_b32 s72, s76, s72
	s_and_not1_b32 s73, s73, exec_lo
	s_and_b32 s76, s74, exec_lo
	s_delay_alu instid0(SALU_CYCLE_1)
	s_or_b32 s73, s73, s76
	s_and_not1_b32 exec_lo, exec_lo, s72
	s_cbranch_execz .LBB6_30957
.LBB6_30953:                            ;   Parent Loop BB6_47 Depth=1
                                        ;     Parent Loop BB6_30902 Depth=2
                                        ; =>    This Inner Loop Header: Depth=3
	s_add_co_i32 s75, s75, 1
	s_delay_alu instid0(SALU_CYCLE_1) | instskip(SKIP_1) | instid1(SALU_CYCLE_1)
	s_cmp_lg_u32 s75, 0x2710
	s_cselect_b32 s76, -1, 0
	s_and_b32 vcc_lo, exec_lo, s76
	s_cbranch_vccz .LBB6_30955
; %bb.30954:                            ;   in Loop: Header=BB6_30953 Depth=3
	s_mov_b32 s78, -1
	s_or_b32 s74, s74, exec_lo
	s_and_saveexec_b32 s77, s76
	s_cbranch_execz .LBB6_30952
	s_branch .LBB6_30956
.LBB6_30955:                            ;   in Loop: Header=BB6_30953 Depth=3
	s_trap 2
	ds_load_b64 v[2:3], v0
	s_and_not1_b32 s76, s76, exec_lo
	s_mov_b32 s75, 0
	s_wait_storecnt_dscnt 0x0
	flat_load_b32 v2, v[2:3] scope:SCOPE_SYS
	s_wait_loadcnt_dscnt 0x0
	global_inv scope:SCOPE_SYS
	v_cmp_eq_u32_e32 vcc_lo, 0, v2
	s_and_b32 s77, vcc_lo, exec_lo
	s_delay_alu instid0(SALU_CYCLE_1)
	s_or_b32 s76, s76, s77
	s_mov_b32 s78, -1
	s_or_b32 s74, s74, exec_lo
	s_wait_xcnt 0x0
	s_and_saveexec_b32 s77, s76
	s_cbranch_execz .LBB6_30952
.LBB6_30956:                            ;   in Loop: Header=BB6_30953 Depth=3
	s_sleep 1
	s_trap 2
	ds_load_b64 v[2:3], v0
	s_wait_dscnt 0x0
	scratch_load_b64 v[6:7], off, s33 offset:208 ; 8-byte Folded Reload
	s_and_not1_b32 s74, s74, exec_lo
	s_wait_loadcnt 0x0
	v_cmp_ge_u64_e32 vcc_lo, v[2:3], v[6:7]
	s_or_not1_b32 s78, vcc_lo, exec_lo
	s_branch .LBB6_30952
.LBB6_30957:                            ;   in Loop: Header=BB6_30902 Depth=2
	s_or_b32 exec_lo, exec_lo, s72
	s_and_saveexec_b32 s72, s73
	s_delay_alu instid0(SALU_CYCLE_1)
	s_xor_b32 s72, exec_lo, s72
	s_cbranch_execz .LBB6_30959
; %bb.30958:                            ;   in Loop: Header=BB6_30902 Depth=2
	v_mov_b32_e32 v2, 1
	ds_store_b32 v0, v2
	s_trap 2
.LBB6_30959:                            ;   in Loop: Header=BB6_30902 Depth=2
	s_or_b32 exec_lo, exec_lo, s63
	;;#ASMSTART
	s_wakeup
	;;#ASMEND
.LBB6_30960:                            ;   in Loop: Header=BB6_30902 Depth=2
	s_or_b32 exec_lo, exec_lo, s43
.LBB6_30961:                            ;   in Loop: Header=BB6_30902 Depth=2
	s_and_not1_saveexec_b32 s42, s42
	s_cbranch_execz .LBB6_30963
; %bb.30962:                            ;   in Loop: Header=BB6_30902 Depth=2
	global_wb scope:SCOPE_DEV
	s_wait_storecnt 0x0
	s_wait_loadcnt_dscnt 0x0
	global_inv scope:SCOPE_DEV
	s_barrier_signal -1
	s_barrier_wait -1
.LBB6_30963:                            ;   in Loop: Header=BB6_30902 Depth=2
	s_or_b32 exec_lo, exec_lo, s42
.LBB6_30964:                            ;   in Loop: Header=BB6_30902 Depth=2
	s_delay_alu instid0(SALU_CYCLE_1) | instskip(SKIP_3) | instid1(VALU_DEP_1)
	s_or_b32 exec_lo, exec_lo, s13
	s_trap 2
	ds_load_b64 v[2:3], v0
	v_sub_nc_u32_e32 v6, v12, v0
	v_min_i32_e32 v13, v13, v6
	s_wait_dscnt 0x0
	v_cmp_eq_u64_e32 vcc_lo, 0, v[2:3]
	s_cbranch_vccnz .LBB6_30972
; %bb.30965:                            ;   in Loop: Header=BB6_30902 Depth=2
	s_trap 2
	ds_load_b64 v[6:7], v0
	s_wait_dscnt 0x0
	v_cmp_eq_u64_e32 vcc_lo, 0, v[6:7]
	s_cbranch_vccnz .LBB6_30972
; %bb.30966:                            ;   in Loop: Header=BB6_30902 Depth=2
	s_mov_b32 s13, -1
	s_and_saveexec_b32 s42, s10
	s_cbranch_execz .LBB6_30968
; %bb.30967:                            ;   in Loop: Header=BB6_30902 Depth=2
	ds_load_b32 v8, v0 offset:720
	s_wait_dscnt 0x0
	v_and_b32_e32 v8, 15, v8
	s_delay_alu instid0(VALU_DEP_1)
	v_cmp_eq_u32_e32 vcc_lo, 0, v8
	s_or_not1_b32 s13, vcc_lo, exec_lo
.LBB6_30968:                            ;   in Loop: Header=BB6_30902 Depth=2
	s_or_b32 exec_lo, exec_lo, s42
	s_and_saveexec_b32 s42, s7
	s_cbranch_execz .LBB6_30970
; %bb.30969:                            ;   in Loop: Header=BB6_30902 Depth=2
	ds_load_b32 v8, v0 offset:784
	s_wait_dscnt 0x0
	v_and_b32_e32 v8, 15, v8
	s_delay_alu instid0(VALU_DEP_1) | instskip(SKIP_3) | instid1(SALU_CYCLE_1)
	v_cmp_eq_u32_e32 vcc_lo, 0, v8
	s_and_b32 s43, s13, vcc_lo
	s_and_not1_b32 s13, s13, exec_lo
	s_and_b32 s43, s43, exec_lo
	s_or_b32 s13, s13, s43
.LBB6_30970:                            ;   in Loop: Header=BB6_30902 Depth=2
	s_or_b32 exec_lo, exec_lo, s42
	scratch_load_b32 v14, off, s33 offset:384 ; 4-byte Folded Reload
	v_cmp_eq_u32_e32 vcc_lo, 0, v1
	s_xor_b32 s13, s13, -1
	s_mov_b32 s43, -1
	v_cndmask_b32_e64 v8, 0, 1, s13
	v_dual_mov_b32 v10, 0 :: v_dual_cndmask_b32 v1, 0, v13
	s_delay_alu instid0(VALU_DEP_2) | instskip(NEXT) | instid1(VALU_DEP_2)
	v_cmp_ne_u32_e32 vcc_lo, 0, v8
	v_mov_b32_e32 v11, v1
	s_cbranch_vccz .LBB6_30977
; %bb.30971:                            ;   in Loop: Header=BB6_30902 Depth=2
	s_wait_xcnt 0x0
	s_and_saveexec_b32 s13, s43
	s_cbranch_execnz .LBB6_30988
	s_branch .LBB6_30996
.LBB6_30972:                            ;   in Loop: Header=BB6_30902 Depth=2
	s_mov_b32 s13, 0
	s_and_saveexec_b32 s42, s2
	s_cbranch_execnz .LBB6_30997
.LBB6_30973:                            ;   in Loop: Header=BB6_30902 Depth=2
	s_or_b32 exec_lo, exec_lo, s42
	s_and_saveexec_b32 s42, s12
	s_delay_alu instid0(SALU_CYCLE_1)
	s_xor_b32 s42, exec_lo, s42
	s_cbranch_execz .LBB6_31015
.LBB6_30974:                            ;   in Loop: Header=BB6_30902 Depth=2
	scratch_load_b32 v1, off, s33 offset:204 ; 4-byte Folded Reload
	s_wait_loadcnt 0x0
	v_and_b32_e32 v1, 16, v1
	s_delay_alu instid0(VALU_DEP_1)
	v_cmp_ne_u32_e32 vcc_lo, 0, v1
	s_and_b32 s43, vcc_lo, s13
	s_wait_xcnt 0x0
	s_and_saveexec_b32 s13, s43
	s_cbranch_execz .LBB6_30976
; %bb.30975:                            ;   in Loop: Header=BB6_30902 Depth=2
	global_wb scope:SCOPE_SYS
	s_wait_storecnt_dscnt 0x0
	global_inv scope:SCOPE_SYS
.LBB6_30976:                            ;   in Loop: Header=BB6_30902 Depth=2
	s_or_b32 exec_lo, exec_lo, s13
	s_and_not1_saveexec_b32 s13, s42
	s_cbranch_execz .LBB6_31034
	s_branch .LBB6_31016
.LBB6_30977:                            ;   in Loop: Header=BB6_30902 Depth=2
	v_ashrrev_i32_e32 v8, 31, v1
	s_mov_b32 s13, exec_lo
	s_delay_alu instid0(VALU_DEP_1) | instskip(NEXT) | instid1(VALU_DEP_1)
	v_lshrrev_b32_e32 v8, 20, v8
	v_add_nc_u32_e32 v8, v1, v8
	s_wait_loadcnt 0x0
	s_delay_alu instid0(VALU_DEP_1) | instskip(SKIP_4) | instid1(VALU_DEP_1)
	v_ashrrev_i32_e32 v14, 12, v8
	scratch_load_b32 v8, off, s33 offset:420 ; 4-byte Folded Reload
	s_wait_loadcnt 0x0
	v_sub_nc_u32_e32 v16, v14, v8
	s_wait_xcnt 0x0
	v_cmpx_lt_i32_e32 0, v16
	s_cbranch_execz .LBB6_30981
; %bb.30978:                            ;   in Loop: Header=BB6_30902 Depth=2
	s_clause 0x2
	scratch_load_b64 v[68:69], off, s33 offset:272
	scratch_load_b64 v[70:71], off, s33 offset:496
	;; [unrolled: 1-line block ×3, first 2 shown]
	v_mov_b64_e32 v[8:9], v[6:7]
	v_mov_b64_e32 v[10:11], v[2:3]
	s_mov_b32 s42, 0
.LBB6_30979:                            ;   Parent Loop BB6_47 Depth=1
                                        ;     Parent Loop BB6_30902 Depth=2
                                        ; =>    This Inner Loop Header: Depth=3
	s_wait_loadcnt 0x0
	s_delay_alu instid0(VALU_DEP_1)
	v_add_nc_u64_e32 v[38:39], v[80:81], v[10:11]
	v_sub_nc_u32_e32 v16, v16, v68
	v_add_nc_u64_e32 v[10:11], v[10:11], v[70:71]
	s_clause 0x7
	global_load_b128 v[18:21], v[38:39], off th:TH_LOAD_NT
	global_load_b128 v[22:25], v[38:39], off offset:512 th:TH_LOAD_NT
	global_load_b128 v[26:29], v[38:39], off offset:1024 th:TH_LOAD_NT
	;; [unrolled: 1-line block ×7, first 2 shown]
	s_wait_xcnt 0x0
	v_add_nc_u64_e32 v[38:39], v[80:81], v[8:9]
	v_add_nc_u64_e32 v[8:9], v[8:9], v[70:71]
	v_cmp_gt_i32_e32 vcc_lo, 1, v16
	s_wait_loadcnt 0x7
	global_store_b128 v[38:39], v[18:21], off th:TH_STORE_NT
	s_wait_loadcnt 0x6
	global_store_b128 v[38:39], v[22:25], off offset:512 th:TH_STORE_NT
	s_wait_loadcnt 0x5
	global_store_b128 v[38:39], v[26:29], off offset:1024 th:TH_STORE_NT
	;; [unrolled: 2-line block ×7, first 2 shown]
	s_or_b32 s42, vcc_lo, s42
	s_wait_xcnt 0x0
	s_and_not1_b32 exec_lo, exec_lo, s42
	s_cbranch_execnz .LBB6_30979
; %bb.30980:                            ;   in Loop: Header=BB6_30902 Depth=2
	s_or_b32 exec_lo, exec_lo, s42
.LBB6_30981:                            ;   in Loop: Header=BB6_30902 Depth=2
	s_delay_alu instid0(SALU_CYCLE_1) | instskip(SKIP_3) | instid1(VALU_DEP_1)
	s_or_b32 exec_lo, exec_lo, s13
	v_dual_mov_b32 v10, 0 :: v_dual_lshlrev_b32 v15, 12, v14
	s_mov_b32 s43, 0
	s_mov_b32 s42, exec_lo
                                        ; implicit-def: $vgpr11
                                        ; implicit-def: $vgpr14
	v_cmpx_ne_u32_e64 v1, v15
	s_cbranch_execz .LBB6_30987
; %bb.30982:                            ;   in Loop: Header=BB6_30902 Depth=2
	scratch_load_b32 v9, off, s33 offset:504 ; 4-byte Folded Reload
	v_dual_lshlrev_b32 v8, 5, v16 :: v_dual_sub_nc_u32 v16, v1, v15
	s_mov_b32 s43, exec_lo
	s_wait_loadcnt 0x0
	s_delay_alu instid0(VALU_DEP_1) | instskip(NEXT) | instid1(VALU_DEP_2)
	v_sub_nc_u32_e32 v8, v9, v8
	v_ashrrev_i32_e32 v10, 31, v16
	s_delay_alu instid0(VALU_DEP_1) | instskip(NEXT) | instid1(VALU_DEP_1)
	v_dual_ashrrev_i32 v9, 31, v8 :: v_dual_lshrrev_b32 v10, 23, v10
	v_lshrrev_b32_e32 v9, 27, v9
	s_delay_alu instid0(VALU_DEP_1) | instskip(NEXT) | instid1(VALU_DEP_3)
	v_add_nc_u32_e32 v9, v8, v9
	v_add_nc_u32_e32 v17, v16, v10
	s_delay_alu instid0(VALU_DEP_2) | instskip(SKIP_1) | instid1(VALU_DEP_3)
	v_and_b32_e32 v11, 0xffffffe0, v9
	v_ashrrev_i32_e32 v9, 5, v9
	v_and_b32_e32 v10, 0xfffffe00, v17
	s_delay_alu instid0(VALU_DEP_3) | instskip(NEXT) | instid1(VALU_DEP_2)
	v_dual_ashrrev_i32 v17, 9, v17 :: v_dual_sub_nc_u32 v14, v8, v11
	v_sub_nc_u32_e32 v11, v16, v10
	s_delay_alu instid0(VALU_DEP_1) | instskip(NEXT) | instid1(VALU_DEP_3)
	v_cmp_lt_i32_e32 vcc_lo, 15, v11
	v_add_co_ci_u32_e64 v18, null, 0, v17, vcc_lo
	s_delay_alu instid0(VALU_DEP_4) | instskip(NEXT) | instid1(VALU_DEP_1)
	v_lshlrev_b32_e32 v8, 4, v14
	v_lshl_add_u32 v8, v9, 9, v8
	s_delay_alu instid0(VALU_DEP_1) | instskip(SKIP_1) | instid1(VALU_DEP_1)
	v_dual_sub_nc_u32 v17, v16, v8 :: v_dual_sub_nc_u32 v16, v18, v9
	s_wait_xcnt 0x0
	v_cmpx_lt_i32_e32 15, v17
	s_cbranch_execz .LBB6_30986
; %bb.30983:                            ;   in Loop: Header=BB6_30902 Depth=2
	s_clause 0x1
	scratch_load_b64 v[24:25], off, s33 offset:272
	scratch_load_b64 v[26:27], off, s33 offset:336
	v_add_nc_u32_e32 v8, v8, v15
	s_mov_b32 s63, 0
	s_delay_alu instid0(VALU_DEP_1)
	v_ashrrev_i32_e32 v9, 31, v8
.LBB6_30984:                            ;   Parent Loop BB6_47 Depth=1
                                        ;     Parent Loop BB6_30902 Depth=2
                                        ; =>    This Inner Loop Header: Depth=3
	s_delay_alu instid0(VALU_DEP_1) | instskip(SKIP_4) | instid1(VALU_DEP_3)
	v_add_nc_u64_e32 v[18:19], v[2:3], v[8:9]
	s_wait_loadcnt 0x0
	v_dual_sub_nc_u32 v17, v17, v26 :: v_dual_sub_nc_u32 v16, v16, v24
	v_add_nc_u64_e32 v[22:23], v[6:7], v[8:9]
	v_add_nc_u64_e32 v[8:9], v[8:9], v[26:27]
	v_cmp_gt_i32_e64 s13, 16, v17
	global_load_b128 v[18:21], v[18:19], off th:TH_LOAD_NT
	s_or_b32 s63, s13, s63
	s_wait_loadcnt 0x0
	global_store_b128 v[22:23], v[18:21], off th:TH_STORE_NT
	s_wait_xcnt 0x0
	s_and_not1_b32 exec_lo, exec_lo, s63
	s_cbranch_execnz .LBB6_30984
; %bb.30985:                            ;   in Loop: Header=BB6_30902 Depth=2
	s_or_b32 exec_lo, exec_lo, s63
.LBB6_30986:                            ;   in Loop: Header=BB6_30902 Depth=2
	s_delay_alu instid0(SALU_CYCLE_1) | instskip(SKIP_3) | instid1(VALU_DEP_1)
	s_or_b32 exec_lo, exec_lo, s43
	scratch_load_b64 v[18:19], off, s33 offset:272 ; 8-byte Folded Reload
	v_cmp_lt_i32_e64 s13, 0, v16
	s_wait_loadcnt 0x0
	v_dual_cndmask_b32 v17, 0, v18, s13 :: v_dual_bitop2_b32 v8, 15, v1 bitop3:0x40
	s_delay_alu instid0(VALU_DEP_1) | instskip(NEXT) | instid1(VALU_DEP_1)
	v_dual_sub_nc_u32 v9, v11, v8 :: v_dual_cndmask_b32 v11, v11, v8, vcc_lo
	v_dual_cndmask_b32 v8, 0, v9 :: v_dual_sub_nc_u32 v9, v17, v16
	s_delay_alu instid0(VALU_DEP_2) | instskip(NEXT) | instid1(VALU_DEP_2)
	v_cmp_ne_u32_e32 vcc_lo, 0, v11
	v_add3_u32 v10, v10, v15, v8
	s_delay_alu instid0(VALU_DEP_3)
	v_lshl_add_u32 v14, v9, 5, v14
	s_and_b32 s43, vcc_lo, exec_lo
.LBB6_30987:                            ;   in Loop: Header=BB6_30902 Depth=2
	s_wait_xcnt 0x0
	s_or_b32 exec_lo, exec_lo, s42
	s_and_saveexec_b32 s13, s43
	s_cbranch_execz .LBB6_30996
.LBB6_30988:                            ;   in Loop: Header=BB6_30902 Depth=2
	s_wait_loadcnt 0x0
	v_dual_ashrrev_i32 v8, 31, v14 :: v_dual_ashrrev_i32 v9, 31, v11
	s_mov_b32 s42, exec_lo
	s_delay_alu instid0(VALU_DEP_1) | instskip(NEXT) | instid1(VALU_DEP_1)
	v_dual_lshrrev_b32 v8, 27, v8 :: v_dual_lshrrev_b32 v9, 22, v9
	v_dual_add_nc_u32 v8, v14, v8 :: v_dual_add_nc_u32 v9, v11, v9
	s_delay_alu instid0(VALU_DEP_1) | instskip(NEXT) | instid1(VALU_DEP_1)
	v_dual_ashrrev_i32 v15, 5, v8 :: v_dual_ashrrev_i32 v17, 10, v9
	v_sub_nc_u32_e32 v16, v17, v15
	s_delay_alu instid0(VALU_DEP_1)
	v_cmpx_lt_i32_e32 0, v16
	s_cbranch_execz .LBB6_30992
; %bb.30989:                            ;   in Loop: Header=BB6_30902 Depth=2
	s_clause 0x1
	scratch_load_b64 v[68:69], off, s33 offset:272
	scratch_load_b64 v[70:71], off, s33 offset:280
	v_and_b32_e32 v8, 0xffffffe0, v8
	s_mov_b32 s43, 0
	s_delay_alu instid0(VALU_DEP_1) | instskip(NEXT) | instid1(VALU_DEP_1)
	v_dual_lshlrev_b32 v9, 10, v15 :: v_dual_sub_nc_u32 v8, v14, v8
	v_add3_u32 v8, v10, v8, v9
	s_delay_alu instid0(VALU_DEP_1)
	v_ashrrev_i32_e32 v9, 31, v8
.LBB6_30990:                            ;   Parent Loop BB6_47 Depth=1
                                        ;     Parent Loop BB6_30902 Depth=2
                                        ; =>    This Inner Loop Header: Depth=3
	s_delay_alu instid0(VALU_DEP_1)
	v_add_nc_u64_e32 v[18:19], v[8:9], v[2:3]
	s_wait_loadcnt 0x1
	v_sub_nc_u32_e32 v16, v16, v68
	s_wait_loadcnt 0x0
	v_add_nc_u64_e32 v[2:3], v[2:3], v[70:71]
	s_clause 0x1f
	flat_load_u8 v20, v[18:19] th:TH_LOAD_NT
	flat_load_u8 v21, v[18:19] offset:32 th:TH_LOAD_NT
	flat_load_u8 v22, v[18:19] offset:64 th:TH_LOAD_NT
	;; [unrolled: 1-line block ×31, first 2 shown]
	s_wait_xcnt 0x0
	v_add_nc_u64_e32 v[18:19], v[8:9], v[6:7]
	v_add_nc_u64_e32 v[6:7], v[6:7], v[70:71]
	v_cmp_gt_i32_e32 vcc_lo, 1, v16
	s_wait_loadcnt_dscnt 0x1f1f
	flat_store_b8 v[18:19], v20 th:TH_STORE_NT
	s_wait_loadcnt_dscnt 0x1e1f
	flat_store_b8 v[18:19], v21 offset:32 th:TH_STORE_NT
	s_wait_loadcnt_dscnt 0x1d1f
	flat_store_b8 v[18:19], v22 offset:64 th:TH_STORE_NT
	;; [unrolled: 2-line block ×31, first 2 shown]
	s_or_b32 s43, vcc_lo, s43
	s_wait_xcnt 0x0
	s_and_not1_b32 exec_lo, exec_lo, s43
	s_cbranch_execnz .LBB6_30990
; %bb.30991:                            ;   in Loop: Header=BB6_30902 Depth=2
	s_or_b32 exec_lo, exec_lo, s43
.LBB6_30992:                            ;   in Loop: Header=BB6_30902 Depth=2
	s_delay_alu instid0(SALU_CYCLE_1) | instskip(SKIP_2) | instid1(VALU_DEP_1)
	s_or_b32 exec_lo, exec_lo, s42
	scratch_load_b64 v[18:19], off, s33 offset:288 ; 8-byte Folded Reload
	v_lshlrev_b32_e32 v2, 10, v17
	v_cmp_ne_u32_e32 vcc_lo, v11, v2
	s_and_b32 s42, exec_lo, vcc_lo
	s_wait_xcnt 0x0
	s_mov_b32 exec_lo, s42
	s_cbranch_execz .LBB6_30996
; %bb.30993:                            ;   in Loop: Header=BB6_30902 Depth=2
	v_dual_lshlrev_b32 v3, 5, v15 :: v_dual_lshlrev_b32 v6, 5, v16
	s_delay_alu instid0(VALU_DEP_1) | instskip(NEXT) | instid1(VALU_DEP_1)
	v_sub_nc_u32_e32 v3, v14, v3
	v_sub_nc_u32_e32 v3, v3, v6
	s_delay_alu instid0(VALU_DEP_1) | instskip(NEXT) | instid1(VALU_DEP_1)
	v_add_nc_u32_e32 v6, v2, v3
	v_sub_nc_u32_e32 v8, v11, v6
	s_delay_alu instid0(VALU_DEP_1)
	v_cmp_lt_i32_e32 vcc_lo, 0, v8
	s_and_b32 exec_lo, exec_lo, vcc_lo
	s_cbranch_execz .LBB6_30996
; %bb.30994:                            ;   in Loop: Header=BB6_30902 Depth=2
	s_trap 2
	ds_load_b64 v[2:3], v0
	v_add_nc_u32_e32 v6, v6, v10
	s_mov_b32 s42, 0
	s_delay_alu instid0(VALU_DEP_1)
	v_ashrrev_i32_e32 v7, 31, v6
.LBB6_30995:                            ;   Parent Loop BB6_47 Depth=1
                                        ;     Parent Loop BB6_30902 Depth=2
                                        ; =>    This Inner Loop Header: Depth=3
	s_wait_dscnt 0x0
	s_delay_alu instid0(VALU_DEP_1) | instskip(SKIP_3) | instid1(VALU_DEP_2)
	v_add_nc_u64_e32 v[10:11], v[2:3], v[6:7]
	s_wait_loadcnt 0x0
	v_sub_nc_u32_e32 v8, v8, v18
	v_add_nc_u64_e32 v[6:7], v[6:7], v[18:19]
	v_cmp_gt_i32_e32 vcc_lo, 1, v8
	flat_load_u8 v9, v[10:11] th:TH_LOAD_NT
	s_or_b32 s42, vcc_lo, s42
	s_wait_loadcnt_dscnt 0x0
	flat_store_b8 v[10:11], v9 th:TH_STORE_NT
	s_wait_xcnt 0x0
	s_and_not1_b32 exec_lo, exec_lo, s42
	s_cbranch_execnz .LBB6_30995
.LBB6_30996:                            ;   in Loop: Header=BB6_30902 Depth=2
	s_or_b32 exec_lo, exec_lo, s13
	v_cmp_lt_i32_e64 s13, 0, v1
	s_and_saveexec_b32 s42, s2
	s_cbranch_execz .LBB6_30973
.LBB6_30997:                            ;   in Loop: Header=BB6_30902 Depth=2
	s_and_saveexec_b32 s43, s3
	s_delay_alu instid0(SALU_CYCLE_1)
	s_xor_b32 s43, exec_lo, s43
	s_cbranch_execz .LBB6_31012
; %bb.30998:                            ;   in Loop: Header=BB6_30902 Depth=2
	s_and_saveexec_b32 s63, s6
	s_cbranch_execz .LBB6_31011
; %bb.30999:                            ;   in Loop: Header=BB6_30902 Depth=2
	s_mov_b32 s73, exec_lo
	s_mov_b32 s72, exec_lo
	v_mbcnt_lo_u32_b32 v1, s73, 0
	global_wb scope:SCOPE_DEV
	s_wait_storecnt 0x0
	s_wait_loadcnt_dscnt 0x0
	global_inv scope:SCOPE_DEV
	v_cmpx_eq_u32_e32 0, v1
	s_cbranch_execz .LBB6_31001
; %bb.31000:                            ;   in Loop: Header=BB6_30902 Depth=2
	s_bcnt1_i32_b32 s73, s73
	s_delay_alu instid0(SALU_CYCLE_1)
	v_dual_mov_b32 v3, v113 :: v_dual_mov_b32 v2, s73
	s_wait_loadcnt 0x0
	ds_add_u64 v0, v[2:3]
	s_trap 2
.LBB6_31001:                            ;   in Loop: Header=BB6_30902 Depth=2
	s_or_b32 exec_lo, exec_lo, s72
	s_trap 2
	ds_load_b64 v[2:3], v0
	s_wait_dscnt 0x0
	s_clause 0x1
	scratch_load_b64 v[6:7], off, s33 offset:208 th:TH_LOAD_LU
	scratch_load_b64 v[8:9], off, s33 offset:272
	s_mov_b32 s72, exec_lo
	s_wait_loadcnt 0x0
	v_add_nc_u64_e32 v[6:7], v[6:7], v[8:9]
	scratch_store_b64 off, v[6:7], s33 offset:208 ; 8-byte Folded Spill
	s_wait_xcnt 0x0
	v_cmpx_lt_u64_e64 v[2:3], v[6:7]
	s_cbranch_execz .LBB6_31010
; %bb.31002:                            ;   in Loop: Header=BB6_30902 Depth=2
	s_mov_b32 s73, 0
	s_mov_b32 s76, 0
                                        ; implicit-def: $sgpr74
                                        ; implicit-def: $sgpr75
	s_branch .LBB6_31004
.LBB6_31003:                            ;   in Loop: Header=BB6_31004 Depth=3
	s_wait_xcnt 0x0
	s_or_b32 exec_lo, exec_lo, s78
	s_delay_alu instid0(SALU_CYCLE_1) | instskip(NEXT) | instid1(SALU_CYCLE_1)
	s_and_b32 s77, exec_lo, s79
	s_or_b32 s73, s77, s73
	s_and_not1_b32 s74, s74, exec_lo
	s_and_b32 s77, s75, exec_lo
	s_delay_alu instid0(SALU_CYCLE_1)
	s_or_b32 s74, s74, s77
	s_and_not1_b32 exec_lo, exec_lo, s73
	s_cbranch_execz .LBB6_31008
.LBB6_31004:                            ;   Parent Loop BB6_47 Depth=1
                                        ;     Parent Loop BB6_30902 Depth=2
                                        ; =>    This Inner Loop Header: Depth=3
	s_add_co_i32 s76, s76, 1
	s_delay_alu instid0(SALU_CYCLE_1) | instskip(SKIP_1) | instid1(SALU_CYCLE_1)
	s_cmp_lg_u32 s76, 0x2710
	s_cselect_b32 s77, -1, 0
	s_and_b32 vcc_lo, exec_lo, s77
	s_cbranch_vccz .LBB6_31006
; %bb.31005:                            ;   in Loop: Header=BB6_31004 Depth=3
	s_mov_b32 s79, -1
	s_or_b32 s75, s75, exec_lo
	s_and_saveexec_b32 s78, s77
	s_cbranch_execz .LBB6_31003
	s_branch .LBB6_31007
.LBB6_31006:                            ;   in Loop: Header=BB6_31004 Depth=3
	s_trap 2
	ds_load_b64 v[2:3], v0
	s_and_not1_b32 s77, s77, exec_lo
	s_mov_b32 s76, 0
	s_wait_storecnt_dscnt 0x0
	flat_load_b32 v1, v[2:3] scope:SCOPE_SYS
	s_wait_loadcnt_dscnt 0x0
	global_inv scope:SCOPE_SYS
	v_cmp_eq_u32_e32 vcc_lo, 0, v1
	s_and_b32 s78, vcc_lo, exec_lo
	s_delay_alu instid0(SALU_CYCLE_1)
	s_or_b32 s77, s77, s78
	s_mov_b32 s79, -1
	s_or_b32 s75, s75, exec_lo
	s_wait_xcnt 0x0
	s_and_saveexec_b32 s78, s77
	s_cbranch_execz .LBB6_31003
.LBB6_31007:                            ;   in Loop: Header=BB6_31004 Depth=3
	s_sleep 1
	s_trap 2
	ds_load_b64 v[2:3], v0
	s_wait_dscnt 0x0
	scratch_load_b64 v[6:7], off, s33 offset:208 ; 8-byte Folded Reload
	s_and_not1_b32 s75, s75, exec_lo
	s_wait_loadcnt 0x0
	v_cmp_ge_u64_e32 vcc_lo, v[2:3], v[6:7]
	s_or_not1_b32 s79, vcc_lo, exec_lo
	s_branch .LBB6_31003
.LBB6_31008:                            ;   in Loop: Header=BB6_30902 Depth=2
	s_or_b32 exec_lo, exec_lo, s73
	s_and_saveexec_b32 s73, s74
	s_delay_alu instid0(SALU_CYCLE_1)
	s_xor_b32 s73, exec_lo, s73
	s_cbranch_execz .LBB6_31010
; %bb.31009:                            ;   in Loop: Header=BB6_30902 Depth=2
	v_mov_b32_e32 v1, 1
	ds_store_b32 v0, v1
	s_trap 2
.LBB6_31010:                            ;   in Loop: Header=BB6_30902 Depth=2
	s_or_b32 exec_lo, exec_lo, s72
	;;#ASMSTART
	s_wakeup
	;;#ASMEND
.LBB6_31011:                            ;   in Loop: Header=BB6_30902 Depth=2
	s_or_b32 exec_lo, exec_lo, s63
.LBB6_31012:                            ;   in Loop: Header=BB6_30902 Depth=2
	s_and_not1_saveexec_b32 s43, s43
	s_cbranch_execz .LBB6_31014
; %bb.31013:                            ;   in Loop: Header=BB6_30902 Depth=2
	global_wb scope:SCOPE_DEV
	s_wait_storecnt 0x0
	s_wait_loadcnt_dscnt 0x0
	global_inv scope:SCOPE_DEV
	s_barrier_signal -1
	s_barrier_wait -1
.LBB6_31014:                            ;   in Loop: Header=BB6_30902 Depth=2
	s_or_b32 exec_lo, exec_lo, s43
	s_delay_alu instid0(SALU_CYCLE_1) | instskip(SKIP_1) | instid1(SALU_CYCLE_1)
	s_or_b32 exec_lo, exec_lo, s42
	s_and_saveexec_b32 s42, s12
	s_xor_b32 s42, exec_lo, s42
	s_cbranch_execnz .LBB6_30974
.LBB6_31015:                            ;   in Loop: Header=BB6_30902 Depth=2
	s_and_not1_saveexec_b32 s13, s42
	s_cbranch_execz .LBB6_31034
.LBB6_31016:                            ;   in Loop: Header=BB6_30902 Depth=2
	s_and_saveexec_b32 s42, s3
	s_delay_alu instid0(SALU_CYCLE_1)
	s_xor_b32 s42, exec_lo, s42
	s_cbranch_execz .LBB6_31031
; %bb.31017:                            ;   in Loop: Header=BB6_30902 Depth=2
	s_and_saveexec_b32 s43, s6
	s_cbranch_execz .LBB6_31030
; %bb.31018:                            ;   in Loop: Header=BB6_30902 Depth=2
	s_mov_b32 s72, exec_lo
	s_mov_b32 s63, exec_lo
	v_mbcnt_lo_u32_b32 v1, s72, 0
	;;#ASMSTART
	s_waitcnt lgkmcnt(0) vmcnt(0)
	;;#ASMEND
	s_delay_alu instid0(VALU_DEP_1)
	v_cmpx_eq_u32_e32 0, v1
	s_cbranch_execz .LBB6_31020
; %bb.31019:                            ;   in Loop: Header=BB6_30902 Depth=2
	s_bcnt1_i32_b32 s72, s72
	s_delay_alu instid0(SALU_CYCLE_1)
	v_dual_mov_b32 v3, v113 :: v_dual_mov_b32 v2, s72
	s_wait_storecnt 0x0
	s_wait_loadcnt_dscnt 0x0
	ds_add_u64 v0, v[2:3]
	s_trap 2
.LBB6_31020:                            ;   in Loop: Header=BB6_30902 Depth=2
	s_or_b32 exec_lo, exec_lo, s63
	s_trap 2
	ds_load_b64 v[2:3], v0
	s_wait_dscnt 0x0
	s_clause 0x1
	scratch_load_b64 v[6:7], off, s33 offset:208 th:TH_LOAD_LU
	scratch_load_b64 v[8:9], off, s33 offset:272
	s_mov_b32 s63, exec_lo
	s_wait_loadcnt 0x0
	v_add_nc_u64_e32 v[6:7], v[6:7], v[8:9]
	scratch_store_b64 off, v[6:7], s33 offset:208 ; 8-byte Folded Spill
	s_wait_xcnt 0x0
	v_cmpx_lt_u64_e64 v[2:3], v[6:7]
	s_cbranch_execz .LBB6_31029
; %bb.31021:                            ;   in Loop: Header=BB6_30902 Depth=2
	s_mov_b32 s72, 0
	s_mov_b32 s75, 0
                                        ; implicit-def: $sgpr73
                                        ; implicit-def: $sgpr74
	s_branch .LBB6_31023
.LBB6_31022:                            ;   in Loop: Header=BB6_31023 Depth=3
	s_wait_xcnt 0x0
	s_or_b32 exec_lo, exec_lo, s77
	s_delay_alu instid0(SALU_CYCLE_1) | instskip(NEXT) | instid1(SALU_CYCLE_1)
	s_and_b32 s76, exec_lo, s78
	s_or_b32 s72, s76, s72
	s_and_not1_b32 s73, s73, exec_lo
	s_and_b32 s76, s74, exec_lo
	s_delay_alu instid0(SALU_CYCLE_1)
	s_or_b32 s73, s73, s76
	s_and_not1_b32 exec_lo, exec_lo, s72
	s_cbranch_execz .LBB6_31027
.LBB6_31023:                            ;   Parent Loop BB6_47 Depth=1
                                        ;     Parent Loop BB6_30902 Depth=2
                                        ; =>    This Inner Loop Header: Depth=3
	s_add_co_i32 s75, s75, 1
	s_delay_alu instid0(SALU_CYCLE_1) | instskip(SKIP_1) | instid1(SALU_CYCLE_1)
	s_cmp_lg_u32 s75, 0x2710
	s_cselect_b32 s76, -1, 0
	s_and_b32 vcc_lo, exec_lo, s76
	s_cbranch_vccz .LBB6_31025
; %bb.31024:                            ;   in Loop: Header=BB6_31023 Depth=3
	s_mov_b32 s78, -1
	s_or_b32 s74, s74, exec_lo
	s_and_saveexec_b32 s77, s76
	s_cbranch_execz .LBB6_31022
	s_branch .LBB6_31026
.LBB6_31025:                            ;   in Loop: Header=BB6_31023 Depth=3
	s_trap 2
	ds_load_b64 v[2:3], v0
	s_and_not1_b32 s76, s76, exec_lo
	s_mov_b32 s75, 0
	s_wait_storecnt_dscnt 0x0
	flat_load_b32 v1, v[2:3] scope:SCOPE_SYS
	s_wait_loadcnt_dscnt 0x0
	global_inv scope:SCOPE_SYS
	v_cmp_eq_u32_e32 vcc_lo, 0, v1
	s_and_b32 s77, vcc_lo, exec_lo
	s_delay_alu instid0(SALU_CYCLE_1)
	s_or_b32 s76, s76, s77
	s_mov_b32 s78, -1
	s_or_b32 s74, s74, exec_lo
	s_wait_xcnt 0x0
	s_and_saveexec_b32 s77, s76
	s_cbranch_execz .LBB6_31022
.LBB6_31026:                            ;   in Loop: Header=BB6_31023 Depth=3
	s_sleep 1
	s_trap 2
	ds_load_b64 v[2:3], v0
	s_wait_dscnt 0x0
	scratch_load_b64 v[6:7], off, s33 offset:208 ; 8-byte Folded Reload
	s_and_not1_b32 s74, s74, exec_lo
	s_wait_loadcnt 0x0
	v_cmp_ge_u64_e32 vcc_lo, v[2:3], v[6:7]
	s_or_not1_b32 s78, vcc_lo, exec_lo
	s_branch .LBB6_31022
.LBB6_31027:                            ;   in Loop: Header=BB6_30902 Depth=2
	s_or_b32 exec_lo, exec_lo, s72
	s_and_saveexec_b32 s72, s73
	s_delay_alu instid0(SALU_CYCLE_1)
	s_xor_b32 s72, exec_lo, s72
	s_cbranch_execz .LBB6_31029
; %bb.31028:                            ;   in Loop: Header=BB6_30902 Depth=2
	v_mov_b32_e32 v1, 1
	ds_store_b32 v0, v1
	s_trap 2
.LBB6_31029:                            ;   in Loop: Header=BB6_30902 Depth=2
	s_or_b32 exec_lo, exec_lo, s63
	;;#ASMSTART
	s_wakeup
	;;#ASMEND
.LBB6_31030:                            ;   in Loop: Header=BB6_30902 Depth=2
	s_or_b32 exec_lo, exec_lo, s43
.LBB6_31031:                            ;   in Loop: Header=BB6_30902 Depth=2
	s_and_not1_saveexec_b32 s42, s42
	s_cbranch_execz .LBB6_31033
; %bb.31032:                            ;   in Loop: Header=BB6_30902 Depth=2
	;;#ASMSTART
	s_waitcnt lgkmcnt(0) vmcnt(0)
	;;#ASMEND
	s_barrier_signal -1
	s_barrier_wait -1
.LBB6_31033:                            ;   in Loop: Header=BB6_30902 Depth=2
	s_or_b32 exec_lo, exec_lo, s42
.LBB6_31034:                            ;   in Loop: Header=BB6_30902 Depth=2
	s_delay_alu instid0(SALU_CYCLE_1)
	s_or_b32 exec_lo, exec_lo, s13
	scratch_load_b32 v1, off, s33 offset:204 ; 4-byte Folded Reload
	s_mov_b32 s13, exec_lo
	s_wait_loadcnt 0x0
	v_and_b32_e32 v1, 32, v1
	s_wait_xcnt 0x0
	s_delay_alu instid0(VALU_DEP_1)
	v_cmpx_ne_u32_e32 0, v1
	s_cbranch_execz .LBB6_30901
; %bb.31035:                            ;   in Loop: Header=BB6_30902 Depth=2
	s_clause 0x1
	scratch_load_b64 v[6:7], off, s33 offset:264 th:TH_LOAD_LU
	scratch_load_b64 v[2:3], off, s33 offset:196
	s_wait_loadcnt 0x1
	v_add_nc_u64_e32 v[6:7], 2, v[6:7]
	scratch_store_b64 off, v[6:7], s33 offset:264 ; 8-byte Folded Spill
	global_wb scope:SCOPE_SYS
	s_wait_storecnt 0x0
	s_wait_xcnt 0x0
	s_wait_loadcnt_dscnt 0x0
	flat_store_b64 v[2:3], v[6:7] scope:SCOPE_SYS
	s_branch .LBB6_30901
.LBB6_31036:                            ;   in Loop: Header=BB6_47 Depth=1
	s_or_b32 exec_lo, exec_lo, s15
.LBB6_31037:                            ;   in Loop: Header=BB6_47 Depth=1
	s_delay_alu instid0(SALU_CYCLE_1) | instskip(NEXT) | instid1(SALU_CYCLE_1)
	s_or_b32 exec_lo, exec_lo, s14
	s_mov_b32 s14, exec_lo
	v_cmpx_gt_i32_e32 2, v1
	s_cbranch_execnz .LBB6_31038
; %bb.31246:                            ;   in Loop: Header=BB6_47 Depth=1
	s_add_pc_i64 .LBB6_46-.Lpost_addpc93
.Lpost_addpc93:
.LBB6_31038:                            ;   in Loop: Header=BB6_47 Depth=1
	v_cmp_eq_u32_e64 s18, 0, v1
	s_mov_b32 s15, 0
	s_branch .LBB6_31040
.LBB6_31039:                            ;   in Loop: Header=BB6_31040 Depth=2
	s_wait_xcnt 0x0
	s_or_b32 exec_lo, exec_lo, s13
	v_add_nc_u32_e32 v0, v13, v0
	s_mov_b32 s18, 0
	s_and_not1_b32 exec_lo, exec_lo, s15
	s_cbranch_execnz .LBB6_31040
; %bb.31248:                            ;   in Loop: Header=BB6_47 Depth=1
	s_add_pc_i64 .LBB6_45-.Lpost_addpc94
.Lpost_addpc94:
.LBB6_31040:                            ;   Parent Loop BB6_47 Depth=1
                                        ; =>  This Loop Header: Depth=2
                                        ;       Child Loop BB6_31046 Depth 3
                                        ;       Child Loop BB6_31070 Depth 3
	;; [unrolled: 1-line block ×3, first 2 shown]
	scratch_load_b32 v1, off, s33 offset:204 ; 4-byte Folded Reload
	s_mov_b32 s29, exec_lo
	s_wait_loadcnt 0x0
	v_and_b32_e32 v1, 4, v1
	s_wait_xcnt 0x0
	s_delay_alu instid0(VALU_DEP_1)
	v_cmpx_ne_u32_e32 0, v1
	s_cbranch_execz .LBB6_31062
; %bb.31041:                            ;   in Loop: Header=BB6_31040 Depth=2
	s_clause 0x1
	scratch_load_b64 v[2:3], off, s33 offset:264
	scratch_load_b64 v[4:5], off, s33 offset:188
	s_mov_b32 s42, exec_lo
	s_wait_loadcnt 0x1
	v_add_nc_u64_e32 v[2:3], 2, v[2:3]
	s_wait_loadcnt 0x0
	s_wait_xcnt 0x0
	s_delay_alu instid0(VALU_DEP_1)
	v_cmpx_lt_u64_e64 v[4:5], v[2:3]
	s_cbranch_execz .LBB6_31053
; %bb.31042:                            ;   in Loop: Header=BB6_31040 Depth=2
	scratch_load_b32 v1, off, s33 offset:204 ; 4-byte Folded Reload
	s_mov_b32 s43, 0
	s_mov_b32 s74, 0
                                        ; implicit-def: $sgpr63
                                        ; implicit-def: $sgpr72
                                        ; implicit-def: $sgpr73
	s_wait_loadcnt 0x0
	v_and_b32_e32 v1, 64, v1
	s_delay_alu instid0(VALU_DEP_1)
	v_cmp_eq_u32_e32 vcc_lo, 0, v1
	s_branch .LBB6_31046
.LBB6_31043:                            ;   in Loop: Header=BB6_31046 Depth=3
	scratch_load_b64 v[4:5], off, s33 offset:188 ; 8-byte Folded Reload
	s_or_b32 s77, s77, exec_lo
	s_wait_loadcnt 0x0
	v_cmp_ge_u64_e64 s13, v[4:5], v[2:3]
	s_or_not1_b32 s76, s13, exec_lo
.LBB6_31044:                            ;   in Loop: Header=BB6_31046 Depth=3
	s_wait_xcnt 0x0
	s_or_b32 exec_lo, exec_lo, s79
	s_delay_alu instid0(SALU_CYCLE_1)
	s_and_not1_b32 s13, s73, exec_lo
	s_and_b32 s73, s77, exec_lo
	s_and_not1_b32 s72, s72, exec_lo
	s_and_b32 s76, s76, exec_lo
	s_or_b32 s73, s13, s73
	s_or_b32 s72, s72, s76
.LBB6_31045:                            ;   in Loop: Header=BB6_31046 Depth=3
	s_or_b32 exec_lo, exec_lo, s75
	s_delay_alu instid0(SALU_CYCLE_1) | instskip(NEXT) | instid1(SALU_CYCLE_1)
	s_and_b32 s13, exec_lo, s72
	s_or_b32 s43, s13, s43
	s_and_not1_b32 s13, s63, exec_lo
	s_and_b32 s63, s73, exec_lo
	s_delay_alu instid0(SALU_CYCLE_1)
	s_or_b32 s63, s13, s63
	s_and_not1_b32 exec_lo, exec_lo, s43
	s_cbranch_execz .LBB6_31050
.LBB6_31046:                            ;   Parent Loop BB6_47 Depth=1
                                        ;     Parent Loop BB6_31040 Depth=2
                                        ; =>    This Inner Loop Header: Depth=3
	s_sleep 1
	scratch_load_b64 v[4:5], off, s33 offset:196 ; 8-byte Folded Reload
	s_or_b32 s73, s73, exec_lo
	s_or_b32 s72, s72, exec_lo
                                        ; implicit-def: $vgpr1
	s_wait_loadcnt 0x0
	flat_load_b64 v[4:5], v[4:5] scope:SCOPE_SYS
	s_wait_loadcnt_dscnt 0x0
	scratch_store_b64 off, v[4:5], s33 offset:188 ; 8-byte Folded Spill
	s_wait_xcnt 0x0
	s_and_saveexec_b32 s75, vcc_lo
	s_cbranch_execz .LBB6_31045
; %bb.31047:                            ;   in Loop: Header=BB6_31046 Depth=3
	s_cmp_lt_i32 s74, 0x270f
	s_mov_b32 s76, -1
	s_cselect_b32 s78, -1, 0
	s_cmp_gt_i32 s74, 0x270e
	s_cbranch_scc0 .LBB6_31049
; %bb.31048:                            ;   in Loop: Header=BB6_31046 Depth=3
	s_trap 2
	ds_load_b64 v[4:5], v0
	s_and_not1_b32 s74, s78, exec_lo
	s_mov_b32 s77, 0
	s_wait_storecnt_dscnt 0x0
	flat_load_b32 v1, v[4:5] scope:SCOPE_SYS
	s_wait_loadcnt_dscnt 0x0
	global_inv scope:SCOPE_SYS
	v_cmp_eq_u32_e64 s13, 0, v1
	s_and_b32 s13, s13, exec_lo
	s_delay_alu instid0(SALU_CYCLE_1)
	s_or_b32 s78, s74, s13
	s_mov_b32 s74, 0
	s_wait_xcnt 0x0
	s_and_saveexec_b32 s79, s78
	s_cbranch_execz .LBB6_31044
	s_branch .LBB6_31043
.LBB6_31049:                            ;   in Loop: Header=BB6_31046 Depth=3
	s_add_co_i32 s74, s74, 1
	s_mov_b32 s77, -1
                                        ; implicit-def: $vgpr1
	s_and_saveexec_b32 s79, s78
	s_cbranch_execz .LBB6_31044
	s_branch .LBB6_31043
.LBB6_31050:                            ;   in Loop: Header=BB6_31040 Depth=2
	s_or_b32 exec_lo, exec_lo, s43
	s_xor_b32 s13, s63, -1
	s_delay_alu instid0(SALU_CYCLE_1) | instskip(NEXT) | instid1(SALU_CYCLE_1)
	s_and_saveexec_b32 s43, s13
	s_xor_b32 s13, exec_lo, s43
	s_cbranch_execz .LBB6_31052
; %bb.31051:                            ;   in Loop: Header=BB6_31040 Depth=2
	scratch_load_b32 v4, off, s33 offset:204 ; 4-byte Folded Reload
	s_wait_loadcnt 0x0
	v_or_b32_e32 v4, 64, v4
	scratch_store_b32 off, v4, s33 offset:204 ; 4-byte Folded Spill
	s_wait_storecnt 0x0
	ds_store_b32 v0, v1
	s_trap 2
.LBB6_31052:                            ;   in Loop: Header=BB6_31040 Depth=2
	s_wait_xcnt 0x0
	s_or_b32 exec_lo, exec_lo, s13
.LBB6_31053:                            ;   in Loop: Header=BB6_31040 Depth=2
	s_delay_alu instid0(SALU_CYCLE_1)
	s_or_b32 exec_lo, exec_lo, s42
	s_clause 0x1
	scratch_load_b32 v1, off, s33 offset:204
	scratch_load_b64 v[4:5], off, s33 offset:264 th:TH_LOAD_LU
	s_mov_b32 s13, -1
	s_mov_b32 s42, exec_lo
	;;#ASMSTART
	s_wakeup
	;;#ASMEND
                                        ; implicit-def: $vgpr6_vgpr7
	s_wait_loadcnt 0x0
	v_mov_b32_e32 v5, v113
	v_and_b32_e32 v1, 0x100, v1
	v_and_b32_e32 v4, 7, v4
	s_wait_xcnt 0x0
	s_delay_alu instid0(VALU_DEP_2)
	v_cmpx_ne_u32_e32 0, v1
	s_cbranch_execz .LBB6_31057
; %bb.31054:                            ;   in Loop: Header=BB6_31040 Depth=2
	scratch_load_b128 v[6:9], off, s33 offset:312 ; 16-byte Folded Reload
	s_mov_b32 s43, exec_lo
	s_wait_loadcnt 0x0
	v_mad_nc_u64_u32 v[8:9], v4, 24, v[6:7]
                                        ; implicit-def: $vgpr6_vgpr7
	flat_load_b32 v1, v[8:9]
	s_wait_loadcnt_dscnt 0x0
	v_cmp_ne_u32_e32 vcc_lo, 1, v1
	s_wait_xcnt 0x0
	v_cmpx_eq_u32_e32 1, v1
	s_cbranch_execz .LBB6_31056
; %bb.31055:                            ;   in Loop: Header=BB6_31040 Depth=2
	flat_load_b32 v6, v[8:9] offset:4 scope:SCOPE_SYS
	s_wait_loadcnt_dscnt 0x0
	v_ashrrev_i32_e32 v7, 31, v6
.LBB6_31056:                            ;   in Loop: Header=BB6_31040 Depth=2
	s_wait_xcnt 0x0
	s_or_b32 exec_lo, exec_lo, s43
	s_delay_alu instid0(SALU_CYCLE_1)
	s_or_not1_b32 s13, vcc_lo, exec_lo
.LBB6_31057:                            ;   in Loop: Header=BB6_31040 Depth=2
	s_or_b32 exec_lo, exec_lo, s42
	s_and_saveexec_b32 s42, s13
	s_cbranch_execz .LBB6_31059
; %bb.31058:                            ;   in Loop: Header=BB6_31040 Depth=2
	scratch_load_b64 v[6:7], off, s33 offset:360 ; 8-byte Folded Reload
	s_wait_loadcnt 0x0
	v_mul_u64_e32 v[6:7], v[4:5], v[6:7]
.LBB6_31059:                            ;   in Loop: Header=BB6_31040 Depth=2
	s_wait_xcnt 0x0
	s_or_b32 exec_lo, exec_lo, s42
	s_clause 0x1
	scratch_load_b32 v1, off, s33 offset:204
	scratch_load_b64 v[4:5], off, s33 offset:304
	s_mov_b32 s13, exec_lo
	s_wait_loadcnt 0x1
	v_and_b32_e32 v1, 0x2000, v1
	s_wait_loadcnt 0x0
	v_add_nc_u64_e32 v[4:5], v[4:5], v[6:7]
	ds_store_b64 v0, v[4:5] offset:720
	s_wait_xcnt 0x0
	v_cmpx_ne_u32_e32 0, v1
	s_cbranch_execz .LBB6_31061
; %bb.31060:                            ;   in Loop: Header=BB6_31040 Depth=2
	ds_load_b64 v[4:5], v0 offset:872
	s_wait_dscnt 0x0
	v_add_nc_u64_e32 v[4:5], 1, v[4:5]
	ds_store_b64 v0, v[4:5] offset:872
.LBB6_31061:                            ;   in Loop: Header=BB6_31040 Depth=2
	s_or_b32 exec_lo, exec_lo, s13
	scratch_store_b64 off, v[2:3], s33 offset:264 ; 8-byte Folded Spill
.LBB6_31062:                            ;   in Loop: Header=BB6_31040 Depth=2
	s_wait_xcnt 0x0
	s_or_b32 exec_lo, exec_lo, s29
	s_xor_b32 s13, s18, -1
	s_delay_alu instid0(SALU_CYCLE_1) | instskip(NEXT) | instid1(SALU_CYCLE_1)
	s_and_b32 s13, exec_lo, s13
	s_or_b32 s15, s13, s15
	s_and_saveexec_b32 s13, s2
	s_cbranch_execz .LBB6_31081
; %bb.31063:                            ;   in Loop: Header=BB6_31040 Depth=2
	s_and_saveexec_b32 s18, s3
	s_delay_alu instid0(SALU_CYCLE_1)
	s_xor_b32 s18, exec_lo, s18
	s_cbranch_execz .LBB6_31078
; %bb.31064:                            ;   in Loop: Header=BB6_31040 Depth=2
	s_and_saveexec_b32 s29, s6
	s_cbranch_execz .LBB6_31077
; %bb.31065:                            ;   in Loop: Header=BB6_31040 Depth=2
	s_mov_b32 s43, exec_lo
	s_mov_b32 s42, exec_lo
	v_mbcnt_lo_u32_b32 v1, s43, 0
	global_wb scope:SCOPE_DEV
	s_wait_storecnt_dscnt 0x0
	global_inv scope:SCOPE_DEV
	v_cmpx_eq_u32_e32 0, v1
	s_cbranch_execz .LBB6_31067
; %bb.31066:                            ;   in Loop: Header=BB6_31040 Depth=2
	s_bcnt1_i32_b32 s43, s43
	s_delay_alu instid0(SALU_CYCLE_1)
	v_dual_mov_b32 v3, v113 :: v_dual_mov_b32 v2, s43
	s_wait_loadcnt 0x0
	ds_add_u64 v0, v[2:3]
	s_trap 2
.LBB6_31067:                            ;   in Loop: Header=BB6_31040 Depth=2
	s_or_b32 exec_lo, exec_lo, s42
	s_trap 2
	ds_load_b64 v[2:3], v0
	s_wait_dscnt 0x0
	s_clause 0x1
	scratch_load_b64 v[4:5], off, s33 offset:208 th:TH_LOAD_LU
	scratch_load_b64 v[6:7], off, s33 offset:272
	s_mov_b32 s42, exec_lo
	s_wait_loadcnt 0x0
	v_add_nc_u64_e32 v[4:5], v[4:5], v[6:7]
	scratch_store_b64 off, v[4:5], s33 offset:208 ; 8-byte Folded Spill
	s_wait_xcnt 0x0
	v_cmpx_lt_u64_e64 v[2:3], v[4:5]
	s_cbranch_execz .LBB6_31076
; %bb.31068:                            ;   in Loop: Header=BB6_31040 Depth=2
	s_mov_b32 s43, 0
	s_mov_b32 s73, 0
                                        ; implicit-def: $sgpr63
                                        ; implicit-def: $sgpr72
	s_branch .LBB6_31070
.LBB6_31069:                            ;   in Loop: Header=BB6_31070 Depth=3
	s_wait_xcnt 0x0
	s_or_b32 exec_lo, exec_lo, s75
	s_delay_alu instid0(SALU_CYCLE_1) | instskip(NEXT) | instid1(SALU_CYCLE_1)
	s_and_b32 s74, exec_lo, s76
	s_or_b32 s43, s74, s43
	s_and_not1_b32 s63, s63, exec_lo
	s_and_b32 s74, s72, exec_lo
	s_delay_alu instid0(SALU_CYCLE_1)
	s_or_b32 s63, s63, s74
	s_and_not1_b32 exec_lo, exec_lo, s43
	s_cbranch_execz .LBB6_31074
.LBB6_31070:                            ;   Parent Loop BB6_47 Depth=1
                                        ;     Parent Loop BB6_31040 Depth=2
                                        ; =>    This Inner Loop Header: Depth=3
	s_add_co_i32 s73, s73, 1
	s_delay_alu instid0(SALU_CYCLE_1) | instskip(SKIP_1) | instid1(SALU_CYCLE_1)
	s_cmp_lg_u32 s73, 0x2710
	s_cselect_b32 s74, -1, 0
	s_and_b32 vcc_lo, exec_lo, s74
	s_cbranch_vccz .LBB6_31072
; %bb.31071:                            ;   in Loop: Header=BB6_31070 Depth=3
	s_mov_b32 s76, -1
	s_or_b32 s72, s72, exec_lo
	s_and_saveexec_b32 s75, s74
	s_cbranch_execz .LBB6_31069
	s_branch .LBB6_31073
.LBB6_31072:                            ;   in Loop: Header=BB6_31070 Depth=3
	s_trap 2
	ds_load_b64 v[2:3], v0
	s_and_not1_b32 s74, s74, exec_lo
	s_mov_b32 s73, 0
	s_wait_storecnt_dscnt 0x0
	flat_load_b32 v1, v[2:3] scope:SCOPE_SYS
	s_wait_loadcnt_dscnt 0x0
	global_inv scope:SCOPE_SYS
	v_cmp_eq_u32_e32 vcc_lo, 0, v1
	s_and_b32 s75, vcc_lo, exec_lo
	s_delay_alu instid0(SALU_CYCLE_1)
	s_or_b32 s74, s74, s75
	s_mov_b32 s76, -1
	s_or_b32 s72, s72, exec_lo
	s_wait_xcnt 0x0
	s_and_saveexec_b32 s75, s74
	s_cbranch_execz .LBB6_31069
.LBB6_31073:                            ;   in Loop: Header=BB6_31070 Depth=3
	s_sleep 1
	s_trap 2
	ds_load_b64 v[2:3], v0
	s_wait_dscnt 0x0
	scratch_load_b64 v[4:5], off, s33 offset:208 ; 8-byte Folded Reload
	s_and_not1_b32 s72, s72, exec_lo
	s_wait_loadcnt 0x0
	v_cmp_ge_u64_e32 vcc_lo, v[2:3], v[4:5]
	s_or_not1_b32 s76, vcc_lo, exec_lo
	s_branch .LBB6_31069
.LBB6_31074:                            ;   in Loop: Header=BB6_31040 Depth=2
	s_or_b32 exec_lo, exec_lo, s43
	s_and_saveexec_b32 s43, s63
	s_delay_alu instid0(SALU_CYCLE_1)
	s_xor_b32 s43, exec_lo, s43
	s_cbranch_execz .LBB6_31076
; %bb.31075:                            ;   in Loop: Header=BB6_31040 Depth=2
	v_mov_b32_e32 v1, 1
	ds_store_b32 v0, v1
	s_trap 2
.LBB6_31076:                            ;   in Loop: Header=BB6_31040 Depth=2
	s_or_b32 exec_lo, exec_lo, s42
	;;#ASMSTART
	s_wakeup
	;;#ASMEND
.LBB6_31077:                            ;   in Loop: Header=BB6_31040 Depth=2
	s_or_b32 exec_lo, exec_lo, s29
.LBB6_31078:                            ;   in Loop: Header=BB6_31040 Depth=2
	s_and_not1_saveexec_b32 s18, s18
	s_cbranch_execz .LBB6_31080
; %bb.31079:                            ;   in Loop: Header=BB6_31040 Depth=2
	global_wb scope:SCOPE_DEV
	s_wait_storecnt 0x0
	s_wait_loadcnt_dscnt 0x0
	global_inv scope:SCOPE_DEV
	s_barrier_signal -1
	s_barrier_wait -1
.LBB6_31080:                            ;   in Loop: Header=BB6_31040 Depth=2
	s_or_b32 exec_lo, exec_lo, s18
.LBB6_31081:                            ;   in Loop: Header=BB6_31040 Depth=2
	s_delay_alu instid0(SALU_CYCLE_1) | instskip(SKIP_1) | instid1(VALU_DEP_1)
	s_or_b32 exec_lo, exec_lo, s13
	v_sub_nc_u32_e32 v1, v12, v0
	v_min_i32_e32 v13, v13, v1
	s_and_saveexec_b32 s13, s12
	s_delay_alu instid0(SALU_CYCLE_1)
	s_xor_b32 s18, exec_lo, s13
	s_cbranch_execz .LBB6_31085
; %bb.31082:                            ;   in Loop: Header=BB6_31040 Depth=2
	s_trap 2
	ds_load_b32 v1, v0
	v_cmp_lt_i32_e32 vcc_lo, 0, v13
	s_wait_dscnt 0x0
	v_readfirstlane_b32 s13, v1
	scratch_load_b32 v1, off, s33 offset:204 ; 4-byte Folded Reload
	s_cmp_eq_u32 s13, 0
	s_cselect_b32 s29, -1, 0
	s_delay_alu instid0(SALU_CYCLE_1) | instskip(SKIP_2) | instid1(VALU_DEP_1)
	s_and_b32 s29, vcc_lo, s29
	s_wait_loadcnt 0x0
	v_and_b32_e32 v1, 16, v1
	v_cmp_ne_u32_e64 s13, 0, v1
	s_and_b32 s29, s13, s29
	s_wait_xcnt 0x0
	s_and_saveexec_b32 s13, s29
	s_cbranch_execz .LBB6_31084
; %bb.31083:                            ;   in Loop: Header=BB6_31040 Depth=2
	global_wb scope:SCOPE_SYS
	s_wait_storecnt 0x0
	global_inv scope:SCOPE_SYS
.LBB6_31084:                            ;   in Loop: Header=BB6_31040 Depth=2
	s_or_b32 exec_lo, exec_lo, s13
.LBB6_31085:                            ;   in Loop: Header=BB6_31040 Depth=2
	s_and_not1_saveexec_b32 s13, s18
	s_cbranch_execz .LBB6_31104
; %bb.31086:                            ;   in Loop: Header=BB6_31040 Depth=2
	s_and_saveexec_b32 s18, s3
	s_delay_alu instid0(SALU_CYCLE_1)
	s_xor_b32 s18, exec_lo, s18
	s_cbranch_execz .LBB6_31101
; %bb.31087:                            ;   in Loop: Header=BB6_31040 Depth=2
	s_and_saveexec_b32 s29, s6
	s_cbranch_execz .LBB6_31100
; %bb.31088:                            ;   in Loop: Header=BB6_31040 Depth=2
	s_mov_b32 s43, exec_lo
	s_mov_b32 s42, exec_lo
	v_mbcnt_lo_u32_b32 v1, s43, 0
	;;#ASMSTART
	s_waitcnt lgkmcnt(0) vmcnt(0)
	;;#ASMEND
	s_delay_alu instid0(VALU_DEP_1)
	v_cmpx_eq_u32_e32 0, v1
	s_cbranch_execz .LBB6_31090
; %bb.31089:                            ;   in Loop: Header=BB6_31040 Depth=2
	s_bcnt1_i32_b32 s43, s43
	s_delay_alu instid0(SALU_CYCLE_1)
	v_dual_mov_b32 v3, v113 :: v_dual_mov_b32 v2, s43
	s_wait_storecnt 0x0
	s_wait_loadcnt_dscnt 0x0
	ds_add_u64 v0, v[2:3]
	s_trap 2
.LBB6_31090:                            ;   in Loop: Header=BB6_31040 Depth=2
	s_or_b32 exec_lo, exec_lo, s42
	s_trap 2
	ds_load_b64 v[2:3], v0
	s_wait_dscnt 0x0
	s_clause 0x1
	scratch_load_b64 v[4:5], off, s33 offset:208 th:TH_LOAD_LU
	scratch_load_b64 v[6:7], off, s33 offset:272
	s_mov_b32 s42, exec_lo
	s_wait_loadcnt 0x0
	v_add_nc_u64_e32 v[4:5], v[4:5], v[6:7]
	scratch_store_b64 off, v[4:5], s33 offset:208 ; 8-byte Folded Spill
	s_wait_xcnt 0x0
	v_cmpx_lt_u64_e64 v[2:3], v[4:5]
	s_cbranch_execz .LBB6_31099
; %bb.31091:                            ;   in Loop: Header=BB6_31040 Depth=2
	s_mov_b32 s43, 0
	s_mov_b32 s73, 0
                                        ; implicit-def: $sgpr63
                                        ; implicit-def: $sgpr72
	s_branch .LBB6_31093
.LBB6_31092:                            ;   in Loop: Header=BB6_31093 Depth=3
	s_wait_xcnt 0x0
	s_or_b32 exec_lo, exec_lo, s75
	s_delay_alu instid0(SALU_CYCLE_1) | instskip(NEXT) | instid1(SALU_CYCLE_1)
	s_and_b32 s74, exec_lo, s76
	s_or_b32 s43, s74, s43
	s_and_not1_b32 s63, s63, exec_lo
	s_and_b32 s74, s72, exec_lo
	s_delay_alu instid0(SALU_CYCLE_1)
	s_or_b32 s63, s63, s74
	s_and_not1_b32 exec_lo, exec_lo, s43
	s_cbranch_execz .LBB6_31097
.LBB6_31093:                            ;   Parent Loop BB6_47 Depth=1
                                        ;     Parent Loop BB6_31040 Depth=2
                                        ; =>    This Inner Loop Header: Depth=3
	s_add_co_i32 s73, s73, 1
	s_delay_alu instid0(SALU_CYCLE_1) | instskip(SKIP_1) | instid1(SALU_CYCLE_1)
	s_cmp_lg_u32 s73, 0x2710
	s_cselect_b32 s74, -1, 0
	s_and_b32 vcc_lo, exec_lo, s74
	s_cbranch_vccz .LBB6_31095
; %bb.31094:                            ;   in Loop: Header=BB6_31093 Depth=3
	s_mov_b32 s76, -1
	s_or_b32 s72, s72, exec_lo
	s_and_saveexec_b32 s75, s74
	s_cbranch_execz .LBB6_31092
	s_branch .LBB6_31096
.LBB6_31095:                            ;   in Loop: Header=BB6_31093 Depth=3
	s_trap 2
	ds_load_b64 v[2:3], v0
	s_and_not1_b32 s74, s74, exec_lo
	s_mov_b32 s73, 0
	s_wait_storecnt_dscnt 0x0
	flat_load_b32 v1, v[2:3] scope:SCOPE_SYS
	s_wait_loadcnt_dscnt 0x0
	global_inv scope:SCOPE_SYS
	v_cmp_eq_u32_e32 vcc_lo, 0, v1
	s_and_b32 s75, vcc_lo, exec_lo
	s_delay_alu instid0(SALU_CYCLE_1)
	s_or_b32 s74, s74, s75
	s_mov_b32 s76, -1
	s_or_b32 s72, s72, exec_lo
	s_wait_xcnt 0x0
	s_and_saveexec_b32 s75, s74
	s_cbranch_execz .LBB6_31092
.LBB6_31096:                            ;   in Loop: Header=BB6_31093 Depth=3
	s_sleep 1
	s_trap 2
	ds_load_b64 v[2:3], v0
	s_wait_dscnt 0x0
	scratch_load_b64 v[4:5], off, s33 offset:208 ; 8-byte Folded Reload
	s_and_not1_b32 s72, s72, exec_lo
	s_wait_loadcnt 0x0
	v_cmp_ge_u64_e32 vcc_lo, v[2:3], v[4:5]
	s_or_not1_b32 s76, vcc_lo, exec_lo
	s_branch .LBB6_31092
.LBB6_31097:                            ;   in Loop: Header=BB6_31040 Depth=2
	s_or_b32 exec_lo, exec_lo, s43
	s_and_saveexec_b32 s43, s63
	s_delay_alu instid0(SALU_CYCLE_1)
	s_xor_b32 s43, exec_lo, s43
	s_cbranch_execz .LBB6_31099
; %bb.31098:                            ;   in Loop: Header=BB6_31040 Depth=2
	v_mov_b32_e32 v1, 1
	ds_store_b32 v0, v1
	s_trap 2
.LBB6_31099:                            ;   in Loop: Header=BB6_31040 Depth=2
	s_or_b32 exec_lo, exec_lo, s42
	;;#ASMSTART
	s_wakeup
	;;#ASMEND
.LBB6_31100:                            ;   in Loop: Header=BB6_31040 Depth=2
	s_or_b32 exec_lo, exec_lo, s29
.LBB6_31101:                            ;   in Loop: Header=BB6_31040 Depth=2
	s_and_not1_saveexec_b32 s18, s18
	s_cbranch_execz .LBB6_31103
; %bb.31102:                            ;   in Loop: Header=BB6_31040 Depth=2
	;;#ASMSTART
	s_waitcnt lgkmcnt(0) vmcnt(0)
	;;#ASMEND
	s_barrier_signal -1
	s_barrier_wait -1
.LBB6_31103:                            ;   in Loop: Header=BB6_31040 Depth=2
	s_or_b32 exec_lo, exec_lo, s18
.LBB6_31104:                            ;   in Loop: Header=BB6_31040 Depth=2
	s_delay_alu instid0(SALU_CYCLE_1)
	s_or_b32 exec_lo, exec_lo, s13
	scratch_load_b32 v1, off, s33 offset:204 ; 4-byte Folded Reload
	s_mov_b32 s13, exec_lo
	s_wait_loadcnt 0x0
	v_and_b32_e32 v1, 32, v1
	s_wait_xcnt 0x0
	s_delay_alu instid0(VALU_DEP_1)
	v_cmpx_ne_u32_e32 0, v1
	s_cbranch_execz .LBB6_31039
; %bb.31105:                            ;   in Loop: Header=BB6_31040 Depth=2
	s_clause 0x1
	scratch_load_b64 v[4:5], off, s33 offset:264 th:TH_LOAD_LU
	scratch_load_b64 v[2:3], off, s33 offset:196
	s_wait_loadcnt 0x1
	v_add_nc_u64_e32 v[4:5], 2, v[4:5]
	scratch_store_b64 off, v[4:5], s33 offset:264 ; 8-byte Folded Spill
	global_wb scope:SCOPE_SYS
	s_wait_storecnt 0x0
	s_wait_xcnt 0x0
	s_wait_loadcnt_dscnt 0x0
	flat_store_b64 v[2:3], v[4:5] scope:SCOPE_SYS
	s_branch .LBB6_31039
.LBB6_31106:
	s_or_b32 exec_lo, exec_lo, s62
	s_clause 0x3
	scratch_load_b32 v1, off, s33 offset:604
	scratch_load_b32 v31, off, s33 offset:608
	;; [unrolled: 1-line block ×3, first 2 shown]
	scratch_load_b64 v[16:17], off, s33 offset:612
.LBB6_31107:
	s_wait_xcnt 0x0
	s_or_b32 exec_lo, exec_lo, s45
	s_wait_loadcnt 0x1
	v_and_b32_e32 v0, 0x800, v22
	s_mov_b32 s1, exec_lo
	s_delay_alu instid0(VALU_DEP_1)
	v_cmpx_eq_u32_e32 0, v0
	s_cbranch_execz .LBB6_31140
; %bb.31108:
	v_and_b32_e32 v0, 48, v22
	s_mov_b32 s0, exec_lo
	s_delay_alu instid0(VALU_DEP_1)
	v_cmpx_ne_u32_e32 0, v0
	s_cbranch_execz .LBB6_31110
; %bb.31109:
	scratch_load_b64 v[2:3], off, s33 offset:264 ; 8-byte Folded Reload
	s_wait_loadcnt 0x0
	flat_store_b64 v[16:17], v[2:3] offset:104
.LBB6_31110:
	s_wait_xcnt 0x0
	s_or_b32 exec_lo, exec_lo, s0
	v_and_b32_e32 v0, 0x88, v22
	s_mov_b32 s2, exec_lo
	s_delay_alu instid0(VALU_DEP_1)
	v_cmpx_eq_u32_e32 0x88, v0
	s_cbranch_execz .LBB6_31120
; %bb.31111:
	scratch_load_b64 v[2:3], off, s33 offset:264 th:TH_LOAD_LU ; 8-byte Folded Reload
	s_mov_b32 s3, 0
	s_wait_loadcnt 0x0
	v_add_nc_u32_e32 v0, 6, v2
	scratch_load_b128 v[2:5], off, s33 offset:312 th:TH_LOAD_LU ; 16-byte Folded Reload
	s_wait_loadcnt 0x0
	v_and_b32_e32 v4, 64, v22
	v_and_b32_e32 v0, 7, v0
	s_delay_alu instid0(VALU_DEP_2) | instskip(NEXT) | instid1(VALU_DEP_2)
	v_cmp_eq_u32_e64 s0, 0, v4
	v_mad_nc_u64_u32 v[6:7], v0, 24, v[2:3]
	flat_load_b64 v[2:3], v[6:7] offset:8 scope:SCOPE_SYS
	s_wait_loadcnt_dscnt 0x0
	v_cmp_ne_u64_e32 vcc_lo, -1, v[2:3]
	s_and_b32 s0, vcc_lo, s0
	s_wait_xcnt 0x0
	s_and_b32 exec_lo, exec_lo, s0
	s_cbranch_execz .LBB6_31120
; %bb.31112:
	s_mov_b32 s5, 0
                                        ; implicit-def: $sgpr0
                                        ; implicit-def: $sgpr4
	s_branch .LBB6_31115
.LBB6_31113:                            ;   in Loop: Header=BB6_31115 Depth=1
	flat_load_b64 v[4:5], v[6:7] offset:8 scope:SCOPE_SYS
	s_wait_loadcnt 0x0
	s_and_not1_b32 s4, s4, exec_lo
	s_wait_dscnt 0x0
	v_cmp_eq_u64_e32 vcc_lo, -1, v[4:5]
	s_or_not1_b32 s7, vcc_lo, exec_lo
.LBB6_31114:                            ;   in Loop: Header=BB6_31115 Depth=1
	s_wait_xcnt 0x0
	s_or_b32 exec_lo, exec_lo, s10
	s_delay_alu instid0(SALU_CYCLE_1) | instskip(NEXT) | instid1(SALU_CYCLE_1)
	s_and_b32 s6, exec_lo, s7
	s_or_b32 s3, s6, s3
	s_and_not1_b32 s0, s0, exec_lo
	s_and_b32 s6, s4, exec_lo
	s_delay_alu instid0(SALU_CYCLE_1)
	s_or_b32 s0, s0, s6
	s_and_not1_b32 exec_lo, exec_lo, s3
	s_cbranch_execz .LBB6_31118
.LBB6_31115:                            ; =>This Inner Loop Header: Depth=1
	s_cmp_lt_i32 s5, 0x270f
	s_cselect_b32 s6, -1, 0
	s_delay_alu instid0(SALU_CYCLE_1)
	s_and_b32 vcc_lo, exec_lo, s6
	s_cbranch_vccnz .LBB6_31117
; %bb.31116:                            ;   in Loop: Header=BB6_31115 Depth=1
	s_trap 2
	ds_load_b64 v[2:3], v0
	s_and_not1_b32 s6, s6, exec_lo
	s_mov_b32 s5, 0
	s_wait_storecnt_dscnt 0x0
	flat_load_b32 v2, v[2:3] scope:SCOPE_SYS
	s_wait_loadcnt_dscnt 0x0
	global_inv scope:SCOPE_SYS
	v_cmp_eq_u32_e32 vcc_lo, 0, v2
	s_and_b32 s7, vcc_lo, exec_lo
	s_delay_alu instid0(SALU_CYCLE_1)
	s_or_b32 s6, s6, s7
	s_mov_b32 s7, -1
	s_or_b32 s4, s4, exec_lo
	s_wait_xcnt 0x0
	s_and_saveexec_b32 s10, s6
	s_cbranch_execz .LBB6_31114
	s_branch .LBB6_31113
.LBB6_31117:                            ;   in Loop: Header=BB6_31115 Depth=1
	s_add_co_i32 s5, s5, 1
                                        ; implicit-def: $vgpr2
	s_mov_b32 s7, -1
	s_or_b32 s4, s4, exec_lo
	s_and_saveexec_b32 s10, s6
	s_cbranch_execz .LBB6_31114
	s_branch .LBB6_31113
.LBB6_31118:
	s_or_b32 exec_lo, exec_lo, s3
	s_and_saveexec_b32 s3, s0
	s_delay_alu instid0(SALU_CYCLE_1)
	s_xor_b32 s3, exec_lo, s3
	s_cbranch_execz .LBB6_31120
; %bb.31119:
	s_wait_loadcnt 0x0
	s_wait_storecnt 0x0
	ds_store_b32 v0, v2
	s_trap 2
.LBB6_31120:
	s_or_b32 exec_lo, exec_lo, s2
	v_and_b32_e32 v0, 0x2000, v22
	s_mov_b32 s0, exec_lo
	s_delay_alu instid0(VALU_DEP_1)
	v_cmpx_ne_u32_e32 0, v0
	s_cbranch_execz .LBB6_31122
; %bb.31121:
	s_trap 2
	scratch_load_b64 v[4:5], off, s33 offset:620 th:TH_LOAD_LU ; 8-byte Folded Reload
	ds_load_b64 v[2:3], v0
	s_wait_loadcnt_dscnt 0x0
	flat_store_b64 v[4:5], v[2:3] offset:16
.LBB6_31122:
	s_wait_xcnt 0x0
	s_or_b32 exec_lo, exec_lo, s0
	v_cmp_ne_u32_e32 vcc_lo, 32, v1
	s_and_b32 exec_lo, exec_lo, vcc_lo
	s_cbranch_execz .LBB6_31140
; %bb.31123:
	scratch_load_b32 v0, off, s33 offset:600 th:TH_LOAD_LU ; 4-byte Folded Reload
	s_mov_b32 s0, exec_lo
	s_wait_loadcnt 0x0
	v_cmpx_ne_u32_e64 v1, v0
	s_xor_b32 s0, exec_lo, s0
	s_cbranch_execz .LBB6_31138
; %bb.31124:
	v_and_b32_e32 v0, 31, v31
	s_mov_b32 s2, exec_lo
	s_delay_alu instid0(VALU_DEP_1)
	v_cmpx_eq_u32_e32 0, v0
	s_cbranch_execz .LBB6_31137
; %bb.31125:
	s_mov_b32 s4, exec_lo
	s_mov_b32 s3, exec_lo
	v_mbcnt_lo_u32_b32 v0, s4, 0
	global_wb scope:SCOPE_DEV
	s_wait_storecnt_dscnt 0x0
	global_inv scope:SCOPE_DEV
	v_cmpx_eq_u32_e32 0, v0
	s_cbranch_execz .LBB6_31127
; %bb.31126:
	s_bcnt1_i32_b32 s4, s4
	s_delay_alu instid0(SALU_CYCLE_1)
	v_dual_mov_b32 v3, 0 :: v_dual_mov_b32 v2, s4
	s_wait_loadcnt 0x0
	ds_add_u64 v0, v[2:3]
	s_trap 2
.LBB6_31127:
	s_or_b32 exec_lo, exec_lo, s3
	s_trap 2
	ds_load_b64 v[2:3], v0
	s_wait_dscnt 0x0
	scratch_load_b64 v[4:5], off, s33 offset:208 th:TH_LOAD_LU ; 8-byte Folded Reload
	v_dual_mov_b32 v1, 0 :: v_dual_lshrrev_b32 v0, 5, v1
	s_mov_b32 s3, exec_lo
	s_wait_loadcnt 0x0
	s_delay_alu instid0(VALU_DEP_1) | instskip(NEXT) | instid1(VALU_DEP_1)
	v_add_nc_u64_e32 v[0:1], v[4:5], v[0:1]
	v_cmpx_lt_u64_e64 v[2:3], v[0:1]
	s_cbranch_execz .LBB6_31136
; %bb.31128:
	s_mov_b32 s4, 0
	s_mov_b32 s7, 0
                                        ; implicit-def: $sgpr5
                                        ; implicit-def: $sgpr6
	s_branch .LBB6_31130
.LBB6_31129:                            ;   in Loop: Header=BB6_31130 Depth=1
	s_or_b32 exec_lo, exec_lo, s11
	s_delay_alu instid0(SALU_CYCLE_1) | instskip(NEXT) | instid1(SALU_CYCLE_1)
	s_and_b32 s10, exec_lo, s12
	s_or_b32 s4, s10, s4
	s_and_not1_b32 s5, s5, exec_lo
	s_and_b32 s10, s6, exec_lo
	s_delay_alu instid0(SALU_CYCLE_1)
	s_or_b32 s5, s5, s10
	s_and_not1_b32 exec_lo, exec_lo, s4
	s_cbranch_execz .LBB6_31134
.LBB6_31130:                            ; =>This Inner Loop Header: Depth=1
	s_add_co_i32 s7, s7, 1
	s_delay_alu instid0(SALU_CYCLE_1) | instskip(SKIP_1) | instid1(SALU_CYCLE_1)
	s_cmp_lg_u32 s7, 0x2710
	s_cselect_b32 s10, -1, 0
	s_and_b32 vcc_lo, exec_lo, s10
	s_cbranch_vccz .LBB6_31132
; %bb.31131:                            ;   in Loop: Header=BB6_31130 Depth=1
	s_mov_b32 s12, -1
	s_or_b32 s6, s6, exec_lo
	s_and_saveexec_b32 s11, s10
	s_cbranch_execz .LBB6_31129
	s_branch .LBB6_31133
.LBB6_31132:                            ;   in Loop: Header=BB6_31130 Depth=1
	s_trap 2
	ds_load_b64 v[2:3], v0
	s_and_not1_b32 s10, s10, exec_lo
	s_mov_b32 s7, 0
	s_wait_dscnt 0x0
	flat_load_b32 v2, v[2:3] scope:SCOPE_SYS
	s_wait_loadcnt_dscnt 0x0
	global_inv scope:SCOPE_SYS
	v_cmp_eq_u32_e32 vcc_lo, 0, v2
	s_and_b32 s11, vcc_lo, exec_lo
	s_delay_alu instid0(SALU_CYCLE_1)
	s_or_b32 s10, s10, s11
	s_mov_b32 s12, -1
	s_or_b32 s6, s6, exec_lo
	s_wait_xcnt 0x0
	s_and_saveexec_b32 s11, s10
	s_cbranch_execz .LBB6_31129
.LBB6_31133:                            ;   in Loop: Header=BB6_31130 Depth=1
	s_sleep 1
	s_trap 2
	ds_load_b64 v[2:3], v0
	s_wait_dscnt 0x0
	s_and_not1_b32 s6, s6, exec_lo
	v_cmp_ge_u64_e32 vcc_lo, v[2:3], v[0:1]
	s_or_not1_b32 s12, vcc_lo, exec_lo
	s_branch .LBB6_31129
.LBB6_31134:
	s_or_b32 exec_lo, exec_lo, s4
	s_and_saveexec_b32 s4, s5
	s_delay_alu instid0(SALU_CYCLE_1)
	s_xor_b32 s4, exec_lo, s4
	s_cbranch_execz .LBB6_31136
; %bb.31135:
	v_mov_b32_e32 v0, 1
	ds_store_b32 v0, v0
	s_trap 2
.LBB6_31136:
	s_or_b32 exec_lo, exec_lo, s3
	;;#ASMSTART
	s_wakeup
	;;#ASMEND
.LBB6_31137:
	s_or_b32 exec_lo, exec_lo, s2
.LBB6_31138:
	s_and_not1_saveexec_b32 s0, s0
	s_cbranch_execz .LBB6_31140
; %bb.31139:
	global_wb scope:SCOPE_DEV
	s_wait_storecnt 0x0
	s_wait_loadcnt_dscnt 0x0
	global_inv scope:SCOPE_DEV
	s_barrier_signal -1
	s_barrier_wait -1
.LBB6_31140:
	s_or_b32 exec_lo, exec_lo, s1
.LBB6_31141:
	s_and_not1_saveexec_b32 s21, s44
	s_cbranch_execz .LBB6_31143
; %bb.31142:
	s_get_pc_i64 s[0:1]
	s_add_nc_u64 s[0:1], s[0:1], __PRETTY_FUNCTION__._ZN10PrimitivesI14__hip_fp8_e5m213FuncPreMulSumIS0_E12FanSymmetricILi1EELi0E11ProtoSimpleILi2ELi2ELi0ELi4ELi0ELi0EELi0ELb0ELi0ELi0ELi0EEC2EiiPKiS9_PKvPvmhhhP15ncclDevWorkCollP14ncclDevWorkP2pii@rel64+4
	s_get_pc_i64 s[2:3]
	s_add_nc_u64 s[2:3], s[2:3], __assert_fail@rel64+4
	v_dual_mov_b32 v0, s0 :: v_dual_mov_b32 v1, s1
	s_swap_pc_i64 s[30:31], s[2:3]
	; divergent unreachable
.LBB6_31143:
	s_or_b32 exec_lo, exec_lo, s21
	s_clause 0x2e
	scratch_load_b32 v126, off, s33
	scratch_load_b32 v125, off, s33 offset:4
	scratch_load_b32 v124, off, s33 offset:8
	;; [unrolled: 1-line block ×46, first 2 shown]
	v_readlane_b32 s30, v127, 0
	v_readlane_b32 s31, v127, 1
	s_mov_b32 s32, s33
	s_wait_xcnt 0x0
	s_or_saveexec_b32 s0, -1
	scratch_load_b32 v127, off, s33 offset:628 ; 4-byte Folded Reload
	s_wait_xcnt 0x0
	s_mov_b32 exec_lo, s0
	s_mov_b32 s33, s90
	s_wait_loadcnt_dscnt 0x0
	s_set_pc_i64 s[30:31]
.Lfunc_end6:
	.size	_ZN12_GLOBAL__N_17runRingI14__hip_fp8_e5m213FuncPreMulSumIS1_E11ProtoSimpleILi2ELi2ELi0ELi4ELi0ELi0EELi0ELi0ELi4ELi0EEEviiP15ncclDevWorkColl, .Lfunc_end6-_ZN12_GLOBAL__N_17runRingI14__hip_fp8_e5m213FuncPreMulSumIS1_E11ProtoSimpleILi2ELi2ELi0ELi4ELi0ELi0EELi0ELi0ELi4ELi0EEEviiP15ncclDevWorkColl
                                        ; -- End function
	.set .L_ZN12_GLOBAL__N_17runRingI14__hip_fp8_e5m213FuncPreMulSumIS1_E11ProtoSimpleILi2ELi2ELi0ELi4ELi0ELi0EELi0ELi0ELi4ELi0EEEviiP15ncclDevWorkColl.num_vgpr, max(128, .L__assert_fail.num_vgpr)
	.set .L_ZN12_GLOBAL__N_17runRingI14__hip_fp8_e5m213FuncPreMulSumIS1_E11ProtoSimpleILi2ELi2ELi0ELi4ELi0ELi0EELi0ELi0ELi4ELi0EEEviiP15ncclDevWorkColl.num_agpr, max(0, .L__assert_fail.num_agpr)
	.set .L_ZN12_GLOBAL__N_17runRingI14__hip_fp8_e5m213FuncPreMulSumIS1_E11ProtoSimpleILi2ELi2ELi0ELi4ELi0ELi0EELi0ELi0ELi4ELi0EEEviiP15ncclDevWorkColl.numbered_sgpr, max(91, .L__assert_fail.numbered_sgpr)
	.set .L_ZN12_GLOBAL__N_17runRingI14__hip_fp8_e5m213FuncPreMulSumIS1_E11ProtoSimpleILi2ELi2ELi0ELi4ELi0ELi0EELi0ELi0ELi4ELi0EEEviiP15ncclDevWorkColl.num_named_barrier, max(0, .L__assert_fail.num_named_barrier)
	.set .L_ZN12_GLOBAL__N_17runRingI14__hip_fp8_e5m213FuncPreMulSumIS1_E11ProtoSimpleILi2ELi2ELi0ELi4ELi0ELi0EELi0ELi0ELi4ELi0EEEviiP15ncclDevWorkColl.private_seg_size, 640+max(.L__assert_fail.private_seg_size)
	.set .L_ZN12_GLOBAL__N_17runRingI14__hip_fp8_e5m213FuncPreMulSumIS1_E11ProtoSimpleILi2ELi2ELi0ELi4ELi0ELi0EELi0ELi0ELi4ELi0EEEviiP15ncclDevWorkColl.uses_vcc, or(1, .L__assert_fail.uses_vcc)
	.set .L_ZN12_GLOBAL__N_17runRingI14__hip_fp8_e5m213FuncPreMulSumIS1_E11ProtoSimpleILi2ELi2ELi0ELi4ELi0ELi0EELi0ELi0ELi4ELi0EEEviiP15ncclDevWorkColl.uses_flat_scratch, or(1, .L__assert_fail.uses_flat_scratch)
	.set .L_ZN12_GLOBAL__N_17runRingI14__hip_fp8_e5m213FuncPreMulSumIS1_E11ProtoSimpleILi2ELi2ELi0ELi4ELi0ELi0EELi0ELi0ELi4ELi0EEEviiP15ncclDevWorkColl.has_dyn_sized_stack, or(0, .L__assert_fail.has_dyn_sized_stack)
	.set .L_ZN12_GLOBAL__N_17runRingI14__hip_fp8_e5m213FuncPreMulSumIS1_E11ProtoSimpleILi2ELi2ELi0ELi4ELi0ELi0EELi0ELi0ELi4ELi0EEEviiP15ncclDevWorkColl.has_recursion, or(1, .L__assert_fail.has_recursion)
	.set .L_ZN12_GLOBAL__N_17runRingI14__hip_fp8_e5m213FuncPreMulSumIS1_E11ProtoSimpleILi2ELi2ELi0ELi4ELi0ELi0EELi0ELi0ELi4ELi0EEEviiP15ncclDevWorkColl.has_indirect_call, or(0, .L__assert_fail.has_indirect_call)
	.section	.AMDGPU.csdata,"",@progbits
; Function info:
; codeLenInByte = 920000
; TotalNumSgprs: 93
; NumVgprs: 128
; ScratchSize: 704
; MemoryBound: 1
	.text
	.p2align	2                               ; -- Begin function _Z56ncclDevFunc_AllReduce_RING_SIMPLE_PreMulSum_f8e5m2_0_0_4v
	.type	_Z56ncclDevFunc_AllReduce_RING_SIMPLE_PreMulSum_f8e5m2_0_0_4v,@function
_Z56ncclDevFunc_AllReduce_RING_SIMPLE_PreMulSum_f8e5m2_0_0_4v: ; @_Z56ncclDevFunc_AllReduce_RING_SIMPLE_PreMulSum_f8e5m2_0_0_4v
; %bb.0:
	s_wait_loadcnt_dscnt 0x0
	s_wait_kmcnt 0x0
	s_mov_b32 s0, s33
	s_mov_b32 s33, s32
	s_or_saveexec_b32 s1, -1
	scratch_store_b32 off, v42, s33 offset:12 ; 4-byte Folded Spill
	s_wait_xcnt 0x0
	s_mov_b32 exec_lo, s1
	v_writelane_b32 v42, s0, 3
	s_add_co_i32 s32, s32, 32
	s_clause 0x2
	scratch_store_b32 off, v40, s33 offset:8
	; meta instruction
	scratch_store_b32 off, v41, s33 offset:4
	; meta instruction
	scratch_store_b32 off, v127, s33
	v_writelane_b32 v42, s34, 0
	v_writelane_b32 v42, s30, 1
	;; [unrolled: 1-line block ×3, first 2 shown]
	s_trap 2
	ds_load_b32 v0, v0
	s_wait_xcnt 0x2
	v_mov_b32_e32 v40, v31
	s_mov_b32 s91, s12
	s_mov_b64 s[92:93], s[8:9]
	s_mov_b32 s2, exec_lo
	s_wait_xcnt 0x1
	v_and_b32_e32 v41, 0x3ff, v40
	s_wait_dscnt 0x0
	s_wait_xcnt 0x0
	s_delay_alu instid0(VALU_DEP_1)
	v_cmpx_lt_i32_e64 v41, v0
	s_cbranch_execz .LBB7_5
; %bb.1:
	s_load_b32 s0, s[92:93], 0x0
	s_bfe_u32 s1, ttmp6, 0x4000c
	s_and_b32 s3, ttmp6, 15
	s_add_co_i32 s1, s1, 1
	s_getreg_b32 s4, hwreg(HW_REG_IB_STS2, 6, 4)
	s_mul_i32 s1, ttmp9, s1
	v_mov_b32_e32 v2, v41
	s_add_co_i32 s3, s3, s1
	s_cmp_eq_u32 s4, 0
                                        ; implicit-def: $vgpr3
	s_cselect_b32 s1, ttmp9, s3
	s_mov_b32 s3, 0
	s_wait_kmcnt 0x0
	s_cmp_lt_u32 s1, s0
	s_mov_b32 s1, 0
	s_cselect_b32 s0, 12, 18
	s_delay_alu instid0(SALU_CYCLE_1)
	s_add_nc_u64 s[4:5], s[92:93], s[0:1]
	s_load_u16 s0, s[4:5], 0x0
	s_trap 2
	ds_load_b32 v1, v0
	s_wait_dscnt 0x0
	s_wait_kmcnt 0x0
	v_mul_lo_u32 v1, v1, s0
	s_branch .LBB7_3
.LBB7_2:                                ;   in Loop: Header=BB7_3 Depth=1
	s_or_b32 exec_lo, exec_lo, s4
	v_dual_add_nc_u32 v2, s0, v2 :: v_dual_add_nc_u32 v3, v3, v1
	s_delay_alu instid0(VALU_DEP_1) | instskip(SKIP_1) | instid1(SALU_CYCLE_1)
	v_cmp_ge_i32_e32 vcc_lo, v2, v0
	s_or_b32 s3, vcc_lo, s3
	s_and_not1_b32 exec_lo, exec_lo, s3
	s_cbranch_execz .LBB7_5
.LBB7_3:                                ; =>This Inner Loop Header: Depth=1
	ds_load_b32 v4, v3
	s_mov_b32 s4, exec_lo
	s_wait_dscnt 0x0
	v_and_b32_e32 v4, 0x1000000, v4
	s_delay_alu instid0(VALU_DEP_1)
	v_cmpx_ne_u32_e32 0, v4
	s_cbranch_execz .LBB7_2
; %bb.4:                                ;   in Loop: Header=BB7_3 Depth=1
	ds_load_b64 v[4:5], v3 offset:104
	s_wait_dscnt 0x0
	flat_load_u8 v4, v[4:5]
	s_wait_xcnt 0x0
	v_mov_b32_e32 v5, s1
	s_wait_loadcnt_dscnt 0x0
	v_and_b32_e32 v4, 0xffff, v4
	ds_store_b64 v3, v[4:5] offset:104
	s_branch .LBB7_2
.LBB7_5:
	s_or_b32 exec_lo, exec_lo, s2
	s_wait_storecnt_dscnt 0x0
	s_barrier_signal -1
	s_barrier_wait -1
	s_trap 2
	ds_load_b32 v0, v0
	s_wait_dscnt 0x0
	v_cmp_gt_i32_e32 vcc_lo, 1, v0
	s_cbranch_vccnz .LBB7_13
; %bb.6:
	s_mov_b32 vcc_hi, 0
	s_get_pc_i64 s[94:95]
	s_add_nc_u64 s[94:95], s[94:95], _ZN12_GLOBAL__N_17runRingI14__hip_fp8_e5m213FuncPreMulSumIS1_E11ProtoSimpleILi2ELi2ELi0ELi4ELi0ELi0EELi0ELi0ELi4ELi0EEEviiP15ncclDevWorkColl@rel64+4
	s_branch .LBB7_8
.LBB7_7:                                ;   in Loop: Header=BB7_8 Depth=1
	s_or_b32 exec_lo, exec_lo, s34
	s_trap 2
	ds_load_b32 v0, v0
	s_add_co_i32 vcc_hi, vcc_hi, 1
	s_wait_dscnt 0x0
	v_cmp_lt_i32_e32 vcc_lo, vcc_hi, v0
	s_cbranch_vccz .LBB7_13
.LBB7_8:                                ; =>This Inner Loop Header: Depth=1
	s_trap 2
	ds_load_b32 v0, v0
	s_cmp_eq_u32 vcc_hi, 0
	s_cbranch_scc1 .LBB7_11
; %bb.9:                                ;   in Loop: Header=BB7_8 Depth=1
	s_trap 2
	s_wait_dscnt 0x0
	ds_load_b32 v1, v0
	s_wait_dscnt 0x0
	v_xor_b32_e32 v1, v1, v0
	s_delay_alu instid0(VALU_DEP_1) | instskip(NEXT) | instid1(VALU_DEP_1)
	v_and_b32_e32 v1, 0xff0000, v1
	v_cmp_eq_u32_e32 vcc_lo, 0, v1
	s_cbranch_vccnz .LBB7_11
; %bb.10:                               ;   in Loop: Header=BB7_8 Depth=1
	s_barrier_signal -1
	s_barrier_wait -1
	ds_load_b32 v0, v0
.LBB7_11:                               ;   in Loop: Header=BB7_8 Depth=1
	s_wait_dscnt 0x0
	v_lshrrev_b32_e32 v0, 11, v0
	s_mov_b32 s34, exec_lo
	s_delay_alu instid0(VALU_DEP_1) | instskip(NEXT) | instid1(VALU_DEP_1)
	v_and_b32_e32 v1, 0x1fe0, v0
	v_cmpx_lt_u32_e64 v41, v1
	s_cbranch_execz .LBB7_7
; %bb.12:                               ;   in Loop: Header=BB7_8 Depth=1
	s_mov_b64 s[0:1], src_shared_base
	v_dual_mov_b32 v31, v40 :: v_dual_mov_b32 v0, v41
	v_mov_b32_e32 v3, s1
	s_mov_b64 s[8:9], s[92:93]
	s_mov_b32 s12, s91
	s_swap_pc_i64 s[30:31], s[94:95]
	s_branch .LBB7_7
.LBB7_13:
	s_clause 0x2
	scratch_load_b32 v127, off, s33
	scratch_load_b32 v41, off, s33 offset:4
	scratch_load_b32 v40, off, s33 offset:8
	v_readlane_b32 s30, v42, 1
	v_readlane_b32 s31, v42, 2
	;; [unrolled: 1-line block ×3, first 2 shown]
	s_mov_b32 s32, s33
	v_readlane_b32 s0, v42, 3
	s_wait_xcnt 0x0
	s_or_saveexec_b32 s1, -1
	scratch_load_b32 v42, off, s33 offset:12 ; 4-byte Folded Reload
	s_wait_xcnt 0x0
	s_mov_b32 exec_lo, s1
	s_mov_b32 s33, s0
	s_wait_loadcnt 0x0
	s_set_pc_i64 s[30:31]
.Lfunc_end7:
	.size	_Z56ncclDevFunc_AllReduce_RING_SIMPLE_PreMulSum_f8e5m2_0_0_4v, .Lfunc_end7-_Z56ncclDevFunc_AllReduce_RING_SIMPLE_PreMulSum_f8e5m2_0_0_4v
                                        ; -- End function
	.set .L_Z56ncclDevFunc_AllReduce_RING_SIMPLE_PreMulSum_f8e5m2_0_0_4v.num_vgpr, max(128, .L_ZN12_GLOBAL__N_17runRingI14__hip_fp8_e5m213FuncPreMulSumIS1_E11ProtoSimpleILi2ELi2ELi0ELi4ELi0ELi0EELi0ELi0ELi4ELi0EEEviiP15ncclDevWorkColl.num_vgpr)
	.set .L_Z56ncclDevFunc_AllReduce_RING_SIMPLE_PreMulSum_f8e5m2_0_0_4v.num_agpr, max(0, .L_ZN12_GLOBAL__N_17runRingI14__hip_fp8_e5m213FuncPreMulSumIS1_E11ProtoSimpleILi2ELi2ELi0ELi4ELi0ELi0EELi0ELi0ELi4ELi0EEEviiP15ncclDevWorkColl.num_agpr)
	.set .L_Z56ncclDevFunc_AllReduce_RING_SIMPLE_PreMulSum_f8e5m2_0_0_4v.numbered_sgpr, max(96, .L_ZN12_GLOBAL__N_17runRingI14__hip_fp8_e5m213FuncPreMulSumIS1_E11ProtoSimpleILi2ELi2ELi0ELi4ELi0ELi0EELi0ELi0ELi4ELi0EEEviiP15ncclDevWorkColl.numbered_sgpr)
	.set .L_Z56ncclDevFunc_AllReduce_RING_SIMPLE_PreMulSum_f8e5m2_0_0_4v.num_named_barrier, max(0, .L_ZN12_GLOBAL__N_17runRingI14__hip_fp8_e5m213FuncPreMulSumIS1_E11ProtoSimpleILi2ELi2ELi0ELi4ELi0ELi0EELi0ELi0ELi4ELi0EEEviiP15ncclDevWorkColl.num_named_barrier)
	.set .L_Z56ncclDevFunc_AllReduce_RING_SIMPLE_PreMulSum_f8e5m2_0_0_4v.private_seg_size, 32+max(.L_ZN12_GLOBAL__N_17runRingI14__hip_fp8_e5m213FuncPreMulSumIS1_E11ProtoSimpleILi2ELi2ELi0ELi4ELi0ELi0EELi0ELi0ELi4ELi0EEEviiP15ncclDevWorkColl.private_seg_size)
	.set .L_Z56ncclDevFunc_AllReduce_RING_SIMPLE_PreMulSum_f8e5m2_0_0_4v.uses_vcc, or(1, .L_ZN12_GLOBAL__N_17runRingI14__hip_fp8_e5m213FuncPreMulSumIS1_E11ProtoSimpleILi2ELi2ELi0ELi4ELi0ELi0EELi0ELi0ELi4ELi0EEEviiP15ncclDevWorkColl.uses_vcc)
	.set .L_Z56ncclDevFunc_AllReduce_RING_SIMPLE_PreMulSum_f8e5m2_0_0_4v.uses_flat_scratch, or(1, .L_ZN12_GLOBAL__N_17runRingI14__hip_fp8_e5m213FuncPreMulSumIS1_E11ProtoSimpleILi2ELi2ELi0ELi4ELi0ELi0EELi0ELi0ELi4ELi0EEEviiP15ncclDevWorkColl.uses_flat_scratch)
	.set .L_Z56ncclDevFunc_AllReduce_RING_SIMPLE_PreMulSum_f8e5m2_0_0_4v.has_dyn_sized_stack, or(0, .L_ZN12_GLOBAL__N_17runRingI14__hip_fp8_e5m213FuncPreMulSumIS1_E11ProtoSimpleILi2ELi2ELi0ELi4ELi0ELi0EELi0ELi0ELi4ELi0EEEviiP15ncclDevWorkColl.has_dyn_sized_stack)
	.set .L_Z56ncclDevFunc_AllReduce_RING_SIMPLE_PreMulSum_f8e5m2_0_0_4v.has_recursion, or(1, .L_ZN12_GLOBAL__N_17runRingI14__hip_fp8_e5m213FuncPreMulSumIS1_E11ProtoSimpleILi2ELi2ELi0ELi4ELi0ELi0EELi0ELi0ELi4ELi0EEEviiP15ncclDevWorkColl.has_recursion)
	.set .L_Z56ncclDevFunc_AllReduce_RING_SIMPLE_PreMulSum_f8e5m2_0_0_4v.has_indirect_call, or(0, .L_ZN12_GLOBAL__N_17runRingI14__hip_fp8_e5m213FuncPreMulSumIS1_E11ProtoSimpleILi2ELi2ELi0ELi4ELi0ELi0EELi0ELi0ELi4ELi0EEEviiP15ncclDevWorkColl.has_indirect_call)
	.section	.AMDGPU.csdata,"",@progbits
; Function info:
; codeLenInByte = 788
; TotalNumSgprs: 98
; NumVgprs: 128
; ScratchSize: 736
; MemoryBound: 0
	.text
	.p2alignl 7, 3214868480
	.fill 96, 4, 3214868480
	.section	.AMDGPU.gpr_maximums,"",@progbits
	.set amdgpu.max_num_vgpr, 128
	.set amdgpu.max_num_agpr, 0
	.set amdgpu.max_num_sgpr, 96
	.text
	.type	__const.__assert_fail.fmt,@object ; @__const.__assert_fail.fmt
	.section	.rodata.str1.16,"aMS",@progbits,1
	.p2align	4, 0x0
__const.__assert_fail.fmt:
	.asciz	"%s:%u: %s: Device-side assertion `%s' failed.\n"
	.size	__const.__assert_fail.fmt, 47

	.type	.str.3,@object                  ; @.str.3
	.section	.rodata.str1.1,"aMS",@progbits,1
.str.3:
	.asciz	"2*(nrecv+nsend) <= nthreads"
	.size	.str.3, 28

	.type	.str.4,@object                  ; @.str.4
.str.4:
	.asciz	"/root/src/amdgpu-assembly/repos/ROCm__rccl/hipify/src/device/prims_simple.h"
	.size	.str.4, 76

	.type	__PRETTY_FUNCTION__._ZN10PrimitivesI14__hip_fp8_e5m213FuncPreMulSumIS0_E12FanSymmetricILi1EELi0E11ProtoSimpleILi2ELi2ELi0ELi1ELi0ELi0EELi0ELb0ELi0ELi0ELi0EEC2EiiPKiS9_PKvPvmhhhP15ncclDevWorkCollP14ncclDevWorkP2pii,@object ; @__PRETTY_FUNCTION__._ZN10PrimitivesI14__hip_fp8_e5m213FuncPreMulSumIS0_E12FanSymmetricILi1EELi0E11ProtoSimpleILi2ELi2ELi0ELi1ELi0ELi0EELi0ELb0ELi0ELi0ELi0EEC2EiiPKiS9_PKvPvmhhhP15ncclDevWorkCollP14ncclDevWorkP2pii
__PRETTY_FUNCTION__._ZN10PrimitivesI14__hip_fp8_e5m213FuncPreMulSumIS0_E12FanSymmetricILi1EELi0E11ProtoSimpleILi2ELi2ELi0ELi1ELi0ELi0EELi0ELb0ELi0ELi0ELi0EEC2EiiPKiS9_PKvPvmhhhP15ncclDevWorkCollP14ncclDevWorkP2pii:
	.asciz	"Primitives<__hip_fp8_e5m2, FuncPreMulSum<rccl_bfloat8>, FanSymmetric<1>, 0, ProtoSimple<2, 2, 0, 1>, 0>::Primitives(int, int, const int *, const int *, const void *, void *, uint64_t, uint8_t, uint8_t, uint8_t, struct ncclDevWorkColl *, struct ncclDevWorkP2p *, int, int) [T = __hip_fp8_e5m2, RedOp = FuncPreMulSum<rccl_bfloat8>, Fan = FanSymmetric<1>, Direct = 0, Proto = ProtoSimple<2, 2, 0, 1>, P2p = 0, isNetOffload = false, Metadata = 0, Pipeline = 0, useAcc = 0]"
	.size	__PRETTY_FUNCTION__._ZN10PrimitivesI14__hip_fp8_e5m213FuncPreMulSumIS0_E12FanSymmetricILi1EELi0E11ProtoSimpleILi2ELi2ELi0ELi1ELi0ELi0EELi0ELb0ELi0ELi0ELi0EEC2EiiPKiS9_PKvPvmhhhP15ncclDevWorkCollP14ncclDevWorkP2pii, 469

	.type	__PRETTY_FUNCTION__._ZN10PrimitivesI14__hip_fp8_e5m213FuncPreMulSumIS0_E12FanSymmetricILi1EELi0E11ProtoSimpleILi2ELi2ELi0ELi2ELi0ELi0EELi0ELb0ELi0ELi0ELi0EEC2EiiPKiS9_PKvPvmhhhP15ncclDevWorkCollP14ncclDevWorkP2pii,@object ; @__PRETTY_FUNCTION__._ZN10PrimitivesI14__hip_fp8_e5m213FuncPreMulSumIS0_E12FanSymmetricILi1EELi0E11ProtoSimpleILi2ELi2ELi0ELi2ELi0ELi0EELi0ELb0ELi0ELi0ELi0EEC2EiiPKiS9_PKvPvmhhhP15ncclDevWorkCollP14ncclDevWorkP2pii
__PRETTY_FUNCTION__._ZN10PrimitivesI14__hip_fp8_e5m213FuncPreMulSumIS0_E12FanSymmetricILi1EELi0E11ProtoSimpleILi2ELi2ELi0ELi2ELi0ELi0EELi0ELb0ELi0ELi0ELi0EEC2EiiPKiS9_PKvPvmhhhP15ncclDevWorkCollP14ncclDevWorkP2pii:
	.asciz	"Primitives<__hip_fp8_e5m2, FuncPreMulSum<rccl_bfloat8>, FanSymmetric<1>, 0, ProtoSimple<2, 2, 0, 2>, 0>::Primitives(int, int, const int *, const int *, const void *, void *, uint64_t, uint8_t, uint8_t, uint8_t, struct ncclDevWorkColl *, struct ncclDevWorkP2p *, int, int) [T = __hip_fp8_e5m2, RedOp = FuncPreMulSum<rccl_bfloat8>, Fan = FanSymmetric<1>, Direct = 0, Proto = ProtoSimple<2, 2, 0, 2>, P2p = 0, isNetOffload = false, Metadata = 0, Pipeline = 0, useAcc = 0]"
	.size	__PRETTY_FUNCTION__._ZN10PrimitivesI14__hip_fp8_e5m213FuncPreMulSumIS0_E12FanSymmetricILi1EELi0E11ProtoSimpleILi2ELi2ELi0ELi2ELi0ELi0EELi0ELb0ELi0ELi0ELi0EEC2EiiPKiS9_PKvPvmhhhP15ncclDevWorkCollP14ncclDevWorkP2pii, 469

	.type	__PRETTY_FUNCTION__._ZN10PrimitivesI14__hip_fp8_e5m213FuncPreMulSumIS0_E12FanSymmetricILi1EELi0E11ProtoSimpleILi2ELi2ELi0ELi4ELi0ELi0EELi0ELb0ELi0ELi0ELi0EEC2EiiPKiS9_PKvPvmhhhP15ncclDevWorkCollP14ncclDevWorkP2pii,@object ; @__PRETTY_FUNCTION__._ZN10PrimitivesI14__hip_fp8_e5m213FuncPreMulSumIS0_E12FanSymmetricILi1EELi0E11ProtoSimpleILi2ELi2ELi0ELi4ELi0ELi0EELi0ELb0ELi0ELi0ELi0EEC2EiiPKiS9_PKvPvmhhhP15ncclDevWorkCollP14ncclDevWorkP2pii
__PRETTY_FUNCTION__._ZN10PrimitivesI14__hip_fp8_e5m213FuncPreMulSumIS0_E12FanSymmetricILi1EELi0E11ProtoSimpleILi2ELi2ELi0ELi4ELi0ELi0EELi0ELb0ELi0ELi0ELi0EEC2EiiPKiS9_PKvPvmhhhP15ncclDevWorkCollP14ncclDevWorkP2pii:
	.asciz	"Primitives<__hip_fp8_e5m2, FuncPreMulSum<rccl_bfloat8>, FanSymmetric<1>, 0, ProtoSimple<2, 2, 0, 4>, 0>::Primitives(int, int, const int *, const int *, const void *, void *, uint64_t, uint8_t, uint8_t, uint8_t, struct ncclDevWorkColl *, struct ncclDevWorkP2p *, int, int) [T = __hip_fp8_e5m2, RedOp = FuncPreMulSum<rccl_bfloat8>, Fan = FanSymmetric<1>, Direct = 0, Proto = ProtoSimple<2, 2, 0, 4>, P2p = 0, isNetOffload = false, Metadata = 0, Pipeline = 0, useAcc = 0]"
	.size	__PRETTY_FUNCTION__._ZN10PrimitivesI14__hip_fp8_e5m213FuncPreMulSumIS0_E12FanSymmetricILi1EELi0E11ProtoSimpleILi2ELi2ELi0ELi4ELi0ELi0EELi0ELb0ELi0ELi0ELi0EEC2EiiPKiS9_PKvPvmhhhP15ncclDevWorkCollP14ncclDevWorkP2pii, 469

	.type	__hip_cuid_dc072c32336fb08e,@object ; @__hip_cuid_dc072c32336fb08e
	.section	.bss,"aw",@nobits
	.globl	__hip_cuid_dc072c32336fb08e
__hip_cuid_dc072c32336fb08e:
	.byte	0                               ; 0x0
	.size	__hip_cuid_dc072c32336fb08e, 1

	.ident	"AMD clang version 22.0.0git (https://github.com/RadeonOpenCompute/llvm-project roc-7.2.4 26084 f58b06dce1f9c15707c5f808fd002e18c2accf7e)"
	.section	".note.GNU-stack","",@progbits
	.addrsig
	.addrsig_sym _Z56ncclDevFunc_AllReduce_RING_SIMPLE_PreMulSum_f8e5m2_0_0_1v
	.addrsig_sym _Z56ncclDevFunc_AllReduce_RING_SIMPLE_PreMulSum_f8e5m2_0_0_2v
	.addrsig_sym _Z56ncclDevFunc_AllReduce_RING_SIMPLE_PreMulSum_f8e5m2_0_0_4v
	.addrsig_sym ncclShmem
	.addrsig_sym __hip_cuid_dc072c32336fb08e
	.amdgpu_metadata
---
amdhsa.kernels:  []
amdhsa.target:   amdgcn-amd-amdhsa--gfx1250
amdhsa.version:
  - 1
  - 2
...

	.end_amdgpu_metadata
